;; amdgpu-corpus repo=vllm-project/vllm kind=compiled arch=gfx1100 opt=O3
	.text
	.amdgcn_target "amdgcn-amd-amdhsa--gfx1100"
	.amdhsa_code_object_version 6
	.section	.text._ZL16dequantize_blockILi32ELi2EXadL_ZL15dequantize_q4_0PKviiR7__half2EEfEvS1_PT2_l,"axG",@progbits,_ZL16dequantize_blockILi32ELi2EXadL_ZL15dequantize_q4_0PKviiR7__half2EEfEvS1_PT2_l,comdat
	.globl	_ZL16dequantize_blockILi32ELi2EXadL_ZL15dequantize_q4_0PKviiR7__half2EEfEvS1_PT2_l ; -- Begin function _ZL16dequantize_blockILi32ELi2EXadL_ZL15dequantize_q4_0PKviiR7__half2EEfEvS1_PT2_l
	.p2align	8
	.type	_ZL16dequantize_blockILi32ELi2EXadL_ZL15dequantize_q4_0PKviiR7__half2EEfEvS1_PT2_l,@function
_ZL16dequantize_blockILi32ELi2EXadL_ZL15dequantize_q4_0PKviiR7__half2EEfEvS1_PT2_l: ; @_ZL16dequantize_blockILi32ELi2EXadL_ZL15dequantize_q4_0PKviiR7__half2EEfEvS1_PT2_l
; %bb.0:
	s_clause 0x1
	s_load_b32 s4, s[0:1], 0x24
	s_load_b64 s[2:3], s[0:1], 0x10
	v_mov_b32_e32 v1, 0
	s_waitcnt lgkmcnt(0)
	s_and_b32 s4, s4, 0xffff
	s_delay_alu instid0(VALU_DEP_1) | instid1(SALU_CYCLE_1)
	v_mad_u64_u32 v[2:3], null, s4, s15, v[0:1]
	s_delay_alu instid0(VALU_DEP_1) | instskip(NEXT) | instid1(VALU_DEP_1)
	v_lshlrev_b64 v[0:1], 1, v[2:3]
	v_cmp_gt_i64_e32 vcc_lo, s[2:3], v[0:1]
	s_and_saveexec_b32 s2, vcc_lo
	s_cbranch_execz .LBB0_2
; %bb.1:
	s_load_b128 s[0:3], s[0:1], 0x0
	v_alignbit_b32 v1, v3, v2, 4
	v_and_b32_e32 v5, 15, v2
	s_delay_alu instid0(VALU_DEP_1) | instskip(SKIP_1) | instid1(VALU_DEP_3)
	v_and_or_b32 v0, 0xffffffe0, v0, v5
	s_waitcnt lgkmcnt(0)
	v_mad_i64_i32 v[3:4], null, v1, 18, s[0:1]
	s_delay_alu instid0(VALU_DEP_1) | instskip(NEXT) | instid1(VALU_DEP_2)
	v_add_co_u32 v1, vcc_lo, v3, v5
	v_add_co_ci_u32_e32 v2, vcc_lo, 0, v4, vcc_lo
	s_clause 0x1
	global_load_u8 v1, v[1:2], off offset:2
	global_load_u16 v2, v[3:4], off
	s_waitcnt vmcnt(1)
	v_and_b32_e32 v3, 15, v1
	v_lshrrev_b32_e32 v1, 4, v1
	s_delay_alu instid0(VALU_DEP_2) | instskip(NEXT) | instid1(VALU_DEP_2)
	v_cvt_f32_ubyte0_e32 v3, v3
	v_cvt_f32_ubyte0_e32 v1, v1
	s_delay_alu instid0(VALU_DEP_2) | instskip(NEXT) | instid1(VALU_DEP_2)
	v_cvt_f16_f32_e32 v3, v3
	v_cvt_f16_f32_e32 v1, v1
	s_delay_alu instid0(VALU_DEP_1) | instskip(NEXT) | instid1(VALU_DEP_1)
	v_pack_b32_f16 v1, v3, v1
	v_pk_add_f16 v3, 0xc800, v1 op_sel_hi:[0,1]
	v_ashrrev_i32_e32 v1, 31, v0
	s_waitcnt vmcnt(0)
	s_delay_alu instid0(VALU_DEP_2) | instskip(NEXT) | instid1(VALU_DEP_2)
	v_pk_mul_f16 v2, v2, v3 op_sel_hi:[0,1]
	v_lshlrev_b64 v[0:1], 2, v[0:1]
	s_delay_alu instid0(VALU_DEP_2) | instskip(SKIP_1) | instid1(VALU_DEP_3)
	v_cvt_f32_f16_e32 v3, v2
	v_lshrrev_b32_e32 v2, 16, v2
	v_add_co_u32 v0, vcc_lo, s2, v0
	s_delay_alu instid0(VALU_DEP_4) | instskip(NEXT) | instid1(VALU_DEP_3)
	v_add_co_ci_u32_e32 v1, vcc_lo, s3, v1, vcc_lo
	v_cvt_f32_f16_e32 v2, v2
	s_clause 0x1
	global_store_b32 v[0:1], v3, off
	global_store_b32 v[0:1], v2, off offset:64
.LBB0_2:
	s_nop 0
	s_sendmsg sendmsg(MSG_DEALLOC_VGPRS)
	s_endpgm
	.section	.rodata,"a",@progbits
	.p2align	6, 0x0
	.amdhsa_kernel _ZL16dequantize_blockILi32ELi2EXadL_ZL15dequantize_q4_0PKviiR7__half2EEfEvS1_PT2_l
		.amdhsa_group_segment_fixed_size 0
		.amdhsa_private_segment_fixed_size 0
		.amdhsa_kernarg_size 280
		.amdhsa_user_sgpr_count 15
		.amdhsa_user_sgpr_dispatch_ptr 0
		.amdhsa_user_sgpr_queue_ptr 0
		.amdhsa_user_sgpr_kernarg_segment_ptr 1
		.amdhsa_user_sgpr_dispatch_id 0
		.amdhsa_user_sgpr_private_segment_size 0
		.amdhsa_wavefront_size32 1
		.amdhsa_uses_dynamic_stack 0
		.amdhsa_enable_private_segment 0
		.amdhsa_system_sgpr_workgroup_id_x 1
		.amdhsa_system_sgpr_workgroup_id_y 0
		.amdhsa_system_sgpr_workgroup_id_z 0
		.amdhsa_system_sgpr_workgroup_info 0
		.amdhsa_system_vgpr_workitem_id 0
		.amdhsa_next_free_vgpr 6
		.amdhsa_next_free_sgpr 16
		.amdhsa_reserve_vcc 1
		.amdhsa_float_round_mode_32 0
		.amdhsa_float_round_mode_16_64 0
		.amdhsa_float_denorm_mode_32 3
		.amdhsa_float_denorm_mode_16_64 3
		.amdhsa_dx10_clamp 1
		.amdhsa_ieee_mode 1
		.amdhsa_fp16_overflow 0
		.amdhsa_workgroup_processor_mode 1
		.amdhsa_memory_ordered 1
		.amdhsa_forward_progress 0
		.amdhsa_shared_vgpr_count 0
		.amdhsa_exception_fp_ieee_invalid_op 0
		.amdhsa_exception_fp_denorm_src 0
		.amdhsa_exception_fp_ieee_div_zero 0
		.amdhsa_exception_fp_ieee_overflow 0
		.amdhsa_exception_fp_ieee_underflow 0
		.amdhsa_exception_fp_ieee_inexact 0
		.amdhsa_exception_int_div_zero 0
	.end_amdhsa_kernel
	.section	.text._ZL16dequantize_blockILi32ELi2EXadL_ZL15dequantize_q4_0PKviiR7__half2EEfEvS1_PT2_l,"axG",@progbits,_ZL16dequantize_blockILi32ELi2EXadL_ZL15dequantize_q4_0PKviiR7__half2EEfEvS1_PT2_l,comdat
.Lfunc_end0:
	.size	_ZL16dequantize_blockILi32ELi2EXadL_ZL15dequantize_q4_0PKviiR7__half2EEfEvS1_PT2_l, .Lfunc_end0-_ZL16dequantize_blockILi32ELi2EXadL_ZL15dequantize_q4_0PKviiR7__half2EEfEvS1_PT2_l
                                        ; -- End function
	.section	.AMDGPU.csdata,"",@progbits
; Kernel info:
; codeLenInByte = 308
; NumSgprs: 18
; NumVgprs: 6
; ScratchSize: 0
; MemoryBound: 0
; FloatMode: 240
; IeeeMode: 1
; LDSByteSize: 0 bytes/workgroup (compile time only)
; SGPRBlocks: 2
; VGPRBlocks: 0
; NumSGPRsForWavesPerEU: 18
; NumVGPRsForWavesPerEU: 6
; Occupancy: 16
; WaveLimiterHint : 0
; COMPUTE_PGM_RSRC2:SCRATCH_EN: 0
; COMPUTE_PGM_RSRC2:USER_SGPR: 15
; COMPUTE_PGM_RSRC2:TRAP_HANDLER: 0
; COMPUTE_PGM_RSRC2:TGID_X_EN: 1
; COMPUTE_PGM_RSRC2:TGID_Y_EN: 0
; COMPUTE_PGM_RSRC2:TGID_Z_EN: 0
; COMPUTE_PGM_RSRC2:TIDIG_COMP_CNT: 0
	.section	.text._ZL16dequantize_blockILi32ELi2EXadL_ZL15dequantize_q4_1PKviiR7__half2EEfEvS1_PT2_l,"axG",@progbits,_ZL16dequantize_blockILi32ELi2EXadL_ZL15dequantize_q4_1PKviiR7__half2EEfEvS1_PT2_l,comdat
	.globl	_ZL16dequantize_blockILi32ELi2EXadL_ZL15dequantize_q4_1PKviiR7__half2EEfEvS1_PT2_l ; -- Begin function _ZL16dequantize_blockILi32ELi2EXadL_ZL15dequantize_q4_1PKviiR7__half2EEfEvS1_PT2_l
	.p2align	8
	.type	_ZL16dequantize_blockILi32ELi2EXadL_ZL15dequantize_q4_1PKviiR7__half2EEfEvS1_PT2_l,@function
_ZL16dequantize_blockILi32ELi2EXadL_ZL15dequantize_q4_1PKviiR7__half2EEfEvS1_PT2_l: ; @_ZL16dequantize_blockILi32ELi2EXadL_ZL15dequantize_q4_1PKviiR7__half2EEfEvS1_PT2_l
; %bb.0:
	s_clause 0x1
	s_load_b32 s4, s[0:1], 0x24
	s_load_b64 s[2:3], s[0:1], 0x10
	v_mov_b32_e32 v1, 0
	s_waitcnt lgkmcnt(0)
	s_and_b32 s4, s4, 0xffff
	s_delay_alu instid0(VALU_DEP_1) | instid1(SALU_CYCLE_1)
	v_mad_u64_u32 v[2:3], null, s4, s15, v[0:1]
	s_delay_alu instid0(VALU_DEP_1) | instskip(NEXT) | instid1(VALU_DEP_1)
	v_lshlrev_b64 v[0:1], 1, v[2:3]
	v_cmp_gt_i64_e32 vcc_lo, s[2:3], v[0:1]
	s_and_saveexec_b32 s2, vcc_lo
	s_cbranch_execz .LBB1_2
; %bb.1:
	s_load_b128 s[0:3], s[0:1], 0x0
	v_alignbit_b32 v1, v3, v2, 4
	v_and_b32_e32 v5, 15, v2
	s_delay_alu instid0(VALU_DEP_1) | instskip(SKIP_1) | instid1(VALU_DEP_3)
	v_and_or_b32 v0, 0xffffffe0, v0, v5
	s_waitcnt lgkmcnt(0)
	v_mad_i64_i32 v[3:4], null, v1, 20, s[0:1]
	s_delay_alu instid0(VALU_DEP_1) | instskip(NEXT) | instid1(VALU_DEP_2)
	v_add_co_u32 v1, vcc_lo, v3, v5
	v_add_co_ci_u32_e32 v2, vcc_lo, 0, v4, vcc_lo
	s_clause 0x1
	global_load_u8 v1, v[1:2], off offset:4
	global_load_b32 v2, v[3:4], off
	s_waitcnt vmcnt(1)
	v_and_b32_e32 v3, 15, v1
	v_lshrrev_b32_e32 v1, 4, v1
	s_delay_alu instid0(VALU_DEP_2) | instskip(NEXT) | instid1(VALU_DEP_2)
	v_cvt_f32_ubyte0_e32 v3, v3
	v_cvt_f32_ubyte0_e32 v1, v1
	s_delay_alu instid0(VALU_DEP_2) | instskip(NEXT) | instid1(VALU_DEP_2)
	v_cvt_f16_f32_e32 v3, v3
	v_cvt_f16_f32_e32 v1, v1
	s_delay_alu instid0(VALU_DEP_1) | instskip(SKIP_2) | instid1(VALU_DEP_2)
	v_pack_b32_f16 v3, v3, v1
	v_ashrrev_i32_e32 v1, 31, v0
	s_waitcnt vmcnt(0)
	v_pk_fma_f16 v2, v2, v3, v2 op_sel:[0,0,1] op_sel_hi:[0,1,1]
	s_delay_alu instid0(VALU_DEP_2) | instskip(NEXT) | instid1(VALU_DEP_2)
	v_lshlrev_b64 v[0:1], 2, v[0:1]
	v_cvt_f32_f16_e32 v3, v2
	v_lshrrev_b32_e32 v2, 16, v2
	s_delay_alu instid0(VALU_DEP_3) | instskip(NEXT) | instid1(VALU_DEP_4)
	v_add_co_u32 v0, vcc_lo, s2, v0
	v_add_co_ci_u32_e32 v1, vcc_lo, s3, v1, vcc_lo
	s_delay_alu instid0(VALU_DEP_3)
	v_cvt_f32_f16_e32 v2, v2
	s_clause 0x1
	global_store_b32 v[0:1], v3, off
	global_store_b32 v[0:1], v2, off offset:64
.LBB1_2:
	s_nop 0
	s_sendmsg sendmsg(MSG_DEALLOC_VGPRS)
	s_endpgm
	.section	.rodata,"a",@progbits
	.p2align	6, 0x0
	.amdhsa_kernel _ZL16dequantize_blockILi32ELi2EXadL_ZL15dequantize_q4_1PKviiR7__half2EEfEvS1_PT2_l
		.amdhsa_group_segment_fixed_size 0
		.amdhsa_private_segment_fixed_size 0
		.amdhsa_kernarg_size 280
		.amdhsa_user_sgpr_count 15
		.amdhsa_user_sgpr_dispatch_ptr 0
		.amdhsa_user_sgpr_queue_ptr 0
		.amdhsa_user_sgpr_kernarg_segment_ptr 1
		.amdhsa_user_sgpr_dispatch_id 0
		.amdhsa_user_sgpr_private_segment_size 0
		.amdhsa_wavefront_size32 1
		.amdhsa_uses_dynamic_stack 0
		.amdhsa_enable_private_segment 0
		.amdhsa_system_sgpr_workgroup_id_x 1
		.amdhsa_system_sgpr_workgroup_id_y 0
		.amdhsa_system_sgpr_workgroup_id_z 0
		.amdhsa_system_sgpr_workgroup_info 0
		.amdhsa_system_vgpr_workitem_id 0
		.amdhsa_next_free_vgpr 6
		.amdhsa_next_free_sgpr 16
		.amdhsa_reserve_vcc 1
		.amdhsa_float_round_mode_32 0
		.amdhsa_float_round_mode_16_64 0
		.amdhsa_float_denorm_mode_32 3
		.amdhsa_float_denorm_mode_16_64 3
		.amdhsa_dx10_clamp 1
		.amdhsa_ieee_mode 1
		.amdhsa_fp16_overflow 0
		.amdhsa_workgroup_processor_mode 1
		.amdhsa_memory_ordered 1
		.amdhsa_forward_progress 0
		.amdhsa_shared_vgpr_count 0
		.amdhsa_exception_fp_ieee_invalid_op 0
		.amdhsa_exception_fp_denorm_src 0
		.amdhsa_exception_fp_ieee_div_zero 0
		.amdhsa_exception_fp_ieee_overflow 0
		.amdhsa_exception_fp_ieee_underflow 0
		.amdhsa_exception_fp_ieee_inexact 0
		.amdhsa_exception_int_div_zero 0
	.end_amdhsa_kernel
	.section	.text._ZL16dequantize_blockILi32ELi2EXadL_ZL15dequantize_q4_1PKviiR7__half2EEfEvS1_PT2_l,"axG",@progbits,_ZL16dequantize_blockILi32ELi2EXadL_ZL15dequantize_q4_1PKviiR7__half2EEfEvS1_PT2_l,comdat
.Lfunc_end1:
	.size	_ZL16dequantize_blockILi32ELi2EXadL_ZL15dequantize_q4_1PKviiR7__half2EEfEvS1_PT2_l, .Lfunc_end1-_ZL16dequantize_blockILi32ELi2EXadL_ZL15dequantize_q4_1PKviiR7__half2EEfEvS1_PT2_l
                                        ; -- End function
	.section	.AMDGPU.csdata,"",@progbits
; Kernel info:
; codeLenInByte = 296
; NumSgprs: 18
; NumVgprs: 6
; ScratchSize: 0
; MemoryBound: 0
; FloatMode: 240
; IeeeMode: 1
; LDSByteSize: 0 bytes/workgroup (compile time only)
; SGPRBlocks: 2
; VGPRBlocks: 0
; NumSGPRsForWavesPerEU: 18
; NumVGPRsForWavesPerEU: 6
; Occupancy: 16
; WaveLimiterHint : 0
; COMPUTE_PGM_RSRC2:SCRATCH_EN: 0
; COMPUTE_PGM_RSRC2:USER_SGPR: 15
; COMPUTE_PGM_RSRC2:TRAP_HANDLER: 0
; COMPUTE_PGM_RSRC2:TGID_X_EN: 1
; COMPUTE_PGM_RSRC2:TGID_Y_EN: 0
; COMPUTE_PGM_RSRC2:TGID_Z_EN: 0
; COMPUTE_PGM_RSRC2:TIDIG_COMP_CNT: 0
	.section	.text._ZL16dequantize_blockILi32ELi2EXadL_ZL15dequantize_q5_0PKviiR7__half2EEfEvS1_PT2_l,"axG",@progbits,_ZL16dequantize_blockILi32ELi2EXadL_ZL15dequantize_q5_0PKviiR7__half2EEfEvS1_PT2_l,comdat
	.globl	_ZL16dequantize_blockILi32ELi2EXadL_ZL15dequantize_q5_0PKviiR7__half2EEfEvS1_PT2_l ; -- Begin function _ZL16dequantize_blockILi32ELi2EXadL_ZL15dequantize_q5_0PKviiR7__half2EEfEvS1_PT2_l
	.p2align	8
	.type	_ZL16dequantize_blockILi32ELi2EXadL_ZL15dequantize_q5_0PKviiR7__half2EEfEvS1_PT2_l,@function
_ZL16dequantize_blockILi32ELi2EXadL_ZL15dequantize_q5_0PKviiR7__half2EEfEvS1_PT2_l: ; @_ZL16dequantize_blockILi32ELi2EXadL_ZL15dequantize_q5_0PKviiR7__half2EEfEvS1_PT2_l
; %bb.0:
	s_clause 0x1
	s_load_b32 s4, s[0:1], 0x24
	s_load_b64 s[2:3], s[0:1], 0x10
	v_mov_b32_e32 v1, 0
	s_waitcnt lgkmcnt(0)
	s_and_b32 s4, s4, 0xffff
	s_delay_alu instid0(VALU_DEP_1) | instid1(SALU_CYCLE_1)
	v_mad_u64_u32 v[2:3], null, s4, s15, v[0:1]
	s_delay_alu instid0(VALU_DEP_1) | instskip(NEXT) | instid1(VALU_DEP_1)
	v_lshlrev_b64 v[0:1], 1, v[2:3]
	v_cmp_gt_i64_e32 vcc_lo, s[2:3], v[0:1]
	s_and_saveexec_b32 s2, vcc_lo
	s_cbranch_execz .LBB2_2
; %bb.1:
	s_load_b128 s[0:3], s[0:1], 0x0
	v_alignbit_b32 v1, v3, v2, 4
	v_and_b32_e32 v5, 15, v2
	s_delay_alu instid0(VALU_DEP_1) | instskip(SKIP_1) | instid1(VALU_DEP_3)
	v_and_or_b32 v0, 0xffffffe0, v0, v5
	s_waitcnt lgkmcnt(0)
	v_mad_i64_i32 v[3:4], null, v1, 22, s[0:1]
	s_clause 0x1
	global_load_b32 v6, v[3:4], off
	global_load_u16 v7, v[3:4], off offset:4
	v_add_co_u32 v1, vcc_lo, v3, v5
	v_add_co_ci_u32_e32 v2, vcc_lo, 0, v4, vcc_lo
	v_add_nc_u32_e32 v3, 12, v5
	global_load_u8 v1, v[1:2], off offset:6
	s_waitcnt vmcnt(1)
	v_perm_b32 v2, v6, v7, 0x1000706
	s_delay_alu instid0(VALU_DEP_1)
	v_lshrrev_b32_e32 v4, v5, v2
	v_lshrrev_b32_e32 v2, v3, v2
	s_waitcnt vmcnt(0)
	v_and_b32_e32 v3, 15, v1
	v_lshrrev_b16 v1, 4, v1
	v_lshlrev_b32_e32 v4, 4, v4
	s_delay_alu instid0(VALU_DEP_2) | instskip(NEXT) | instid1(VALU_DEP_2)
	v_and_or_b32 v1, v2, 16, v1
	v_and_or_b32 v2, v4, 16, v3
	s_delay_alu instid0(VALU_DEP_2) | instskip(NEXT) | instid1(VALU_DEP_2)
	v_cvt_f32_ubyte0_e32 v1, v1
	v_cvt_f32_ubyte0_e32 v2, v2
	s_delay_alu instid0(VALU_DEP_2) | instskip(NEXT) | instid1(VALU_DEP_2)
	v_cvt_f16_f32_e32 v1, v1
	v_cvt_f16_f32_e32 v2, v2
	s_delay_alu instid0(VALU_DEP_1) | instskip(NEXT) | instid1(VALU_DEP_1)
	v_pack_b32_f16 v1, v2, v1
	v_pk_add_f16 v2, 0xcc00, v1 op_sel_hi:[0,1]
	v_ashrrev_i32_e32 v1, 31, v0
	s_delay_alu instid0(VALU_DEP_2) | instskip(NEXT) | instid1(VALU_DEP_2)
	v_pk_mul_f16 v2, v6, v2 op_sel_hi:[0,1]
	v_lshlrev_b64 v[0:1], 2, v[0:1]
	s_delay_alu instid0(VALU_DEP_2) | instskip(SKIP_1) | instid1(VALU_DEP_3)
	v_cvt_f32_f16_e32 v3, v2
	v_lshrrev_b32_e32 v2, 16, v2
	v_add_co_u32 v0, vcc_lo, s2, v0
	s_delay_alu instid0(VALU_DEP_4) | instskip(NEXT) | instid1(VALU_DEP_3)
	v_add_co_ci_u32_e32 v1, vcc_lo, s3, v1, vcc_lo
	v_cvt_f32_f16_e32 v2, v2
	s_clause 0x1
	global_store_b32 v[0:1], v3, off
	global_store_b32 v[0:1], v2, off offset:64
.LBB2_2:
	s_nop 0
	s_sendmsg sendmsg(MSG_DEALLOC_VGPRS)
	s_endpgm
	.section	.rodata,"a",@progbits
	.p2align	6, 0x0
	.amdhsa_kernel _ZL16dequantize_blockILi32ELi2EXadL_ZL15dequantize_q5_0PKviiR7__half2EEfEvS1_PT2_l
		.amdhsa_group_segment_fixed_size 0
		.amdhsa_private_segment_fixed_size 0
		.amdhsa_kernarg_size 280
		.amdhsa_user_sgpr_count 15
		.amdhsa_user_sgpr_dispatch_ptr 0
		.amdhsa_user_sgpr_queue_ptr 0
		.amdhsa_user_sgpr_kernarg_segment_ptr 1
		.amdhsa_user_sgpr_dispatch_id 0
		.amdhsa_user_sgpr_private_segment_size 0
		.amdhsa_wavefront_size32 1
		.amdhsa_uses_dynamic_stack 0
		.amdhsa_enable_private_segment 0
		.amdhsa_system_sgpr_workgroup_id_x 1
		.amdhsa_system_sgpr_workgroup_id_y 0
		.amdhsa_system_sgpr_workgroup_id_z 0
		.amdhsa_system_sgpr_workgroup_info 0
		.amdhsa_system_vgpr_workitem_id 0
		.amdhsa_next_free_vgpr 8
		.amdhsa_next_free_sgpr 16
		.amdhsa_reserve_vcc 1
		.amdhsa_float_round_mode_32 0
		.amdhsa_float_round_mode_16_64 0
		.amdhsa_float_denorm_mode_32 3
		.amdhsa_float_denorm_mode_16_64 3
		.amdhsa_dx10_clamp 1
		.amdhsa_ieee_mode 1
		.amdhsa_fp16_overflow 0
		.amdhsa_workgroup_processor_mode 1
		.amdhsa_memory_ordered 1
		.amdhsa_forward_progress 0
		.amdhsa_shared_vgpr_count 0
		.amdhsa_exception_fp_ieee_invalid_op 0
		.amdhsa_exception_fp_denorm_src 0
		.amdhsa_exception_fp_ieee_div_zero 0
		.amdhsa_exception_fp_ieee_overflow 0
		.amdhsa_exception_fp_ieee_underflow 0
		.amdhsa_exception_fp_ieee_inexact 0
		.amdhsa_exception_int_div_zero 0
	.end_amdhsa_kernel
	.section	.text._ZL16dequantize_blockILi32ELi2EXadL_ZL15dequantize_q5_0PKviiR7__half2EEfEvS1_PT2_l,"axG",@progbits,_ZL16dequantize_blockILi32ELi2EXadL_ZL15dequantize_q5_0PKviiR7__half2EEfEvS1_PT2_l,comdat
.Lfunc_end2:
	.size	_ZL16dequantize_blockILi32ELi2EXadL_ZL15dequantize_q5_0PKviiR7__half2EEfEvS1_PT2_l, .Lfunc_end2-_ZL16dequantize_blockILi32ELi2EXadL_ZL15dequantize_q5_0PKviiR7__half2EEfEvS1_PT2_l
                                        ; -- End function
	.section	.AMDGPU.csdata,"",@progbits
; Kernel info:
; codeLenInByte = 368
; NumSgprs: 18
; NumVgprs: 8
; ScratchSize: 0
; MemoryBound: 0
; FloatMode: 240
; IeeeMode: 1
; LDSByteSize: 0 bytes/workgroup (compile time only)
; SGPRBlocks: 2
; VGPRBlocks: 0
; NumSGPRsForWavesPerEU: 18
; NumVGPRsForWavesPerEU: 8
; Occupancy: 16
; WaveLimiterHint : 0
; COMPUTE_PGM_RSRC2:SCRATCH_EN: 0
; COMPUTE_PGM_RSRC2:USER_SGPR: 15
; COMPUTE_PGM_RSRC2:TRAP_HANDLER: 0
; COMPUTE_PGM_RSRC2:TGID_X_EN: 1
; COMPUTE_PGM_RSRC2:TGID_Y_EN: 0
; COMPUTE_PGM_RSRC2:TGID_Z_EN: 0
; COMPUTE_PGM_RSRC2:TIDIG_COMP_CNT: 0
	.section	.text._ZL16dequantize_blockILi32ELi2EXadL_ZL15dequantize_q5_1PKviiR7__half2EEfEvS1_PT2_l,"axG",@progbits,_ZL16dequantize_blockILi32ELi2EXadL_ZL15dequantize_q5_1PKviiR7__half2EEfEvS1_PT2_l,comdat
	.globl	_ZL16dequantize_blockILi32ELi2EXadL_ZL15dequantize_q5_1PKviiR7__half2EEfEvS1_PT2_l ; -- Begin function _ZL16dequantize_blockILi32ELi2EXadL_ZL15dequantize_q5_1PKviiR7__half2EEfEvS1_PT2_l
	.p2align	8
	.type	_ZL16dequantize_blockILi32ELi2EXadL_ZL15dequantize_q5_1PKviiR7__half2EEfEvS1_PT2_l,@function
_ZL16dequantize_blockILi32ELi2EXadL_ZL15dequantize_q5_1PKviiR7__half2EEfEvS1_PT2_l: ; @_ZL16dequantize_blockILi32ELi2EXadL_ZL15dequantize_q5_1PKviiR7__half2EEfEvS1_PT2_l
; %bb.0:
	s_clause 0x1
	s_load_b32 s4, s[0:1], 0x24
	s_load_b64 s[2:3], s[0:1], 0x10
	v_mov_b32_e32 v1, 0
	s_waitcnt lgkmcnt(0)
	s_and_b32 s4, s4, 0xffff
	s_delay_alu instid0(VALU_DEP_1) | instid1(SALU_CYCLE_1)
	v_mad_u64_u32 v[2:3], null, s4, s15, v[0:1]
	s_delay_alu instid0(VALU_DEP_1) | instskip(NEXT) | instid1(VALU_DEP_1)
	v_lshlrev_b64 v[0:1], 1, v[2:3]
	v_cmp_gt_i64_e32 vcc_lo, s[2:3], v[0:1]
	s_and_saveexec_b32 s2, vcc_lo
	s_cbranch_execz .LBB3_2
; %bb.1:
	s_load_b128 s[0:3], s[0:1], 0x0
	v_alignbit_b32 v1, v3, v2, 4
	v_and_b32_e32 v6, 15, v2
	s_delay_alu instid0(VALU_DEP_1) | instskip(SKIP_1) | instid1(VALU_DEP_3)
	v_and_or_b32 v0, 0xffffffe0, v0, v6
	s_waitcnt lgkmcnt(0)
	v_mad_i64_i32 v[3:4], null, v1, 24, s[0:1]
	s_clause 0x1
	global_load_u16 v5, v[3:4], off offset:6
	global_load_u16 v7, v[3:4], off offset:4
	v_add_co_u32 v1, vcc_lo, v3, v6
	v_add_co_ci_u32_e32 v2, vcc_lo, 0, v4, vcc_lo
	s_clause 0x1
	global_load_u8 v1, v[1:2], off offset:8
	global_load_b32 v2, v[3:4], off
	s_waitcnt vmcnt(3)
	v_lshrrev_b16 v3, 8, v5
	v_and_b32_e32 v4, 0xff, v5
	s_delay_alu instid0(VALU_DEP_2) | instskip(NEXT) | instid1(VALU_DEP_2)
	v_lshlrev_b32_e32 v3, 24, v3
	v_lshlrev_b32_e32 v4, 16, v4
	s_waitcnt vmcnt(2)
	s_delay_alu instid0(VALU_DEP_1)
	v_or3_b32 v3, v4, v7, v3
	v_add_nc_u32_e32 v4, 12, v6
	s_waitcnt vmcnt(1)
	v_and_b32_e32 v7, 15, v1
	v_lshrrev_b16 v1, 4, v1
	v_lshrrev_b32_e32 v5, v6, v3
	v_lshrrev_b32_e32 v3, v4, v3
	s_delay_alu instid0(VALU_DEP_2) | instskip(NEXT) | instid1(VALU_DEP_2)
	v_lshlrev_b32_e32 v4, 4, v5
	v_and_or_b32 v1, v3, 16, v1
	s_delay_alu instid0(VALU_DEP_2) | instskip(NEXT) | instid1(VALU_DEP_2)
	v_and_or_b32 v3, v4, 16, v7
	v_cvt_f32_ubyte0_e32 v1, v1
	s_delay_alu instid0(VALU_DEP_2) | instskip(NEXT) | instid1(VALU_DEP_2)
	v_cvt_f32_ubyte0_e32 v3, v3
	v_cvt_f16_f32_e32 v1, v1
	s_delay_alu instid0(VALU_DEP_2) | instskip(NEXT) | instid1(VALU_DEP_1)
	v_cvt_f16_f32_e32 v3, v3
	v_pack_b32_f16 v3, v3, v1
	v_ashrrev_i32_e32 v1, 31, v0
	s_waitcnt vmcnt(0)
	s_delay_alu instid0(VALU_DEP_2) | instskip(NEXT) | instid1(VALU_DEP_2)
	v_pk_fma_f16 v2, v2, v3, v2 op_sel:[0,0,1] op_sel_hi:[0,1,1]
	v_lshlrev_b64 v[0:1], 2, v[0:1]
	s_delay_alu instid0(VALU_DEP_2) | instskip(SKIP_1) | instid1(VALU_DEP_3)
	v_cvt_f32_f16_e32 v3, v2
	v_lshrrev_b32_e32 v2, 16, v2
	v_add_co_u32 v0, vcc_lo, s2, v0
	s_delay_alu instid0(VALU_DEP_4) | instskip(NEXT) | instid1(VALU_DEP_3)
	v_add_co_ci_u32_e32 v1, vcc_lo, s3, v1, vcc_lo
	v_cvt_f32_f16_e32 v2, v2
	s_clause 0x1
	global_store_b32 v[0:1], v3, off
	global_store_b32 v[0:1], v2, off offset:64
.LBB3_2:
	s_nop 0
	s_sendmsg sendmsg(MSG_DEALLOC_VGPRS)
	s_endpgm
	.section	.rodata,"a",@progbits
	.p2align	6, 0x0
	.amdhsa_kernel _ZL16dequantize_blockILi32ELi2EXadL_ZL15dequantize_q5_1PKviiR7__half2EEfEvS1_PT2_l
		.amdhsa_group_segment_fixed_size 0
		.amdhsa_private_segment_fixed_size 0
		.amdhsa_kernarg_size 280
		.amdhsa_user_sgpr_count 15
		.amdhsa_user_sgpr_dispatch_ptr 0
		.amdhsa_user_sgpr_queue_ptr 0
		.amdhsa_user_sgpr_kernarg_segment_ptr 1
		.amdhsa_user_sgpr_dispatch_id 0
		.amdhsa_user_sgpr_private_segment_size 0
		.amdhsa_wavefront_size32 1
		.amdhsa_uses_dynamic_stack 0
		.amdhsa_enable_private_segment 0
		.amdhsa_system_sgpr_workgroup_id_x 1
		.amdhsa_system_sgpr_workgroup_id_y 0
		.amdhsa_system_sgpr_workgroup_id_z 0
		.amdhsa_system_sgpr_workgroup_info 0
		.amdhsa_system_vgpr_workitem_id 0
		.amdhsa_next_free_vgpr 8
		.amdhsa_next_free_sgpr 16
		.amdhsa_reserve_vcc 1
		.amdhsa_float_round_mode_32 0
		.amdhsa_float_round_mode_16_64 0
		.amdhsa_float_denorm_mode_32 3
		.amdhsa_float_denorm_mode_16_64 3
		.amdhsa_dx10_clamp 1
		.amdhsa_ieee_mode 1
		.amdhsa_fp16_overflow 0
		.amdhsa_workgroup_processor_mode 1
		.amdhsa_memory_ordered 1
		.amdhsa_forward_progress 0
		.amdhsa_shared_vgpr_count 0
		.amdhsa_exception_fp_ieee_invalid_op 0
		.amdhsa_exception_fp_denorm_src 0
		.amdhsa_exception_fp_ieee_div_zero 0
		.amdhsa_exception_fp_ieee_overflow 0
		.amdhsa_exception_fp_ieee_underflow 0
		.amdhsa_exception_fp_ieee_inexact 0
		.amdhsa_exception_int_div_zero 0
	.end_amdhsa_kernel
	.section	.text._ZL16dequantize_blockILi32ELi2EXadL_ZL15dequantize_q5_1PKviiR7__half2EEfEvS1_PT2_l,"axG",@progbits,_ZL16dequantize_blockILi32ELi2EXadL_ZL15dequantize_q5_1PKviiR7__half2EEfEvS1_PT2_l,comdat
.Lfunc_end3:
	.size	_ZL16dequantize_blockILi32ELi2EXadL_ZL15dequantize_q5_1PKviiR7__half2EEfEvS1_PT2_l, .Lfunc_end3-_ZL16dequantize_blockILi32ELi2EXadL_ZL15dequantize_q5_1PKviiR7__half2EEfEvS1_PT2_l
                                        ; -- End function
	.section	.AMDGPU.csdata,"",@progbits
; Kernel info:
; codeLenInByte = 400
; NumSgprs: 18
; NumVgprs: 8
; ScratchSize: 0
; MemoryBound: 0
; FloatMode: 240
; IeeeMode: 1
; LDSByteSize: 0 bytes/workgroup (compile time only)
; SGPRBlocks: 2
; VGPRBlocks: 0
; NumSGPRsForWavesPerEU: 18
; NumVGPRsForWavesPerEU: 8
; Occupancy: 16
; WaveLimiterHint : 0
; COMPUTE_PGM_RSRC2:SCRATCH_EN: 0
; COMPUTE_PGM_RSRC2:USER_SGPR: 15
; COMPUTE_PGM_RSRC2:TRAP_HANDLER: 0
; COMPUTE_PGM_RSRC2:TGID_X_EN: 1
; COMPUTE_PGM_RSRC2:TGID_Y_EN: 0
; COMPUTE_PGM_RSRC2:TGID_Z_EN: 0
; COMPUTE_PGM_RSRC2:TIDIG_COMP_CNT: 0
	.section	.text._ZL16dequantize_blockILi32ELi1EXadL_ZL15dequantize_q8_0PKviiR7__half2EEfEvS1_PT2_l,"axG",@progbits,_ZL16dequantize_blockILi32ELi1EXadL_ZL15dequantize_q8_0PKviiR7__half2EEfEvS1_PT2_l,comdat
	.globl	_ZL16dequantize_blockILi32ELi1EXadL_ZL15dequantize_q8_0PKviiR7__half2EEfEvS1_PT2_l ; -- Begin function _ZL16dequantize_blockILi32ELi1EXadL_ZL15dequantize_q8_0PKviiR7__half2EEfEvS1_PT2_l
	.p2align	8
	.type	_ZL16dequantize_blockILi32ELi1EXadL_ZL15dequantize_q8_0PKviiR7__half2EEfEvS1_PT2_l,@function
_ZL16dequantize_blockILi32ELi1EXadL_ZL15dequantize_q8_0PKviiR7__half2EEfEvS1_PT2_l: ; @_ZL16dequantize_blockILi32ELi1EXadL_ZL15dequantize_q8_0PKviiR7__half2EEfEvS1_PT2_l
; %bb.0:
	s_clause 0x1
	s_load_b32 s4, s[0:1], 0x24
	s_load_b64 s[2:3], s[0:1], 0x10
	v_mov_b32_e32 v1, 0
	s_waitcnt lgkmcnt(0)
	s_and_b32 s4, s4, 0xffff
	s_delay_alu instid0(VALU_DEP_1) | instid1(SALU_CYCLE_1)
	v_mad_u64_u32 v[2:3], null, s4, s15, v[0:1]
	s_delay_alu instid0(VALU_DEP_1) | instskip(NEXT) | instid1(VALU_DEP_1)
	v_lshlrev_b64 v[4:5], 1, v[2:3]
	v_cmp_gt_i64_e32 vcc_lo, s[2:3], v[4:5]
	s_and_saveexec_b32 s2, vcc_lo
	s_cbranch_execz .LBB4_2
; %bb.1:
	s_load_b128 s[0:3], s[0:1], 0x0
	v_alignbit_b32 v0, v3, v2, 4
	v_lshlrev_b32_e32 v2, 1, v2
	s_waitcnt lgkmcnt(0)
	s_delay_alu instid0(VALU_DEP_2) | instskip(SKIP_1) | instid1(VALU_DEP_1)
	v_mad_i64_i32 v[5:6], null, v0, 34, s[0:1]
	v_and_b32_e32 v0, 30, v4
	v_add_co_u32 v3, vcc_lo, v5, v0
	s_delay_alu instid0(VALU_DEP_3)
	v_add_co_ci_u32_e32 v4, vcc_lo, 0, v6, vcc_lo
	s_clause 0x1
	global_load_u16 v0, v[3:4], off offset:2
	global_load_u16 v3, v[5:6], off
	s_waitcnt vmcnt(1)
	v_bfe_i32 v4, v0, 0, 8
	v_ashrrev_i16 v0, 8, v0
	s_delay_alu instid0(VALU_DEP_2) | instskip(NEXT) | instid1(VALU_DEP_2)
	v_cvt_f16_i16_e32 v4, v4
	v_cvt_f16_i16_e32 v0, v0
	s_delay_alu instid0(VALU_DEP_1) | instskip(SKIP_1) | instid1(VALU_DEP_1)
	v_pack_b32_f16 v0, v4, v0
	s_waitcnt vmcnt(0)
	v_pk_mul_f16 v3, v3, v0 op_sel_hi:[0,1]
	v_ashrrev_i64 v[0:1], 30, v[1:2]
	s_delay_alu instid0(VALU_DEP_2) | instskip(SKIP_1) | instid1(VALU_DEP_3)
	v_cvt_f32_f16_e32 v2, v3
	v_lshrrev_b32_e32 v3, 16, v3
	v_add_co_u32 v0, vcc_lo, s2, v0
	s_delay_alu instid0(VALU_DEP_4) | instskip(NEXT) | instid1(VALU_DEP_3)
	v_add_co_ci_u32_e32 v1, vcc_lo, s3, v1, vcc_lo
	v_cvt_f32_f16_e32 v3, v3
	global_store_b64 v[0:1], v[2:3], off
.LBB4_2:
	s_nop 0
	s_sendmsg sendmsg(MSG_DEALLOC_VGPRS)
	s_endpgm
	.section	.rodata,"a",@progbits
	.p2align	6, 0x0
	.amdhsa_kernel _ZL16dequantize_blockILi32ELi1EXadL_ZL15dequantize_q8_0PKviiR7__half2EEfEvS1_PT2_l
		.amdhsa_group_segment_fixed_size 0
		.amdhsa_private_segment_fixed_size 0
		.amdhsa_kernarg_size 280
		.amdhsa_user_sgpr_count 15
		.amdhsa_user_sgpr_dispatch_ptr 0
		.amdhsa_user_sgpr_queue_ptr 0
		.amdhsa_user_sgpr_kernarg_segment_ptr 1
		.amdhsa_user_sgpr_dispatch_id 0
		.amdhsa_user_sgpr_private_segment_size 0
		.amdhsa_wavefront_size32 1
		.amdhsa_uses_dynamic_stack 0
		.amdhsa_enable_private_segment 0
		.amdhsa_system_sgpr_workgroup_id_x 1
		.amdhsa_system_sgpr_workgroup_id_y 0
		.amdhsa_system_sgpr_workgroup_id_z 0
		.amdhsa_system_sgpr_workgroup_info 0
		.amdhsa_system_vgpr_workitem_id 0
		.amdhsa_next_free_vgpr 7
		.amdhsa_next_free_sgpr 16
		.amdhsa_reserve_vcc 1
		.amdhsa_float_round_mode_32 0
		.amdhsa_float_round_mode_16_64 0
		.amdhsa_float_denorm_mode_32 3
		.amdhsa_float_denorm_mode_16_64 3
		.amdhsa_dx10_clamp 1
		.amdhsa_ieee_mode 1
		.amdhsa_fp16_overflow 0
		.amdhsa_workgroup_processor_mode 1
		.amdhsa_memory_ordered 1
		.amdhsa_forward_progress 0
		.amdhsa_shared_vgpr_count 0
		.amdhsa_exception_fp_ieee_invalid_op 0
		.amdhsa_exception_fp_denorm_src 0
		.amdhsa_exception_fp_ieee_div_zero 0
		.amdhsa_exception_fp_ieee_overflow 0
		.amdhsa_exception_fp_ieee_underflow 0
		.amdhsa_exception_fp_ieee_inexact 0
		.amdhsa_exception_int_div_zero 0
	.end_amdhsa_kernel
	.section	.text._ZL16dequantize_blockILi32ELi1EXadL_ZL15dequantize_q8_0PKviiR7__half2EEfEvS1_PT2_l,"axG",@progbits,_ZL16dequantize_blockILi32ELi1EXadL_ZL15dequantize_q8_0PKviiR7__half2EEfEvS1_PT2_l,comdat
.Lfunc_end4:
	.size	_ZL16dequantize_blockILi32ELi1EXadL_ZL15dequantize_q8_0PKviiR7__half2EEfEvS1_PT2_l, .Lfunc_end4-_ZL16dequantize_blockILi32ELi1EXadL_ZL15dequantize_q8_0PKviiR7__half2EEfEvS1_PT2_l
                                        ; -- End function
	.section	.AMDGPU.csdata,"",@progbits
; Kernel info:
; codeLenInByte = 264
; NumSgprs: 18
; NumVgprs: 7
; ScratchSize: 0
; MemoryBound: 0
; FloatMode: 240
; IeeeMode: 1
; LDSByteSize: 0 bytes/workgroup (compile time only)
; SGPRBlocks: 2
; VGPRBlocks: 0
; NumSGPRsForWavesPerEU: 18
; NumVGPRsForWavesPerEU: 7
; Occupancy: 16
; WaveLimiterHint : 0
; COMPUTE_PGM_RSRC2:SCRATCH_EN: 0
; COMPUTE_PGM_RSRC2:USER_SGPR: 15
; COMPUTE_PGM_RSRC2:TRAP_HANDLER: 0
; COMPUTE_PGM_RSRC2:TGID_X_EN: 1
; COMPUTE_PGM_RSRC2:TGID_Y_EN: 0
; COMPUTE_PGM_RSRC2:TGID_Z_EN: 0
; COMPUTE_PGM_RSRC2:TIDIG_COMP_CNT: 0
	.section	.text._ZL21dequantize_block_q2_KIfEvPKvPT_,"axG",@progbits,_ZL21dequantize_block_q2_KIfEvPKvPT_,comdat
	.globl	_ZL21dequantize_block_q2_KIfEvPKvPT_ ; -- Begin function _ZL21dequantize_block_q2_KIfEvPKvPT_
	.p2align	8
	.type	_ZL21dequantize_block_q2_KIfEvPKvPT_,@function
_ZL21dequantize_block_q2_KIfEvPKvPT_:   ; @_ZL21dequantize_block_q2_KIfEvPKvPT_
; %bb.0:
	s_load_b128 s[0:3], s[0:1], 0x0
	v_lshrrev_b32_e32 v1, 5, v0
	v_bfe_u32 v2, v0, 4, 1
	s_mul_i32 s4, s15, 0x54
	s_mul_hi_u32 s5, s15, 0x54
	s_delay_alu instid0(VALU_DEP_1)
	v_lshl_or_b32 v2, v1, 3, v2
	v_lshlrev_b32_e32 v1, 9, v1
	s_waitcnt lgkmcnt(0)
	s_add_u32 s0, s0, s4
	s_addc_u32 s1, s1, s5
	s_clause 0x4
	global_load_u8 v3, v2, s[0:1]
	global_load_u8 v4, v0, s[0:1] offset:16
	global_load_u8 v5, v2, s[0:1] offset:2
	;; [unrolled: 1-line block ×4, first 2 shown]
	s_load_b32 s4, s[0:1], 0x50
	s_mov_b32 s1, 0
	s_lshl_b32 s0, s15, 8
	v_and_b32_e32 v0, 31, v0
	s_lshl_b64 s[0:1], s[0:1], 2
	s_delay_alu instid0(SALU_CYCLE_1) | instskip(SKIP_1) | instid1(VALU_DEP_1)
	s_add_u32 s0, s2, s0
	s_addc_u32 s1, s3, s1
	v_lshlrev_b32_e32 v0, 2, v0
	v_add_co_u32 v1, s0, s0, v1
	s_delay_alu instid0(VALU_DEP_1)
	v_add_co_u32 v0, vcc_lo, v1, v0
	s_waitcnt lgkmcnt(0)
	s_lshr_b32 s2, s4, 16
	s_waitcnt vmcnt(4)
	v_and_b32_e32 v7, 15, v3
	s_waitcnt vmcnt(3)
	v_and_b32_e32 v8, 3, v4
	;; [unrolled: 2-line block ×5, first 2 shown]
	v_and_b32_e32 v7, 0xffff, v7
	v_bfe_u32 v10, v4, 2, 2
	v_and_b32_e32 v9, 0xffff, v9
	v_bfe_u32 v12, v4, 4, 2
	v_and_b32_e32 v11, 0xffff, v11
	v_lshrrev_b32_e32 v4, 6, v4
	v_and_b32_e32 v13, 0xffff, v13
	v_lshrrev_b16 v3, 4, v3
	v_mul_u32_u24_e32 v7, v8, v7
	v_lshrrev_b16 v5, 4, v5
	v_mul_u32_u24_e32 v8, v10, v9
	;; [unrolled: 2-line block ×4, first 2 shown]
	v_cvt_f16_u16_e32 v3, v3
	v_cvt_f32_ubyte0_e32 v7, v7
	v_cvt_f16_u16_e32 v5, v5
	v_cvt_f32_ubyte0_e32 v8, v8
	;; [unrolled: 2-line block ×4, first 2 shown]
	v_mul_f16_e32 v3, s2, v3
	v_cvt_f16_f32_e32 v7, v7
	v_mul_f16_e32 v5, s2, v5
	v_cvt_f16_f32_e32 v8, v8
	;; [unrolled: 2-line block ×4, first 2 shown]
	v_add_co_ci_u32_e64 v10, null, s1, 0, s0
	v_fma_f16 v3, s4, v7, -v3
	v_fma_f16 v5, s4, v8, -v5
	;; [unrolled: 1-line block ×4, first 2 shown]
	v_add_co_ci_u32_e32 v1, vcc_lo, 0, v10, vcc_lo
	v_cvt_f32_f16_e32 v3, v3
	v_cvt_f32_f16_e32 v4, v5
	;; [unrolled: 1-line block ×4, first 2 shown]
	s_clause 0x3
	global_store_b32 v[0:1], v3, off
	global_store_b32 v[0:1], v4, off offset:128
	global_store_b32 v[0:1], v5, off offset:256
	;; [unrolled: 1-line block ×3, first 2 shown]
	s_nop 0
	s_sendmsg sendmsg(MSG_DEALLOC_VGPRS)
	s_endpgm
	.section	.rodata,"a",@progbits
	.p2align	6, 0x0
	.amdhsa_kernel _ZL21dequantize_block_q2_KIfEvPKvPT_
		.amdhsa_group_segment_fixed_size 0
		.amdhsa_private_segment_fixed_size 0
		.amdhsa_kernarg_size 16
		.amdhsa_user_sgpr_count 15
		.amdhsa_user_sgpr_dispatch_ptr 0
		.amdhsa_user_sgpr_queue_ptr 0
		.amdhsa_user_sgpr_kernarg_segment_ptr 1
		.amdhsa_user_sgpr_dispatch_id 0
		.amdhsa_user_sgpr_private_segment_size 0
		.amdhsa_wavefront_size32 1
		.amdhsa_uses_dynamic_stack 0
		.amdhsa_enable_private_segment 0
		.amdhsa_system_sgpr_workgroup_id_x 1
		.amdhsa_system_sgpr_workgroup_id_y 0
		.amdhsa_system_sgpr_workgroup_id_z 0
		.amdhsa_system_sgpr_workgroup_info 0
		.amdhsa_system_vgpr_workitem_id 0
		.amdhsa_next_free_vgpr 14
		.amdhsa_next_free_sgpr 16
		.amdhsa_reserve_vcc 1
		.amdhsa_float_round_mode_32 0
		.amdhsa_float_round_mode_16_64 0
		.amdhsa_float_denorm_mode_32 3
		.amdhsa_float_denorm_mode_16_64 3
		.amdhsa_dx10_clamp 1
		.amdhsa_ieee_mode 1
		.amdhsa_fp16_overflow 0
		.amdhsa_workgroup_processor_mode 1
		.amdhsa_memory_ordered 1
		.amdhsa_forward_progress 0
		.amdhsa_shared_vgpr_count 0
		.amdhsa_exception_fp_ieee_invalid_op 0
		.amdhsa_exception_fp_denorm_src 0
		.amdhsa_exception_fp_ieee_div_zero 0
		.amdhsa_exception_fp_ieee_overflow 0
		.amdhsa_exception_fp_ieee_underflow 0
		.amdhsa_exception_fp_ieee_inexact 0
		.amdhsa_exception_int_div_zero 0
	.end_amdhsa_kernel
	.section	.text._ZL21dequantize_block_q2_KIfEvPKvPT_,"axG",@progbits,_ZL21dequantize_block_q2_KIfEvPKvPT_,comdat
.Lfunc_end5:
	.size	_ZL21dequantize_block_q2_KIfEvPKvPT_, .Lfunc_end5-_ZL21dequantize_block_q2_KIfEvPKvPT_
                                        ; -- End function
	.section	.AMDGPU.csdata,"",@progbits
; Kernel info:
; codeLenInByte = 488
; NumSgprs: 18
; NumVgprs: 14
; ScratchSize: 0
; MemoryBound: 0
; FloatMode: 240
; IeeeMode: 1
; LDSByteSize: 0 bytes/workgroup (compile time only)
; SGPRBlocks: 2
; VGPRBlocks: 1
; NumSGPRsForWavesPerEU: 18
; NumVGPRsForWavesPerEU: 14
; Occupancy: 16
; WaveLimiterHint : 0
; COMPUTE_PGM_RSRC2:SCRATCH_EN: 0
; COMPUTE_PGM_RSRC2:USER_SGPR: 15
; COMPUTE_PGM_RSRC2:TRAP_HANDLER: 0
; COMPUTE_PGM_RSRC2:TGID_X_EN: 1
; COMPUTE_PGM_RSRC2:TGID_Y_EN: 0
; COMPUTE_PGM_RSRC2:TGID_Z_EN: 0
; COMPUTE_PGM_RSRC2:TIDIG_COMP_CNT: 0
	.section	.text._ZL21dequantize_block_q3_KIfEvPKvPT_,"axG",@progbits,_ZL21dequantize_block_q3_KIfEvPKvPT_,comdat
	.globl	_ZL21dequantize_block_q3_KIfEvPKvPT_ ; -- Begin function _ZL21dequantize_block_q3_KIfEvPKvPT_
	.p2align	8
	.type	_ZL21dequantize_block_q3_KIfEvPKvPT_,@function
_ZL21dequantize_block_q3_KIfEvPKvPT_:   ; @_ZL21dequantize_block_q3_KIfEvPKvPT_
; %bb.0:
	v_lshrrev_b32_e32 v4, 5, v0
	v_lshrrev_b32_e32 v6, 3, v0
	s_load_b128 s[0:3], s[0:1], 0x0
	v_bfe_u32 v7, v0, 2, 1
	s_mov_b32 s4, s15
	v_lshlrev_b32_e32 v1, 2, v4
                                        ; implicit-def: $vgpr8
                                        ; implicit-def: $vgpr9
	s_mov_b32 s5, exec_lo
	s_delay_alu instid0(VALU_DEP_1) | instskip(NEXT) | instid1(VALU_DEP_1)
	v_sub_nc_u32_e32 v5, v6, v1
                                        ; implicit-def: $vgpr1_vgpr2
	v_lshlrev_b32_e32 v3, 1, v5
	s_delay_alu instid0(VALU_DEP_1) | instskip(NEXT) | instid1(VALU_DEP_1)
	v_lshl_add_u32 v11, v4, 3, v3
	v_or_b32_e32 v10, v11, v7
	s_delay_alu instid0(VALU_DEP_1)
	v_cmpx_lt_i32_e32 3, v10
	s_xor_b32 s6, exec_lo, s5
	s_cbranch_execz .LBB6_10
; %bb.1:
                                        ; implicit-def: $vgpr1_vgpr2
                                        ; implicit-def: $vgpr8
                                        ; implicit-def: $vgpr9
	s_mov_b32 s5, exec_lo
	v_cmpx_lt_u32_e32 7, v11
	s_xor_b32 s7, exec_lo, s5
	s_cbranch_execz .LBB6_7
; %bb.2:
	v_add_nc_u32_e32 v1, -8, v10
	s_mul_i32 s9, s4, 0x6e
	s_mul_hi_u32 s8, s4, 0x6e
	s_waitcnt lgkmcnt(0)
	s_add_u32 s10, s0, s9
	s_addc_u32 s11, s1, s8
	s_mov_b32 s5, 0
	global_load_u8 v1, v1, s[10:11] offset:96
	s_mov_b32 s10, exec_lo
                                        ; implicit-def: $vgpr9
	s_waitcnt vmcnt(0)
	v_lshrrev_b16 v8, 4, v1
	v_cmpx_lt_u32_e32 11, v11
	s_xor_b32 s10, exec_lo, s10
	s_cbranch_execz .LBB6_4
; %bb.3:
	v_add_nc_u32_e32 v1, -4, v10
	s_add_u32 s12, s0, s9
	s_addc_u32 s13, s1, s8
                                        ; implicit-def: $vgpr10
	global_load_u8 v1, v1, s[12:13] offset:96
	s_waitcnt vmcnt(0)
	v_lshrrev_b16 v9, 2, v1
.LBB6_4:
	s_or_saveexec_b32 s10, s10
	v_dual_mov_b32 v1, s4 :: v_dual_mov_b32 v2, s5
	s_xor_b32 exec_lo, exec_lo, s10
	s_cbranch_execz .LBB6_6
; %bb.5:
	s_add_u32 s12, s0, s9
	s_addc_u32 s13, s1, s8
	v_dual_mov_b32 v1, s4 :: v_dual_mov_b32 v2, s5
	global_load_u8 v9, v10, s[12:13] offset:96
.LBB6_6:
	s_or_b32 exec_lo, exec_lo, s10
                                        ; implicit-def: $vgpr10
.LBB6_7:
	s_and_not1_saveexec_b32 s7, s7
	s_cbranch_execz .LBB6_9
; %bb.8:
	s_mul_i32 s5, s4, 0x6e
	s_mul_hi_u32 s9, s4, 0x6e
	s_waitcnt lgkmcnt(0)
	s_add_u32 s8, s0, s5
	s_addc_u32 s9, s1, s9
	s_mov_b32 s5, 0
	s_clause 0x1
	global_load_u8 v1, v10, s[8:9] offset:96
	global_load_u8 v2, v10, s[8:9] offset:100
	s_waitcnt vmcnt(1)
	v_and_b32_e32 v8, 15, v1
	s_waitcnt vmcnt(0)
	v_lshlrev_b16 v9, 2, v2
	v_dual_mov_b32 v1, s4 :: v_dual_mov_b32 v2, s5
.LBB6_9:
	s_or_b32 exec_lo, exec_lo, s7
                                        ; implicit-def: $vgpr10
.LBB6_10:
	s_and_not1_saveexec_b32 s6, s6
	s_cbranch_execz .LBB6_12
; %bb.11:
	s_mul_i32 s5, s4, 0x6e
	v_ashrrev_i32_e32 v2, 31, v10
	s_mul_hi_u32 s7, s4, 0x6e
	s_waitcnt lgkmcnt(0)
	s_add_u32 s5, s0, s5
	s_addc_u32 s7, s1, s7
	v_add_co_u32 v1, vcc_lo, s5, v10
	v_add_co_ci_u32_e32 v2, vcc_lo, s7, v2, vcc_lo
	s_mov_b32 s5, 0
	s_clause 0x1
	global_load_u8 v8, v[1:2], off offset:96
	global_load_u8 v1, v[1:2], off offset:104
	s_waitcnt vmcnt(1)
	v_and_b32_e32 v8, 15, v8
	s_waitcnt vmcnt(0)
	v_lshlrev_b16 v9, 4, v1
	v_dual_mov_b32 v1, s4 :: v_dual_mov_b32 v2, s5
.LBB6_12:
	s_or_b32 exec_lo, exec_lo, s6
	s_waitcnt lgkmcnt(0)
	s_delay_alu instid0(VALU_DEP_1)
	v_mad_u64_u32 v[10:11], null, 0x6e, v1, s[0:1]
	v_lshlrev_b32_e32 v13, 2, v0
	v_lshlrev_b32_e64 v6, v6, 1
	s_lshl_b32 s0, s4, 8
	s_mov_b32 s1, 0
	v_lshlrev_b32_e32 v4, 9, v4
	s_lshl_b64 s[0:1], s[0:1], 2
	s_delay_alu instid0(VALU_DEP_4) | instskip(SKIP_3) | instid1(VALU_DEP_2)
	v_mov_b32_e32 v1, v11
	s_add_u32 s0, s2, s0
	s_addc_u32 s1, s3, s1
	v_add_co_u32 v4, s0, s0, v4
	v_mad_u64_u32 v[11:12], null, 0x6e, v2, v[1:2]
	v_and_b32_e32 v1, 12, v13
	s_delay_alu instid0(VALU_DEP_1) | instskip(SKIP_1) | instid1(VALU_DEP_2)
	v_lshl_or_b32 v2, v7, 4, v1
	v_and_b32_e32 v7, 0x3e0, v0
	v_add_co_u32 v0, vcc_lo, v10, v2
	v_add_co_ci_u32_e32 v1, vcc_lo, 0, v11, vcc_lo
	v_lshlrev_b32_e32 v2, 2, v2
	s_delay_alu instid0(VALU_DEP_3) | instskip(NEXT) | instid1(VALU_DEP_3)
	v_add_co_u32 v12, vcc_lo, v0, v7
	v_add_co_ci_u32_e32 v13, vcc_lo, 0, v1, vcc_lo
	s_clause 0x2
	global_load_b32 v7, v[12:13], off offset:32
	global_load_b32 v12, v[0:1], off
	global_load_u16 v10, v[10:11], off offset:108
	v_lshlrev_b32_e32 v0, 5, v5
	s_waitcnt vmcnt(3)
	v_and_b32_e32 v1, 48, v9
	s_delay_alu instid0(VALU_DEP_1) | instskip(NEXT) | instid1(VALU_DEP_3)
	v_or_b32_e32 v5, v1, v8
	v_ashrrev_i32_e32 v1, 31, v0
	v_add_co_ci_u32_e64 v8, null, s1, 0, s0
	s_delay_alu instid0(VALU_DEP_3) | instskip(NEXT) | instid1(VALU_DEP_3)
	v_and_b32_e32 v5, 0xff, v5
	v_lshlrev_b64 v[0:1], 2, v[0:1]
	s_delay_alu instid0(VALU_DEP_2) | instskip(NEXT) | instid1(VALU_DEP_1)
	v_subrev_nc_u32_e32 v5, 32, v5
	v_cvt_f32_i32_e32 v5, v5
	s_delay_alu instid0(VALU_DEP_1)
	v_cvt_f16_f32_e32 v5, v5
	s_waitcnt vmcnt(2)
	v_lshrrev_b32_e32 v9, 24, v7
	s_waitcnt vmcnt(1)
	v_and_b32_e32 v15, v12, v6
	v_lshrrev_b32_e32 v13, 16, v12
	v_lshrrev_b32_e32 v14, 8, v12
	;; [unrolled: 1-line block ×3, first 2 shown]
	v_and_b32_e32 v11, 0xff, v7
	v_and_b32_e32 v15, 0xff, v15
	v_bfe_u32 v16, v7, 8, 8
	v_bfe_u32 v7, v7, 16, 8
	v_and_b32_e32 v14, v14, v6
	v_and_b32_e32 v13, v13, v6
	;; [unrolled: 1-line block ×3, first 2 shown]
	v_cmp_eq_u32_e32 vcc_lo, 0, v15
	v_lshrrev_b32_e32 v11, v3, v11
	v_lshrrev_b32_e32 v16, v3, v16
	;; [unrolled: 1-line block ×4, first 2 shown]
	v_and_b32_e32 v9, 0xff, v14
	v_cndmask_b32_e64 v12, 0, -4, vcc_lo
	v_cmp_eq_u32_e32 vcc_lo, 0, v6
	v_and_b32_e32 v13, 0xff, v13
	s_waitcnt vmcnt(0)
	v_mul_f16_e32 v5, v10, v5
	v_and_or_b32 v11, v11, 3, v12
	v_cndmask_b32_e64 v6, 0, -4, vcc_lo
	v_cmp_eq_u32_e32 vcc_lo, 0, v9
	s_delay_alu instid0(VALU_DEP_2) | instskip(SKIP_2) | instid1(VALU_DEP_3)
	v_and_or_b32 v3, v3, 3, v6
	v_cndmask_b32_e64 v9, 0, -4, vcc_lo
	v_cmp_eq_u32_e32 vcc_lo, 0, v13
	v_cvt_f32_i32_e32 v3, v3
	s_delay_alu instid0(VALU_DEP_3) | instskip(SKIP_3) | instid1(VALU_DEP_4)
	v_and_or_b32 v6, v16, 3, v9
	v_cndmask_b32_e64 v13, 0, -4, vcc_lo
	v_cvt_f32_i32_e32 v9, v11
	v_add_co_u32 v0, vcc_lo, v4, v0
	v_cvt_f32_i32_e32 v6, v6
	s_delay_alu instid0(VALU_DEP_4) | instskip(NEXT) | instid1(VALU_DEP_4)
	v_and_or_b32 v7, v7, 3, v13
	v_cvt_f16_f32_e32 v9, v9
	v_cvt_f16_f32_e32 v3, v3
	v_add_co_ci_u32_e32 v1, vcc_lo, v8, v1, vcc_lo
	s_delay_alu instid0(VALU_DEP_4)
	v_cvt_f32_i32_e32 v7, v7
	v_cvt_f16_f32_e32 v6, v6
	v_mul_f16_e32 v8, v5, v9
	v_mul_f16_e32 v3, v5, v3
	v_add_co_u32 v4, vcc_lo, v0, v2
	v_cvt_f16_f32_e32 v7, v7
	v_mul_f16_e32 v6, v5, v6
	v_cvt_f32_f16_e32 v0, v8
	v_cvt_f32_f16_e32 v3, v3
	s_delay_alu instid0(VALU_DEP_4) | instskip(SKIP_2) | instid1(VALU_DEP_3)
	v_mul_f16_e32 v7, v5, v7
	v_add_co_ci_u32_e32 v5, vcc_lo, 0, v1, vcc_lo
	v_cvt_f32_f16_e32 v1, v6
	v_cvt_f32_f16_e32 v2, v7
	global_store_b128 v[4:5], v[0:3], off
	s_nop 0
	s_sendmsg sendmsg(MSG_DEALLOC_VGPRS)
	s_endpgm
	.section	.rodata,"a",@progbits
	.p2align	6, 0x0
	.amdhsa_kernel _ZL21dequantize_block_q3_KIfEvPKvPT_
		.amdhsa_group_segment_fixed_size 0
		.amdhsa_private_segment_fixed_size 0
		.amdhsa_kernarg_size 16
		.amdhsa_user_sgpr_count 15
		.amdhsa_user_sgpr_dispatch_ptr 0
		.amdhsa_user_sgpr_queue_ptr 0
		.amdhsa_user_sgpr_kernarg_segment_ptr 1
		.amdhsa_user_sgpr_dispatch_id 0
		.amdhsa_user_sgpr_private_segment_size 0
		.amdhsa_wavefront_size32 1
		.amdhsa_uses_dynamic_stack 0
		.amdhsa_enable_private_segment 0
		.amdhsa_system_sgpr_workgroup_id_x 1
		.amdhsa_system_sgpr_workgroup_id_y 0
		.amdhsa_system_sgpr_workgroup_id_z 0
		.amdhsa_system_sgpr_workgroup_info 0
		.amdhsa_system_vgpr_workitem_id 0
		.amdhsa_next_free_vgpr 17
		.amdhsa_next_free_sgpr 16
		.amdhsa_reserve_vcc 1
		.amdhsa_float_round_mode_32 0
		.amdhsa_float_round_mode_16_64 0
		.amdhsa_float_denorm_mode_32 3
		.amdhsa_float_denorm_mode_16_64 3
		.amdhsa_dx10_clamp 1
		.amdhsa_ieee_mode 1
		.amdhsa_fp16_overflow 0
		.amdhsa_workgroup_processor_mode 1
		.amdhsa_memory_ordered 1
		.amdhsa_forward_progress 0
		.amdhsa_shared_vgpr_count 0
		.amdhsa_exception_fp_ieee_invalid_op 0
		.amdhsa_exception_fp_denorm_src 0
		.amdhsa_exception_fp_ieee_div_zero 0
		.amdhsa_exception_fp_ieee_overflow 0
		.amdhsa_exception_fp_ieee_underflow 0
		.amdhsa_exception_fp_ieee_inexact 0
		.amdhsa_exception_int_div_zero 0
	.end_amdhsa_kernel
	.section	.text._ZL21dequantize_block_q3_KIfEvPKvPT_,"axG",@progbits,_ZL21dequantize_block_q3_KIfEvPKvPT_,comdat
.Lfunc_end6:
	.size	_ZL21dequantize_block_q3_KIfEvPKvPT_, .Lfunc_end6-_ZL21dequantize_block_q3_KIfEvPKvPT_
                                        ; -- End function
	.section	.AMDGPU.csdata,"",@progbits
; Kernel info:
; codeLenInByte = 1008
; NumSgprs: 18
; NumVgprs: 17
; ScratchSize: 0
; MemoryBound: 0
; FloatMode: 240
; IeeeMode: 1
; LDSByteSize: 0 bytes/workgroup (compile time only)
; SGPRBlocks: 2
; VGPRBlocks: 2
; NumSGPRsForWavesPerEU: 18
; NumVGPRsForWavesPerEU: 17
; Occupancy: 16
; WaveLimiterHint : 0
; COMPUTE_PGM_RSRC2:SCRATCH_EN: 0
; COMPUTE_PGM_RSRC2:USER_SGPR: 15
; COMPUTE_PGM_RSRC2:TRAP_HANDLER: 0
; COMPUTE_PGM_RSRC2:TGID_X_EN: 1
; COMPUTE_PGM_RSRC2:TGID_Y_EN: 0
; COMPUTE_PGM_RSRC2:TGID_Z_EN: 0
; COMPUTE_PGM_RSRC2:TIDIG_COMP_CNT: 0
	.section	.text._ZL21dequantize_block_q4_KIfEvPKvPT_,"axG",@progbits,_ZL21dequantize_block_q4_KIfEvPKvPT_,comdat
	.globl	_ZL21dequantize_block_q4_KIfEvPKvPT_ ; -- Begin function _ZL21dequantize_block_q4_KIfEvPKvPT_
	.p2align	8
	.type	_ZL21dequantize_block_q4_KIfEvPKvPT_,@function
_ZL21dequantize_block_q4_KIfEvPKvPT_:   ; @_ZL21dequantize_block_q4_KIfEvPKvPT_
; %bb.0:
	s_load_b64 s[2:3], s[0:1], 0x0
	v_lshrrev_b32_e32 v3, 3, v0
	s_mul_i32 s5, s15, 0x90
	s_mul_hi_u32 s4, s15, 0x90
	v_cmp_lt_u32_e32 vcc_lo, 15, v0
                                        ; implicit-def: $vgpr5
                                        ; implicit-def: $vgpr4
	s_delay_alu instid0(VALU_DEP_2) | instskip(SKIP_3) | instid1(VALU_DEP_1)
	v_lshlrev_b32_e32 v6, 1, v3
	s_waitcnt lgkmcnt(0)
	s_add_u32 s2, s2, s5
	s_addc_u32 s3, s3, s4
	v_add_co_u32 v1, s4, s2, v6
	s_delay_alu instid0(VALU_DEP_1) | instskip(SKIP_1) | instid1(SALU_CYCLE_1)
	v_add_co_ci_u32_e64 v2, null, s3, 0, s4
	s_and_saveexec_b32 s4, vcc_lo
	s_xor_b32 s4, exec_lo, s4
	s_cbranch_execz .LBB7_2
; %bb.1:
	s_clause 0x2
	global_load_u8 v4, v[1:2], off
	global_load_u8 v5, v[1:2], off offset:4
	global_load_u8 v1, v[1:2], off offset:8
	s_waitcnt vmcnt(2)
	v_lshrrev_b16 v2, 2, v4
	s_waitcnt vmcnt(1)
	v_lshrrev_b16 v4, 2, v5
	s_waitcnt vmcnt(0)
	v_and_b32_e32 v5, 15, v1
	v_lshrrev_b16 v1, 4, v1
	v_and_b32_e32 v2, 48, v2
	v_and_b32_e32 v7, 48, v4
	s_delay_alu instid0(VALU_DEP_2) | instskip(NEXT) | instid1(VALU_DEP_2)
	v_or_b32_e32 v4, v2, v5
	v_or_b32_e32 v5, v7, v1
                                        ; implicit-def: $vgpr1_vgpr2
.LBB7_2:
	s_and_not1_saveexec_b32 s4, s4
	s_cbranch_execz .LBB7_4
; %bb.3:
	s_clause 0x1
	global_load_u8 v4, v[1:2], off offset:4
	global_load_u8 v1, v[1:2], off offset:8
	s_waitcnt vmcnt(1)
	v_and_b32_e32 v4, 63, v4
	s_waitcnt vmcnt(0)
	v_and_b32_e32 v5, 63, v1
.LBB7_4:
	s_or_b32 exec_lo, exec_lo, s4
	s_load_b64 s[0:1], s[0:1], 0x8
	s_load_b32 s4, s[2:3], 0x0
	s_add_u32 s5, s2, 4
	s_addc_u32 s6, s3, 0
	v_add_co_u32 v1, s5, s5, v6
	s_delay_alu instid0(VALU_DEP_1) | instskip(SKIP_1) | instid1(SALU_CYCLE_1)
	v_add_co_ci_u32_e64 v2, null, s6, 0, s5
                                        ; implicit-def: $vgpr6
                                        ; implicit-def: $vgpr7
	s_and_saveexec_b32 s5, vcc_lo
	s_xor_b32 s5, exec_lo, s5
	s_cbranch_execz .LBB7_6
; %bb.5:
	s_clause 0x2
	global_load_u8 v6, v[1:2], off offset:-3
	global_load_u8 v7, v[1:2], off offset:1
	global_load_u8 v1, v[1:2], off offset:5
	s_waitcnt vmcnt(2)
	v_lshrrev_b16 v2, 2, v6
	s_waitcnt vmcnt(1)
	v_lshrrev_b16 v6, 2, v7
	s_waitcnt vmcnt(0)
	v_and_b32_e32 v7, 15, v1
	v_lshrrev_b16 v1, 4, v1
	v_and_b32_e32 v2, 48, v2
	v_and_b32_e32 v6, 48, v6
	s_delay_alu instid0(VALU_DEP_2) | instskip(NEXT) | instid1(VALU_DEP_2)
	v_or_b32_e32 v7, v2, v7
	v_or_b32_e32 v6, v6, v1
                                        ; implicit-def: $vgpr1_vgpr2
.LBB7_6:
	s_and_not1_saveexec_b32 s5, s5
	s_cbranch_execz .LBB7_8
; %bb.7:
	s_clause 0x1
	global_load_u8 v6, v[1:2], off offset:1
	global_load_u8 v1, v[1:2], off offset:5
	s_waitcnt vmcnt(1)
	v_and_b32_e32 v7, 63, v6
	s_waitcnt vmcnt(0)
	v_and_b32_e32 v6, 63, v1
.LBB7_8:
	s_or_b32 exec_lo, exec_lo, s5
	v_lshlrev_b32_e32 v0, 2, v0
	v_lshlrev_b32_e32 v1, 5, v3
	v_lshlrev_b32_e32 v3, 8, v3
	s_waitcnt lgkmcnt(0)
	s_lshr_b32 s5, s4, 16
	v_and_b32_e32 v4, 0xff, v4
	v_and_b32_e32 v2, 28, v0
	v_add_co_u32 v0, s2, s2, v1
	s_delay_alu instid0(VALU_DEP_1) | instskip(SKIP_1) | instid1(VALU_DEP_2)
	v_add_co_ci_u32_e64 v1, null, s3, 0, s2
	s_mov_b32 s3, 0
	v_add_co_u32 v0, vcc_lo, v0, v2
	s_delay_alu instid0(VALU_DEP_2)
	v_add_co_ci_u32_e32 v1, vcc_lo, 0, v1, vcc_lo
	s_lshl_b32 s2, s15, 8
	v_lshlrev_b32_e32 v2, 2, v2
	s_lshl_b64 s[2:3], s[2:3], 2
	global_load_b32 v0, v[0:1], off offset:16
	s_add_u32 s0, s0, s2
	s_addc_u32 s1, s1, s3
	v_add_co_u32 v3, s0, s0, v3
	v_and_b32_e32 v1, 0xff, v5
	v_and_b32_e32 v5, 0xff, v7
	v_add_co_ci_u32_e64 v7, null, s1, 0, s0
	s_delay_alu instid0(VALU_DEP_4)
	v_add_co_u32 v8, vcc_lo, v3, v2
	v_and_b32_e32 v6, 0xff, v6
	v_cvt_f16_u16_e32 v1, v1
	v_cvt_f16_u16_e32 v4, v4
	v_add_co_ci_u32_e32 v9, vcc_lo, 0, v7, vcc_lo
	v_cvt_f16_u16_e32 v5, v5
	v_cvt_f16_u16_e32 v6, v6
	v_mul_f16_e32 v1, s5, v1
	v_mul_f16_e32 v4, s4, v4
	s_delay_alu instid0(VALU_DEP_4) | instskip(NEXT) | instid1(VALU_DEP_4)
	v_mul_f16_e32 v5, s4, v5
	v_mul_f16_e32 v6, s5, v6
	s_waitcnt vmcnt(0)
	v_lshrrev_b32_e32 v10, 8, v0
	v_lshrrev_b32_e32 v2, 16, v0
	v_and_b32_e32 v3, 15, v0
	v_lshrrev_b16 v7, 4, v0
	v_lshrrev_b32_e32 v11, 24, v0
	v_lshrrev_b32_e32 v0, 20, v0
	v_and_b32_e32 v12, 15, v10
	v_lshrrev_b16 v10, 4, v10
	v_cvt_f16_u16_e32 v3, v3
	v_and_b32_e32 v7, 15, v7
	v_and_b32_e32 v2, 15, v2
	;; [unrolled: 1-line block ×4, first 2 shown]
	v_lshrrev_b16 v11, 4, v11
	v_and_b32_e32 v10, 15, v10
	v_fma_f16 v3, v4, v3, -v1
	v_cvt_f16_u16_e32 v7, v7
	v_cvt_f16_u16_e32 v12, v12
	;; [unrolled: 1-line block ×7, first 2 shown]
	v_cvt_f32_f16_e32 v0, v3
	v_fma_f16 v3, v5, v7, -v6
	v_fma_f16 v7, v4, v12, -v1
	;; [unrolled: 1-line block ×7, first 2 shown]
	v_cvt_f32_f16_e32 v4, v3
	v_cvt_f32_f16_e32 v1, v7
	;; [unrolled: 1-line block ×7, first 2 shown]
	s_clause 0x1
	global_store_b128 v[8:9], v[0:3], off
	global_store_b128 v[8:9], v[4:7], off offset:128
	s_nop 0
	s_sendmsg sendmsg(MSG_DEALLOC_VGPRS)
	s_endpgm
	.section	.rodata,"a",@progbits
	.p2align	6, 0x0
	.amdhsa_kernel _ZL21dequantize_block_q4_KIfEvPKvPT_
		.amdhsa_group_segment_fixed_size 0
		.amdhsa_private_segment_fixed_size 0
		.amdhsa_kernarg_size 16
		.amdhsa_user_sgpr_count 15
		.amdhsa_user_sgpr_dispatch_ptr 0
		.amdhsa_user_sgpr_queue_ptr 0
		.amdhsa_user_sgpr_kernarg_segment_ptr 1
		.amdhsa_user_sgpr_dispatch_id 0
		.amdhsa_user_sgpr_private_segment_size 0
		.amdhsa_wavefront_size32 1
		.amdhsa_uses_dynamic_stack 0
		.amdhsa_enable_private_segment 0
		.amdhsa_system_sgpr_workgroup_id_x 1
		.amdhsa_system_sgpr_workgroup_id_y 0
		.amdhsa_system_sgpr_workgroup_id_z 0
		.amdhsa_system_sgpr_workgroup_info 0
		.amdhsa_system_vgpr_workitem_id 0
		.amdhsa_next_free_vgpr 15
		.amdhsa_next_free_sgpr 16
		.amdhsa_reserve_vcc 1
		.amdhsa_float_round_mode_32 0
		.amdhsa_float_round_mode_16_64 0
		.amdhsa_float_denorm_mode_32 3
		.amdhsa_float_denorm_mode_16_64 3
		.amdhsa_dx10_clamp 1
		.amdhsa_ieee_mode 1
		.amdhsa_fp16_overflow 0
		.amdhsa_workgroup_processor_mode 1
		.amdhsa_memory_ordered 1
		.amdhsa_forward_progress 0
		.amdhsa_shared_vgpr_count 0
		.amdhsa_exception_fp_ieee_invalid_op 0
		.amdhsa_exception_fp_denorm_src 0
		.amdhsa_exception_fp_ieee_div_zero 0
		.amdhsa_exception_fp_ieee_overflow 0
		.amdhsa_exception_fp_ieee_underflow 0
		.amdhsa_exception_fp_ieee_inexact 0
		.amdhsa_exception_int_div_zero 0
	.end_amdhsa_kernel
	.section	.text._ZL21dequantize_block_q4_KIfEvPKvPT_,"axG",@progbits,_ZL21dequantize_block_q4_KIfEvPKvPT_,comdat
.Lfunc_end7:
	.size	_ZL21dequantize_block_q4_KIfEvPKvPT_, .Lfunc_end7-_ZL21dequantize_block_q4_KIfEvPKvPT_
                                        ; -- End function
	.section	.AMDGPU.csdata,"",@progbits
; Kernel info:
; codeLenInByte = 836
; NumSgprs: 18
; NumVgprs: 15
; ScratchSize: 0
; MemoryBound: 0
; FloatMode: 240
; IeeeMode: 1
; LDSByteSize: 0 bytes/workgroup (compile time only)
; SGPRBlocks: 2
; VGPRBlocks: 1
; NumSGPRsForWavesPerEU: 18
; NumVGPRsForWavesPerEU: 15
; Occupancy: 16
; WaveLimiterHint : 1
; COMPUTE_PGM_RSRC2:SCRATCH_EN: 0
; COMPUTE_PGM_RSRC2:USER_SGPR: 15
; COMPUTE_PGM_RSRC2:TRAP_HANDLER: 0
; COMPUTE_PGM_RSRC2:TGID_X_EN: 1
; COMPUTE_PGM_RSRC2:TGID_Y_EN: 0
; COMPUTE_PGM_RSRC2:TGID_Z_EN: 0
; COMPUTE_PGM_RSRC2:TIDIG_COMP_CNT: 0
	.section	.text._ZL21dequantize_block_q5_KIfEvPKvPT_,"axG",@progbits,_ZL21dequantize_block_q5_KIfEvPKvPT_,comdat
	.globl	_ZL21dequantize_block_q5_KIfEvPKvPT_ ; -- Begin function _ZL21dequantize_block_q5_KIfEvPKvPT_
	.p2align	8
	.type	_ZL21dequantize_block_q5_KIfEvPKvPT_,@function
_ZL21dequantize_block_q5_KIfEvPKvPT_:   ; @_ZL21dequantize_block_q5_KIfEvPKvPT_
; %bb.0:
	s_load_b64 s[2:3], s[0:1], 0x0
	v_lshrrev_b32_e32 v4, 4, v0
	s_mul_i32 s5, s15, 0xb0
	s_mul_hi_u32 s4, s15, 0xb0
	v_cmp_lt_u32_e32 vcc_lo, 31, v0
                                        ; implicit-def: $vgpr6
                                        ; implicit-def: $vgpr5
	s_delay_alu instid0(VALU_DEP_2) | instskip(SKIP_3) | instid1(VALU_DEP_1)
	v_lshlrev_b32_e32 v3, 1, v4
	s_waitcnt lgkmcnt(0)
	s_add_u32 s2, s2, s5
	s_addc_u32 s3, s3, s4
	v_add_co_u32 v1, s4, s2, v3
	s_delay_alu instid0(VALU_DEP_1) | instskip(SKIP_1) | instid1(SALU_CYCLE_1)
	v_add_co_ci_u32_e64 v2, null, s3, 0, s4
	s_and_saveexec_b32 s4, vcc_lo
	s_xor_b32 s4, exec_lo, s4
	s_cbranch_execz .LBB8_2
; %bb.1:
	s_clause 0x2
	global_load_u8 v5, v[1:2], off
	global_load_u8 v6, v[1:2], off offset:4
	global_load_u8 v1, v[1:2], off offset:8
	s_waitcnt vmcnt(2)
	v_lshrrev_b16 v2, 2, v5
	s_waitcnt vmcnt(1)
	v_lshrrev_b16 v5, 2, v6
	s_waitcnt vmcnt(0)
	v_and_b32_e32 v6, 15, v1
	v_lshrrev_b16 v1, 4, v1
	v_and_b32_e32 v2, 48, v2
	v_and_b32_e32 v7, 48, v5
	s_delay_alu instid0(VALU_DEP_2) | instskip(NEXT) | instid1(VALU_DEP_2)
	v_or_b32_e32 v5, v2, v6
	v_or_b32_e32 v6, v7, v1
                                        ; implicit-def: $vgpr1_vgpr2
.LBB8_2:
	s_and_not1_saveexec_b32 s4, s4
	s_cbranch_execz .LBB8_4
; %bb.3:
	s_clause 0x1
	global_load_u8 v5, v[1:2], off offset:4
	global_load_u8 v1, v[1:2], off offset:8
	s_waitcnt vmcnt(1)
	v_and_b32_e32 v5, 63, v5
	s_waitcnt vmcnt(0)
	v_and_b32_e32 v6, 63, v1
.LBB8_4:
	s_or_b32 exec_lo, exec_lo, s4
	s_load_b64 s[0:1], s[0:1], 0x8
	s_load_b32 s4, s[2:3], 0x0
	s_add_u32 s5, s2, 4
	s_addc_u32 s6, s3, 0
	v_add_co_u32 v1, s5, s5, v3
	s_delay_alu instid0(VALU_DEP_1) | instskip(SKIP_1) | instid1(SALU_CYCLE_1)
	v_add_co_ci_u32_e64 v2, null, s6, 0, s5
                                        ; implicit-def: $vgpr8
                                        ; implicit-def: $vgpr7
	s_and_saveexec_b32 s5, vcc_lo
	s_xor_b32 s5, exec_lo, s5
	s_cbranch_execz .LBB8_6
; %bb.5:
	s_clause 0x2
	global_load_u8 v7, v[1:2], off offset:-3
	global_load_u8 v8, v[1:2], off offset:1
	global_load_u8 v1, v[1:2], off offset:5
	s_waitcnt vmcnt(2)
	v_lshrrev_b16 v2, 2, v7
	s_waitcnt vmcnt(1)
	v_lshrrev_b16 v7, 2, v8
	s_waitcnt vmcnt(0)
	v_and_b32_e32 v8, 15, v1
	v_lshrrev_b16 v1, 4, v1
	v_and_b32_e32 v2, 48, v2
	v_and_b32_e32 v9, 48, v7
	s_delay_alu instid0(VALU_DEP_2) | instskip(NEXT) | instid1(VALU_DEP_2)
	v_or_b32_e32 v7, v2, v8
	v_or_b32_e32 v8, v9, v1
                                        ; implicit-def: $vgpr1_vgpr2
.LBB8_6:
	s_and_not1_saveexec_b32 s5, s5
	s_cbranch_execz .LBB8_8
; %bb.7:
	s_clause 0x1
	global_load_u8 v7, v[1:2], off offset:1
	global_load_u8 v1, v[1:2], off offset:5
	s_waitcnt vmcnt(1)
	v_and_b32_e32 v7, 63, v7
	s_waitcnt vmcnt(0)
	v_and_b32_e32 v8, 63, v1
.LBB8_8:
	s_or_b32 exec_lo, exec_lo, s5
	v_lshlrev_b32_e32 v0, 1, v0
	v_and_b32_e32 v7, 0xff, v7
	v_and_b32_e32 v6, 0xff, v6
	;; [unrolled: 1-line block ×5, first 2 shown]
	v_lshlrev_b32_e32 v0, 5, v4
	v_cvt_f16_u16_e32 v7, v7
	v_cvt_f16_u16_e32 v6, v6
	;; [unrolled: 1-line block ×3, first 2 shown]
	v_add_co_u32 v1, s5, s2, v2
	s_delay_alu instid0(VALU_DEP_1) | instskip(SKIP_1) | instid1(VALU_DEP_3)
	v_add_co_ci_u32_e64 v9, null, s3, 0, s5
	v_cvt_f16_u16_e32 v8, v8
	v_add_co_u32 v0, vcc_lo, v1, v0
	s_delay_alu instid0(VALU_DEP_3)
	v_add_co_ci_u32_e32 v1, vcc_lo, 0, v9, vcc_lo
	v_lshlrev_b32_e64 v9, v3, 1
	v_lshlrev_b32_e64 v3, v3, 2
	s_waitcnt lgkmcnt(0)
	s_lshr_b32 s5, s4, 16
	s_clause 0x1
	global_load_u16 v0, v[0:1], off offset:48
	global_load_u16 v1, v2, s[2:3] offset:16
	s_mov_b32 s3, 0
	s_lshl_b32 s2, s15, 8
	v_lshlrev_b32_e32 v4, 8, v4
	s_lshl_b64 s[2:3], s[2:3], 2
	v_mul_f16_e32 v6, s5, v6
	v_mul_f16_e32 v5, s4, v5
	s_add_u32 s0, s0, s2
	v_mul_f16_e32 v8, s5, v8
	s_addc_u32 s1, s1, s3
	v_add_co_u32 v4, s0, s0, v4
	v_lshlrev_b32_e32 v2, 2, v2
	v_add_co_ci_u32_e64 v10, null, s1, 0, s0
	s_waitcnt vmcnt(1)
	v_lshrrev_b16 v11, 8, v0
	s_waitcnt vmcnt(0)
	v_lshrrev_b16 v12, 8, v1
	v_and_b32_e32 v1, 0xff, v1
	v_lshrrev_b16 v14, 4, v0
	v_and_b32_e32 v13, 15, v0
	v_and_b32_e32 v11, 15, v11
	;; [unrolled: 1-line block ×5, first 2 shown]
	v_lshrrev_b16 v0, 12, v0
	v_and_b32_e32 v14, 15, v14
	v_and_b32_e32 v9, v9, v12
	v_cmp_ne_u32_e32 vcc_lo, 0, v15
	v_and_b32_e32 v3, v3, v12
	v_cndmask_b32_e64 v15, 0, 1, vcc_lo
	v_cmp_ne_u32_e32 vcc_lo, 0, v1
	s_delay_alu instid0(VALU_DEP_2) | instskip(SKIP_2) | instid1(VALU_DEP_2)
	v_lshl_or_b32 v12, v15, 4, v13
	v_cndmask_b32_e64 v1, 0, 1, vcc_lo
	v_cmp_ne_u32_e32 vcc_lo, 0, v9
	v_lshl_or_b32 v1, v1, 4, v14
	v_cndmask_b32_e64 v9, 0, 1, vcc_lo
	v_cmp_ne_u32_e32 vcc_lo, 0, v3
	s_delay_alu instid0(VALU_DEP_3) | instskip(NEXT) | instid1(VALU_DEP_3)
	v_cvt_f32_ubyte0_e32 v1, v1
	v_lshl_or_b32 v9, v9, 4, v11
	v_cndmask_b32_e64 v3, 0, 1, vcc_lo
	s_delay_alu instid0(VALU_DEP_3) | instskip(NEXT) | instid1(VALU_DEP_3)
	v_cvt_f16_f32_e32 v1, v1
	v_cvt_f32_ubyte0_e32 v9, v9
	s_delay_alu instid0(VALU_DEP_3) | instskip(SKIP_2) | instid1(VALU_DEP_4)
	v_lshl_or_b32 v0, v3, 4, v0
	v_mul_f16_e32 v3, s4, v7
	v_cvt_f32_ubyte0_e32 v7, v12
	v_cvt_f16_f32_e32 v9, v9
	s_delay_alu instid0(VALU_DEP_4) | instskip(NEXT) | instid1(VALU_DEP_4)
	v_cvt_f32_ubyte0_e32 v0, v0
	v_fma_f16 v11, v3, v1, -v8
	s_delay_alu instid0(VALU_DEP_4) | instskip(NEXT) | instid1(VALU_DEP_3)
	v_cvt_f16_f32_e32 v7, v7
	v_cvt_f16_f32_e32 v0, v0
	s_delay_alu instid0(VALU_DEP_2) | instskip(SKIP_1) | instid1(VALU_DEP_3)
	v_fma_f16 v7, v5, v7, -v6
	v_fma_f16 v5, v5, v9, -v6
	;; [unrolled: 1-line block ×3, first 2 shown]
	v_add_co_u32 v0, vcc_lo, v4, v2
	v_add_co_ci_u32_e32 v1, vcc_lo, 0, v10, vcc_lo
	v_cvt_f32_f16_e32 v2, v7
	v_cvt_f32_f16_e32 v3, v5
	;; [unrolled: 1-line block ×4, first 2 shown]
	s_clause 0x1
	global_store_b64 v[0:1], v[2:3], off
	global_store_b64 v[0:1], v[4:5], off offset:128
	s_nop 0
	s_sendmsg sendmsg(MSG_DEALLOC_VGPRS)
	s_endpgm
	.section	.rodata,"a",@progbits
	.p2align	6, 0x0
	.amdhsa_kernel _ZL21dequantize_block_q5_KIfEvPKvPT_
		.amdhsa_group_segment_fixed_size 0
		.amdhsa_private_segment_fixed_size 0
		.amdhsa_kernarg_size 16
		.amdhsa_user_sgpr_count 15
		.amdhsa_user_sgpr_dispatch_ptr 0
		.amdhsa_user_sgpr_queue_ptr 0
		.amdhsa_user_sgpr_kernarg_segment_ptr 1
		.amdhsa_user_sgpr_dispatch_id 0
		.amdhsa_user_sgpr_private_segment_size 0
		.amdhsa_wavefront_size32 1
		.amdhsa_uses_dynamic_stack 0
		.amdhsa_enable_private_segment 0
		.amdhsa_system_sgpr_workgroup_id_x 1
		.amdhsa_system_sgpr_workgroup_id_y 0
		.amdhsa_system_sgpr_workgroup_id_z 0
		.amdhsa_system_sgpr_workgroup_info 0
		.amdhsa_system_vgpr_workitem_id 0
		.amdhsa_next_free_vgpr 16
		.amdhsa_next_free_sgpr 16
		.amdhsa_reserve_vcc 1
		.amdhsa_float_round_mode_32 0
		.amdhsa_float_round_mode_16_64 0
		.amdhsa_float_denorm_mode_32 3
		.amdhsa_float_denorm_mode_16_64 3
		.amdhsa_dx10_clamp 1
		.amdhsa_ieee_mode 1
		.amdhsa_fp16_overflow 0
		.amdhsa_workgroup_processor_mode 1
		.amdhsa_memory_ordered 1
		.amdhsa_forward_progress 0
		.amdhsa_shared_vgpr_count 0
		.amdhsa_exception_fp_ieee_invalid_op 0
		.amdhsa_exception_fp_denorm_src 0
		.amdhsa_exception_fp_ieee_div_zero 0
		.amdhsa_exception_fp_ieee_overflow 0
		.amdhsa_exception_fp_ieee_underflow 0
		.amdhsa_exception_fp_ieee_inexact 0
		.amdhsa_exception_int_div_zero 0
	.end_amdhsa_kernel
	.section	.text._ZL21dequantize_block_q5_KIfEvPKvPT_,"axG",@progbits,_ZL21dequantize_block_q5_KIfEvPKvPT_,comdat
.Lfunc_end8:
	.size	_ZL21dequantize_block_q5_KIfEvPKvPT_, .Lfunc_end8-_ZL21dequantize_block_q5_KIfEvPKvPT_
                                        ; -- End function
	.section	.AMDGPU.csdata,"",@progbits
; Kernel info:
; codeLenInByte = 928
; NumSgprs: 18
; NumVgprs: 16
; ScratchSize: 0
; MemoryBound: 0
; FloatMode: 240
; IeeeMode: 1
; LDSByteSize: 0 bytes/workgroup (compile time only)
; SGPRBlocks: 2
; VGPRBlocks: 1
; NumSGPRsForWavesPerEU: 18
; NumVGPRsForWavesPerEU: 16
; Occupancy: 16
; WaveLimiterHint : 1
; COMPUTE_PGM_RSRC2:SCRATCH_EN: 0
; COMPUTE_PGM_RSRC2:USER_SGPR: 15
; COMPUTE_PGM_RSRC2:TRAP_HANDLER: 0
; COMPUTE_PGM_RSRC2:TGID_X_EN: 1
; COMPUTE_PGM_RSRC2:TGID_Y_EN: 0
; COMPUTE_PGM_RSRC2:TGID_Z_EN: 0
; COMPUTE_PGM_RSRC2:TIDIG_COMP_CNT: 0
	.section	.text._ZL21dequantize_block_q6_KIfEvPKvPT_,"axG",@progbits,_ZL21dequantize_block_q6_KIfEvPKvPT_,comdat
	.globl	_ZL21dequantize_block_q6_KIfEvPKvPT_ ; -- Begin function _ZL21dequantize_block_q6_KIfEvPKvPT_
	.p2align	8
	.type	_ZL21dequantize_block_q6_KIfEvPKvPT_,@function
_ZL21dequantize_block_q6_KIfEvPKvPT_:   ; @_ZL21dequantize_block_q6_KIfEvPKvPT_
; %bb.0:
	s_load_b128 s[0:3], s[0:1], 0x0
	v_lshrrev_b32_e32 v3, 5, v0
	s_mov_b32 s5, 0
	s_lshl_b32 s4, s15, 8
	s_mul_hi_u32 s6, s15, 0xd2
	s_lshl_b64 s[4:5], s[4:5], 2
	v_lshlrev_b32_e32 v1, 6, v3
	s_mulk_i32 s15, 0xd2
	v_dual_mov_b32 v9, 0 :: v_dual_and_b32 v4, 31, v0
	s_waitcnt lgkmcnt(0)
	s_add_u32 s2, s2, s4
	s_addc_u32 s3, s3, s5
	s_add_u32 s0, s0, s15
	s_addc_u32 s1, s1, s6
	v_add_co_u32 v1, s4, s0, v1
	s_delay_alu instid0(VALU_DEP_1)
	v_add_co_ci_u32_e64 v2, null, s1, 0, s4
	global_load_u8 v5, v0, s[0:1] offset:128
	v_add_co_u32 v1, vcc_lo, v1, v4
	v_add_co_ci_u32_e32 v2, vcc_lo, 0, v2, vcc_lo
	v_bfe_u32 v0, v0, 4, 1
	v_lshlrev_b32_e32 v4, 2, v4
	s_clause 0x1
	global_load_u8 v6, v[1:2], off
	global_load_u8 v1, v[1:2], off offset:32
	v_lshl_or_b32 v0, v3, 3, v0
	s_clause 0x4
	global_load_i8 v2, v0, s[0:1] offset:192
	global_load_i8 v7, v0, s[0:1] offset:194
	;; [unrolled: 1-line block ×4, first 2 shown]
	global_load_u16 v9, v9, s[0:1] offset:208
	s_waitcnt vmcnt(7)
	v_lshlrev_b16 v10, 4, v5
	v_lshlrev_b16 v11, 2, v5
	v_lshrrev_b16 v12, 2, v5
	v_and_b32_e32 v5, 48, v5
	s_delay_alu instid0(VALU_DEP_4) | instskip(NEXT) | instid1(VALU_DEP_4)
	v_and_b32_e32 v10, 48, v10
	v_and_b32_e32 v11, 48, v11
	s_waitcnt vmcnt(6)
	v_and_b32_e32 v13, 15, v6
	s_waitcnt vmcnt(5)
	v_and_b32_e32 v14, 15, v1
	v_lshrrev_b16 v6, 4, v6
	v_and_b32_e32 v12, 48, v12
	v_lshrrev_b16 v1, 4, v1
	v_or_b32_e32 v10, v13, v10
	v_or_b32_e32 v11, v14, v11
	;; [unrolled: 1-line block ×3, first 2 shown]
	s_delay_alu instid0(VALU_DEP_4) | instskip(NEXT) | instid1(VALU_DEP_4)
	v_or_b32_e32 v1, v1, v12
	v_and_b32_e32 v6, 0xffff, v10
	s_delay_alu instid0(VALU_DEP_4) | instskip(NEXT) | instid1(VALU_DEP_4)
	v_and_b32_e32 v10, 0xffff, v11
	v_and_b32_e32 v5, 0xffff, v5
	s_delay_alu instid0(VALU_DEP_4) | instskip(NEXT) | instid1(VALU_DEP_4)
	v_and_b32_e32 v1, 0xffff, v1
	v_subrev_nc_u32_e32 v6, 32, v6
	s_delay_alu instid0(VALU_DEP_4) | instskip(NEXT) | instid1(VALU_DEP_4)
	v_subrev_nc_u32_e32 v10, 32, v10
	v_subrev_nc_u32_e32 v5, 32, v5
	s_delay_alu instid0(VALU_DEP_4)
	v_subrev_nc_u32_e32 v1, 32, v1
	s_waitcnt vmcnt(4)
	v_mul_i32_i24_e32 v2, v6, v2
	s_waitcnt vmcnt(3)
	v_mul_i32_i24_e32 v6, v10, v7
	;; [unrolled: 2-line block ×4, first 2 shown]
	v_cvt_f32_i32_e32 v2, v2
	v_lshlrev_b32_e32 v1, 9, v3
	v_cvt_f32_i32_e32 v3, v6
	v_cvt_f32_i32_e32 v5, v5
	;; [unrolled: 1-line block ×3, first 2 shown]
	v_cvt_f16_f32_e32 v2, v2
	v_add_co_u32 v1, s0, s2, v1
	v_cvt_f16_f32_e32 v3, v3
	v_cvt_f16_f32_e32 v5, v5
	;; [unrolled: 1-line block ×3, first 2 shown]
	v_add_co_ci_u32_e64 v6, null, s3, 0, s0
	s_waitcnt vmcnt(0)
	v_mul_f16_e32 v2, v9, v2
	v_mul_f16_e32 v3, v9, v3
	;; [unrolled: 1-line block ×4, first 2 shown]
	v_add_co_u32 v0, vcc_lo, v1, v4
	v_add_co_ci_u32_e32 v1, vcc_lo, 0, v6, vcc_lo
	v_cvt_f32_f16_e32 v2, v2
	v_cvt_f32_f16_e32 v3, v3
	;; [unrolled: 1-line block ×4, first 2 shown]
	s_clause 0x3
	global_store_b32 v[0:1], v2, off
	global_store_b32 v[0:1], v3, off offset:128
	global_store_b32 v[0:1], v4, off offset:256
	;; [unrolled: 1-line block ×3, first 2 shown]
	s_nop 0
	s_sendmsg sendmsg(MSG_DEALLOC_VGPRS)
	s_endpgm
	.section	.rodata,"a",@progbits
	.p2align	6, 0x0
	.amdhsa_kernel _ZL21dequantize_block_q6_KIfEvPKvPT_
		.amdhsa_group_segment_fixed_size 0
		.amdhsa_private_segment_fixed_size 0
		.amdhsa_kernarg_size 16
		.amdhsa_user_sgpr_count 15
		.amdhsa_user_sgpr_dispatch_ptr 0
		.amdhsa_user_sgpr_queue_ptr 0
		.amdhsa_user_sgpr_kernarg_segment_ptr 1
		.amdhsa_user_sgpr_dispatch_id 0
		.amdhsa_user_sgpr_private_segment_size 0
		.amdhsa_wavefront_size32 1
		.amdhsa_uses_dynamic_stack 0
		.amdhsa_enable_private_segment 0
		.amdhsa_system_sgpr_workgroup_id_x 1
		.amdhsa_system_sgpr_workgroup_id_y 0
		.amdhsa_system_sgpr_workgroup_id_z 0
		.amdhsa_system_sgpr_workgroup_info 0
		.amdhsa_system_vgpr_workitem_id 0
		.amdhsa_next_free_vgpr 15
		.amdhsa_next_free_sgpr 16
		.amdhsa_reserve_vcc 1
		.amdhsa_float_round_mode_32 0
		.amdhsa_float_round_mode_16_64 0
		.amdhsa_float_denorm_mode_32 3
		.amdhsa_float_denorm_mode_16_64 3
		.amdhsa_dx10_clamp 1
		.amdhsa_ieee_mode 1
		.amdhsa_fp16_overflow 0
		.amdhsa_workgroup_processor_mode 1
		.amdhsa_memory_ordered 1
		.amdhsa_forward_progress 0
		.amdhsa_shared_vgpr_count 0
		.amdhsa_exception_fp_ieee_invalid_op 0
		.amdhsa_exception_fp_denorm_src 0
		.amdhsa_exception_fp_ieee_div_zero 0
		.amdhsa_exception_fp_ieee_overflow 0
		.amdhsa_exception_fp_ieee_underflow 0
		.amdhsa_exception_fp_ieee_inexact 0
		.amdhsa_exception_int_div_zero 0
	.end_amdhsa_kernel
	.section	.text._ZL21dequantize_block_q6_KIfEvPKvPT_,"axG",@progbits,_ZL21dequantize_block_q6_KIfEvPKvPT_,comdat
.Lfunc_end9:
	.size	_ZL21dequantize_block_q6_KIfEvPKvPT_, .Lfunc_end9-_ZL21dequantize_block_q6_KIfEvPKvPT_
                                        ; -- End function
	.section	.AMDGPU.csdata,"",@progbits
; Kernel info:
; codeLenInByte = 536
; NumSgprs: 18
; NumVgprs: 15
; ScratchSize: 0
; MemoryBound: 0
; FloatMode: 240
; IeeeMode: 1
; LDSByteSize: 0 bytes/workgroup (compile time only)
; SGPRBlocks: 2
; VGPRBlocks: 1
; NumSGPRsForWavesPerEU: 18
; NumVGPRsForWavesPerEU: 15
; Occupancy: 16
; WaveLimiterHint : 0
; COMPUTE_PGM_RSRC2:SCRATCH_EN: 0
; COMPUTE_PGM_RSRC2:USER_SGPR: 15
; COMPUTE_PGM_RSRC2:TRAP_HANDLER: 0
; COMPUTE_PGM_RSRC2:TGID_X_EN: 1
; COMPUTE_PGM_RSRC2:TGID_Y_EN: 0
; COMPUTE_PGM_RSRC2:TGID_Z_EN: 0
; COMPUTE_PGM_RSRC2:TIDIG_COMP_CNT: 0
	.section	.text._ZL24dequantize_block_iq2_xxsIfEvPKvPT_,"axG",@progbits,_ZL24dequantize_block_iq2_xxsIfEvPKvPT_,comdat
	.globl	_ZL24dequantize_block_iq2_xxsIfEvPKvPT_ ; -- Begin function _ZL24dequantize_block_iq2_xxsIfEvPKvPT_
	.p2align	8
	.type	_ZL24dequantize_block_iq2_xxsIfEvPKvPT_,@function
_ZL24dequantize_block_iq2_xxsIfEvPKvPT_: ; @_ZL24dequantize_block_iq2_xxsIfEvPKvPT_
; %bb.0:
	s_load_b128 s[0:3], s[0:1], 0x0
	v_and_b32_e32 v3, 7, v0
	s_mov_b32 s5, 0
	s_lshl_b32 s4, s15, 8
	s_mul_hi_u32 s6, s15, 0x42
	s_lshl_b64 s[4:5], s[4:5], 2
	v_lshlrev_b32_e32 v5, 3, v3
	s_mulk_i32 s15, 0x42
	v_lshrrev_b32_e32 v4, 3, v0
	v_and_b32_e32 v0, 0x3f8, v0
	s_delay_alu instid0(VALU_DEP_1)
	v_lshlrev_b32_e32 v0, 2, v0
	s_waitcnt lgkmcnt(0)
	s_add_u32 s4, s2, s4
	s_addc_u32 s5, s3, s5
	s_add_u32 s0, s0, s15
	s_addc_u32 s1, s1, s6
	v_add_co_u32 v1, s2, s0, v5
	s_delay_alu instid0(VALU_DEP_1) | instskip(NEXT) | instid1(VALU_DEP_2)
	v_add_co_ci_u32_e64 v2, null, s1, 0, s2
	v_add_co_u32 v1, vcc_lo, v1, v4
	s_delay_alu instid0(VALU_DEP_2)
	v_add_co_ci_u32_e32 v2, vcc_lo, 0, v2, vcc_lo
	s_clause 0x1
	global_load_u8 v1, v[1:2], off offset:2
	global_load_b32 v5, v5, s[0:1] offset:6
	v_mov_b32_e32 v2, 0
	global_load_u16 v6, v2, s[0:1]
	v_mul_u32_u24_e32 v2, 7, v4
	s_getpc_b64 s[0:1]
	s_add_u32 s0, s0, _ZL11iq2xxs_grid@rel32@lo+4
	s_addc_u32 s1, s1, _ZL11iq2xxs_grid@rel32@hi+12
	s_getpc_b64 s[2:3]
	s_add_u32 s2, s2, _ZL12ksigns_iq2xs@rel32@lo+4
	s_addc_u32 s3, s3, _ZL12ksigns_iq2xs@rel32@hi+12
	s_waitcnt vmcnt(1)
	v_lshrrev_b32_e32 v4, 28, v5
	v_bfe_u32 v7, v5, v2, 7
	s_delay_alu instid0(VALU_DEP_2) | instskip(SKIP_2) | instid1(VALU_DEP_2)
	v_cvt_f32_ubyte0_e32 v4, v4
	s_waitcnt vmcnt(0)
	v_cvt_f32_f16_e32 v5, v6
	v_dual_add_f32 v4, 0.5, v4 :: v_dual_lshlrev_b32 v3, 7, v3
	s_delay_alu instid0(VALU_DEP_1) | instskip(SKIP_4) | instid1(VALU_DEP_1)
	v_mul_f32_e32 v4, v4, v5
	v_lshlrev_b32_e32 v1, 3, v1
	global_load_b64 v[1:2], v1, s[0:1]
	global_load_i8 v10, v7, s[2:3]
	v_add_co_u32 v3, s0, s4, v3
	v_add_co_ci_u32_e64 v6, null, s5, 0, s0
	s_delay_alu instid0(VALU_DEP_2) | instskip(SKIP_1) | instid1(VALU_DEP_3)
	v_add_co_u32 v8, vcc_lo, v3, v0
	v_mul_f32_e32 v0, 0x3e800000, v4
	v_add_co_ci_u32_e32 v9, vcc_lo, 0, v6, vcc_lo
	s_waitcnt vmcnt(1)
	v_cvt_f32_ubyte0_e32 v3, v1
	s_waitcnt vmcnt(0)
	v_and_b32_e32 v4, 1, v10
	v_cvt_f32_ubyte1_e32 v5, v1
	v_and_b32_e32 v6, 2, v10
	v_cvt_f32_ubyte2_e32 v11, v1
	v_cvt_f32_ubyte3_e32 v1, v1
	v_cvt_f32_ubyte0_e32 v14, v2
	v_mul_f32_e32 v5, v0, v5
	v_cvt_f32_ubyte1_e32 v16, v2
	v_cvt_f32_ubyte2_e32 v18, v2
	v_cvt_f32_ubyte3_e32 v2, v2
	v_mul_f32_e32 v3, v0, v3
	v_cmp_eq_u16_e32 vcc_lo, 0, v4
	v_dual_mul_f32 v11, v0, v11 :: v_dual_and_b32 v12, 4, v10
	v_dual_mul_f32 v16, v0, v16 :: v_dual_and_b32 v13, 8, v10
	v_mul_f32_e32 v19, v0, v1
	v_mul_f32_e32 v14, v0, v14
	;; [unrolled: 1-line block ×4, first 2 shown]
	v_cndmask_b32_e64 v0, -v3, v3, vcc_lo
	v_cmp_eq_u16_e32 vcc_lo, 0, v6
	v_and_b32_e32 v15, 16, v10
	v_and_b32_e32 v17, 32, v10
	v_cndmask_b32_e64 v1, -v5, v5, vcc_lo
	v_cmp_eq_u16_e32 vcc_lo, 0, v12
	v_cndmask_b32_e64 v2, -v11, v11, vcc_lo
	v_cmp_eq_u16_e32 vcc_lo, 0, v13
	;; [unrolled: 2-line block ×4, first 2 shown]
	v_cndmask_b32_e64 v5, -v16, v16, vcc_lo
	v_cmp_gt_u32_e32 vcc_lo, 64, v7
	v_cndmask_b32_e64 v6, -v18, v18, vcc_lo
	v_cmp_gt_i16_e32 vcc_lo, 0, v10
	v_cndmask_b32_e64 v7, v20, -v20, vcc_lo
	s_clause 0x1
	global_store_b128 v[8:9], v[0:3], off
	global_store_b128 v[8:9], v[4:7], off offset:16
	s_nop 0
	s_sendmsg sendmsg(MSG_DEALLOC_VGPRS)
	s_endpgm
	.section	.rodata,"a",@progbits
	.p2align	6, 0x0
	.amdhsa_kernel _ZL24dequantize_block_iq2_xxsIfEvPKvPT_
		.amdhsa_group_segment_fixed_size 0
		.amdhsa_private_segment_fixed_size 0
		.amdhsa_kernarg_size 16
		.amdhsa_user_sgpr_count 15
		.amdhsa_user_sgpr_dispatch_ptr 0
		.amdhsa_user_sgpr_queue_ptr 0
		.amdhsa_user_sgpr_kernarg_segment_ptr 1
		.amdhsa_user_sgpr_dispatch_id 0
		.amdhsa_user_sgpr_private_segment_size 0
		.amdhsa_wavefront_size32 1
		.amdhsa_uses_dynamic_stack 0
		.amdhsa_enable_private_segment 0
		.amdhsa_system_sgpr_workgroup_id_x 1
		.amdhsa_system_sgpr_workgroup_id_y 0
		.amdhsa_system_sgpr_workgroup_id_z 0
		.amdhsa_system_sgpr_workgroup_info 0
		.amdhsa_system_vgpr_workitem_id 0
		.amdhsa_next_free_vgpr 21
		.amdhsa_next_free_sgpr 16
		.amdhsa_reserve_vcc 1
		.amdhsa_float_round_mode_32 0
		.amdhsa_float_round_mode_16_64 0
		.amdhsa_float_denorm_mode_32 3
		.amdhsa_float_denorm_mode_16_64 3
		.amdhsa_dx10_clamp 1
		.amdhsa_ieee_mode 1
		.amdhsa_fp16_overflow 0
		.amdhsa_workgroup_processor_mode 1
		.amdhsa_memory_ordered 1
		.amdhsa_forward_progress 0
		.amdhsa_shared_vgpr_count 0
		.amdhsa_exception_fp_ieee_invalid_op 0
		.amdhsa_exception_fp_denorm_src 0
		.amdhsa_exception_fp_ieee_div_zero 0
		.amdhsa_exception_fp_ieee_overflow 0
		.amdhsa_exception_fp_ieee_underflow 0
		.amdhsa_exception_fp_ieee_inexact 0
		.amdhsa_exception_int_div_zero 0
	.end_amdhsa_kernel
	.section	.text._ZL24dequantize_block_iq2_xxsIfEvPKvPT_,"axG",@progbits,_ZL24dequantize_block_iq2_xxsIfEvPKvPT_,comdat
.Lfunc_end10:
	.size	_ZL24dequantize_block_iq2_xxsIfEvPKvPT_, .Lfunc_end10-_ZL24dequantize_block_iq2_xxsIfEvPKvPT_
                                        ; -- End function
	.section	.AMDGPU.csdata,"",@progbits
; Kernel info:
; codeLenInByte = 524
; NumSgprs: 18
; NumVgprs: 21
; ScratchSize: 0
; MemoryBound: 0
; FloatMode: 240
; IeeeMode: 1
; LDSByteSize: 0 bytes/workgroup (compile time only)
; SGPRBlocks: 2
; VGPRBlocks: 2
; NumSGPRsForWavesPerEU: 18
; NumVGPRsForWavesPerEU: 21
; Occupancy: 16
; WaveLimiterHint : 0
; COMPUTE_PGM_RSRC2:SCRATCH_EN: 0
; COMPUTE_PGM_RSRC2:USER_SGPR: 15
; COMPUTE_PGM_RSRC2:TRAP_HANDLER: 0
; COMPUTE_PGM_RSRC2:TGID_X_EN: 1
; COMPUTE_PGM_RSRC2:TGID_Y_EN: 0
; COMPUTE_PGM_RSRC2:TGID_Z_EN: 0
; COMPUTE_PGM_RSRC2:TIDIG_COMP_CNT: 0
	.section	.text._ZL23dequantize_block_iq2_xsIfEvPKvPT_,"axG",@progbits,_ZL23dequantize_block_iq2_xsIfEvPKvPT_,comdat
	.globl	_ZL23dequantize_block_iq2_xsIfEvPKvPT_ ; -- Begin function _ZL23dequantize_block_iq2_xsIfEvPKvPT_
	.p2align	8
	.type	_ZL23dequantize_block_iq2_xsIfEvPKvPT_,@function
_ZL23dequantize_block_iq2_xsIfEvPKvPT_: ; @_ZL23dequantize_block_iq2_xsIfEvPKvPT_
; %bb.0:
	s_load_b128 s[0:3], s[0:1], 0x0
	v_and_b32_e32 v5, 7, v0
	s_mov_b32 s5, 0
	s_lshl_b32 s4, s15, 8
	v_lshrrev_b32_e32 v6, 2, v0
	s_lshl_b64 s[4:5], s[4:5], 2
	v_lshlrev_b32_e32 v1, 3, v5
	s_mul_hi_u32 s6, s15, 0x4a
	s_mulk_i32 s15, 0x4a
	v_and_b32_e32 v2, 0xfe, v6
	s_waitcnt lgkmcnt(0)
	s_add_u32 s4, s2, s4
	s_addc_u32 s5, s3, s5
	s_add_u32 s0, s0, s15
	s_addc_u32 s1, s1, s6
	v_add_co_u32 v1, s2, s0, v1
	s_delay_alu instid0(VALU_DEP_1) | instskip(NEXT) | instid1(VALU_DEP_2)
	v_add_co_ci_u32_e64 v3, null, s1, 0, s2
	v_add_co_u32 v1, vcc_lo, v1, v2
	s_delay_alu instid0(VALU_DEP_2)
	v_add_co_ci_u32_e32 v2, vcc_lo, 0, v3, vcc_lo
	global_load_u16 v7, v[1:2], off offset:2
	v_mov_b32_e32 v1, 0
	s_clause 0x1
	global_load_u8 v8, v5, s[0:1] offset:66
	global_load_u16 v9, v1, s[0:1]
	s_getpc_b64 s[0:1]
	s_add_u32 s0, s0, _ZL12ksigns_iq2xs@rel32@lo+4
	s_addc_u32 s1, s1, _ZL12ksigns_iq2xs@rel32@hi+12
	s_getpc_b64 s[2:3]
	s_add_u32 s2, s2, _ZL10iq2xs_grid@rel32@lo+4
	s_addc_u32 s3, s3, _ZL10iq2xs_grid@rel32@hi+12
	s_waitcnt vmcnt(2)
	v_and_b32_e32 v1, 0x1ff, v7
	v_lshrrev_b16 v2, 9, v7
	s_delay_alu instid0(VALU_DEP_2) | instskip(NEXT) | instid1(VALU_DEP_2)
	v_and_b32_e32 v1, 0xffff, v1
	v_and_b32_e32 v2, 0xffff, v2
	s_delay_alu instid0(VALU_DEP_2) | instskip(NEXT) | instid1(VALU_DEP_2)
	v_lshlrev_b32_e32 v3, 3, v1
	v_add_co_u32 v1, s0, v2, s0
	s_delay_alu instid0(VALU_DEP_1) | instskip(SKIP_4) | instid1(VALU_DEP_1)
	v_add_co_ci_u32_e64 v2, null, 0, s1, s0
	global_load_b64 v[3:4], v3, s[2:3]
	global_load_i8 v10, v[1:2], off
	v_and_b32_e32 v1, 0xfc, v6
	s_waitcnt vmcnt(3)
	v_bfe_u32 v1, v8, v1, 4
	s_delay_alu instid0(VALU_DEP_1) | instskip(NEXT) | instid1(VALU_DEP_1)
	v_cvt_f32_ubyte0_e32 v1, v1
	v_add_f32_e32 v1, 0.5, v1
	s_waitcnt vmcnt(1)
	v_cvt_f32_ubyte2_e32 v11, v3
	v_lshlrev_b32_e32 v2, 7, v5
	v_cvt_f32_f16_e32 v5, v9
	v_and_b32_e32 v0, 0x3f8, v0
	v_cvt_f32_ubyte0_e32 v14, v4
	v_cvt_f32_ubyte1_e32 v16, v4
	v_add_co_u32 v2, s0, s4, v2
	s_delay_alu instid0(VALU_DEP_4) | instskip(SKIP_3) | instid1(VALU_DEP_4)
	v_dual_mul_f32 v1, v1, v5 :: v_dual_lshlrev_b32 v0, 2, v0
	v_add_co_ci_u32_e64 v6, null, s5, 0, s0
	v_cvt_f32_ubyte1_e32 v5, v3
	v_cvt_f32_ubyte2_e32 v18, v4
	v_add_co_u32 v8, vcc_lo, v2, v0
	v_mul_f32_e32 v0, 0x3e800000, v1
	v_cvt_f32_ubyte0_e32 v1, v3
	s_waitcnt vmcnt(0)
	v_and_b32_e32 v2, 1, v10
	v_add_co_ci_u32_e32 v9, vcc_lo, 0, v6, vcc_lo
	v_dual_mul_f32 v5, v0, v5 :: v_dual_and_b32 v6, 2, v10
	v_cvt_f32_ubyte3_e32 v3, v3
	v_cvt_f32_ubyte3_e32 v4, v4
	v_mul_f32_e32 v1, v0, v1
	v_cmp_eq_u16_e32 vcc_lo, 0, v2
	s_delay_alu instid0(VALU_DEP_4)
	v_dual_mul_f32 v3, v0, v3 :: v_dual_and_b32 v12, 4, v10
	v_mul_f32_e32 v11, v0, v11
	v_mul_f32_e32 v14, v0, v14
	;; [unrolled: 1-line block ×5, first 2 shown]
	v_cndmask_b32_e64 v0, -v1, v1, vcc_lo
	v_cmp_eq_u16_e32 vcc_lo, 0, v6
	v_and_b32_e32 v13, 8, v10
	v_and_b32_e32 v15, 16, v10
	;; [unrolled: 1-line block ×3, first 2 shown]
	v_cndmask_b32_e64 v1, -v5, v5, vcc_lo
	v_cmp_eq_u16_e32 vcc_lo, 0, v12
	v_cndmask_b32_e64 v2, -v11, v11, vcc_lo
	v_cmp_eq_u16_e32 vcc_lo, 0, v13
	;; [unrolled: 2-line block ×4, first 2 shown]
	v_cndmask_b32_e64 v5, -v16, v16, vcc_lo
	v_cmp_gt_i16_e32 vcc_lo, 0, v7
	v_cndmask_b32_e64 v6, v18, -v18, vcc_lo
	v_cmp_gt_i16_e32 vcc_lo, 0, v10
	v_cndmask_b32_e64 v7, v19, -v19, vcc_lo
	s_clause 0x1
	global_store_b128 v[8:9], v[0:3], off
	global_store_b128 v[8:9], v[4:7], off offset:16
	s_nop 0
	s_sendmsg sendmsg(MSG_DEALLOC_VGPRS)
	s_endpgm
	.section	.rodata,"a",@progbits
	.p2align	6, 0x0
	.amdhsa_kernel _ZL23dequantize_block_iq2_xsIfEvPKvPT_
		.amdhsa_group_segment_fixed_size 0
		.amdhsa_private_segment_fixed_size 0
		.amdhsa_kernarg_size 16
		.amdhsa_user_sgpr_count 15
		.amdhsa_user_sgpr_dispatch_ptr 0
		.amdhsa_user_sgpr_queue_ptr 0
		.amdhsa_user_sgpr_kernarg_segment_ptr 1
		.amdhsa_user_sgpr_dispatch_id 0
		.amdhsa_user_sgpr_private_segment_size 0
		.amdhsa_wavefront_size32 1
		.amdhsa_uses_dynamic_stack 0
		.amdhsa_enable_private_segment 0
		.amdhsa_system_sgpr_workgroup_id_x 1
		.amdhsa_system_sgpr_workgroup_id_y 0
		.amdhsa_system_sgpr_workgroup_id_z 0
		.amdhsa_system_sgpr_workgroup_info 0
		.amdhsa_system_vgpr_workitem_id 0
		.amdhsa_next_free_vgpr 20
		.amdhsa_next_free_sgpr 16
		.amdhsa_reserve_vcc 1
		.amdhsa_float_round_mode_32 0
		.amdhsa_float_round_mode_16_64 0
		.amdhsa_float_denorm_mode_32 3
		.amdhsa_float_denorm_mode_16_64 3
		.amdhsa_dx10_clamp 1
		.amdhsa_ieee_mode 1
		.amdhsa_fp16_overflow 0
		.amdhsa_workgroup_processor_mode 1
		.amdhsa_memory_ordered 1
		.amdhsa_forward_progress 0
		.amdhsa_shared_vgpr_count 0
		.amdhsa_exception_fp_ieee_invalid_op 0
		.amdhsa_exception_fp_denorm_src 0
		.amdhsa_exception_fp_ieee_div_zero 0
		.amdhsa_exception_fp_ieee_overflow 0
		.amdhsa_exception_fp_ieee_underflow 0
		.amdhsa_exception_fp_ieee_inexact 0
		.amdhsa_exception_int_div_zero 0
	.end_amdhsa_kernel
	.section	.text._ZL23dequantize_block_iq2_xsIfEvPKvPT_,"axG",@progbits,_ZL23dequantize_block_iq2_xsIfEvPKvPT_,comdat
.Lfunc_end11:
	.size	_ZL23dequantize_block_iq2_xsIfEvPKvPT_, .Lfunc_end11-_ZL23dequantize_block_iq2_xsIfEvPKvPT_
                                        ; -- End function
	.section	.AMDGPU.csdata,"",@progbits
; Kernel info:
; codeLenInByte = 588
; NumSgprs: 18
; NumVgprs: 20
; ScratchSize: 0
; MemoryBound: 0
; FloatMode: 240
; IeeeMode: 1
; LDSByteSize: 0 bytes/workgroup (compile time only)
; SGPRBlocks: 2
; VGPRBlocks: 2
; NumSGPRsForWavesPerEU: 18
; NumVGPRsForWavesPerEU: 20
; Occupancy: 16
; WaveLimiterHint : 0
; COMPUTE_PGM_RSRC2:SCRATCH_EN: 0
; COMPUTE_PGM_RSRC2:USER_SGPR: 15
; COMPUTE_PGM_RSRC2:TRAP_HANDLER: 0
; COMPUTE_PGM_RSRC2:TGID_X_EN: 1
; COMPUTE_PGM_RSRC2:TGID_Y_EN: 0
; COMPUTE_PGM_RSRC2:TGID_Z_EN: 0
; COMPUTE_PGM_RSRC2:TIDIG_COMP_CNT: 0
	.section	.text._ZL24dequantize_block_iq3_xxsIfEvPKvPT_,"axG",@progbits,_ZL24dequantize_block_iq3_xxsIfEvPKvPT_,comdat
	.globl	_ZL24dequantize_block_iq3_xxsIfEvPKvPT_ ; -- Begin function _ZL24dequantize_block_iq3_xxsIfEvPKvPT_
	.p2align	8
	.type	_ZL24dequantize_block_iq3_xxsIfEvPKvPT_,@function
_ZL24dequantize_block_iq3_xxsIfEvPKvPT_: ; @_ZL24dequantize_block_iq3_xxsIfEvPKvPT_
; %bb.0:
	s_load_b128 s[0:3], s[0:1], 0x0
	v_and_b32_e32 v3, 7, v0
	s_mov_b32 s5, 0
	s_lshl_b32 s4, s15, 8
	v_lshrrev_b32_e32 v4, 3, v0
	s_lshl_b64 s[4:5], s[4:5], 2
	v_lshlrev_b32_e32 v1, 3, v3
	s_mul_hi_u32 s6, s15, 0x62
	s_mulk_i32 s15, 0x62
	v_lshlrev_b32_e32 v2, 1, v4
	v_mul_u32_u24_e32 v4, 7, v4
	s_waitcnt lgkmcnt(0)
	s_add_u32 s4, s2, s4
	s_addc_u32 s5, s3, s5
	s_add_u32 s0, s0, s15
	s_addc_u32 s1, s1, s6
	v_add_co_u32 v1, s2, s0, v1
	s_delay_alu instid0(VALU_DEP_1) | instskip(NEXT) | instid1(VALU_DEP_2)
	v_add_co_ci_u32_e64 v5, null, s1, 0, s2
	v_add_co_u32 v1, vcc_lo, v1, v2
	s_delay_alu instid0(VALU_DEP_2)
	v_add_co_ci_u32_e32 v2, vcc_lo, 0, v5, vcc_lo
	v_lshlrev_b32_e32 v5, 2, v3
	s_clause 0x1
	global_load_u16 v1, v[1:2], off offset:2
	global_load_b32 v2, v5, s[0:1] offset:66
	v_mov_b32_e32 v5, 0
	global_load_u16 v5, v5, s[0:1]
	s_getpc_b64 s[0:1]
	s_add_u32 s0, s0, _ZL12ksigns_iq2xs@rel32@lo+4
	s_addc_u32 s1, s1, _ZL12ksigns_iq2xs@rel32@hi+12
	s_getpc_b64 s[2:3]
	s_add_u32 s2, s2, _ZL11iq3xxs_grid@rel32@lo+4
	s_addc_u32 s3, s3, _ZL11iq3xxs_grid@rel32@hi+12
	s_waitcnt vmcnt(1)
	v_bfe_u32 v7, v2, v4, 7
	v_lshrrev_b32_e32 v2, 28, v2
	global_load_i8 v10, v7, s[0:1]
	v_cvt_f32_ubyte0_e32 v2, v2
	s_waitcnt vmcnt(1)
	v_cvt_f32_f16_e32 v5, v5
	s_delay_alu instid0(VALU_DEP_2) | instskip(NEXT) | instid1(VALU_DEP_1)
	v_add_f32_e32 v2, 0.5, v2
	v_mul_f32_e32 v2, v2, v5
	v_and_b32_e32 v6, 0xff, v1
	v_lshrrev_b16 v1, 8, v1
	s_delay_alu instid0(VALU_DEP_3) | instskip(NEXT) | instid1(VALU_DEP_3)
	v_mul_f32_e32 v5, 0.5, v2
	v_lshlrev_b32_e32 v4, 2, v6
	s_delay_alu instid0(VALU_DEP_3)
	v_and_b32_e32 v1, 0xffff, v1
	global_load_b32 v4, v4, s[2:3]
	v_lshlrev_b32_e32 v1, 2, v1
	global_load_b32 v1, v1, s[2:3]
	s_waitcnt vmcnt(2)
	v_and_b32_e32 v2, 2, v10
	v_and_b32_e32 v13, 8, v10
	s_waitcnt vmcnt(1)
	v_cvt_f32_ubyte0_e32 v12, v4
	v_cvt_f32_ubyte1_e32 v14, v4
	v_cvt_f32_ubyte2_e32 v15, v4
	v_cvt_f32_ubyte3_e32 v4, v4
	s_delay_alu instid0(VALU_DEP_4)
	v_dual_mul_f32 v12, v5, v12 :: v_dual_lshlrev_b32 v3, 7, v3
	s_waitcnt vmcnt(0)
	v_cvt_f32_ubyte2_e32 v18, v1
	v_and_b32_e32 v0, 0x3f8, v0
	v_mul_f32_e32 v4, v5, v4
	v_add_co_u32 v3, s0, s4, v3
	v_cvt_f32_ubyte3_e32 v19, v1
	s_delay_alu instid0(VALU_DEP_4) | instskip(SKIP_3) | instid1(VALU_DEP_4)
	v_lshlrev_b32_e32 v0, 2, v0
	v_add_co_ci_u32_e64 v6, null, s5, 0, s0
	v_mul_f32_e32 v14, v5, v14
	v_cvt_f32_ubyte1_e32 v17, v1
	v_add_co_u32 v8, vcc_lo, v3, v0
	v_and_b32_e32 v0, 1, v10
	v_add_co_ci_u32_e32 v9, vcc_lo, 0, v6, vcc_lo
	v_and_b32_e32 v3, 4, v10
	v_cvt_f32_ubyte0_e32 v16, v1
	s_delay_alu instid0(VALU_DEP_4)
	v_cmp_eq_u16_e32 vcc_lo, 0, v0
	v_dual_mul_f32 v15, v5, v15 :: v_dual_and_b32 v6, 16, v10
	v_and_b32_e32 v11, 32, v10
	v_cndmask_b32_e64 v0, -v12, v12, vcc_lo
	v_mul_f32_e32 v12, v5, v16
	v_cmp_eq_u16_e32 vcc_lo, 0, v2
	v_cndmask_b32_e64 v1, -v14, v14, vcc_lo
	v_mul_f32_e32 v14, v5, v17
	v_cmp_eq_u16_e32 vcc_lo, 0, v3
	v_cndmask_b32_e64 v2, -v15, v15, vcc_lo
	v_cmp_eq_u16_e32 vcc_lo, 0, v13
	v_mul_f32_e32 v15, v5, v18
	v_mul_f32_e32 v13, v5, v19
	v_cndmask_b32_e64 v3, -v4, v4, vcc_lo
	v_cmp_eq_u16_e32 vcc_lo, 0, v6
	v_cndmask_b32_e64 v4, -v12, v12, vcc_lo
	v_cmp_eq_u16_e32 vcc_lo, 0, v11
	v_cndmask_b32_e64 v5, -v14, v14, vcc_lo
	v_cmp_gt_u32_e32 vcc_lo, 64, v7
	v_cndmask_b32_e64 v6, -v15, v15, vcc_lo
	v_cmp_gt_i16_e32 vcc_lo, 0, v10
	v_cndmask_b32_e64 v7, v13, -v13, vcc_lo
	s_clause 0x1
	global_store_b128 v[8:9], v[0:3], off
	global_store_b128 v[8:9], v[4:7], off offset:16
	s_nop 0
	s_sendmsg sendmsg(MSG_DEALLOC_VGPRS)
	s_endpgm
	.section	.rodata,"a",@progbits
	.p2align	6, 0x0
	.amdhsa_kernel _ZL24dequantize_block_iq3_xxsIfEvPKvPT_
		.amdhsa_group_segment_fixed_size 0
		.amdhsa_private_segment_fixed_size 0
		.amdhsa_kernarg_size 16
		.amdhsa_user_sgpr_count 15
		.amdhsa_user_sgpr_dispatch_ptr 0
		.amdhsa_user_sgpr_queue_ptr 0
		.amdhsa_user_sgpr_kernarg_segment_ptr 1
		.amdhsa_user_sgpr_dispatch_id 0
		.amdhsa_user_sgpr_private_segment_size 0
		.amdhsa_wavefront_size32 1
		.amdhsa_uses_dynamic_stack 0
		.amdhsa_enable_private_segment 0
		.amdhsa_system_sgpr_workgroup_id_x 1
		.amdhsa_system_sgpr_workgroup_id_y 0
		.amdhsa_system_sgpr_workgroup_id_z 0
		.amdhsa_system_sgpr_workgroup_info 0
		.amdhsa_system_vgpr_workitem_id 0
		.amdhsa_next_free_vgpr 20
		.amdhsa_next_free_sgpr 16
		.amdhsa_reserve_vcc 1
		.amdhsa_float_round_mode_32 0
		.amdhsa_float_round_mode_16_64 0
		.amdhsa_float_denorm_mode_32 3
		.amdhsa_float_denorm_mode_16_64 3
		.amdhsa_dx10_clamp 1
		.amdhsa_ieee_mode 1
		.amdhsa_fp16_overflow 0
		.amdhsa_workgroup_processor_mode 1
		.amdhsa_memory_ordered 1
		.amdhsa_forward_progress 0
		.amdhsa_shared_vgpr_count 0
		.amdhsa_exception_fp_ieee_invalid_op 0
		.amdhsa_exception_fp_denorm_src 0
		.amdhsa_exception_fp_ieee_div_zero 0
		.amdhsa_exception_fp_ieee_overflow 0
		.amdhsa_exception_fp_ieee_underflow 0
		.amdhsa_exception_fp_ieee_inexact 0
		.amdhsa_exception_int_div_zero 0
	.end_amdhsa_kernel
	.section	.text._ZL24dequantize_block_iq3_xxsIfEvPKvPT_,"axG",@progbits,_ZL24dequantize_block_iq3_xxsIfEvPKvPT_,comdat
.Lfunc_end12:
	.size	_ZL24dequantize_block_iq3_xxsIfEvPKvPT_, .Lfunc_end12-_ZL24dequantize_block_iq3_xxsIfEvPKvPT_
                                        ; -- End function
	.section	.AMDGPU.csdata,"",@progbits
; Kernel info:
; codeLenInByte = 576
; NumSgprs: 18
; NumVgprs: 20
; ScratchSize: 0
; MemoryBound: 0
; FloatMode: 240
; IeeeMode: 1
; LDSByteSize: 0 bytes/workgroup (compile time only)
; SGPRBlocks: 2
; VGPRBlocks: 2
; NumSGPRsForWavesPerEU: 18
; NumVGPRsForWavesPerEU: 20
; Occupancy: 16
; WaveLimiterHint : 0
; COMPUTE_PGM_RSRC2:SCRATCH_EN: 0
; COMPUTE_PGM_RSRC2:USER_SGPR: 15
; COMPUTE_PGM_RSRC2:TRAP_HANDLER: 0
; COMPUTE_PGM_RSRC2:TGID_X_EN: 1
; COMPUTE_PGM_RSRC2:TGID_Y_EN: 0
; COMPUTE_PGM_RSRC2:TGID_Z_EN: 0
; COMPUTE_PGM_RSRC2:TIDIG_COMP_CNT: 0
	.section	.text._ZL22dequantize_block_iq1_sIfEvPKvPT_,"axG",@progbits,_ZL22dequantize_block_iq1_sIfEvPKvPT_,comdat
	.globl	_ZL22dequantize_block_iq1_sIfEvPKvPT_ ; -- Begin function _ZL22dequantize_block_iq1_sIfEvPKvPT_
	.p2align	8
	.type	_ZL22dequantize_block_iq1_sIfEvPKvPT_,@function
_ZL22dequantize_block_iq1_sIfEvPKvPT_:  ; @_ZL22dequantize_block_iq1_sIfEvPKvPT_
; %bb.0:
	s_load_b128 s[0:3], s[0:1], 0x0
	v_and_b32_e32 v3, 7, v0
	s_mov_b32 s4, s15
	s_mov_b32 s5, 0
	v_lshrrev_b32_e32 v4, 3, v0
	s_lshl_b64 s[6:7], s[4:5], 10
	s_mul_i32 s4, s15, 50
	v_lshlrev_b32_e32 v1, 1, v3
	v_lshlrev_b32_e32 v2, 2, v3
	s_mul_hi_u32 s5, s15, 50
	v_and_b32_e32 v0, 0x3f8, v0
	s_delay_alu instid0(VALU_DEP_1)
	v_lshlrev_b32_e32 v0, 2, v0
	s_waitcnt lgkmcnt(0)
	s_add_u32 s2, s2, s6
	s_addc_u32 s3, s3, s7
	s_add_u32 s0, s0, s4
	s_addc_u32 s1, s1, s5
	global_load_u16 v5, v1, s[0:1] offset:34
	v_add_co_u32 v1, s4, v2, v4
	s_delay_alu instid0(VALU_DEP_1) | instskip(SKIP_1) | instid1(VALU_DEP_3)
	v_add_co_ci_u32_e64 v2, null, 0, 0, s4
	v_mul_u32_u24_e32 v4, 3, v4
	v_add_co_u32 v1, vcc_lo, s0, v1
	s_delay_alu instid0(VALU_DEP_3)
	v_add_co_ci_u32_e32 v2, vcc_lo, s1, v2, vcc_lo
	global_load_u8 v1, v[1:2], off offset:2
	v_dual_mov_b32 v2, 0 :: v_dual_lshlrev_b32 v3, 7, v3
	global_load_u16 v2, v2, s[0:1]
	s_getpc_b64 s[0:1]
	s_add_u32 s0, s0, _ZL13iq1s_grid_gpu@rel32@lo+4
	s_addc_u32 s1, s1, _ZL13iq1s_grid_gpu@rel32@hi+12
	s_waitcnt vmcnt(0)
	v_cvt_f32_f16_e32 v2, v2
	v_and_b32_e32 v6, 0xffff, v5
	s_delay_alu instid0(VALU_DEP_1) | instskip(SKIP_1) | instid1(VALU_DEP_2)
	v_lshrrev_b32_e32 v4, v4, v6
	v_mov_b32_e32 v6, 0xbf600000
	v_lshlrev_b32_e32 v4, 8, v4
	s_delay_alu instid0(VALU_DEP_1) | instskip(SKIP_1) | instid1(VALU_DEP_2)
	v_and_or_b32 v1, 0x700, v4, v1
	v_lshrrev_b16 v4, 11, v5
	v_lshlrev_b32_e32 v1, 3, v1
	global_load_b32 v1, v1, s[0:1]
	v_add_co_u32 v3, s0, s2, v3
	s_delay_alu instid0(VALU_DEP_1) | instskip(NEXT) | instid1(VALU_DEP_2)
	v_add_co_ci_u32_e64 v7, null, s3, 0, s0
	v_add_co_u32 v8, vcc_lo, v3, v0
	s_delay_alu instid0(VALU_DEP_2)
	v_add_co_ci_u32_e32 v9, vcc_lo, 0, v7, vcc_lo
	v_cmp_lt_i16_e32 vcc_lo, -1, v5
	v_cndmask_b32_e32 v0, 0xbf900000, v6, vcc_lo
	s_waitcnt vmcnt(0)
	v_bfe_u32 v11, v1, 20, 4
	v_and_b32_e32 v3, 15, v1
	v_bfe_u32 v5, v1, 16, 4
	v_bfe_u32 v6, v1, 4, 4
	;; [unrolled: 1-line block ×3, first 2 shown]
	v_cvt_f32_ubyte0_e32 v11, v11
	v_and_b32_e32 v4, 14, v4
	v_cvt_f32_ubyte0_e32 v5, v5
	v_cvt_f32_ubyte0_e32 v6, v6
	;; [unrolled: 1-line block ×3, first 2 shown]
	v_add_f32_e32 v11, v0, v11
	v_or_b32_e32 v4, 1, v4
	v_add_f32_e32 v5, v0, v5
	s_delay_alu instid0(VALU_DEP_4) | instskip(NEXT) | instid1(VALU_DEP_3)
	v_add_f32_e32 v10, v0, v10
	v_cvt_f32_ubyte0_e32 v4, v4
	s_delay_alu instid0(VALU_DEP_1) | instskip(SKIP_1) | instid1(VALU_DEP_1)
	v_mul_f32_e32 v7, v2, v4
	v_bfe_u32 v4, v1, 8, 4
	v_cvt_f32_ubyte0_e32 v4, v4
	s_delay_alu instid0(VALU_DEP_1) | instskip(SKIP_2) | instid1(VALU_DEP_1)
	v_add_f32_e32 v4, v0, v4
	v_and_b32_e32 v2, 0xf000000, v1
	v_lshrrev_b32_e32 v1, 28, v1
	v_cvt_f32_ubyte0_e32 v1, v1
	s_delay_alu instid0(VALU_DEP_1) | instskip(SKIP_2) | instid1(VALU_DEP_1)
	v_add_f32_e32 v13, v0, v1
	v_mul_f32_e32 v1, v7, v4
	v_cvt_f32_ubyte3_e32 v2, v2
	v_add_f32_e32 v12, v0, v2
	v_cvt_f32_ubyte0_e32 v3, v3
	v_add_f32_e32 v6, v0, v6
	v_mul_f32_e32 v2, v7, v5
	v_mul_f32_e32 v5, v7, v10
	s_delay_alu instid0(VALU_DEP_4) | instskip(NEXT) | instid1(VALU_DEP_1)
	v_add_f32_e32 v3, v0, v3
	v_mul_f32_e32 v0, v7, v3
	v_mul_f32_e32 v3, v7, v12
	;; [unrolled: 1-line block ×5, first 2 shown]
	s_clause 0x1
	global_store_b128 v[8:9], v[0:3], off
	global_store_b128 v[8:9], v[4:7], off offset:16
	s_nop 0
	s_sendmsg sendmsg(MSG_DEALLOC_VGPRS)
	s_endpgm
	.section	.rodata,"a",@progbits
	.p2align	6, 0x0
	.amdhsa_kernel _ZL22dequantize_block_iq1_sIfEvPKvPT_
		.amdhsa_group_segment_fixed_size 0
		.amdhsa_private_segment_fixed_size 0
		.amdhsa_kernarg_size 16
		.amdhsa_user_sgpr_count 15
		.amdhsa_user_sgpr_dispatch_ptr 0
		.amdhsa_user_sgpr_queue_ptr 0
		.amdhsa_user_sgpr_kernarg_segment_ptr 1
		.amdhsa_user_sgpr_dispatch_id 0
		.amdhsa_user_sgpr_private_segment_size 0
		.amdhsa_wavefront_size32 1
		.amdhsa_uses_dynamic_stack 0
		.amdhsa_enable_private_segment 0
		.amdhsa_system_sgpr_workgroup_id_x 1
		.amdhsa_system_sgpr_workgroup_id_y 0
		.amdhsa_system_sgpr_workgroup_id_z 0
		.amdhsa_system_sgpr_workgroup_info 0
		.amdhsa_system_vgpr_workitem_id 0
		.amdhsa_next_free_vgpr 14
		.amdhsa_next_free_sgpr 16
		.amdhsa_reserve_vcc 1
		.amdhsa_float_round_mode_32 0
		.amdhsa_float_round_mode_16_64 0
		.amdhsa_float_denorm_mode_32 3
		.amdhsa_float_denorm_mode_16_64 3
		.amdhsa_dx10_clamp 1
		.amdhsa_ieee_mode 1
		.amdhsa_fp16_overflow 0
		.amdhsa_workgroup_processor_mode 1
		.amdhsa_memory_ordered 1
		.amdhsa_forward_progress 0
		.amdhsa_shared_vgpr_count 0
		.amdhsa_exception_fp_ieee_invalid_op 0
		.amdhsa_exception_fp_denorm_src 0
		.amdhsa_exception_fp_ieee_div_zero 0
		.amdhsa_exception_fp_ieee_overflow 0
		.amdhsa_exception_fp_ieee_underflow 0
		.amdhsa_exception_fp_ieee_inexact 0
		.amdhsa_exception_int_div_zero 0
	.end_amdhsa_kernel
	.section	.text._ZL22dequantize_block_iq1_sIfEvPKvPT_,"axG",@progbits,_ZL22dequantize_block_iq1_sIfEvPKvPT_,comdat
.Lfunc_end13:
	.size	_ZL22dequantize_block_iq1_sIfEvPKvPT_, .Lfunc_end13-_ZL22dequantize_block_iq1_sIfEvPKvPT_
                                        ; -- End function
	.section	.AMDGPU.csdata,"",@progbits
; Kernel info:
; codeLenInByte = 516
; NumSgprs: 18
; NumVgprs: 14
; ScratchSize: 0
; MemoryBound: 0
; FloatMode: 240
; IeeeMode: 1
; LDSByteSize: 0 bytes/workgroup (compile time only)
; SGPRBlocks: 2
; VGPRBlocks: 1
; NumSGPRsForWavesPerEU: 18
; NumVGPRsForWavesPerEU: 14
; Occupancy: 16
; WaveLimiterHint : 0
; COMPUTE_PGM_RSRC2:SCRATCH_EN: 0
; COMPUTE_PGM_RSRC2:USER_SGPR: 15
; COMPUTE_PGM_RSRC2:TRAP_HANDLER: 0
; COMPUTE_PGM_RSRC2:TGID_X_EN: 1
; COMPUTE_PGM_RSRC2:TGID_Y_EN: 0
; COMPUTE_PGM_RSRC2:TGID_Z_EN: 0
; COMPUTE_PGM_RSRC2:TIDIG_COMP_CNT: 0
	.section	.text._ZL23dequantize_block_iq4_nlIfEvPKvPT_,"axG",@progbits,_ZL23dequantize_block_iq4_nlIfEvPKvPT_,comdat
	.globl	_ZL23dequantize_block_iq4_nlIfEvPKvPT_ ; -- Begin function _ZL23dequantize_block_iq4_nlIfEvPKvPT_
	.p2align	8
	.type	_ZL23dequantize_block_iq4_nlIfEvPKvPT_,@function
_ZL23dequantize_block_iq4_nlIfEvPKvPT_: ; @_ZL23dequantize_block_iq4_nlIfEvPKvPT_
; %bb.0:
	s_load_b128 s[0:3], s[0:1], 0x0
	s_lshl_b32 s4, s15, 3
	s_mul_i32 s5, s15, 0x90
	v_and_b32_e32 v4, 7, v0
	s_mul_hi_u32 s4, s4, 18
	v_lshrrev_b32_e32 v2, 1, v0
	s_delay_alu instid0(VALU_DEP_1) | instskip(SKIP_3) | instid1(SALU_CYCLE_1)
	v_and_b32_e32 v5, 0x1fc, v2
	s_waitcnt lgkmcnt(0)
	s_add_u32 s0, s0, s5
	s_addc_u32 s1, s1, s4
	v_mad_u64_u32 v[0:1], null, v4, 18, s[0:1]
	s_mov_b32 s1, 0
	s_lshl_b32 s0, s15, 8
	s_delay_alu instid0(SALU_CYCLE_1) | instskip(NEXT) | instid1(SALU_CYCLE_1)
	s_lshl_b64 s[0:1], s[0:1], 2
	s_add_u32 s2, s2, s0
	s_delay_alu instid0(VALU_DEP_1) | instskip(NEXT) | instid1(VALU_DEP_2)
	v_add_co_u32 v2, vcc_lo, v0, v5
	v_add_co_ci_u32_e32 v3, vcc_lo, 0, v1, vcc_lo
	s_addc_u32 s3, s3, s1
	s_getpc_b64 s[0:1]
	s_add_u32 s0, s0, _ZL13kvalues_iq4nl@rel32@lo+4
	s_addc_u32 s1, s1, _ZL13kvalues_iq4nl@rel32@hi+12
	s_clause 0x1
	global_load_u16 v6, v[0:1], off
	global_load_b32 v2, v[2:3], off offset:2
	s_waitcnt vmcnt(1)
	v_cvt_f32_f16_e32 v15, v6
	s_waitcnt vmcnt(0)
	v_lshrrev_b16 v0, 4, v2
	v_lshrrev_b32_e32 v1, 8, v2
	v_lshrrev_b32_e32 v3, 24, v2
	v_and_b32_e32 v7, 15, v2
	v_bfe_u32 v8, v2, 8, 4
	v_and_b32_e32 v0, 15, v0
	v_lshrrev_b16 v1, 4, v1
	v_lshrrev_b16 v3, 4, v3
	v_bfe_u32 v9, v2, 16, 4
	v_bfe_u32 v10, v2, 20, 4
	v_and_b32_e32 v0, 0xffff, v0
	v_and_b32_e32 v11, 15, v1
	v_bfe_u32 v12, v2, 24, 4
	v_and_b32_e32 v2, 0xffff, v3
	s_delay_alu instid0(VALU_DEP_4) | instskip(NEXT) | instid1(VALU_DEP_4)
	v_add_co_u32 v0, s4, v0, s0
	v_and_b32_e32 v3, 0xffff, v11
	v_add_co_ci_u32_e64 v1, null, 0, s1, s4
	s_clause 0x2
	global_load_i8 v7, v7, s[0:1]
	global_load_i8 v11, v[0:1], off
	global_load_i8 v8, v8, s[0:1]
	v_add_co_u32 v0, s4, v3, s0
	s_delay_alu instid0(VALU_DEP_1) | instskip(SKIP_1) | instid1(VALU_DEP_1)
	v_add_co_ci_u32_e64 v1, null, 0, s1, s4
	v_add_co_u32 v2, s4, v2, s0
	v_add_co_ci_u32_e64 v3, null, 0, s1, s4
	s_clause 0x4
	global_load_i8 v13, v[0:1], off
	global_load_i8 v14, v9, s[0:1]
	global_load_i8 v10, v10, s[0:1]
	;; [unrolled: 1-line block ×3, first 2 shown]
	global_load_i8 v2, v[2:3], off
	v_lshlrev_b32_e32 v1, 2, v5
	s_waitcnt vmcnt(6)
	v_cvt_f32_i32_e32 v5, v11
	s_waitcnt vmcnt(5)
	v_cvt_f32_i32_e32 v6, v8
	;; [unrolled: 2-line block ×3, first 2 shown]
	v_lshlrev_b32_e32 v0, 7, v4
	v_cvt_f32_i32_e32 v4, v7
	v_cvt_f32_i32_e32 v7, v10
	;; [unrolled: 1-line block ×3, first 2 shown]
	s_delay_alu instid0(VALU_DEP_4) | instskip(NEXT) | instid1(VALU_DEP_1)
	v_add_co_u32 v0, s0, s2, v0
	v_add_co_ci_u32_e64 v3, null, s3, 0, s0
	s_delay_alu instid0(VALU_DEP_2) | instskip(NEXT) | instid1(VALU_DEP_2)
	v_add_co_u32 v8, vcc_lo, v0, v1
	v_add_co_ci_u32_e32 v9, vcc_lo, 0, v3, vcc_lo
	v_mul_f32_e32 v1, v15, v6
	v_cvt_f32_i32_e32 v3, v13
	v_cvt_f32_i32_e32 v6, v14
	v_mul_f32_e32 v0, v15, v4
	v_mul_f32_e32 v4, v15, v5
	s_delay_alu instid0(VALU_DEP_4) | instskip(NEXT) | instid1(VALU_DEP_4)
	v_mul_f32_e32 v5, v15, v3
	v_mul_f32_e32 v2, v15, v6
	;; [unrolled: 1-line block ×5, first 2 shown]
	s_clause 0x1
	global_store_b128 v[8:9], v[0:3], off
	global_store_b128 v[8:9], v[4:7], off offset:64
	s_nop 0
	s_sendmsg sendmsg(MSG_DEALLOC_VGPRS)
	s_endpgm
	.section	.rodata,"a",@progbits
	.p2align	6, 0x0
	.amdhsa_kernel _ZL23dequantize_block_iq4_nlIfEvPKvPT_
		.amdhsa_group_segment_fixed_size 0
		.amdhsa_private_segment_fixed_size 0
		.amdhsa_kernarg_size 16
		.amdhsa_user_sgpr_count 15
		.amdhsa_user_sgpr_dispatch_ptr 0
		.amdhsa_user_sgpr_queue_ptr 0
		.amdhsa_user_sgpr_kernarg_segment_ptr 1
		.amdhsa_user_sgpr_dispatch_id 0
		.amdhsa_user_sgpr_private_segment_size 0
		.amdhsa_wavefront_size32 1
		.amdhsa_uses_dynamic_stack 0
		.amdhsa_enable_private_segment 0
		.amdhsa_system_sgpr_workgroup_id_x 1
		.amdhsa_system_sgpr_workgroup_id_y 0
		.amdhsa_system_sgpr_workgroup_id_z 0
		.amdhsa_system_sgpr_workgroup_info 0
		.amdhsa_system_vgpr_workitem_id 0
		.amdhsa_next_free_vgpr 16
		.amdhsa_next_free_sgpr 16
		.amdhsa_reserve_vcc 1
		.amdhsa_float_round_mode_32 0
		.amdhsa_float_round_mode_16_64 0
		.amdhsa_float_denorm_mode_32 3
		.amdhsa_float_denorm_mode_16_64 3
		.amdhsa_dx10_clamp 1
		.amdhsa_ieee_mode 1
		.amdhsa_fp16_overflow 0
		.amdhsa_workgroup_processor_mode 1
		.amdhsa_memory_ordered 1
		.amdhsa_forward_progress 0
		.amdhsa_shared_vgpr_count 0
		.amdhsa_exception_fp_ieee_invalid_op 0
		.amdhsa_exception_fp_denorm_src 0
		.amdhsa_exception_fp_ieee_div_zero 0
		.amdhsa_exception_fp_ieee_overflow 0
		.amdhsa_exception_fp_ieee_underflow 0
		.amdhsa_exception_fp_ieee_inexact 0
		.amdhsa_exception_int_div_zero 0
	.end_amdhsa_kernel
	.section	.text._ZL23dequantize_block_iq4_nlIfEvPKvPT_,"axG",@progbits,_ZL23dequantize_block_iq4_nlIfEvPKvPT_,comdat
.Lfunc_end14:
	.size	_ZL23dequantize_block_iq4_nlIfEvPKvPT_, .Lfunc_end14-_ZL23dequantize_block_iq4_nlIfEvPKvPT_
                                        ; -- End function
	.section	.AMDGPU.csdata,"",@progbits
; Kernel info:
; codeLenInByte = 540
; NumSgprs: 18
; NumVgprs: 16
; ScratchSize: 0
; MemoryBound: 0
; FloatMode: 240
; IeeeMode: 1
; LDSByteSize: 0 bytes/workgroup (compile time only)
; SGPRBlocks: 2
; VGPRBlocks: 1
; NumSGPRsForWavesPerEU: 18
; NumVGPRsForWavesPerEU: 16
; Occupancy: 16
; WaveLimiterHint : 0
; COMPUTE_PGM_RSRC2:SCRATCH_EN: 0
; COMPUTE_PGM_RSRC2:USER_SGPR: 15
; COMPUTE_PGM_RSRC2:TRAP_HANDLER: 0
; COMPUTE_PGM_RSRC2:TGID_X_EN: 1
; COMPUTE_PGM_RSRC2:TGID_Y_EN: 0
; COMPUTE_PGM_RSRC2:TGID_Z_EN: 0
; COMPUTE_PGM_RSRC2:TIDIG_COMP_CNT: 0
	.section	.text._ZL22dequantize_block_iq3_sIfEvPKvPT_,"axG",@progbits,_ZL22dequantize_block_iq3_sIfEvPKvPT_,comdat
	.globl	_ZL22dequantize_block_iq3_sIfEvPKvPT_ ; -- Begin function _ZL22dequantize_block_iq3_sIfEvPKvPT_
	.p2align	8
	.type	_ZL22dequantize_block_iq3_sIfEvPKvPT_,@function
_ZL22dequantize_block_iq3_sIfEvPKvPT_:  ; @_ZL22dequantize_block_iq3_sIfEvPKvPT_
; %bb.0:
	s_load_b128 s[0:3], s[0:1], 0x0
	v_and_b32_e32 v3, 7, v0
	s_mov_b32 s5, 0
	s_lshl_b32 s4, s15, 8
	v_lshrrev_b32_e32 v4, 3, v0
	s_lshl_b64 s[4:5], s[4:5], 2
	v_lshlrev_b32_e32 v1, 3, v3
	s_mul_hi_u32 s6, s15, 0x6e
	s_mulk_i32 s15, 0x6e
	v_lshlrev_b32_e32 v5, 1, v4
	v_lshl_add_u32 v4, v3, 2, v4
	s_delay_alu instid0(VALU_DEP_2)
	v_sub_nc_u32_e32 v8, 8, v5
	s_waitcnt lgkmcnt(0)
	s_add_u32 s2, s2, s4
	s_addc_u32 s3, s3, s5
	s_add_u32 s0, s0, s15
	s_addc_u32 s1, s1, s6
	v_add_co_u32 v1, s4, s0, v1
	s_delay_alu instid0(VALU_DEP_1) | instskip(NEXT) | instid1(VALU_DEP_2)
	v_add_co_ci_u32_e64 v2, null, s1, 0, s4
	v_add_co_u32 v1, vcc_lo, v1, v5
	s_delay_alu instid0(VALU_DEP_2)
	v_add_co_ci_u32_e32 v2, vcc_lo, 0, v2, vcc_lo
	v_sub_nc_u32_e32 v5, 7, v5
	s_clause 0x1
	global_load_u8 v6, v3, s[0:1] offset:66
	global_load_u16 v1, v[1:2], off offset:2
	v_bfe_u32 v2, v0, 1, 2
	v_mov_b32_e32 v7, 0
	s_clause 0x2
	global_load_u8 v2, v2, s[0:1] offset:106
	global_load_i8 v10, v4, s[0:1] offset:74
	global_load_u16 v4, v7, s[0:1]
	s_getpc_b64 s[0:1]
	s_add_u32 s0, s0, _ZL10iq3xs_grid@rel32@lo+4
	s_addc_u32 s1, s1, _ZL10iq3xs_grid@rel32@hi+12
	s_waitcnt vmcnt(4)
	v_lshlrev_b32_e32 v7, v8, v6
	s_waitcnt vmcnt(3)
	v_and_b32_e32 v8, 0xff, v1
	v_lshrrev_b16 v1, 8, v1
	v_lshlrev_b32_e32 v5, v5, v6
	s_delay_alu instid0(VALU_DEP_3) | instskip(NEXT) | instid1(VALU_DEP_3)
	v_and_or_b32 v6, 0x100, v7, v8
	v_and_b32_e32 v1, 0xffff, v1
	s_waitcnt vmcnt(0)
	v_cvt_f32_f16_e32 v4, v4
	v_and_b32_e32 v13, 8, v10
	v_and_b32_e32 v7, 32, v10
	v_lshlrev_b32_e32 v6, 2, v6
	v_and_or_b32 v1, 0x100, v5, v1
	v_and_b32_e32 v11, 64, v10
	global_load_b32 v5, v6, s[0:1]
	v_lshlrev_b32_e32 v1, 2, v1
	global_load_b32 v1, v1, s[0:1]
	v_lshlrev_b32_e32 v6, 2, v0
	s_delay_alu instid0(VALU_DEP_1) | instskip(NEXT) | instid1(VALU_DEP_1)
	v_and_b32_e32 v6, 4, v6
	v_bfe_u32 v2, v2, v6, 4
	s_delay_alu instid0(VALU_DEP_1) | instskip(NEXT) | instid1(VALU_DEP_1)
	v_cvt_f32_ubyte0_e32 v2, v2
	v_add_f32_e32 v2, 0.5, v2
	s_delay_alu instid0(VALU_DEP_1) | instskip(SKIP_1) | instid1(VALU_DEP_2)
	v_mul_f32_e32 v2, v2, v4
	v_and_b32_e32 v4, 4, v10
	v_mul_f32_e32 v12, 0.5, v2
	s_waitcnt vmcnt(1)
	v_cvt_f32_ubyte0_e32 v2, v5
	v_cvt_f32_ubyte1_e32 v14, v5
	v_cvt_f32_ubyte2_e32 v15, v5
	v_cvt_f32_ubyte3_e32 v5, v5
	s_delay_alu instid0(VALU_DEP_4)
	v_mul_f32_e32 v2, v12, v2
	s_waitcnt vmcnt(0)
	v_cvt_f32_ubyte1_e32 v17, v1
	v_lshlrev_b32_e32 v3, 7, v3
	v_cvt_f32_ubyte2_e32 v18, v1
	v_and_b32_e32 v0, 0x3f8, v0
	v_cvt_f32_ubyte3_e32 v19, v1
	v_mul_f32_e32 v14, v12, v14
	v_add_co_u32 v3, s0, s2, v3
	s_delay_alu instid0(VALU_DEP_4) | instskip(SKIP_3) | instid1(VALU_DEP_4)
	v_lshlrev_b32_e32 v0, 2, v0
	v_add_co_ci_u32_e64 v6, null, s3, 0, s0
	v_cvt_f32_ubyte0_e32 v16, v1
	v_mul_f32_e32 v15, v12, v15
	v_add_co_u32 v8, vcc_lo, v3, v0
	v_and_b32_e32 v0, 1, v10
	v_add_co_ci_u32_e32 v9, vcc_lo, 0, v6, vcc_lo
	v_and_b32_e32 v3, 2, v10
	v_and_b32_e32 v6, 16, v10
	s_delay_alu instid0(VALU_DEP_4)
	v_cmp_eq_u16_e32 vcc_lo, 0, v0
	v_mul_f32_e32 v5, v12, v5
	v_mul_f32_e32 v16, v12, v16
	v_cndmask_b32_e64 v0, -v2, v2, vcc_lo
	v_cmp_eq_u16_e32 vcc_lo, 0, v3
	v_cndmask_b32_e64 v1, -v14, v14, vcc_lo
	v_cmp_eq_u16_e32 vcc_lo, 0, v4
	v_mul_f32_e32 v14, v12, v17
	v_cndmask_b32_e64 v2, -v15, v15, vcc_lo
	v_cmp_eq_u16_e32 vcc_lo, 0, v13
	v_mul_f32_e32 v15, v12, v18
	v_mul_f32_e32 v12, v12, v19
	v_cndmask_b32_e64 v3, -v5, v5, vcc_lo
	v_cmp_eq_u16_e32 vcc_lo, 0, v6
	v_cndmask_b32_e64 v4, -v16, v16, vcc_lo
	v_cmp_eq_u16_e32 vcc_lo, 0, v7
	;; [unrolled: 2-line block ×3, first 2 shown]
	v_cndmask_b32_e64 v6, -v15, v15, vcc_lo
	v_cmp_gt_i16_e32 vcc_lo, 0, v10
	v_cndmask_b32_e64 v7, v12, -v12, vcc_lo
	s_clause 0x1
	global_store_b128 v[8:9], v[0:3], off
	global_store_b128 v[8:9], v[4:7], off offset:16
	s_nop 0
	s_sendmsg sendmsg(MSG_DEALLOC_VGPRS)
	s_endpgm
	.section	.rodata,"a",@progbits
	.p2align	6, 0x0
	.amdhsa_kernel _ZL22dequantize_block_iq3_sIfEvPKvPT_
		.amdhsa_group_segment_fixed_size 0
		.amdhsa_private_segment_fixed_size 0
		.amdhsa_kernarg_size 16
		.amdhsa_user_sgpr_count 15
		.amdhsa_user_sgpr_dispatch_ptr 0
		.amdhsa_user_sgpr_queue_ptr 0
		.amdhsa_user_sgpr_kernarg_segment_ptr 1
		.amdhsa_user_sgpr_dispatch_id 0
		.amdhsa_user_sgpr_private_segment_size 0
		.amdhsa_wavefront_size32 1
		.amdhsa_uses_dynamic_stack 0
		.amdhsa_enable_private_segment 0
		.amdhsa_system_sgpr_workgroup_id_x 1
		.amdhsa_system_sgpr_workgroup_id_y 0
		.amdhsa_system_sgpr_workgroup_id_z 0
		.amdhsa_system_sgpr_workgroup_info 0
		.amdhsa_system_vgpr_workitem_id 0
		.amdhsa_next_free_vgpr 20
		.amdhsa_next_free_sgpr 16
		.amdhsa_reserve_vcc 1
		.amdhsa_float_round_mode_32 0
		.amdhsa_float_round_mode_16_64 0
		.amdhsa_float_denorm_mode_32 3
		.amdhsa_float_denorm_mode_16_64 3
		.amdhsa_dx10_clamp 1
		.amdhsa_ieee_mode 1
		.amdhsa_fp16_overflow 0
		.amdhsa_workgroup_processor_mode 1
		.amdhsa_memory_ordered 1
		.amdhsa_forward_progress 0
		.amdhsa_shared_vgpr_count 0
		.amdhsa_exception_fp_ieee_invalid_op 0
		.amdhsa_exception_fp_denorm_src 0
		.amdhsa_exception_fp_ieee_div_zero 0
		.amdhsa_exception_fp_ieee_overflow 0
		.amdhsa_exception_fp_ieee_underflow 0
		.amdhsa_exception_fp_ieee_inexact 0
		.amdhsa_exception_int_div_zero 0
	.end_amdhsa_kernel
	.section	.text._ZL22dequantize_block_iq3_sIfEvPKvPT_,"axG",@progbits,_ZL22dequantize_block_iq3_sIfEvPKvPT_,comdat
.Lfunc_end15:
	.size	_ZL22dequantize_block_iq3_sIfEvPKvPT_, .Lfunc_end15-_ZL22dequantize_block_iq3_sIfEvPKvPT_
                                        ; -- End function
	.section	.AMDGPU.csdata,"",@progbits
; Kernel info:
; codeLenInByte = 632
; NumSgprs: 18
; NumVgprs: 20
; ScratchSize: 0
; MemoryBound: 0
; FloatMode: 240
; IeeeMode: 1
; LDSByteSize: 0 bytes/workgroup (compile time only)
; SGPRBlocks: 2
; VGPRBlocks: 2
; NumSGPRsForWavesPerEU: 18
; NumVGPRsForWavesPerEU: 20
; Occupancy: 16
; WaveLimiterHint : 0
; COMPUTE_PGM_RSRC2:SCRATCH_EN: 0
; COMPUTE_PGM_RSRC2:USER_SGPR: 15
; COMPUTE_PGM_RSRC2:TRAP_HANDLER: 0
; COMPUTE_PGM_RSRC2:TGID_X_EN: 1
; COMPUTE_PGM_RSRC2:TGID_Y_EN: 0
; COMPUTE_PGM_RSRC2:TGID_Z_EN: 0
; COMPUTE_PGM_RSRC2:TIDIG_COMP_CNT: 0
	.section	.text._ZL22dequantize_block_iq2_sIfEvPKvPT_,"axG",@progbits,_ZL22dequantize_block_iq2_sIfEvPKvPT_,comdat
	.globl	_ZL22dequantize_block_iq2_sIfEvPKvPT_ ; -- Begin function _ZL22dequantize_block_iq2_sIfEvPKvPT_
	.p2align	8
	.type	_ZL22dequantize_block_iq2_sIfEvPKvPT_,@function
_ZL22dequantize_block_iq2_sIfEvPKvPT_:  ; @_ZL22dequantize_block_iq2_sIfEvPKvPT_
; %bb.0:
	s_load_b128 s[0:3], s[0:1], 0x0
	v_dual_mov_b32 v8, 0 :: v_dual_and_b32 v3, 7, v0
	s_mov_b32 s5, 0
	s_lshl_b32 s4, s15, 8
	v_lshrrev_b32_e32 v1, 3, v0
	s_delay_alu instid0(VALU_DEP_2)
	v_lshlrev_b32_e32 v2, 2, v3
	s_lshl_b64 s[4:5], s[4:5], 2
	s_mul_hi_u32 s6, s15, 0x52
	s_mulk_i32 s15, 0x52
	v_lshlrev_b32_e32 v6, 1, v1
	v_add_nc_u32_e32 v4, v2, v1
	s_delay_alu instid0(VALU_DEP_2)
	v_sub_nc_u32_e32 v6, 8, v6
	s_waitcnt lgkmcnt(0)
	s_add_u32 s2, s2, s4
	s_addc_u32 s3, s3, s5
	s_add_u32 s0, s0, s15
	s_addc_u32 s1, s1, s6
	v_add_co_u32 v1, s4, v1, v2
	s_clause 0x1
	global_load_u8 v5, v3, s[0:1] offset:66
	global_load_u8 v4, v4, s[0:1] offset:2
	v_add_co_ci_u32_e64 v2, null, 0, 0, s4
	global_load_u8 v7, v3, s[0:1] offset:74
	s_add_u32 s4, s0, 2
	s_addc_u32 s5, s1, 0
	v_add_co_u32 v1, vcc_lo, s4, v1
	v_add_co_ci_u32_e32 v2, vcc_lo, s5, v2, vcc_lo
	s_clause 0x1
	global_load_i8 v10, v[1:2], off offset:32
	global_load_u16 v8, v8, s[0:1]
	s_getpc_b64 s[0:1]
	s_add_u32 s0, s0, _ZL9iq2s_grid@rel32@lo+4
	s_addc_u32 s1, s1, _ZL9iq2s_grid@rel32@hi+12
	s_waitcnt vmcnt(4)
	v_lshlrev_b32_e32 v1, v6, v5
	s_waitcnt vmcnt(3)
	s_delay_alu instid0(VALU_DEP_1) | instskip(SKIP_1) | instid1(VALU_DEP_1)
	v_and_or_b32 v1, 0x300, v1, v4
	v_lshrrev_b32_e32 v4, 2, v0
	v_and_b32_e32 v4, 0xfc, v4
	s_waitcnt vmcnt(1)
	v_and_b32_e32 v11, 32, v10
	s_waitcnt vmcnt(0)
	v_cvt_f32_f16_e32 v6, v8
	v_and_b32_e32 v12, 64, v10
	v_bfe_u32 v4, v7, v4, 4
	v_and_b32_e32 v7, 16, v10
	s_delay_alu instid0(VALU_DEP_2) | instskip(NEXT) | instid1(VALU_DEP_1)
	v_cvt_f32_ubyte0_e32 v4, v4
	v_dual_add_f32 v4, 0.5, v4 :: v_dual_lshlrev_b32 v1, 3, v1
	s_delay_alu instid0(VALU_DEP_1) | instskip(SKIP_4) | instid1(VALU_DEP_3)
	v_mul_f32_e32 v4, v4, v6
	global_load_b64 v[1:2], v1, s[0:1]
	v_lshlrev_b32_e32 v3, 7, v3
	v_and_b32_e32 v6, 8, v10
	v_mul_f32_e32 v4, 0x3e800000, v4
	v_add_co_u32 v3, s0, s2, v3
	s_delay_alu instid0(VALU_DEP_1)
	v_add_co_ci_u32_e64 v5, null, s3, 0, s0
	s_waitcnt vmcnt(0)
	v_cvt_f32_ubyte0_e32 v13, v1
	v_cvt_f32_ubyte1_e32 v14, v1
	v_cvt_f32_ubyte2_e32 v15, v1
	v_cvt_f32_ubyte3_e32 v1, v1
	v_and_b32_e32 v0, 0x3f8, v0
	v_cvt_f32_ubyte1_e32 v17, v2
	v_cvt_f32_ubyte0_e32 v16, v2
	v_mul_f32_e32 v13, v4, v13
	s_delay_alu instid0(VALU_DEP_4) | instskip(NEXT) | instid1(VALU_DEP_4)
	v_dual_mul_f32 v19, v4, v1 :: v_dual_lshlrev_b32 v0, 2, v0
	v_mul_f32_e32 v17, v4, v17
	v_mul_f32_e32 v14, v4, v14
	;; [unrolled: 1-line block ×3, first 2 shown]
	v_cvt_f32_ubyte2_e32 v18, v2
	v_add_co_u32 v8, vcc_lo, v3, v0
	v_and_b32_e32 v0, 1, v10
	v_add_co_ci_u32_e32 v9, vcc_lo, 0, v5, vcc_lo
	v_and_b32_e32 v3, 2, v10
	v_and_b32_e32 v5, 4, v10
	s_delay_alu instid0(VALU_DEP_4)
	v_cmp_eq_u16_e32 vcc_lo, 0, v0
	v_cvt_f32_ubyte3_e32 v2, v2
	v_mul_f32_e32 v15, v4, v15
	v_mul_f32_e32 v18, v4, v18
	v_cndmask_b32_e64 v0, -v13, v13, vcc_lo
	v_cmp_eq_u16_e32 vcc_lo, 0, v3
	v_mul_f32_e32 v20, v4, v2
	v_cndmask_b32_e64 v1, -v14, v14, vcc_lo
	v_cmp_eq_u16_e32 vcc_lo, 0, v5
	v_cndmask_b32_e64 v2, -v15, v15, vcc_lo
	v_cmp_eq_u16_e32 vcc_lo, 0, v6
	;; [unrolled: 2-line block ×5, first 2 shown]
	v_cndmask_b32_e64 v6, -v18, v18, vcc_lo
	v_cmp_gt_i16_e32 vcc_lo, 0, v10
	v_cndmask_b32_e64 v7, v20, -v20, vcc_lo
	s_clause 0x1
	global_store_b128 v[8:9], v[0:3], off
	global_store_b128 v[8:9], v[4:7], off offset:16
	s_nop 0
	s_sendmsg sendmsg(MSG_DEALLOC_VGPRS)
	s_endpgm
	.section	.rodata,"a",@progbits
	.p2align	6, 0x0
	.amdhsa_kernel _ZL22dequantize_block_iq2_sIfEvPKvPT_
		.amdhsa_group_segment_fixed_size 0
		.amdhsa_private_segment_fixed_size 0
		.amdhsa_kernarg_size 16
		.amdhsa_user_sgpr_count 15
		.amdhsa_user_sgpr_dispatch_ptr 0
		.amdhsa_user_sgpr_queue_ptr 0
		.amdhsa_user_sgpr_kernarg_segment_ptr 1
		.amdhsa_user_sgpr_dispatch_id 0
		.amdhsa_user_sgpr_private_segment_size 0
		.amdhsa_wavefront_size32 1
		.amdhsa_uses_dynamic_stack 0
		.amdhsa_enable_private_segment 0
		.amdhsa_system_sgpr_workgroup_id_x 1
		.amdhsa_system_sgpr_workgroup_id_y 0
		.amdhsa_system_sgpr_workgroup_id_z 0
		.amdhsa_system_sgpr_workgroup_info 0
		.amdhsa_system_vgpr_workitem_id 0
		.amdhsa_next_free_vgpr 21
		.amdhsa_next_free_sgpr 16
		.amdhsa_reserve_vcc 1
		.amdhsa_float_round_mode_32 0
		.amdhsa_float_round_mode_16_64 0
		.amdhsa_float_denorm_mode_32 3
		.amdhsa_float_denorm_mode_16_64 3
		.amdhsa_dx10_clamp 1
		.amdhsa_ieee_mode 1
		.amdhsa_fp16_overflow 0
		.amdhsa_workgroup_processor_mode 1
		.amdhsa_memory_ordered 1
		.amdhsa_forward_progress 0
		.amdhsa_shared_vgpr_count 0
		.amdhsa_exception_fp_ieee_invalid_op 0
		.amdhsa_exception_fp_denorm_src 0
		.amdhsa_exception_fp_ieee_div_zero 0
		.amdhsa_exception_fp_ieee_overflow 0
		.amdhsa_exception_fp_ieee_underflow 0
		.amdhsa_exception_fp_ieee_inexact 0
		.amdhsa_exception_int_div_zero 0
	.end_amdhsa_kernel
	.section	.text._ZL22dequantize_block_iq2_sIfEvPKvPT_,"axG",@progbits,_ZL22dequantize_block_iq2_sIfEvPKvPT_,comdat
.Lfunc_end16:
	.size	_ZL22dequantize_block_iq2_sIfEvPKvPT_, .Lfunc_end16-_ZL22dequantize_block_iq2_sIfEvPKvPT_
                                        ; -- End function
	.section	.AMDGPU.csdata,"",@progbits
; Kernel info:
; codeLenInByte = 572
; NumSgprs: 18
; NumVgprs: 21
; ScratchSize: 0
; MemoryBound: 0
; FloatMode: 240
; IeeeMode: 1
; LDSByteSize: 0 bytes/workgroup (compile time only)
; SGPRBlocks: 2
; VGPRBlocks: 2
; NumSGPRsForWavesPerEU: 18
; NumVGPRsForWavesPerEU: 21
; Occupancy: 16
; WaveLimiterHint : 0
; COMPUTE_PGM_RSRC2:SCRATCH_EN: 0
; COMPUTE_PGM_RSRC2:USER_SGPR: 15
; COMPUTE_PGM_RSRC2:TRAP_HANDLER: 0
; COMPUTE_PGM_RSRC2:TGID_X_EN: 1
; COMPUTE_PGM_RSRC2:TGID_Y_EN: 0
; COMPUTE_PGM_RSRC2:TGID_Z_EN: 0
; COMPUTE_PGM_RSRC2:TIDIG_COMP_CNT: 0
	.section	.text._ZL23dequantize_block_iq4_xsIfEvPKvPT_,"axG",@progbits,_ZL23dequantize_block_iq4_xsIfEvPKvPT_,comdat
	.globl	_ZL23dequantize_block_iq4_xsIfEvPKvPT_ ; -- Begin function _ZL23dequantize_block_iq4_xsIfEvPKvPT_
	.p2align	8
	.type	_ZL23dequantize_block_iq4_xsIfEvPKvPT_,@function
_ZL23dequantize_block_iq4_xsIfEvPKvPT_: ; @_ZL23dequantize_block_iq4_xsIfEvPKvPT_
; %bb.0:
	s_load_b128 s[0:3], s[0:1], 0x0
	v_lshrrev_b32_e32 v1, 1, v0
	v_and_b32_e32 v5, 7, v0
	s_mov_b32 s5, 0
	s_lshl_b32 s4, s15, 8
	s_mul_hi_u32 s6, s15, 0x88
	s_lshl_b64 s[4:5], s[4:5], 2
	v_and_b32_e32 v6, 0x1fc, v1
	v_lshlrev_b32_e32 v1, 4, v5
	s_mulk_i32 s15, 0x88
	s_waitcnt lgkmcnt(0)
	s_add_u32 s2, s2, s4
	s_addc_u32 s3, s3, s5
	s_add_u32 s0, s0, s15
	s_addc_u32 s1, s1, s6
	v_add_co_u32 v1, s4, s0, v1
	s_delay_alu instid0(VALU_DEP_1) | instskip(NEXT) | instid1(VALU_DEP_2)
	v_add_co_ci_u32_e64 v2, null, s1, 0, s4
	v_add_co_u32 v1, vcc_lo, v1, v6
	s_delay_alu instid0(VALU_DEP_2)
	v_add_co_ci_u32_e32 v2, vcc_lo, 0, v2, vcc_lo
	global_load_b32 v3, v[1:2], off offset:8
	v_mov_b32_e32 v1, 0
	global_load_b32 v7, v1, s[0:1]
	v_bfe_u32 v1, v0, 1, 2
	global_load_u8 v8, v1, s[0:1] offset:4
	s_getpc_b64 s[0:1]
	s_add_u32 s0, s0, _ZL13kvalues_iq4nl@rel32@lo+4
	s_addc_u32 s1, s1, _ZL13kvalues_iq4nl@rel32@hi+12
	s_waitcnt vmcnt(2)
	v_lshrrev_b16 v1, 4, v3
	v_lshrrev_b32_e32 v2, 8, v3
	v_lshrrev_b32_e32 v4, 24, v3
	v_and_b32_e32 v9, 15, v3
	v_bfe_u32 v10, v3, 8, 4
	v_and_b32_e32 v1, 15, v1
	v_lshrrev_b16 v2, 4, v2
	v_lshrrev_b16 v4, 4, v4
	v_bfe_u32 v11, v3, 16, 4
	v_bfe_u32 v12, v3, 20, 4
	v_and_b32_e32 v1, 0xffff, v1
	v_and_b32_e32 v13, 15, v2
	v_bfe_u32 v14, v3, 24, 4
	v_and_b32_e32 v3, 0xffff, v4
	s_delay_alu instid0(VALU_DEP_4) | instskip(NEXT) | instid1(VALU_DEP_1)
	v_add_co_u32 v1, s4, v1, s0
	v_add_co_ci_u32_e64 v2, null, 0, s1, s4
	v_and_b32_e32 v4, 0xffff, v13
	s_clause 0x2
	global_load_i8 v9, v9, s[0:1]
	global_load_i8 v13, v[1:2], off
	global_load_i8 v10, v10, s[0:1]
	v_add_co_u32 v1, s4, v4, s0
	s_delay_alu instid0(VALU_DEP_1) | instskip(SKIP_1) | instid1(VALU_DEP_1)
	v_add_co_ci_u32_e64 v2, null, 0, s1, s4
	v_add_co_u32 v3, s4, v3, s0
	v_add_co_ci_u32_e64 v4, null, 0, s1, s4
	s_clause 0x4
	global_load_i8 v2, v[1:2], off
	global_load_i8 v11, v11, s[0:1]
	global_load_i8 v12, v12, s[0:1]
	;; [unrolled: 1-line block ×3, first 2 shown]
	global_load_i8 v3, v[3:4], off
	v_lshlrev_b32_e32 v1, 1, v5
	s_waitcnt vmcnt(9)
	v_lshrrev_b32_e32 v4, 16, v7
	s_delay_alu instid0(VALU_DEP_1) | instskip(NEXT) | instid1(VALU_DEP_1)
	v_lshrrev_b32_e32 v1, v1, v4
	v_lshlrev_b32_e32 v1, 4, v1
	s_waitcnt vmcnt(5)
	v_cvt_f32_i32_e32 v10, v10
	v_lshlrev_b32_e32 v0, 2, v0
	s_waitcnt vmcnt(4)
	v_cvt_f32_i32_e32 v2, v2
	s_delay_alu instid0(VALU_DEP_2) | instskip(NEXT) | instid1(VALU_DEP_1)
	v_and_b32_e32 v0, 4, v0
	v_bfe_u32 v0, v8, v0, 4
	s_delay_alu instid0(VALU_DEP_1) | instskip(SKIP_2) | instid1(VALU_DEP_3)
	v_and_or_b32 v0, v1, 48, v0
	v_lshlrev_b32_e32 v1, 7, v5
	v_cvt_f32_f16_e32 v5, v7
	v_subrev_nc_u32_e32 v0, 32, v0
	s_delay_alu instid0(VALU_DEP_3) | instskip(NEXT) | instid1(VALU_DEP_2)
	v_add_co_u32 v1, s0, s2, v1
	v_cvt_f32_i32_e32 v0, v0
	s_delay_alu instid0(VALU_DEP_1) | instskip(SKIP_3) | instid1(VALU_DEP_4)
	v_dual_mul_f32 v7, v5, v0 :: v_dual_lshlrev_b32 v4, 2, v6
	v_add_co_ci_u32_e64 v6, null, s3, 0, s0
	v_cvt_f32_i32_e32 v0, v9
	v_cvt_f32_i32_e32 v5, v13
	v_add_co_u32 v8, vcc_lo, v1, v4
	s_delay_alu instid0(VALU_DEP_4)
	v_add_co_ci_u32_e32 v9, vcc_lo, 0, v6, vcc_lo
	s_waitcnt vmcnt(3)
	v_cvt_f32_i32_e32 v6, v11
	s_waitcnt vmcnt(1)
	v_cvt_f32_i32_e32 v11, v14
	v_mul_f32_e32 v1, v7, v10
	v_cvt_f32_i32_e32 v10, v12
	s_waitcnt vmcnt(0)
	v_cvt_f32_i32_e32 v12, v3
	v_mul_f32_e32 v0, v7, v0
	v_mul_f32_e32 v3, v7, v11
	;; [unrolled: 1-line block ×7, first 2 shown]
	s_clause 0x1
	global_store_b128 v[8:9], v[0:3], off
	global_store_b128 v[8:9], v[4:7], off offset:64
	s_nop 0
	s_sendmsg sendmsg(MSG_DEALLOC_VGPRS)
	s_endpgm
	.section	.rodata,"a",@progbits
	.p2align	6, 0x0
	.amdhsa_kernel _ZL23dequantize_block_iq4_xsIfEvPKvPT_
		.amdhsa_group_segment_fixed_size 0
		.amdhsa_private_segment_fixed_size 0
		.amdhsa_kernarg_size 16
		.amdhsa_user_sgpr_count 15
		.amdhsa_user_sgpr_dispatch_ptr 0
		.amdhsa_user_sgpr_queue_ptr 0
		.amdhsa_user_sgpr_kernarg_segment_ptr 1
		.amdhsa_user_sgpr_dispatch_id 0
		.amdhsa_user_sgpr_private_segment_size 0
		.amdhsa_wavefront_size32 1
		.amdhsa_uses_dynamic_stack 0
		.amdhsa_enable_private_segment 0
		.amdhsa_system_sgpr_workgroup_id_x 1
		.amdhsa_system_sgpr_workgroup_id_y 0
		.amdhsa_system_sgpr_workgroup_id_z 0
		.amdhsa_system_sgpr_workgroup_info 0
		.amdhsa_system_vgpr_workitem_id 0
		.amdhsa_next_free_vgpr 15
		.amdhsa_next_free_sgpr 16
		.amdhsa_reserve_vcc 1
		.amdhsa_float_round_mode_32 0
		.amdhsa_float_round_mode_16_64 0
		.amdhsa_float_denorm_mode_32 3
		.amdhsa_float_denorm_mode_16_64 3
		.amdhsa_dx10_clamp 1
		.amdhsa_ieee_mode 1
		.amdhsa_fp16_overflow 0
		.amdhsa_workgroup_processor_mode 1
		.amdhsa_memory_ordered 1
		.amdhsa_forward_progress 0
		.amdhsa_shared_vgpr_count 0
		.amdhsa_exception_fp_ieee_invalid_op 0
		.amdhsa_exception_fp_denorm_src 0
		.amdhsa_exception_fp_ieee_div_zero 0
		.amdhsa_exception_fp_ieee_overflow 0
		.amdhsa_exception_fp_ieee_underflow 0
		.amdhsa_exception_fp_ieee_inexact 0
		.amdhsa_exception_int_div_zero 0
	.end_amdhsa_kernel
	.section	.text._ZL23dequantize_block_iq4_xsIfEvPKvPT_,"axG",@progbits,_ZL23dequantize_block_iq4_xsIfEvPKvPT_,comdat
.Lfunc_end17:
	.size	_ZL23dequantize_block_iq4_xsIfEvPKvPT_, .Lfunc_end17-_ZL23dequantize_block_iq4_xsIfEvPKvPT_
                                        ; -- End function
	.section	.AMDGPU.csdata,"",@progbits
; Kernel info:
; codeLenInByte = 632
; NumSgprs: 18
; NumVgprs: 15
; ScratchSize: 0
; MemoryBound: 0
; FloatMode: 240
; IeeeMode: 1
; LDSByteSize: 0 bytes/workgroup (compile time only)
; SGPRBlocks: 2
; VGPRBlocks: 1
; NumSGPRsForWavesPerEU: 18
; NumVGPRsForWavesPerEU: 15
; Occupancy: 16
; WaveLimiterHint : 0
; COMPUTE_PGM_RSRC2:SCRATCH_EN: 0
; COMPUTE_PGM_RSRC2:USER_SGPR: 15
; COMPUTE_PGM_RSRC2:TRAP_HANDLER: 0
; COMPUTE_PGM_RSRC2:TGID_X_EN: 1
; COMPUTE_PGM_RSRC2:TGID_Y_EN: 0
; COMPUTE_PGM_RSRC2:TGID_Z_EN: 0
; COMPUTE_PGM_RSRC2:TIDIG_COMP_CNT: 0
	.section	.text._ZL22dequantize_block_iq1_mIfEvPKvPT_,"axG",@progbits,_ZL22dequantize_block_iq1_mIfEvPKvPT_,comdat
	.globl	_ZL22dequantize_block_iq1_mIfEvPKvPT_ ; -- Begin function _ZL22dequantize_block_iq1_mIfEvPKvPT_
	.p2align	8
	.type	_ZL22dequantize_block_iq1_mIfEvPKvPT_,@function
_ZL22dequantize_block_iq1_mIfEvPKvPT_:  ; @_ZL22dequantize_block_iq1_mIfEvPKvPT_
; %bb.0:
	s_load_b128 s[0:3], s[0:1], 0x0
	v_and_b32_e32 v3, 7, v0
	v_lshrrev_b32_e32 v1, 4, v0
	s_mov_b32 s4, s15
	s_mov_b32 s5, 0
	v_lshrrev_b32_e32 v4, 3, v0
	v_lshlrev_b32_e32 v2, 1, v3
	s_lshl_b64 s[6:7], s[4:5], 10
	s_mul_i32 s4, s15, 56
	s_mul_hi_u32 s5, s15, 56
	v_lshlrev_b32_e32 v5, 2, v3
	v_add_co_u32 v6, s8, v2, v1
	s_delay_alu instid0(VALU_DEP_1) | instskip(SKIP_2) | instid1(VALU_DEP_2)
	v_add_co_ci_u32_e64 v2, null, 0, 0, s8
	v_lshrrev_b32_e32 v8, 1, v0
	v_and_b32_e32 v0, 0x3f8, v0
	v_and_b32_e32 v8, 4, v8
	s_waitcnt lgkmcnt(0)
	s_add_u32 s2, s2, s6
	s_addc_u32 s3, s3, s7
	s_add_u32 s0, s0, s4
	s_addc_u32 s1, s1, s5
	v_add_co_u32 v1, vcc_lo, s0, v6
	v_add_co_ci_u32_e32 v2, vcc_lo, s1, v2, vcc_lo
	v_add_co_u32 v4, s4, v5, v4
	s_delay_alu instid0(VALU_DEP_1)
	v_add_co_ci_u32_e64 v5, null, 0, 0, s4
	global_load_u8 v7, v[1:2], off offset:32
	v_add_co_u32 v1, vcc_lo, s0, v4
	v_add_co_ci_u32_e32 v2, vcc_lo, s1, v5, vcc_lo
	v_lshlrev_b32_e32 v0, 2, v0
	global_load_u8 v4, v[1:2], off
	v_lshrrev_b32_e32 v1, 1, v6
	v_dual_mov_b32 v2, 0 :: v_dual_lshlrev_b32 v3, 7, v3
	v_and_b32_e32 v6, 3, v6
	s_delay_alu instid0(VALU_DEP_3)
	v_and_b32_e32 v5, 62, v1
	global_load_b64 v[1:2], v2, s[0:1] offset:48
	v_mul_u32_u24_e32 v6, 3, v6
	global_load_u16 v5, v5, s[0:1] offset:48
	s_getpc_b64 s[0:1]
	s_add_u32 s0, s0, _ZL13iq1s_grid_gpu@rel32@lo+4
	s_addc_u32 s1, s1, _ZL13iq1s_grid_gpu@rel32@hi+12
	s_waitcnt vmcnt(3)
	v_lshrrev_b32_e32 v7, v8, v7
	s_delay_alu instid0(VALU_DEP_1) | instskip(SKIP_1) | instid1(VALU_DEP_1)
	v_lshlrev_b32_e32 v8, 8, v7
	s_waitcnt vmcnt(2)
	v_and_or_b32 v4, 0x700, v8, v4
	s_delay_alu instid0(VALU_DEP_1)
	v_lshlrev_b32_e32 v4, 3, v4
	s_waitcnt vmcnt(0)
	v_lshrrev_b32_e32 v5, v6, v5
	global_load_b32 v4, v4, s[0:1]
	v_readfirstlane_b32 s0, v1
	v_lshrrev_b16 v1, 4, v2
	v_lshrrev_b32_e32 v2, 16, v2
	v_mov_b32_e32 v6, 0xbf600000
	s_delay_alu instid0(VALU_DEP_4)
	s_bfe_u32 s1, s0, 0x4000c
	s_lshr_b32 s0, s0, 24
	v_and_b32_e32 v1, 0xf00, v1
	s_and_b32 s0, s0, 0xf0
	v_and_b32_e32 v2, 0xf000, v2
	s_or_b32 s0, s0, s1
	s_delay_alu instid0(VALU_DEP_2) | instid1(SALU_CYCLE_1)
	v_or_b32_e32 v1, s0, v1
	s_delay_alu instid0(VALU_DEP_1) | instskip(SKIP_1) | instid1(VALU_DEP_1)
	v_or_b32_e32 v1, v1, v2
	v_add_co_u32 v2, s0, s2, v3
	v_add_co_ci_u32_e64 v3, null, s3, 0, s0
	s_delay_alu instid0(VALU_DEP_3) | instskip(NEXT) | instid1(VALU_DEP_3)
	v_cvt_f32_f16_e32 v1, v1
	v_add_co_u32 v8, vcc_lo, v2, v0
	s_delay_alu instid0(VALU_DEP_3) | instskip(SKIP_4) | instid1(VALU_DEP_3)
	v_add_co_ci_u32_e32 v9, vcc_lo, 0, v3, vcc_lo
	s_waitcnt vmcnt(0)
	v_bfe_u32 v10, v4, 12, 4
	v_bfe_u32 v3, v4, 8, 4
	;; [unrolled: 1-line block ×3, first 2 shown]
	v_cvt_f32_ubyte0_e32 v10, v10
	v_and_b32_e32 v7, 8, v7
	s_delay_alu instid0(VALU_DEP_4) | instskip(NEXT) | instid1(VALU_DEP_4)
	v_cvt_f32_ubyte0_e32 v3, v3
	v_cvt_f32_ubyte0_e32 v11, v11
	s_delay_alu instid0(VALU_DEP_3) | instskip(SKIP_2) | instid1(VALU_DEP_2)
	v_cmp_eq_u32_e32 vcc_lo, 0, v7
	v_cndmask_b32_e32 v0, 0xbf900000, v6, vcc_lo
	v_bfe_u32 v6, v4, 4, 4
	v_add_f32_e32 v10, v0, v10
	s_delay_alu instid0(VALU_DEP_2) | instskip(SKIP_3) | instid1(VALU_DEP_4)
	v_cvt_f32_ubyte0_e32 v6, v6
	v_lshlrev_b32_e32 v5, 1, v5
	v_add_f32_e32 v3, v0, v3
	v_add_f32_e32 v11, v0, v11
	;; [unrolled: 1-line block ×3, first 2 shown]
	s_delay_alu instid0(VALU_DEP_4) | instskip(NEXT) | instid1(VALU_DEP_1)
	v_and_or_b32 v5, v5, 14, 1
	v_cvt_f32_ubyte0_e32 v5, v5
	s_delay_alu instid0(VALU_DEP_1) | instskip(SKIP_1) | instid1(VALU_DEP_2)
	v_dual_mul_f32 v7, v1, v5 :: v_dual_and_b32 v2, 15, v4
	v_bfe_u32 v5, v4, 16, 4
	v_cvt_f32_ubyte0_e32 v2, v2
	s_delay_alu instid0(VALU_DEP_2) | instskip(NEXT) | instid1(VALU_DEP_2)
	v_cvt_f32_ubyte0_e32 v5, v5
	v_dual_add_f32 v2, v0, v2 :: v_dual_and_b32 v1, 0xf000000, v4
	v_lshrrev_b32_e32 v4, 28, v4
	s_delay_alu instid0(VALU_DEP_3) | instskip(NEXT) | instid1(VALU_DEP_3)
	v_add_f32_e32 v5, v0, v5
	v_cvt_f32_ubyte3_e32 v1, v1
	s_delay_alu instid0(VALU_DEP_3) | instskip(NEXT) | instid1(VALU_DEP_2)
	v_cvt_f32_ubyte0_e32 v4, v4
	v_add_f32_e32 v12, v0, v1
	s_delay_alu instid0(VALU_DEP_2) | instskip(SKIP_2) | instid1(VALU_DEP_4)
	v_dual_add_f32 v13, v0, v4 :: v_dual_mul_f32 v0, v7, v2
	v_mul_f32_e32 v1, v7, v3
	v_mul_f32_e32 v2, v7, v5
	;; [unrolled: 1-line block ×7, first 2 shown]
	s_clause 0x1
	global_store_b128 v[8:9], v[0:3], off
	global_store_b128 v[8:9], v[4:7], off offset:16
	s_nop 0
	s_sendmsg sendmsg(MSG_DEALLOC_VGPRS)
	s_endpgm
	.section	.rodata,"a",@progbits
	.p2align	6, 0x0
	.amdhsa_kernel _ZL22dequantize_block_iq1_mIfEvPKvPT_
		.amdhsa_group_segment_fixed_size 0
		.amdhsa_private_segment_fixed_size 0
		.amdhsa_kernarg_size 16
		.amdhsa_user_sgpr_count 15
		.amdhsa_user_sgpr_dispatch_ptr 0
		.amdhsa_user_sgpr_queue_ptr 0
		.amdhsa_user_sgpr_kernarg_segment_ptr 1
		.amdhsa_user_sgpr_dispatch_id 0
		.amdhsa_user_sgpr_private_segment_size 0
		.amdhsa_wavefront_size32 1
		.amdhsa_uses_dynamic_stack 0
		.amdhsa_enable_private_segment 0
		.amdhsa_system_sgpr_workgroup_id_x 1
		.amdhsa_system_sgpr_workgroup_id_y 0
		.amdhsa_system_sgpr_workgroup_id_z 0
		.amdhsa_system_sgpr_workgroup_info 0
		.amdhsa_system_vgpr_workitem_id 0
		.amdhsa_next_free_vgpr 14
		.amdhsa_next_free_sgpr 16
		.amdhsa_reserve_vcc 1
		.amdhsa_float_round_mode_32 0
		.amdhsa_float_round_mode_16_64 0
		.amdhsa_float_denorm_mode_32 3
		.amdhsa_float_denorm_mode_16_64 3
		.amdhsa_dx10_clamp 1
		.amdhsa_ieee_mode 1
		.amdhsa_fp16_overflow 0
		.amdhsa_workgroup_processor_mode 1
		.amdhsa_memory_ordered 1
		.amdhsa_forward_progress 0
		.amdhsa_shared_vgpr_count 0
		.amdhsa_exception_fp_ieee_invalid_op 0
		.amdhsa_exception_fp_denorm_src 0
		.amdhsa_exception_fp_ieee_div_zero 0
		.amdhsa_exception_fp_ieee_overflow 0
		.amdhsa_exception_fp_ieee_underflow 0
		.amdhsa_exception_fp_ieee_inexact 0
		.amdhsa_exception_int_div_zero 0
	.end_amdhsa_kernel
	.section	.text._ZL22dequantize_block_iq1_mIfEvPKvPT_,"axG",@progbits,_ZL22dequantize_block_iq1_mIfEvPKvPT_,comdat
.Lfunc_end18:
	.size	_ZL22dequantize_block_iq1_mIfEvPKvPT_, .Lfunc_end18-_ZL22dequantize_block_iq1_mIfEvPKvPT_
                                        ; -- End function
	.section	.AMDGPU.csdata,"",@progbits
; Kernel info:
; codeLenInByte = 672
; NumSgprs: 18
; NumVgprs: 14
; ScratchSize: 0
; MemoryBound: 0
; FloatMode: 240
; IeeeMode: 1
; LDSByteSize: 0 bytes/workgroup (compile time only)
; SGPRBlocks: 2
; VGPRBlocks: 1
; NumSGPRsForWavesPerEU: 18
; NumVGPRsForWavesPerEU: 14
; Occupancy: 16
; WaveLimiterHint : 0
; COMPUTE_PGM_RSRC2:SCRATCH_EN: 0
; COMPUTE_PGM_RSRC2:USER_SGPR: 15
; COMPUTE_PGM_RSRC2:TRAP_HANDLER: 0
; COMPUTE_PGM_RSRC2:TGID_X_EN: 1
; COMPUTE_PGM_RSRC2:TGID_Y_EN: 0
; COMPUTE_PGM_RSRC2:TGID_Z_EN: 0
; COMPUTE_PGM_RSRC2:TIDIG_COMP_CNT: 0
	.section	.text._ZL16dequantize_blockILi32ELi2EXadL_ZL15dequantize_q4_0PKviiR7__half2EEN3c104HalfEEvS1_PT2_l,"axG",@progbits,_ZL16dequantize_blockILi32ELi2EXadL_ZL15dequantize_q4_0PKviiR7__half2EEN3c104HalfEEvS1_PT2_l,comdat
	.globl	_ZL16dequantize_blockILi32ELi2EXadL_ZL15dequantize_q4_0PKviiR7__half2EEN3c104HalfEEvS1_PT2_l ; -- Begin function _ZL16dequantize_blockILi32ELi2EXadL_ZL15dequantize_q4_0PKviiR7__half2EEN3c104HalfEEvS1_PT2_l
	.p2align	8
	.type	_ZL16dequantize_blockILi32ELi2EXadL_ZL15dequantize_q4_0PKviiR7__half2EEN3c104HalfEEvS1_PT2_l,@function
_ZL16dequantize_blockILi32ELi2EXadL_ZL15dequantize_q4_0PKviiR7__half2EEN3c104HalfEEvS1_PT2_l: ; @_ZL16dequantize_blockILi32ELi2EXadL_ZL15dequantize_q4_0PKviiR7__half2EEN3c104HalfEEvS1_PT2_l
; %bb.0:
	s_clause 0x1
	s_load_b32 s4, s[0:1], 0x24
	s_load_b64 s[2:3], s[0:1], 0x10
	v_mov_b32_e32 v1, 0
	s_waitcnt lgkmcnt(0)
	s_and_b32 s4, s4, 0xffff
	s_delay_alu instid0(VALU_DEP_1) | instid1(SALU_CYCLE_1)
	v_mad_u64_u32 v[2:3], null, s4, s15, v[0:1]
	s_delay_alu instid0(VALU_DEP_1) | instskip(NEXT) | instid1(VALU_DEP_1)
	v_lshlrev_b64 v[0:1], 1, v[2:3]
	v_cmp_gt_i64_e32 vcc_lo, s[2:3], v[0:1]
	s_and_saveexec_b32 s2, vcc_lo
	s_cbranch_execz .LBB19_2
; %bb.1:
	s_load_b128 s[0:3], s[0:1], 0x0
	v_alignbit_b32 v1, v3, v2, 4
	v_and_b32_e32 v5, 15, v2
	s_delay_alu instid0(VALU_DEP_1) | instskip(SKIP_1) | instid1(VALU_DEP_3)
	v_and_or_b32 v0, 0xffffffe0, v0, v5
	s_waitcnt lgkmcnt(0)
	v_mad_i64_i32 v[3:4], null, v1, 18, s[0:1]
	s_delay_alu instid0(VALU_DEP_1) | instskip(NEXT) | instid1(VALU_DEP_2)
	v_add_co_u32 v1, vcc_lo, v3, v5
	v_add_co_ci_u32_e32 v2, vcc_lo, 0, v4, vcc_lo
	s_clause 0x1
	global_load_u8 v1, v[1:2], off offset:2
	global_load_u16 v2, v[3:4], off
	s_waitcnt vmcnt(1)
	v_and_b32_e32 v3, 15, v1
	v_lshrrev_b32_e32 v1, 4, v1
	s_delay_alu instid0(VALU_DEP_2) | instskip(NEXT) | instid1(VALU_DEP_2)
	v_cvt_f32_ubyte0_e32 v3, v3
	v_cvt_f32_ubyte0_e32 v1, v1
	s_delay_alu instid0(VALU_DEP_2) | instskip(NEXT) | instid1(VALU_DEP_2)
	v_cvt_f16_f32_e32 v3, v3
	v_cvt_f16_f32_e32 v4, v1
	v_ashrrev_i32_e32 v1, 31, v0
	s_delay_alu instid0(VALU_DEP_2) | instskip(NEXT) | instid1(VALU_DEP_2)
	v_pack_b32_f16 v3, v3, v4
	v_lshlrev_b64 v[0:1], 1, v[0:1]
	s_delay_alu instid0(VALU_DEP_2) | instskip(NEXT) | instid1(VALU_DEP_2)
	v_pk_add_f16 v3, 0xc800, v3 op_sel_hi:[0,1]
	v_add_co_u32 v0, vcc_lo, s2, v0
	s_delay_alu instid0(VALU_DEP_3) | instskip(SKIP_1) | instid1(VALU_DEP_3)
	v_add_co_ci_u32_e32 v1, vcc_lo, s3, v1, vcc_lo
	s_waitcnt vmcnt(0)
	v_pk_mul_f16 v2, v2, v3 op_sel_hi:[0,1]
	s_clause 0x1
	global_store_b16 v[0:1], v2, off
	global_store_d16_hi_b16 v[0:1], v2, off offset:32
.LBB19_2:
	s_nop 0
	s_sendmsg sendmsg(MSG_DEALLOC_VGPRS)
	s_endpgm
	.section	.rodata,"a",@progbits
	.p2align	6, 0x0
	.amdhsa_kernel _ZL16dequantize_blockILi32ELi2EXadL_ZL15dequantize_q4_0PKviiR7__half2EEN3c104HalfEEvS1_PT2_l
		.amdhsa_group_segment_fixed_size 0
		.amdhsa_private_segment_fixed_size 0
		.amdhsa_kernarg_size 280
		.amdhsa_user_sgpr_count 15
		.amdhsa_user_sgpr_dispatch_ptr 0
		.amdhsa_user_sgpr_queue_ptr 0
		.amdhsa_user_sgpr_kernarg_segment_ptr 1
		.amdhsa_user_sgpr_dispatch_id 0
		.amdhsa_user_sgpr_private_segment_size 0
		.amdhsa_wavefront_size32 1
		.amdhsa_uses_dynamic_stack 0
		.amdhsa_enable_private_segment 0
		.amdhsa_system_sgpr_workgroup_id_x 1
		.amdhsa_system_sgpr_workgroup_id_y 0
		.amdhsa_system_sgpr_workgroup_id_z 0
		.amdhsa_system_sgpr_workgroup_info 0
		.amdhsa_system_vgpr_workitem_id 0
		.amdhsa_next_free_vgpr 6
		.amdhsa_next_free_sgpr 16
		.amdhsa_reserve_vcc 1
		.amdhsa_float_round_mode_32 0
		.amdhsa_float_round_mode_16_64 0
		.amdhsa_float_denorm_mode_32 3
		.amdhsa_float_denorm_mode_16_64 3
		.amdhsa_dx10_clamp 1
		.amdhsa_ieee_mode 1
		.amdhsa_fp16_overflow 0
		.amdhsa_workgroup_processor_mode 1
		.amdhsa_memory_ordered 1
		.amdhsa_forward_progress 0
		.amdhsa_shared_vgpr_count 0
		.amdhsa_exception_fp_ieee_invalid_op 0
		.amdhsa_exception_fp_denorm_src 0
		.amdhsa_exception_fp_ieee_div_zero 0
		.amdhsa_exception_fp_ieee_overflow 0
		.amdhsa_exception_fp_ieee_underflow 0
		.amdhsa_exception_fp_ieee_inexact 0
		.amdhsa_exception_int_div_zero 0
	.end_amdhsa_kernel
	.section	.text._ZL16dequantize_blockILi32ELi2EXadL_ZL15dequantize_q4_0PKviiR7__half2EEN3c104HalfEEvS1_PT2_l,"axG",@progbits,_ZL16dequantize_blockILi32ELi2EXadL_ZL15dequantize_q4_0PKviiR7__half2EEN3c104HalfEEvS1_PT2_l,comdat
.Lfunc_end19:
	.size	_ZL16dequantize_blockILi32ELi2EXadL_ZL15dequantize_q4_0PKviiR7__half2EEN3c104HalfEEvS1_PT2_l, .Lfunc_end19-_ZL16dequantize_blockILi32ELi2EXadL_ZL15dequantize_q4_0PKviiR7__half2EEN3c104HalfEEvS1_PT2_l
                                        ; -- End function
	.section	.AMDGPU.csdata,"",@progbits
; Kernel info:
; codeLenInByte = 292
; NumSgprs: 18
; NumVgprs: 6
; ScratchSize: 0
; MemoryBound: 0
; FloatMode: 240
; IeeeMode: 1
; LDSByteSize: 0 bytes/workgroup (compile time only)
; SGPRBlocks: 2
; VGPRBlocks: 0
; NumSGPRsForWavesPerEU: 18
; NumVGPRsForWavesPerEU: 6
; Occupancy: 16
; WaveLimiterHint : 0
; COMPUTE_PGM_RSRC2:SCRATCH_EN: 0
; COMPUTE_PGM_RSRC2:USER_SGPR: 15
; COMPUTE_PGM_RSRC2:TRAP_HANDLER: 0
; COMPUTE_PGM_RSRC2:TGID_X_EN: 1
; COMPUTE_PGM_RSRC2:TGID_Y_EN: 0
; COMPUTE_PGM_RSRC2:TGID_Z_EN: 0
; COMPUTE_PGM_RSRC2:TIDIG_COMP_CNT: 0
	.section	.text._ZL16dequantize_blockILi32ELi2EXadL_ZL15dequantize_q4_1PKviiR7__half2EEN3c104HalfEEvS1_PT2_l,"axG",@progbits,_ZL16dequantize_blockILi32ELi2EXadL_ZL15dequantize_q4_1PKviiR7__half2EEN3c104HalfEEvS1_PT2_l,comdat
	.globl	_ZL16dequantize_blockILi32ELi2EXadL_ZL15dequantize_q4_1PKviiR7__half2EEN3c104HalfEEvS1_PT2_l ; -- Begin function _ZL16dequantize_blockILi32ELi2EXadL_ZL15dequantize_q4_1PKviiR7__half2EEN3c104HalfEEvS1_PT2_l
	.p2align	8
	.type	_ZL16dequantize_blockILi32ELi2EXadL_ZL15dequantize_q4_1PKviiR7__half2EEN3c104HalfEEvS1_PT2_l,@function
_ZL16dequantize_blockILi32ELi2EXadL_ZL15dequantize_q4_1PKviiR7__half2EEN3c104HalfEEvS1_PT2_l: ; @_ZL16dequantize_blockILi32ELi2EXadL_ZL15dequantize_q4_1PKviiR7__half2EEN3c104HalfEEvS1_PT2_l
; %bb.0:
	s_clause 0x1
	s_load_b32 s4, s[0:1], 0x24
	s_load_b64 s[2:3], s[0:1], 0x10
	v_mov_b32_e32 v1, 0
	s_waitcnt lgkmcnt(0)
	s_and_b32 s4, s4, 0xffff
	s_delay_alu instid0(VALU_DEP_1) | instid1(SALU_CYCLE_1)
	v_mad_u64_u32 v[2:3], null, s4, s15, v[0:1]
	s_delay_alu instid0(VALU_DEP_1) | instskip(NEXT) | instid1(VALU_DEP_1)
	v_lshlrev_b64 v[0:1], 1, v[2:3]
	v_cmp_gt_i64_e32 vcc_lo, s[2:3], v[0:1]
	s_and_saveexec_b32 s2, vcc_lo
	s_cbranch_execz .LBB20_2
; %bb.1:
	s_load_b128 s[0:3], s[0:1], 0x0
	v_alignbit_b32 v1, v3, v2, 4
	v_and_b32_e32 v5, 15, v2
	s_delay_alu instid0(VALU_DEP_1) | instskip(SKIP_1) | instid1(VALU_DEP_3)
	v_and_or_b32 v0, 0xffffffe0, v0, v5
	s_waitcnt lgkmcnt(0)
	v_mad_i64_i32 v[3:4], null, v1, 20, s[0:1]
	s_delay_alu instid0(VALU_DEP_1) | instskip(NEXT) | instid1(VALU_DEP_2)
	v_add_co_u32 v1, vcc_lo, v3, v5
	v_add_co_ci_u32_e32 v2, vcc_lo, 0, v4, vcc_lo
	s_clause 0x1
	global_load_u8 v1, v[1:2], off offset:4
	global_load_b32 v2, v[3:4], off
	s_waitcnt vmcnt(1)
	v_and_b32_e32 v3, 15, v1
	v_lshrrev_b32_e32 v1, 4, v1
	s_delay_alu instid0(VALU_DEP_2) | instskip(NEXT) | instid1(VALU_DEP_2)
	v_cvt_f32_ubyte0_e32 v3, v3
	v_cvt_f32_ubyte0_e32 v4, v1
	v_ashrrev_i32_e32 v1, 31, v0
	s_delay_alu instid0(VALU_DEP_3) | instskip(NEXT) | instid1(VALU_DEP_3)
	v_cvt_f16_f32_e32 v3, v3
	v_cvt_f16_f32_e32 v4, v4
	s_delay_alu instid0(VALU_DEP_3) | instskip(NEXT) | instid1(VALU_DEP_2)
	v_lshlrev_b64 v[0:1], 1, v[0:1]
	v_pack_b32_f16 v3, v3, v4
	s_delay_alu instid0(VALU_DEP_2) | instskip(NEXT) | instid1(VALU_DEP_3)
	v_add_co_u32 v0, vcc_lo, s2, v0
	v_add_co_ci_u32_e32 v1, vcc_lo, s3, v1, vcc_lo
	s_waitcnt vmcnt(0)
	s_delay_alu instid0(VALU_DEP_3)
	v_pk_fma_f16 v2, v2, v3, v2 op_sel:[0,0,1] op_sel_hi:[0,1,1]
	s_clause 0x1
	global_store_b16 v[0:1], v2, off
	global_store_d16_hi_b16 v[0:1], v2, off offset:32
.LBB20_2:
	s_nop 0
	s_sendmsg sendmsg(MSG_DEALLOC_VGPRS)
	s_endpgm
	.section	.rodata,"a",@progbits
	.p2align	6, 0x0
	.amdhsa_kernel _ZL16dequantize_blockILi32ELi2EXadL_ZL15dequantize_q4_1PKviiR7__half2EEN3c104HalfEEvS1_PT2_l
		.amdhsa_group_segment_fixed_size 0
		.amdhsa_private_segment_fixed_size 0
		.amdhsa_kernarg_size 280
		.amdhsa_user_sgpr_count 15
		.amdhsa_user_sgpr_dispatch_ptr 0
		.amdhsa_user_sgpr_queue_ptr 0
		.amdhsa_user_sgpr_kernarg_segment_ptr 1
		.amdhsa_user_sgpr_dispatch_id 0
		.amdhsa_user_sgpr_private_segment_size 0
		.amdhsa_wavefront_size32 1
		.amdhsa_uses_dynamic_stack 0
		.amdhsa_enable_private_segment 0
		.amdhsa_system_sgpr_workgroup_id_x 1
		.amdhsa_system_sgpr_workgroup_id_y 0
		.amdhsa_system_sgpr_workgroup_id_z 0
		.amdhsa_system_sgpr_workgroup_info 0
		.amdhsa_system_vgpr_workitem_id 0
		.amdhsa_next_free_vgpr 6
		.amdhsa_next_free_sgpr 16
		.amdhsa_reserve_vcc 1
		.amdhsa_float_round_mode_32 0
		.amdhsa_float_round_mode_16_64 0
		.amdhsa_float_denorm_mode_32 3
		.amdhsa_float_denorm_mode_16_64 3
		.amdhsa_dx10_clamp 1
		.amdhsa_ieee_mode 1
		.amdhsa_fp16_overflow 0
		.amdhsa_workgroup_processor_mode 1
		.amdhsa_memory_ordered 1
		.amdhsa_forward_progress 0
		.amdhsa_shared_vgpr_count 0
		.amdhsa_exception_fp_ieee_invalid_op 0
		.amdhsa_exception_fp_denorm_src 0
		.amdhsa_exception_fp_ieee_div_zero 0
		.amdhsa_exception_fp_ieee_overflow 0
		.amdhsa_exception_fp_ieee_underflow 0
		.amdhsa_exception_fp_ieee_inexact 0
		.amdhsa_exception_int_div_zero 0
	.end_amdhsa_kernel
	.section	.text._ZL16dequantize_blockILi32ELi2EXadL_ZL15dequantize_q4_1PKviiR7__half2EEN3c104HalfEEvS1_PT2_l,"axG",@progbits,_ZL16dequantize_blockILi32ELi2EXadL_ZL15dequantize_q4_1PKviiR7__half2EEN3c104HalfEEvS1_PT2_l,comdat
.Lfunc_end20:
	.size	_ZL16dequantize_blockILi32ELi2EXadL_ZL15dequantize_q4_1PKviiR7__half2EEN3c104HalfEEvS1_PT2_l, .Lfunc_end20-_ZL16dequantize_blockILi32ELi2EXadL_ZL15dequantize_q4_1PKviiR7__half2EEN3c104HalfEEvS1_PT2_l
                                        ; -- End function
	.section	.AMDGPU.csdata,"",@progbits
; Kernel info:
; codeLenInByte = 280
; NumSgprs: 18
; NumVgprs: 6
; ScratchSize: 0
; MemoryBound: 0
; FloatMode: 240
; IeeeMode: 1
; LDSByteSize: 0 bytes/workgroup (compile time only)
; SGPRBlocks: 2
; VGPRBlocks: 0
; NumSGPRsForWavesPerEU: 18
; NumVGPRsForWavesPerEU: 6
; Occupancy: 16
; WaveLimiterHint : 0
; COMPUTE_PGM_RSRC2:SCRATCH_EN: 0
; COMPUTE_PGM_RSRC2:USER_SGPR: 15
; COMPUTE_PGM_RSRC2:TRAP_HANDLER: 0
; COMPUTE_PGM_RSRC2:TGID_X_EN: 1
; COMPUTE_PGM_RSRC2:TGID_Y_EN: 0
; COMPUTE_PGM_RSRC2:TGID_Z_EN: 0
; COMPUTE_PGM_RSRC2:TIDIG_COMP_CNT: 0
	.section	.text._ZL16dequantize_blockILi32ELi2EXadL_ZL15dequantize_q5_0PKviiR7__half2EEN3c104HalfEEvS1_PT2_l,"axG",@progbits,_ZL16dequantize_blockILi32ELi2EXadL_ZL15dequantize_q5_0PKviiR7__half2EEN3c104HalfEEvS1_PT2_l,comdat
	.globl	_ZL16dequantize_blockILi32ELi2EXadL_ZL15dequantize_q5_0PKviiR7__half2EEN3c104HalfEEvS1_PT2_l ; -- Begin function _ZL16dequantize_blockILi32ELi2EXadL_ZL15dequantize_q5_0PKviiR7__half2EEN3c104HalfEEvS1_PT2_l
	.p2align	8
	.type	_ZL16dequantize_blockILi32ELi2EXadL_ZL15dequantize_q5_0PKviiR7__half2EEN3c104HalfEEvS1_PT2_l,@function
_ZL16dequantize_blockILi32ELi2EXadL_ZL15dequantize_q5_0PKviiR7__half2EEN3c104HalfEEvS1_PT2_l: ; @_ZL16dequantize_blockILi32ELi2EXadL_ZL15dequantize_q5_0PKviiR7__half2EEN3c104HalfEEvS1_PT2_l
; %bb.0:
	s_clause 0x1
	s_load_b32 s4, s[0:1], 0x24
	s_load_b64 s[2:3], s[0:1], 0x10
	v_mov_b32_e32 v1, 0
	s_waitcnt lgkmcnt(0)
	s_and_b32 s4, s4, 0xffff
	s_delay_alu instid0(VALU_DEP_1) | instid1(SALU_CYCLE_1)
	v_mad_u64_u32 v[2:3], null, s4, s15, v[0:1]
	s_delay_alu instid0(VALU_DEP_1) | instskip(NEXT) | instid1(VALU_DEP_1)
	v_lshlrev_b64 v[0:1], 1, v[2:3]
	v_cmp_gt_i64_e32 vcc_lo, s[2:3], v[0:1]
	s_and_saveexec_b32 s2, vcc_lo
	s_cbranch_execz .LBB21_2
; %bb.1:
	s_load_b128 s[0:3], s[0:1], 0x0
	v_alignbit_b32 v1, v3, v2, 4
	v_and_b32_e32 v5, 15, v2
	s_delay_alu instid0(VALU_DEP_1) | instskip(SKIP_1) | instid1(VALU_DEP_3)
	v_and_or_b32 v0, 0xffffffe0, v0, v5
	s_waitcnt lgkmcnt(0)
	v_mad_i64_i32 v[3:4], null, v1, 22, s[0:1]
	s_clause 0x1
	global_load_b32 v6, v[3:4], off
	global_load_u16 v7, v[3:4], off offset:4
	v_add_co_u32 v1, vcc_lo, v3, v5
	v_add_co_ci_u32_e32 v2, vcc_lo, 0, v4, vcc_lo
	v_add_nc_u32_e32 v3, 12, v5
	global_load_u8 v1, v[1:2], off offset:6
	s_waitcnt vmcnt(1)
	v_perm_b32 v2, v6, v7, 0x1000706
	s_delay_alu instid0(VALU_DEP_1)
	v_lshrrev_b32_e32 v4, v5, v2
	v_lshrrev_b32_e32 v2, v3, v2
	s_waitcnt vmcnt(0)
	v_and_b32_e32 v3, 15, v1
	v_lshrrev_b16 v1, 4, v1
	v_lshlrev_b32_e32 v4, 4, v4
	s_delay_alu instid0(VALU_DEP_2) | instskip(NEXT) | instid1(VALU_DEP_2)
	v_and_or_b32 v1, v2, 16, v1
	v_and_or_b32 v2, v4, 16, v3
	s_delay_alu instid0(VALU_DEP_2) | instskip(NEXT) | instid1(VALU_DEP_2)
	v_cvt_f32_ubyte0_e32 v1, v1
	v_cvt_f32_ubyte0_e32 v2, v2
	s_delay_alu instid0(VALU_DEP_2) | instskip(NEXT) | instid1(VALU_DEP_2)
	v_cvt_f16_f32_e32 v3, v1
	v_cvt_f16_f32_e32 v2, v2
	v_ashrrev_i32_e32 v1, 31, v0
	s_delay_alu instid0(VALU_DEP_2) | instskip(NEXT) | instid1(VALU_DEP_2)
	v_pack_b32_f16 v2, v2, v3
	v_lshlrev_b64 v[0:1], 1, v[0:1]
	s_delay_alu instid0(VALU_DEP_2) | instskip(NEXT) | instid1(VALU_DEP_2)
	v_pk_add_f16 v2, 0xcc00, v2 op_sel_hi:[0,1]
	v_add_co_u32 v0, vcc_lo, s2, v0
	s_delay_alu instid0(VALU_DEP_3) | instskip(NEXT) | instid1(VALU_DEP_3)
	v_add_co_ci_u32_e32 v1, vcc_lo, s3, v1, vcc_lo
	v_pk_mul_f16 v2, v6, v2 op_sel_hi:[0,1]
	s_clause 0x1
	global_store_b16 v[0:1], v2, off
	global_store_d16_hi_b16 v[0:1], v2, off offset:32
.LBB21_2:
	s_nop 0
	s_sendmsg sendmsg(MSG_DEALLOC_VGPRS)
	s_endpgm
	.section	.rodata,"a",@progbits
	.p2align	6, 0x0
	.amdhsa_kernel _ZL16dequantize_blockILi32ELi2EXadL_ZL15dequantize_q5_0PKviiR7__half2EEN3c104HalfEEvS1_PT2_l
		.amdhsa_group_segment_fixed_size 0
		.amdhsa_private_segment_fixed_size 0
		.amdhsa_kernarg_size 280
		.amdhsa_user_sgpr_count 15
		.amdhsa_user_sgpr_dispatch_ptr 0
		.amdhsa_user_sgpr_queue_ptr 0
		.amdhsa_user_sgpr_kernarg_segment_ptr 1
		.amdhsa_user_sgpr_dispatch_id 0
		.amdhsa_user_sgpr_private_segment_size 0
		.amdhsa_wavefront_size32 1
		.amdhsa_uses_dynamic_stack 0
		.amdhsa_enable_private_segment 0
		.amdhsa_system_sgpr_workgroup_id_x 1
		.amdhsa_system_sgpr_workgroup_id_y 0
		.amdhsa_system_sgpr_workgroup_id_z 0
		.amdhsa_system_sgpr_workgroup_info 0
		.amdhsa_system_vgpr_workitem_id 0
		.amdhsa_next_free_vgpr 8
		.amdhsa_next_free_sgpr 16
		.amdhsa_reserve_vcc 1
		.amdhsa_float_round_mode_32 0
		.amdhsa_float_round_mode_16_64 0
		.amdhsa_float_denorm_mode_32 3
		.amdhsa_float_denorm_mode_16_64 3
		.amdhsa_dx10_clamp 1
		.amdhsa_ieee_mode 1
		.amdhsa_fp16_overflow 0
		.amdhsa_workgroup_processor_mode 1
		.amdhsa_memory_ordered 1
		.amdhsa_forward_progress 0
		.amdhsa_shared_vgpr_count 0
		.amdhsa_exception_fp_ieee_invalid_op 0
		.amdhsa_exception_fp_denorm_src 0
		.amdhsa_exception_fp_ieee_div_zero 0
		.amdhsa_exception_fp_ieee_overflow 0
		.amdhsa_exception_fp_ieee_underflow 0
		.amdhsa_exception_fp_ieee_inexact 0
		.amdhsa_exception_int_div_zero 0
	.end_amdhsa_kernel
	.section	.text._ZL16dequantize_blockILi32ELi2EXadL_ZL15dequantize_q5_0PKviiR7__half2EEN3c104HalfEEvS1_PT2_l,"axG",@progbits,_ZL16dequantize_blockILi32ELi2EXadL_ZL15dequantize_q5_0PKviiR7__half2EEN3c104HalfEEvS1_PT2_l,comdat
.Lfunc_end21:
	.size	_ZL16dequantize_blockILi32ELi2EXadL_ZL15dequantize_q5_0PKviiR7__half2EEN3c104HalfEEvS1_PT2_l, .Lfunc_end21-_ZL16dequantize_blockILi32ELi2EXadL_ZL15dequantize_q5_0PKviiR7__half2EEN3c104HalfEEvS1_PT2_l
                                        ; -- End function
	.section	.AMDGPU.csdata,"",@progbits
; Kernel info:
; codeLenInByte = 352
; NumSgprs: 18
; NumVgprs: 8
; ScratchSize: 0
; MemoryBound: 0
; FloatMode: 240
; IeeeMode: 1
; LDSByteSize: 0 bytes/workgroup (compile time only)
; SGPRBlocks: 2
; VGPRBlocks: 0
; NumSGPRsForWavesPerEU: 18
; NumVGPRsForWavesPerEU: 8
; Occupancy: 16
; WaveLimiterHint : 0
; COMPUTE_PGM_RSRC2:SCRATCH_EN: 0
; COMPUTE_PGM_RSRC2:USER_SGPR: 15
; COMPUTE_PGM_RSRC2:TRAP_HANDLER: 0
; COMPUTE_PGM_RSRC2:TGID_X_EN: 1
; COMPUTE_PGM_RSRC2:TGID_Y_EN: 0
; COMPUTE_PGM_RSRC2:TGID_Z_EN: 0
; COMPUTE_PGM_RSRC2:TIDIG_COMP_CNT: 0
	.section	.text._ZL16dequantize_blockILi32ELi2EXadL_ZL15dequantize_q5_1PKviiR7__half2EEN3c104HalfEEvS1_PT2_l,"axG",@progbits,_ZL16dequantize_blockILi32ELi2EXadL_ZL15dequantize_q5_1PKviiR7__half2EEN3c104HalfEEvS1_PT2_l,comdat
	.globl	_ZL16dequantize_blockILi32ELi2EXadL_ZL15dequantize_q5_1PKviiR7__half2EEN3c104HalfEEvS1_PT2_l ; -- Begin function _ZL16dequantize_blockILi32ELi2EXadL_ZL15dequantize_q5_1PKviiR7__half2EEN3c104HalfEEvS1_PT2_l
	.p2align	8
	.type	_ZL16dequantize_blockILi32ELi2EXadL_ZL15dequantize_q5_1PKviiR7__half2EEN3c104HalfEEvS1_PT2_l,@function
_ZL16dequantize_blockILi32ELi2EXadL_ZL15dequantize_q5_1PKviiR7__half2EEN3c104HalfEEvS1_PT2_l: ; @_ZL16dequantize_blockILi32ELi2EXadL_ZL15dequantize_q5_1PKviiR7__half2EEN3c104HalfEEvS1_PT2_l
; %bb.0:
	s_clause 0x1
	s_load_b32 s4, s[0:1], 0x24
	s_load_b64 s[2:3], s[0:1], 0x10
	v_mov_b32_e32 v1, 0
	s_waitcnt lgkmcnt(0)
	s_and_b32 s4, s4, 0xffff
	s_delay_alu instid0(VALU_DEP_1) | instid1(SALU_CYCLE_1)
	v_mad_u64_u32 v[2:3], null, s4, s15, v[0:1]
	s_delay_alu instid0(VALU_DEP_1) | instskip(NEXT) | instid1(VALU_DEP_1)
	v_lshlrev_b64 v[0:1], 1, v[2:3]
	v_cmp_gt_i64_e32 vcc_lo, s[2:3], v[0:1]
	s_and_saveexec_b32 s2, vcc_lo
	s_cbranch_execz .LBB22_2
; %bb.1:
	s_load_b128 s[0:3], s[0:1], 0x0
	v_alignbit_b32 v1, v3, v2, 4
	v_and_b32_e32 v6, 15, v2
	s_delay_alu instid0(VALU_DEP_1) | instskip(SKIP_1) | instid1(VALU_DEP_3)
	v_and_or_b32 v0, 0xffffffe0, v0, v6
	s_waitcnt lgkmcnt(0)
	v_mad_i64_i32 v[3:4], null, v1, 24, s[0:1]
	s_clause 0x1
	global_load_u16 v5, v[3:4], off offset:6
	global_load_u16 v7, v[3:4], off offset:4
	v_add_co_u32 v1, vcc_lo, v3, v6
	v_add_co_ci_u32_e32 v2, vcc_lo, 0, v4, vcc_lo
	s_clause 0x1
	global_load_u8 v1, v[1:2], off offset:8
	global_load_b32 v2, v[3:4], off
	s_waitcnt vmcnt(3)
	v_lshrrev_b16 v3, 8, v5
	v_and_b32_e32 v4, 0xff, v5
	s_delay_alu instid0(VALU_DEP_2) | instskip(NEXT) | instid1(VALU_DEP_2)
	v_lshlrev_b32_e32 v3, 24, v3
	v_lshlrev_b32_e32 v4, 16, v4
	s_waitcnt vmcnt(2)
	s_delay_alu instid0(VALU_DEP_1)
	v_or3_b32 v3, v4, v7, v3
	v_add_nc_u32_e32 v4, 12, v6
	s_waitcnt vmcnt(1)
	v_and_b32_e32 v7, 15, v1
	v_lshrrev_b16 v1, 4, v1
	v_lshrrev_b32_e32 v5, v6, v3
	v_lshrrev_b32_e32 v3, v4, v3
	s_delay_alu instid0(VALU_DEP_2) | instskip(NEXT) | instid1(VALU_DEP_2)
	v_lshlrev_b32_e32 v4, 4, v5
	v_and_or_b32 v1, v3, 16, v1
	s_delay_alu instid0(VALU_DEP_2) | instskip(NEXT) | instid1(VALU_DEP_2)
	v_and_or_b32 v3, v4, 16, v7
	v_cvt_f32_ubyte0_e32 v4, v1
	v_ashrrev_i32_e32 v1, 31, v0
	s_delay_alu instid0(VALU_DEP_3) | instskip(NEXT) | instid1(VALU_DEP_3)
	v_cvt_f32_ubyte0_e32 v3, v3
	v_cvt_f16_f32_e32 v4, v4
	s_delay_alu instid0(VALU_DEP_3) | instskip(NEXT) | instid1(VALU_DEP_3)
	v_lshlrev_b64 v[0:1], 1, v[0:1]
	v_cvt_f16_f32_e32 v3, v3
	s_delay_alu instid0(VALU_DEP_2) | instskip(NEXT) | instid1(VALU_DEP_2)
	v_add_co_u32 v0, vcc_lo, s2, v0
	v_pack_b32_f16 v3, v3, v4
	s_delay_alu instid0(VALU_DEP_4) | instskip(SKIP_1) | instid1(VALU_DEP_2)
	v_add_co_ci_u32_e32 v1, vcc_lo, s3, v1, vcc_lo
	s_waitcnt vmcnt(0)
	v_pk_fma_f16 v2, v2, v3, v2 op_sel:[0,0,1] op_sel_hi:[0,1,1]
	s_clause 0x1
	global_store_b16 v[0:1], v2, off
	global_store_d16_hi_b16 v[0:1], v2, off offset:32
.LBB22_2:
	s_nop 0
	s_sendmsg sendmsg(MSG_DEALLOC_VGPRS)
	s_endpgm
	.section	.rodata,"a",@progbits
	.p2align	6, 0x0
	.amdhsa_kernel _ZL16dequantize_blockILi32ELi2EXadL_ZL15dequantize_q5_1PKviiR7__half2EEN3c104HalfEEvS1_PT2_l
		.amdhsa_group_segment_fixed_size 0
		.amdhsa_private_segment_fixed_size 0
		.amdhsa_kernarg_size 280
		.amdhsa_user_sgpr_count 15
		.amdhsa_user_sgpr_dispatch_ptr 0
		.amdhsa_user_sgpr_queue_ptr 0
		.amdhsa_user_sgpr_kernarg_segment_ptr 1
		.amdhsa_user_sgpr_dispatch_id 0
		.amdhsa_user_sgpr_private_segment_size 0
		.amdhsa_wavefront_size32 1
		.amdhsa_uses_dynamic_stack 0
		.amdhsa_enable_private_segment 0
		.amdhsa_system_sgpr_workgroup_id_x 1
		.amdhsa_system_sgpr_workgroup_id_y 0
		.amdhsa_system_sgpr_workgroup_id_z 0
		.amdhsa_system_sgpr_workgroup_info 0
		.amdhsa_system_vgpr_workitem_id 0
		.amdhsa_next_free_vgpr 8
		.amdhsa_next_free_sgpr 16
		.amdhsa_reserve_vcc 1
		.amdhsa_float_round_mode_32 0
		.amdhsa_float_round_mode_16_64 0
		.amdhsa_float_denorm_mode_32 3
		.amdhsa_float_denorm_mode_16_64 3
		.amdhsa_dx10_clamp 1
		.amdhsa_ieee_mode 1
		.amdhsa_fp16_overflow 0
		.amdhsa_workgroup_processor_mode 1
		.amdhsa_memory_ordered 1
		.amdhsa_forward_progress 0
		.amdhsa_shared_vgpr_count 0
		.amdhsa_exception_fp_ieee_invalid_op 0
		.amdhsa_exception_fp_denorm_src 0
		.amdhsa_exception_fp_ieee_div_zero 0
		.amdhsa_exception_fp_ieee_overflow 0
		.amdhsa_exception_fp_ieee_underflow 0
		.amdhsa_exception_fp_ieee_inexact 0
		.amdhsa_exception_int_div_zero 0
	.end_amdhsa_kernel
	.section	.text._ZL16dequantize_blockILi32ELi2EXadL_ZL15dequantize_q5_1PKviiR7__half2EEN3c104HalfEEvS1_PT2_l,"axG",@progbits,_ZL16dequantize_blockILi32ELi2EXadL_ZL15dequantize_q5_1PKviiR7__half2EEN3c104HalfEEvS1_PT2_l,comdat
.Lfunc_end22:
	.size	_ZL16dequantize_blockILi32ELi2EXadL_ZL15dequantize_q5_1PKviiR7__half2EEN3c104HalfEEvS1_PT2_l, .Lfunc_end22-_ZL16dequantize_blockILi32ELi2EXadL_ZL15dequantize_q5_1PKviiR7__half2EEN3c104HalfEEvS1_PT2_l
                                        ; -- End function
	.section	.AMDGPU.csdata,"",@progbits
; Kernel info:
; codeLenInByte = 384
; NumSgprs: 18
; NumVgprs: 8
; ScratchSize: 0
; MemoryBound: 0
; FloatMode: 240
; IeeeMode: 1
; LDSByteSize: 0 bytes/workgroup (compile time only)
; SGPRBlocks: 2
; VGPRBlocks: 0
; NumSGPRsForWavesPerEU: 18
; NumVGPRsForWavesPerEU: 8
; Occupancy: 16
; WaveLimiterHint : 0
; COMPUTE_PGM_RSRC2:SCRATCH_EN: 0
; COMPUTE_PGM_RSRC2:USER_SGPR: 15
; COMPUTE_PGM_RSRC2:TRAP_HANDLER: 0
; COMPUTE_PGM_RSRC2:TGID_X_EN: 1
; COMPUTE_PGM_RSRC2:TGID_Y_EN: 0
; COMPUTE_PGM_RSRC2:TGID_Z_EN: 0
; COMPUTE_PGM_RSRC2:TIDIG_COMP_CNT: 0
	.section	.text._ZL16dequantize_blockILi32ELi1EXadL_ZL15dequantize_q8_0PKviiR7__half2EEN3c104HalfEEvS1_PT2_l,"axG",@progbits,_ZL16dequantize_blockILi32ELi1EXadL_ZL15dequantize_q8_0PKviiR7__half2EEN3c104HalfEEvS1_PT2_l,comdat
	.globl	_ZL16dequantize_blockILi32ELi1EXadL_ZL15dequantize_q8_0PKviiR7__half2EEN3c104HalfEEvS1_PT2_l ; -- Begin function _ZL16dequantize_blockILi32ELi1EXadL_ZL15dequantize_q8_0PKviiR7__half2EEN3c104HalfEEvS1_PT2_l
	.p2align	8
	.type	_ZL16dequantize_blockILi32ELi1EXadL_ZL15dequantize_q8_0PKviiR7__half2EEN3c104HalfEEvS1_PT2_l,@function
_ZL16dequantize_blockILi32ELi1EXadL_ZL15dequantize_q8_0PKviiR7__half2EEN3c104HalfEEvS1_PT2_l: ; @_ZL16dequantize_blockILi32ELi1EXadL_ZL15dequantize_q8_0PKviiR7__half2EEN3c104HalfEEvS1_PT2_l
; %bb.0:
	s_clause 0x1
	s_load_b32 s4, s[0:1], 0x24
	s_load_b64 s[2:3], s[0:1], 0x10
	v_mov_b32_e32 v1, 0
	s_waitcnt lgkmcnt(0)
	s_and_b32 s4, s4, 0xffff
	s_delay_alu instid0(VALU_DEP_1) | instid1(SALU_CYCLE_1)
	v_mad_u64_u32 v[2:3], null, s4, s15, v[0:1]
	s_delay_alu instid0(VALU_DEP_1) | instskip(NEXT) | instid1(VALU_DEP_1)
	v_lshlrev_b64 v[4:5], 1, v[2:3]
	v_cmp_gt_i64_e32 vcc_lo, s[2:3], v[4:5]
	s_and_saveexec_b32 s2, vcc_lo
	s_cbranch_execz .LBB23_2
; %bb.1:
	s_load_b128 s[0:3], s[0:1], 0x0
	v_alignbit_b32 v0, v3, v2, 4
	v_lshlrev_b32_e32 v2, 1, v2
	s_waitcnt lgkmcnt(0)
	s_delay_alu instid0(VALU_DEP_2) | instskip(SKIP_1) | instid1(VALU_DEP_1)
	v_mad_i64_i32 v[5:6], null, v0, 34, s[0:1]
	v_and_b32_e32 v0, 30, v4
	v_add_co_u32 v3, vcc_lo, v5, v0
	s_delay_alu instid0(VALU_DEP_3)
	v_add_co_ci_u32_e32 v4, vcc_lo, 0, v6, vcc_lo
	s_clause 0x1
	global_load_u16 v0, v[3:4], off offset:2
	global_load_u16 v3, v[5:6], off
	s_waitcnt vmcnt(1)
	v_bfe_i32 v4, v0, 0, 8
	v_ashrrev_i16 v0, 8, v0
	s_delay_alu instid0(VALU_DEP_2) | instskip(NEXT) | instid1(VALU_DEP_2)
	v_cvt_f16_i16_e32 v4, v4
	v_cvt_f16_i16_e32 v5, v0
	v_ashrrev_i64 v[0:1], 31, v[1:2]
	s_delay_alu instid0(VALU_DEP_2) | instskip(NEXT) | instid1(VALU_DEP_2)
	v_pack_b32_f16 v2, v4, v5
	v_add_co_u32 v0, vcc_lo, s2, v0
	s_delay_alu instid0(VALU_DEP_3) | instskip(SKIP_1) | instid1(VALU_DEP_3)
	v_add_co_ci_u32_e32 v1, vcc_lo, s3, v1, vcc_lo
	s_waitcnt vmcnt(0)
	v_pk_mul_f16 v2, v3, v2 op_sel_hi:[0,1]
	s_clause 0x1
	global_store_b16 v[0:1], v2, off
	global_store_d16_hi_b16 v[0:1], v2, off offset:2
.LBB23_2:
	s_nop 0
	s_sendmsg sendmsg(MSG_DEALLOC_VGPRS)
	s_endpgm
	.section	.rodata,"a",@progbits
	.p2align	6, 0x0
	.amdhsa_kernel _ZL16dequantize_blockILi32ELi1EXadL_ZL15dequantize_q8_0PKviiR7__half2EEN3c104HalfEEvS1_PT2_l
		.amdhsa_group_segment_fixed_size 0
		.amdhsa_private_segment_fixed_size 0
		.amdhsa_kernarg_size 280
		.amdhsa_user_sgpr_count 15
		.amdhsa_user_sgpr_dispatch_ptr 0
		.amdhsa_user_sgpr_queue_ptr 0
		.amdhsa_user_sgpr_kernarg_segment_ptr 1
		.amdhsa_user_sgpr_dispatch_id 0
		.amdhsa_user_sgpr_private_segment_size 0
		.amdhsa_wavefront_size32 1
		.amdhsa_uses_dynamic_stack 0
		.amdhsa_enable_private_segment 0
		.amdhsa_system_sgpr_workgroup_id_x 1
		.amdhsa_system_sgpr_workgroup_id_y 0
		.amdhsa_system_sgpr_workgroup_id_z 0
		.amdhsa_system_sgpr_workgroup_info 0
		.amdhsa_system_vgpr_workitem_id 0
		.amdhsa_next_free_vgpr 7
		.amdhsa_next_free_sgpr 16
		.amdhsa_reserve_vcc 1
		.amdhsa_float_round_mode_32 0
		.amdhsa_float_round_mode_16_64 0
		.amdhsa_float_denorm_mode_32 3
		.amdhsa_float_denorm_mode_16_64 3
		.amdhsa_dx10_clamp 1
		.amdhsa_ieee_mode 1
		.amdhsa_fp16_overflow 0
		.amdhsa_workgroup_processor_mode 1
		.amdhsa_memory_ordered 1
		.amdhsa_forward_progress 0
		.amdhsa_shared_vgpr_count 0
		.amdhsa_exception_fp_ieee_invalid_op 0
		.amdhsa_exception_fp_denorm_src 0
		.amdhsa_exception_fp_ieee_div_zero 0
		.amdhsa_exception_fp_ieee_overflow 0
		.amdhsa_exception_fp_ieee_underflow 0
		.amdhsa_exception_fp_ieee_inexact 0
		.amdhsa_exception_int_div_zero 0
	.end_amdhsa_kernel
	.section	.text._ZL16dequantize_blockILi32ELi1EXadL_ZL15dequantize_q8_0PKviiR7__half2EEN3c104HalfEEvS1_PT2_l,"axG",@progbits,_ZL16dequantize_blockILi32ELi1EXadL_ZL15dequantize_q8_0PKviiR7__half2EEN3c104HalfEEvS1_PT2_l,comdat
.Lfunc_end23:
	.size	_ZL16dequantize_blockILi32ELi1EXadL_ZL15dequantize_q8_0PKviiR7__half2EEN3c104HalfEEvS1_PT2_l, .Lfunc_end23-_ZL16dequantize_blockILi32ELi1EXadL_ZL15dequantize_q8_0PKviiR7__half2EEN3c104HalfEEvS1_PT2_l
                                        ; -- End function
	.section	.AMDGPU.csdata,"",@progbits
; Kernel info:
; codeLenInByte = 260
; NumSgprs: 18
; NumVgprs: 7
; ScratchSize: 0
; MemoryBound: 0
; FloatMode: 240
; IeeeMode: 1
; LDSByteSize: 0 bytes/workgroup (compile time only)
; SGPRBlocks: 2
; VGPRBlocks: 0
; NumSGPRsForWavesPerEU: 18
; NumVGPRsForWavesPerEU: 7
; Occupancy: 16
; WaveLimiterHint : 0
; COMPUTE_PGM_RSRC2:SCRATCH_EN: 0
; COMPUTE_PGM_RSRC2:USER_SGPR: 15
; COMPUTE_PGM_RSRC2:TRAP_HANDLER: 0
; COMPUTE_PGM_RSRC2:TGID_X_EN: 1
; COMPUTE_PGM_RSRC2:TGID_Y_EN: 0
; COMPUTE_PGM_RSRC2:TGID_Z_EN: 0
; COMPUTE_PGM_RSRC2:TIDIG_COMP_CNT: 0
	.section	.text._ZL21dequantize_block_q2_KIN3c104HalfEEvPKvPT_,"axG",@progbits,_ZL21dequantize_block_q2_KIN3c104HalfEEvPKvPT_,comdat
	.globl	_ZL21dequantize_block_q2_KIN3c104HalfEEvPKvPT_ ; -- Begin function _ZL21dequantize_block_q2_KIN3c104HalfEEvPKvPT_
	.p2align	8
	.type	_ZL21dequantize_block_q2_KIN3c104HalfEEvPKvPT_,@function
_ZL21dequantize_block_q2_KIN3c104HalfEEvPKvPT_: ; @_ZL21dequantize_block_q2_KIN3c104HalfEEvPKvPT_
; %bb.0:
	s_load_b128 s[0:3], s[0:1], 0x0
	v_lshrrev_b32_e32 v1, 5, v0
	v_bfe_u32 v2, v0, 4, 1
	s_mul_i32 s4, s15, 0x54
	s_mul_hi_u32 s5, s15, 0x54
	s_delay_alu instid0(VALU_DEP_1)
	v_lshl_or_b32 v2, v1, 3, v2
	v_lshlrev_b32_e32 v1, 8, v1
	s_waitcnt lgkmcnt(0)
	s_add_u32 s0, s0, s4
	s_addc_u32 s1, s1, s5
	s_clause 0x4
	global_load_u8 v3, v2, s[0:1]
	global_load_u8 v4, v0, s[0:1] offset:16
	global_load_u8 v5, v2, s[0:1] offset:2
	;; [unrolled: 1-line block ×4, first 2 shown]
	s_load_b32 s4, s[0:1], 0x50
	s_mov_b32 s1, 0
	s_lshl_b32 s0, s15, 8
	v_and_b32_e32 v0, 31, v0
	s_lshl_b64 s[0:1], s[0:1], 1
	s_delay_alu instid0(SALU_CYCLE_1) | instskip(SKIP_4) | instid1(VALU_DEP_2)
	s_add_u32 s0, s2, s0
	s_addc_u32 s1, s3, s1
	v_add_co_u32 v1, s0, s0, v1
	v_lshlrev_b32_e32 v0, 1, v0
	v_add_co_ci_u32_e64 v7, null, s1, 0, s0
	v_add_co_u32 v0, vcc_lo, v1, v0
	s_delay_alu instid0(VALU_DEP_2)
	v_add_co_ci_u32_e32 v1, vcc_lo, 0, v7, vcc_lo
	s_waitcnt lgkmcnt(0)
	s_lshr_b32 s0, s4, 16
	s_waitcnt vmcnt(4)
	v_and_b32_e32 v8, 15, v3
	s_waitcnt vmcnt(3)
	v_and_b32_e32 v9, 3, v4
	;; [unrolled: 2-line block ×5, first 2 shown]
	v_and_b32_e32 v8, 0xffff, v8
	v_bfe_u32 v11, v4, 2, 2
	v_and_b32_e32 v10, 0xffff, v10
	v_bfe_u32 v13, v4, 4, 2
	v_and_b32_e32 v12, 0xffff, v12
	v_lshrrev_b32_e32 v4, 6, v4
	v_and_b32_e32 v14, 0xffff, v14
	v_lshrrev_b16 v3, 4, v3
	v_mul_u32_u24_e32 v8, v9, v8
	v_lshrrev_b16 v5, 4, v5
	v_mul_u32_u24_e32 v9, v11, v10
	;; [unrolled: 2-line block ×4, first 2 shown]
	v_cvt_f16_u16_e32 v3, v3
	v_cvt_f32_ubyte0_e32 v8, v8
	v_cvt_f16_u16_e32 v5, v5
	v_cvt_f32_ubyte0_e32 v9, v9
	v_cvt_f16_u16_e32 v6, v6
	v_cvt_f32_ubyte0_e32 v10, v10
	v_cvt_f16_u16_e32 v2, v2
	v_cvt_f32_ubyte0_e32 v4, v4
	v_mul_f16_e32 v3, s0, v3
	v_cvt_f16_f32_e32 v8, v8
	v_mul_f16_e32 v5, s0, v5
	v_cvt_f16_f32_e32 v9, v9
	;; [unrolled: 2-line block ×4, first 2 shown]
	v_fma_f16 v3, s4, v8, -v3
	v_fma_f16 v5, s4, v9, -v5
	;; [unrolled: 1-line block ×3, first 2 shown]
	s_delay_alu instid0(VALU_DEP_4)
	v_fma_f16 v2, s4, v4, -v2
	s_clause 0x3
	global_store_b16 v[0:1], v3, off
	global_store_b16 v[0:1], v5, off offset:64
	global_store_b16 v[0:1], v6, off offset:128
	;; [unrolled: 1-line block ×3, first 2 shown]
	s_nop 0
	s_sendmsg sendmsg(MSG_DEALLOC_VGPRS)
	s_endpgm
	.section	.rodata,"a",@progbits
	.p2align	6, 0x0
	.amdhsa_kernel _ZL21dequantize_block_q2_KIN3c104HalfEEvPKvPT_
		.amdhsa_group_segment_fixed_size 0
		.amdhsa_private_segment_fixed_size 0
		.amdhsa_kernarg_size 16
		.amdhsa_user_sgpr_count 15
		.amdhsa_user_sgpr_dispatch_ptr 0
		.amdhsa_user_sgpr_queue_ptr 0
		.amdhsa_user_sgpr_kernarg_segment_ptr 1
		.amdhsa_user_sgpr_dispatch_id 0
		.amdhsa_user_sgpr_private_segment_size 0
		.amdhsa_wavefront_size32 1
		.amdhsa_uses_dynamic_stack 0
		.amdhsa_enable_private_segment 0
		.amdhsa_system_sgpr_workgroup_id_x 1
		.amdhsa_system_sgpr_workgroup_id_y 0
		.amdhsa_system_sgpr_workgroup_id_z 0
		.amdhsa_system_sgpr_workgroup_info 0
		.amdhsa_system_vgpr_workitem_id 0
		.amdhsa_next_free_vgpr 15
		.amdhsa_next_free_sgpr 16
		.amdhsa_reserve_vcc 1
		.amdhsa_float_round_mode_32 0
		.amdhsa_float_round_mode_16_64 0
		.amdhsa_float_denorm_mode_32 3
		.amdhsa_float_denorm_mode_16_64 3
		.amdhsa_dx10_clamp 1
		.amdhsa_ieee_mode 1
		.amdhsa_fp16_overflow 0
		.amdhsa_workgroup_processor_mode 1
		.amdhsa_memory_ordered 1
		.amdhsa_forward_progress 0
		.amdhsa_shared_vgpr_count 0
		.amdhsa_exception_fp_ieee_invalid_op 0
		.amdhsa_exception_fp_denorm_src 0
		.amdhsa_exception_fp_ieee_div_zero 0
		.amdhsa_exception_fp_ieee_overflow 0
		.amdhsa_exception_fp_ieee_underflow 0
		.amdhsa_exception_fp_ieee_inexact 0
		.amdhsa_exception_int_div_zero 0
	.end_amdhsa_kernel
	.section	.text._ZL21dequantize_block_q2_KIN3c104HalfEEvPKvPT_,"axG",@progbits,_ZL21dequantize_block_q2_KIN3c104HalfEEvPKvPT_,comdat
.Lfunc_end24:
	.size	_ZL21dequantize_block_q2_KIN3c104HalfEEvPKvPT_, .Lfunc_end24-_ZL21dequantize_block_q2_KIN3c104HalfEEvPKvPT_
                                        ; -- End function
	.section	.AMDGPU.csdata,"",@progbits
; Kernel info:
; codeLenInByte = 476
; NumSgprs: 18
; NumVgprs: 15
; ScratchSize: 0
; MemoryBound: 0
; FloatMode: 240
; IeeeMode: 1
; LDSByteSize: 0 bytes/workgroup (compile time only)
; SGPRBlocks: 2
; VGPRBlocks: 1
; NumSGPRsForWavesPerEU: 18
; NumVGPRsForWavesPerEU: 15
; Occupancy: 16
; WaveLimiterHint : 0
; COMPUTE_PGM_RSRC2:SCRATCH_EN: 0
; COMPUTE_PGM_RSRC2:USER_SGPR: 15
; COMPUTE_PGM_RSRC2:TRAP_HANDLER: 0
; COMPUTE_PGM_RSRC2:TGID_X_EN: 1
; COMPUTE_PGM_RSRC2:TGID_Y_EN: 0
; COMPUTE_PGM_RSRC2:TGID_Z_EN: 0
; COMPUTE_PGM_RSRC2:TIDIG_COMP_CNT: 0
	.section	.text._ZL21dequantize_block_q3_KIN3c104HalfEEvPKvPT_,"axG",@progbits,_ZL21dequantize_block_q3_KIN3c104HalfEEvPKvPT_,comdat
	.globl	_ZL21dequantize_block_q3_KIN3c104HalfEEvPKvPT_ ; -- Begin function _ZL21dequantize_block_q3_KIN3c104HalfEEvPKvPT_
	.p2align	8
	.type	_ZL21dequantize_block_q3_KIN3c104HalfEEvPKvPT_,@function
_ZL21dequantize_block_q3_KIN3c104HalfEEvPKvPT_: ; @_ZL21dequantize_block_q3_KIN3c104HalfEEvPKvPT_
; %bb.0:
	v_lshrrev_b32_e32 v4, 5, v0
	v_lshrrev_b32_e32 v6, 3, v0
	s_load_b128 s[0:3], s[0:1], 0x0
	v_bfe_u32 v7, v0, 2, 1
	s_mov_b32 s4, s15
	v_lshlrev_b32_e32 v1, 2, v4
                                        ; implicit-def: $vgpr8
                                        ; implicit-def: $vgpr9
	s_mov_b32 s5, exec_lo
	s_delay_alu instid0(VALU_DEP_1) | instskip(NEXT) | instid1(VALU_DEP_1)
	v_sub_nc_u32_e32 v5, v6, v1
                                        ; implicit-def: $vgpr1_vgpr2
	v_lshlrev_b32_e32 v3, 1, v5
	s_delay_alu instid0(VALU_DEP_1) | instskip(NEXT) | instid1(VALU_DEP_1)
	v_lshl_add_u32 v11, v4, 3, v3
	v_or_b32_e32 v10, v11, v7
	s_delay_alu instid0(VALU_DEP_1)
	v_cmpx_lt_i32_e32 3, v10
	s_xor_b32 s6, exec_lo, s5
	s_cbranch_execz .LBB25_10
; %bb.1:
                                        ; implicit-def: $vgpr1_vgpr2
                                        ; implicit-def: $vgpr8
                                        ; implicit-def: $vgpr9
	s_mov_b32 s5, exec_lo
	v_cmpx_lt_u32_e32 7, v11
	s_xor_b32 s7, exec_lo, s5
	s_cbranch_execz .LBB25_7
; %bb.2:
	v_add_nc_u32_e32 v1, -8, v10
	s_mul_i32 s9, s4, 0x6e
	s_mul_hi_u32 s8, s4, 0x6e
	s_waitcnt lgkmcnt(0)
	s_add_u32 s10, s0, s9
	s_addc_u32 s11, s1, s8
	s_mov_b32 s5, 0
	global_load_u8 v1, v1, s[10:11] offset:96
	s_mov_b32 s10, exec_lo
                                        ; implicit-def: $vgpr9
	s_waitcnt vmcnt(0)
	v_lshrrev_b16 v8, 4, v1
	v_cmpx_lt_u32_e32 11, v11
	s_xor_b32 s10, exec_lo, s10
	s_cbranch_execz .LBB25_4
; %bb.3:
	v_add_nc_u32_e32 v1, -4, v10
	s_add_u32 s12, s0, s9
	s_addc_u32 s13, s1, s8
                                        ; implicit-def: $vgpr10
	global_load_u8 v1, v1, s[12:13] offset:96
	s_waitcnt vmcnt(0)
	v_lshrrev_b16 v9, 2, v1
.LBB25_4:
	s_or_saveexec_b32 s10, s10
	v_dual_mov_b32 v1, s4 :: v_dual_mov_b32 v2, s5
	s_xor_b32 exec_lo, exec_lo, s10
	s_cbranch_execz .LBB25_6
; %bb.5:
	s_add_u32 s12, s0, s9
	s_addc_u32 s13, s1, s8
	v_dual_mov_b32 v1, s4 :: v_dual_mov_b32 v2, s5
	global_load_u8 v9, v10, s[12:13] offset:96
.LBB25_6:
	s_or_b32 exec_lo, exec_lo, s10
                                        ; implicit-def: $vgpr10
.LBB25_7:
	s_and_not1_saveexec_b32 s7, s7
	s_cbranch_execz .LBB25_9
; %bb.8:
	s_mul_i32 s5, s4, 0x6e
	s_mul_hi_u32 s9, s4, 0x6e
	s_waitcnt lgkmcnt(0)
	s_add_u32 s8, s0, s5
	s_addc_u32 s9, s1, s9
	s_mov_b32 s5, 0
	s_clause 0x1
	global_load_u8 v1, v10, s[8:9] offset:96
	global_load_u8 v2, v10, s[8:9] offset:100
	s_waitcnt vmcnt(1)
	v_and_b32_e32 v8, 15, v1
	s_waitcnt vmcnt(0)
	v_lshlrev_b16 v9, 2, v2
	v_dual_mov_b32 v1, s4 :: v_dual_mov_b32 v2, s5
.LBB25_9:
	s_or_b32 exec_lo, exec_lo, s7
                                        ; implicit-def: $vgpr10
.LBB25_10:
	s_and_not1_saveexec_b32 s6, s6
	s_cbranch_execz .LBB25_12
; %bb.11:
	s_mul_i32 s5, s4, 0x6e
	v_ashrrev_i32_e32 v2, 31, v10
	s_mul_hi_u32 s7, s4, 0x6e
	s_waitcnt lgkmcnt(0)
	s_add_u32 s5, s0, s5
	s_addc_u32 s7, s1, s7
	v_add_co_u32 v1, vcc_lo, s5, v10
	v_add_co_ci_u32_e32 v2, vcc_lo, s7, v2, vcc_lo
	s_mov_b32 s5, 0
	s_clause 0x1
	global_load_u8 v8, v[1:2], off offset:96
	global_load_u8 v1, v[1:2], off offset:104
	s_waitcnt vmcnt(1)
	v_and_b32_e32 v8, 15, v8
	s_waitcnt vmcnt(0)
	v_lshlrev_b16 v9, 4, v1
	v_dual_mov_b32 v1, s4 :: v_dual_mov_b32 v2, s5
.LBB25_12:
	s_or_b32 exec_lo, exec_lo, s6
	s_waitcnt lgkmcnt(0)
	s_delay_alu instid0(VALU_DEP_1)
	v_mad_u64_u32 v[10:11], null, 0x6e, v1, s[0:1]
	v_lshlrev_b32_e32 v13, 2, v0
	v_lshlrev_b32_e64 v6, v6, 1
	s_lshl_b32 s0, s4, 8
	s_mov_b32 s1, 0
	v_lshlrev_b32_e32 v4, 8, v4
	s_lshl_b64 s[0:1], s[0:1], 1
	s_delay_alu instid0(VALU_DEP_4) | instskip(SKIP_3) | instid1(VALU_DEP_2)
	v_mov_b32_e32 v1, v11
	s_add_u32 s0, s2, s0
	s_addc_u32 s1, s3, s1
	v_add_co_u32 v4, s0, s0, v4
	v_mad_u64_u32 v[11:12], null, 0x6e, v2, v[1:2]
	v_and_b32_e32 v1, 12, v13
	s_delay_alu instid0(VALU_DEP_1) | instskip(SKIP_1) | instid1(VALU_DEP_2)
	v_lshl_or_b32 v2, v7, 4, v1
	v_and_b32_e32 v7, 0x3e0, v0
	v_add_co_u32 v0, vcc_lo, v10, v2
	v_add_co_ci_u32_e32 v1, vcc_lo, 0, v11, vcc_lo
	v_lshlrev_b32_e32 v2, 1, v2
	s_delay_alu instid0(VALU_DEP_3) | instskip(NEXT) | instid1(VALU_DEP_3)
	v_add_co_u32 v12, vcc_lo, v0, v7
	v_add_co_ci_u32_e32 v13, vcc_lo, 0, v1, vcc_lo
	s_clause 0x2
	global_load_b32 v7, v[12:13], off offset:32
	global_load_b32 v12, v[0:1], off
	global_load_u16 v10, v[10:11], off offset:108
	v_lshlrev_b32_e32 v0, 5, v5
	s_waitcnt vmcnt(3)
	v_and_b32_e32 v1, 48, v9
	s_delay_alu instid0(VALU_DEP_1) | instskip(NEXT) | instid1(VALU_DEP_3)
	v_or_b32_e32 v5, v1, v8
	v_ashrrev_i32_e32 v1, 31, v0
	v_add_co_ci_u32_e64 v8, null, s1, 0, s0
	s_delay_alu instid0(VALU_DEP_3) | instskip(NEXT) | instid1(VALU_DEP_3)
	v_and_b32_e32 v5, 0xff, v5
	v_lshlrev_b64 v[0:1], 1, v[0:1]
	s_delay_alu instid0(VALU_DEP_2) | instskip(NEXT) | instid1(VALU_DEP_1)
	v_subrev_nc_u32_e32 v5, 32, v5
	v_cvt_f32_i32_e32 v5, v5
	s_delay_alu instid0(VALU_DEP_1)
	v_cvt_f16_f32_e32 v5, v5
	s_waitcnt vmcnt(2)
	v_lshrrev_b32_e32 v9, 24, v7
	s_waitcnt vmcnt(1)
	v_lshrrev_b32_e32 v14, 16, v12
	v_lshrrev_b32_e32 v15, 8, v12
	;; [unrolled: 1-line block ×3, first 2 shown]
	v_and_b32_e32 v12, v12, v6
	v_bfe_u32 v11, v7, 8, 8
	v_and_b32_e32 v13, 0xff, v7
	v_bfe_u32 v7, v7, 16, 8
	v_and_b32_e32 v15, v15, v6
	v_and_b32_e32 v12, 0xff, v12
	v_lshrrev_b32_e32 v11, v3, v11
	v_lshrrev_b32_e32 v13, v3, v13
	;; [unrolled: 1-line block ×4, first 2 shown]
	v_and_b32_e32 v7, v14, v6
	v_and_b32_e32 v6, v6, v16
	v_cmp_eq_u32_e32 vcc_lo, 0, v12
	v_and_b32_e32 v14, 0xff, v15
	s_delay_alu instid0(VALU_DEP_4) | instskip(SKIP_2) | instid1(VALU_DEP_2)
	v_and_b32_e32 v7, 0xff, v7
	v_cndmask_b32_e64 v12, 0, -4, vcc_lo
	v_cmp_eq_u32_e32 vcc_lo, 0, v6
	v_and_or_b32 v12, v13, 3, v12
	v_cndmask_b32_e64 v6, 0, -4, vcc_lo
	v_cmp_eq_u32_e32 vcc_lo, 0, v14
	s_delay_alu instid0(VALU_DEP_2) | instskip(SKIP_2) | instid1(VALU_DEP_3)
	v_and_or_b32 v6, v9, 3, v6
	v_cndmask_b32_e64 v14, 0, -4, vcc_lo
	v_cmp_eq_u32_e32 vcc_lo, 0, v7
	v_cvt_f32_i32_e32 v6, v6
	s_delay_alu instid0(VALU_DEP_3) | instskip(SKIP_2) | instid1(VALU_DEP_4)
	v_and_or_b32 v9, v11, 3, v14
	v_cndmask_b32_e64 v7, 0, -4, vcc_lo
	v_add_co_u32 v0, vcc_lo, v4, v0
	v_cvt_f16_f32_e32 v6, v6
	s_delay_alu instid0(VALU_DEP_4) | instskip(NEXT) | instid1(VALU_DEP_4)
	v_cvt_f32_i32_e32 v9, v9
	v_and_or_b32 v3, v3, 3, v7
	v_cvt_f32_i32_e32 v7, v12
	v_add_co_ci_u32_e32 v1, vcc_lo, v8, v1, vcc_lo
	s_delay_alu instid0(VALU_DEP_4) | instskip(NEXT) | instid1(VALU_DEP_4)
	v_cvt_f16_f32_e32 v9, v9
	v_cvt_f32_i32_e32 v3, v3
	s_delay_alu instid0(VALU_DEP_4)
	v_cvt_f16_f32_e32 v7, v7
	s_waitcnt vmcnt(0)
	v_mul_f16_e32 v4, v10, v5
	v_add_co_u32 v0, vcc_lo, v0, v2
	v_cvt_f16_f32_e32 v3, v3
	v_pack_b32_f16 v5, v7, v9
	v_add_co_ci_u32_e32 v1, vcc_lo, 0, v1, vcc_lo
	s_delay_alu instid0(VALU_DEP_3) | instskip(NEXT) | instid1(VALU_DEP_3)
	v_pack_b32_f16 v3, v3, v6
	v_pk_mul_f16 v2, v4, v5 op_sel_hi:[0,1]
	s_delay_alu instid0(VALU_DEP_2)
	v_pk_mul_f16 v3, v4, v3 op_sel_hi:[0,1]
	global_store_b64 v[0:1], v[2:3], off
	s_nop 0
	s_sendmsg sendmsg(MSG_DEALLOC_VGPRS)
	s_endpgm
	.section	.rodata,"a",@progbits
	.p2align	6, 0x0
	.amdhsa_kernel _ZL21dequantize_block_q3_KIN3c104HalfEEvPKvPT_
		.amdhsa_group_segment_fixed_size 0
		.amdhsa_private_segment_fixed_size 0
		.amdhsa_kernarg_size 16
		.amdhsa_user_sgpr_count 15
		.amdhsa_user_sgpr_dispatch_ptr 0
		.amdhsa_user_sgpr_queue_ptr 0
		.amdhsa_user_sgpr_kernarg_segment_ptr 1
		.amdhsa_user_sgpr_dispatch_id 0
		.amdhsa_user_sgpr_private_segment_size 0
		.amdhsa_wavefront_size32 1
		.amdhsa_uses_dynamic_stack 0
		.amdhsa_enable_private_segment 0
		.amdhsa_system_sgpr_workgroup_id_x 1
		.amdhsa_system_sgpr_workgroup_id_y 0
		.amdhsa_system_sgpr_workgroup_id_z 0
		.amdhsa_system_sgpr_workgroup_info 0
		.amdhsa_system_vgpr_workitem_id 0
		.amdhsa_next_free_vgpr 17
		.amdhsa_next_free_sgpr 16
		.amdhsa_reserve_vcc 1
		.amdhsa_float_round_mode_32 0
		.amdhsa_float_round_mode_16_64 0
		.amdhsa_float_denorm_mode_32 3
		.amdhsa_float_denorm_mode_16_64 3
		.amdhsa_dx10_clamp 1
		.amdhsa_ieee_mode 1
		.amdhsa_fp16_overflow 0
		.amdhsa_workgroup_processor_mode 1
		.amdhsa_memory_ordered 1
		.amdhsa_forward_progress 0
		.amdhsa_shared_vgpr_count 0
		.amdhsa_exception_fp_ieee_invalid_op 0
		.amdhsa_exception_fp_denorm_src 0
		.amdhsa_exception_fp_ieee_div_zero 0
		.amdhsa_exception_fp_ieee_overflow 0
		.amdhsa_exception_fp_ieee_underflow 0
		.amdhsa_exception_fp_ieee_inexact 0
		.amdhsa_exception_int_div_zero 0
	.end_amdhsa_kernel
	.section	.text._ZL21dequantize_block_q3_KIN3c104HalfEEvPKvPT_,"axG",@progbits,_ZL21dequantize_block_q3_KIN3c104HalfEEvPKvPT_,comdat
.Lfunc_end25:
	.size	_ZL21dequantize_block_q3_KIN3c104HalfEEvPKvPT_, .Lfunc_end25-_ZL21dequantize_block_q3_KIN3c104HalfEEvPKvPT_
                                        ; -- End function
	.section	.AMDGPU.csdata,"",@progbits
; Kernel info:
; codeLenInByte = 1020
; NumSgprs: 18
; NumVgprs: 17
; ScratchSize: 0
; MemoryBound: 0
; FloatMode: 240
; IeeeMode: 1
; LDSByteSize: 0 bytes/workgroup (compile time only)
; SGPRBlocks: 2
; VGPRBlocks: 2
; NumSGPRsForWavesPerEU: 18
; NumVGPRsForWavesPerEU: 17
; Occupancy: 16
; WaveLimiterHint : 0
; COMPUTE_PGM_RSRC2:SCRATCH_EN: 0
; COMPUTE_PGM_RSRC2:USER_SGPR: 15
; COMPUTE_PGM_RSRC2:TRAP_HANDLER: 0
; COMPUTE_PGM_RSRC2:TGID_X_EN: 1
; COMPUTE_PGM_RSRC2:TGID_Y_EN: 0
; COMPUTE_PGM_RSRC2:TGID_Z_EN: 0
; COMPUTE_PGM_RSRC2:TIDIG_COMP_CNT: 0
	.section	.text._ZL21dequantize_block_q4_KIN3c104HalfEEvPKvPT_,"axG",@progbits,_ZL21dequantize_block_q4_KIN3c104HalfEEvPKvPT_,comdat
	.globl	_ZL21dequantize_block_q4_KIN3c104HalfEEvPKvPT_ ; -- Begin function _ZL21dequantize_block_q4_KIN3c104HalfEEvPKvPT_
	.p2align	8
	.type	_ZL21dequantize_block_q4_KIN3c104HalfEEvPKvPT_,@function
_ZL21dequantize_block_q4_KIN3c104HalfEEvPKvPT_: ; @_ZL21dequantize_block_q4_KIN3c104HalfEEvPKvPT_
; %bb.0:
	s_load_b64 s[2:3], s[0:1], 0x0
	v_lshrrev_b32_e32 v3, 3, v0
	s_mul_i32 s5, s15, 0x90
	s_mul_hi_u32 s4, s15, 0x90
	v_cmp_lt_u32_e32 vcc_lo, 15, v0
                                        ; implicit-def: $vgpr5
                                        ; implicit-def: $vgpr4
	s_delay_alu instid0(VALU_DEP_2) | instskip(SKIP_3) | instid1(VALU_DEP_1)
	v_lshlrev_b32_e32 v6, 1, v3
	s_waitcnt lgkmcnt(0)
	s_add_u32 s2, s2, s5
	s_addc_u32 s3, s3, s4
	v_add_co_u32 v1, s4, s2, v6
	s_delay_alu instid0(VALU_DEP_1) | instskip(SKIP_1) | instid1(SALU_CYCLE_1)
	v_add_co_ci_u32_e64 v2, null, s3, 0, s4
	s_and_saveexec_b32 s4, vcc_lo
	s_xor_b32 s4, exec_lo, s4
	s_cbranch_execz .LBB26_2
; %bb.1:
	s_clause 0x2
	global_load_u8 v4, v[1:2], off
	global_load_u8 v5, v[1:2], off offset:4
	global_load_u8 v1, v[1:2], off offset:8
	s_waitcnt vmcnt(2)
	v_lshrrev_b16 v2, 2, v4
	s_waitcnt vmcnt(1)
	v_lshrrev_b16 v4, 2, v5
	s_waitcnt vmcnt(0)
	v_and_b32_e32 v5, 15, v1
	v_lshrrev_b16 v1, 4, v1
	v_and_b32_e32 v2, 48, v2
	v_and_b32_e32 v7, 48, v4
	s_delay_alu instid0(VALU_DEP_2) | instskip(NEXT) | instid1(VALU_DEP_2)
	v_or_b32_e32 v4, v2, v5
	v_or_b32_e32 v5, v7, v1
                                        ; implicit-def: $vgpr1_vgpr2
.LBB26_2:
	s_and_not1_saveexec_b32 s4, s4
	s_cbranch_execz .LBB26_4
; %bb.3:
	s_clause 0x1
	global_load_u8 v4, v[1:2], off offset:4
	global_load_u8 v1, v[1:2], off offset:8
	s_waitcnt vmcnt(1)
	v_and_b32_e32 v4, 63, v4
	s_waitcnt vmcnt(0)
	v_and_b32_e32 v5, 63, v1
.LBB26_4:
	s_or_b32 exec_lo, exec_lo, s4
	s_load_b64 s[0:1], s[0:1], 0x8
	s_load_b32 s4, s[2:3], 0x0
	s_add_u32 s5, s2, 4
	s_addc_u32 s6, s3, 0
	v_add_co_u32 v1, s5, s5, v6
	s_delay_alu instid0(VALU_DEP_1) | instskip(SKIP_1) | instid1(SALU_CYCLE_1)
	v_add_co_ci_u32_e64 v2, null, s6, 0, s5
                                        ; implicit-def: $vgpr6
                                        ; implicit-def: $vgpr7
	s_and_saveexec_b32 s5, vcc_lo
	s_xor_b32 s5, exec_lo, s5
	s_cbranch_execz .LBB26_6
; %bb.5:
	s_clause 0x2
	global_load_u8 v6, v[1:2], off offset:-3
	global_load_u8 v7, v[1:2], off offset:1
	global_load_u8 v1, v[1:2], off offset:5
	s_waitcnt vmcnt(2)
	v_lshrrev_b16 v2, 2, v6
	s_waitcnt vmcnt(1)
	v_lshrrev_b16 v6, 2, v7
	s_waitcnt vmcnt(0)
	v_and_b32_e32 v7, 15, v1
	v_lshrrev_b16 v1, 4, v1
	v_and_b32_e32 v2, 48, v2
	v_and_b32_e32 v6, 48, v6
	s_delay_alu instid0(VALU_DEP_2) | instskip(NEXT) | instid1(VALU_DEP_2)
	v_or_b32_e32 v7, v2, v7
	v_or_b32_e32 v6, v6, v1
                                        ; implicit-def: $vgpr1_vgpr2
.LBB26_6:
	s_and_not1_saveexec_b32 s5, s5
	s_cbranch_execz .LBB26_8
; %bb.7:
	s_clause 0x1
	global_load_u8 v6, v[1:2], off offset:1
	global_load_u8 v1, v[1:2], off offset:5
	s_waitcnt vmcnt(1)
	v_and_b32_e32 v7, 63, v6
	s_waitcnt vmcnt(0)
	v_and_b32_e32 v6, 63, v1
.LBB26_8:
	s_or_b32 exec_lo, exec_lo, s5
	v_lshlrev_b32_e32 v0, 2, v0
	v_lshlrev_b32_e32 v1, 5, v3
	v_and_b32_e32 v4, 0xff, v4
	v_and_b32_e32 v6, 0xff, v6
	s_waitcnt lgkmcnt(0)
	s_lshr_b32 s5, s4, 16
	v_and_b32_e32 v2, 28, v0
	v_add_co_u32 v0, s2, s2, v1
	s_delay_alu instid0(VALU_DEP_1) | instskip(SKIP_1) | instid1(VALU_DEP_3)
	v_add_co_ci_u32_e64 v1, null, s3, 0, s2
	v_cvt_f16_u16_e32 v4, v4
	v_add_co_u32 v0, vcc_lo, v0, v2
	s_delay_alu instid0(VALU_DEP_3)
	v_add_co_ci_u32_e32 v1, vcc_lo, 0, v1, vcc_lo
	v_cvt_f16_u16_e32 v6, v6
	s_mov_b32 s3, 0
	s_lshl_b32 s2, s15, 8
	global_load_b32 v0, v[0:1], off offset:16
	v_and_b32_e32 v1, 0xff, v5
	v_and_b32_e32 v5, 0xff, v7
	v_lshlrev_b32_e32 v3, 7, v3
	s_lshl_b64 s[2:3], s[2:3], 1
	v_mul_f16_e32 v4, s4, v4
	v_cvt_f16_u16_e32 v1, v1
	v_cvt_f16_u16_e32 v5, v5
	s_add_u32 s0, s0, s2
	v_mul_f16_e32 v6, s5, v6
	s_addc_u32 s1, s1, s3
	v_mul_f16_e32 v1, s5, v1
	v_mul_f16_e32 v5, s4, v5
	v_add_co_u32 v3, s0, s0, v3
	v_lshlrev_b32_e32 v2, 1, v2
	v_add_co_ci_u32_e64 v7, null, s1, 0, s0
	s_waitcnt vmcnt(0)
	v_lshrrev_b32_e32 v11, 8, v0
	v_lshrrev_b32_e32 v8, 16, v0
	;; [unrolled: 1-line block ×3, first 2 shown]
	v_and_b32_e32 v9, 15, v0
	v_lshrrev_b16 v10, 4, v0
	v_lshrrev_b32_e32 v0, 20, v0
	v_and_b32_e32 v13, 15, v11
	v_lshrrev_b16 v11, 4, v11
	v_and_b32_e32 v8, 15, v8
	v_and_b32_e32 v14, 15, v12
	;; [unrolled: 1-line block ×4, first 2 shown]
	v_lshrrev_b16 v12, 4, v12
	v_and_b32_e32 v11, 15, v11
	v_cvt_f16_u16_e32 v9, v9
	v_cvt_f16_u16_e32 v13, v13
	v_cvt_f16_u16_e32 v8, v8
	v_cvt_f16_u16_e32 v14, v14
	v_cvt_f16_u16_e32 v10, v10
	v_cvt_f16_u16_e32 v0, v0
	v_cvt_f16_u16_e32 v12, v12
	v_cvt_f16_u16_e32 v11, v11
	v_fma_f16 v9, v4, v9, -v1
	v_fma_f16 v13, v4, v13, -v1
	;; [unrolled: 1-line block ×8, first 2 shown]
	v_add_co_u32 v0, vcc_lo, v3, v2
	v_add_co_ci_u32_e32 v1, vcc_lo, 0, v7, vcc_lo
	v_pack_b32_f16 v3, v8, v4
	v_pack_b32_f16 v2, v9, v13
	;; [unrolled: 1-line block ×4, first 2 shown]
	s_clause 0x1
	global_store_b64 v[0:1], v[2:3], off
	global_store_b64 v[0:1], v[4:5], off offset:64
	s_nop 0
	s_sendmsg sendmsg(MSG_DEALLOC_VGPRS)
	s_endpgm
	.section	.rodata,"a",@progbits
	.p2align	6, 0x0
	.amdhsa_kernel _ZL21dequantize_block_q4_KIN3c104HalfEEvPKvPT_
		.amdhsa_group_segment_fixed_size 0
		.amdhsa_private_segment_fixed_size 0
		.amdhsa_kernarg_size 16
		.amdhsa_user_sgpr_count 15
		.amdhsa_user_sgpr_dispatch_ptr 0
		.amdhsa_user_sgpr_queue_ptr 0
		.amdhsa_user_sgpr_kernarg_segment_ptr 1
		.amdhsa_user_sgpr_dispatch_id 0
		.amdhsa_user_sgpr_private_segment_size 0
		.amdhsa_wavefront_size32 1
		.amdhsa_uses_dynamic_stack 0
		.amdhsa_enable_private_segment 0
		.amdhsa_system_sgpr_workgroup_id_x 1
		.amdhsa_system_sgpr_workgroup_id_y 0
		.amdhsa_system_sgpr_workgroup_id_z 0
		.amdhsa_system_sgpr_workgroup_info 0
		.amdhsa_system_vgpr_workitem_id 0
		.amdhsa_next_free_vgpr 16
		.amdhsa_next_free_sgpr 16
		.amdhsa_reserve_vcc 1
		.amdhsa_float_round_mode_32 0
		.amdhsa_float_round_mode_16_64 0
		.amdhsa_float_denorm_mode_32 3
		.amdhsa_float_denorm_mode_16_64 3
		.amdhsa_dx10_clamp 1
		.amdhsa_ieee_mode 1
		.amdhsa_fp16_overflow 0
		.amdhsa_workgroup_processor_mode 1
		.amdhsa_memory_ordered 1
		.amdhsa_forward_progress 0
		.amdhsa_shared_vgpr_count 0
		.amdhsa_exception_fp_ieee_invalid_op 0
		.amdhsa_exception_fp_denorm_src 0
		.amdhsa_exception_fp_ieee_div_zero 0
		.amdhsa_exception_fp_ieee_overflow 0
		.amdhsa_exception_fp_ieee_underflow 0
		.amdhsa_exception_fp_ieee_inexact 0
		.amdhsa_exception_int_div_zero 0
	.end_amdhsa_kernel
	.section	.text._ZL21dequantize_block_q4_KIN3c104HalfEEvPKvPT_,"axG",@progbits,_ZL21dequantize_block_q4_KIN3c104HalfEEvPKvPT_,comdat
.Lfunc_end26:
	.size	_ZL21dequantize_block_q4_KIN3c104HalfEEvPKvPT_, .Lfunc_end26-_ZL21dequantize_block_q4_KIN3c104HalfEEvPKvPT_
                                        ; -- End function
	.section	.AMDGPU.csdata,"",@progbits
; Kernel info:
; codeLenInByte = 828
; NumSgprs: 18
; NumVgprs: 16
; ScratchSize: 0
; MemoryBound: 0
; FloatMode: 240
; IeeeMode: 1
; LDSByteSize: 0 bytes/workgroup (compile time only)
; SGPRBlocks: 2
; VGPRBlocks: 1
; NumSGPRsForWavesPerEU: 18
; NumVGPRsForWavesPerEU: 16
; Occupancy: 16
; WaveLimiterHint : 0
; COMPUTE_PGM_RSRC2:SCRATCH_EN: 0
; COMPUTE_PGM_RSRC2:USER_SGPR: 15
; COMPUTE_PGM_RSRC2:TRAP_HANDLER: 0
; COMPUTE_PGM_RSRC2:TGID_X_EN: 1
; COMPUTE_PGM_RSRC2:TGID_Y_EN: 0
; COMPUTE_PGM_RSRC2:TGID_Z_EN: 0
; COMPUTE_PGM_RSRC2:TIDIG_COMP_CNT: 0
	.section	.text._ZL21dequantize_block_q5_KIN3c104HalfEEvPKvPT_,"axG",@progbits,_ZL21dequantize_block_q5_KIN3c104HalfEEvPKvPT_,comdat
	.globl	_ZL21dequantize_block_q5_KIN3c104HalfEEvPKvPT_ ; -- Begin function _ZL21dequantize_block_q5_KIN3c104HalfEEvPKvPT_
	.p2align	8
	.type	_ZL21dequantize_block_q5_KIN3c104HalfEEvPKvPT_,@function
_ZL21dequantize_block_q5_KIN3c104HalfEEvPKvPT_: ; @_ZL21dequantize_block_q5_KIN3c104HalfEEvPKvPT_
; %bb.0:
	s_load_b64 s[2:3], s[0:1], 0x0
	v_lshrrev_b32_e32 v4, 4, v0
	s_mul_i32 s5, s15, 0xb0
	s_mul_hi_u32 s4, s15, 0xb0
	v_cmp_lt_u32_e32 vcc_lo, 31, v0
                                        ; implicit-def: $vgpr6
                                        ; implicit-def: $vgpr5
	s_delay_alu instid0(VALU_DEP_2) | instskip(SKIP_3) | instid1(VALU_DEP_1)
	v_lshlrev_b32_e32 v3, 1, v4
	s_waitcnt lgkmcnt(0)
	s_add_u32 s2, s2, s5
	s_addc_u32 s3, s3, s4
	v_add_co_u32 v1, s4, s2, v3
	s_delay_alu instid0(VALU_DEP_1) | instskip(SKIP_1) | instid1(SALU_CYCLE_1)
	v_add_co_ci_u32_e64 v2, null, s3, 0, s4
	s_and_saveexec_b32 s4, vcc_lo
	s_xor_b32 s4, exec_lo, s4
	s_cbranch_execz .LBB27_2
; %bb.1:
	s_clause 0x2
	global_load_u8 v5, v[1:2], off
	global_load_u8 v6, v[1:2], off offset:4
	global_load_u8 v1, v[1:2], off offset:8
	s_waitcnt vmcnt(2)
	v_lshrrev_b16 v2, 2, v5
	s_waitcnt vmcnt(1)
	v_lshrrev_b16 v5, 2, v6
	s_waitcnt vmcnt(0)
	v_and_b32_e32 v6, 15, v1
	v_lshrrev_b16 v1, 4, v1
	v_and_b32_e32 v2, 48, v2
	v_and_b32_e32 v7, 48, v5
	s_delay_alu instid0(VALU_DEP_2) | instskip(NEXT) | instid1(VALU_DEP_2)
	v_or_b32_e32 v5, v2, v6
	v_or_b32_e32 v6, v7, v1
                                        ; implicit-def: $vgpr1_vgpr2
.LBB27_2:
	s_and_not1_saveexec_b32 s4, s4
	s_cbranch_execz .LBB27_4
; %bb.3:
	s_clause 0x1
	global_load_u8 v5, v[1:2], off offset:4
	global_load_u8 v1, v[1:2], off offset:8
	s_waitcnt vmcnt(1)
	v_and_b32_e32 v5, 63, v5
	s_waitcnt vmcnt(0)
	v_and_b32_e32 v6, 63, v1
.LBB27_4:
	s_or_b32 exec_lo, exec_lo, s4
	s_load_b64 s[0:1], s[0:1], 0x8
	s_load_b32 s4, s[2:3], 0x0
	s_add_u32 s5, s2, 4
	s_addc_u32 s6, s3, 0
	v_add_co_u32 v1, s5, s5, v3
	s_delay_alu instid0(VALU_DEP_1) | instskip(SKIP_1) | instid1(SALU_CYCLE_1)
	v_add_co_ci_u32_e64 v2, null, s6, 0, s5
                                        ; implicit-def: $vgpr8
                                        ; implicit-def: $vgpr7
	s_and_saveexec_b32 s5, vcc_lo
	s_xor_b32 s5, exec_lo, s5
	s_cbranch_execz .LBB27_6
; %bb.5:
	s_clause 0x2
	global_load_u8 v7, v[1:2], off offset:-3
	global_load_u8 v8, v[1:2], off offset:1
	global_load_u8 v1, v[1:2], off offset:5
	s_waitcnt vmcnt(2)
	v_lshrrev_b16 v2, 2, v7
	s_waitcnt vmcnt(1)
	v_lshrrev_b16 v7, 2, v8
	s_waitcnt vmcnt(0)
	v_and_b32_e32 v8, 15, v1
	v_lshrrev_b16 v1, 4, v1
	v_and_b32_e32 v2, 48, v2
	v_and_b32_e32 v9, 48, v7
	s_delay_alu instid0(VALU_DEP_2) | instskip(NEXT) | instid1(VALU_DEP_2)
	v_or_b32_e32 v7, v2, v8
	v_or_b32_e32 v8, v9, v1
                                        ; implicit-def: $vgpr1_vgpr2
.LBB27_6:
	s_and_not1_saveexec_b32 s5, s5
	s_cbranch_execz .LBB27_8
; %bb.7:
	s_clause 0x1
	global_load_u8 v7, v[1:2], off offset:1
	global_load_u8 v1, v[1:2], off offset:5
	s_waitcnt vmcnt(1)
	v_and_b32_e32 v7, 63, v7
	s_waitcnt vmcnt(0)
	v_and_b32_e32 v8, 63, v1
.LBB27_8:
	s_or_b32 exec_lo, exec_lo, s5
	v_lshlrev_b32_e32 v0, 1, v0
	v_and_b32_e32 v7, 0xff, v7
	v_and_b32_e32 v6, 0xff, v6
	;; [unrolled: 1-line block ×5, first 2 shown]
	v_lshlrev_b32_e32 v0, 5, v4
	v_cvt_f16_u16_e32 v7, v7
	v_cvt_f16_u16_e32 v6, v6
	;; [unrolled: 1-line block ×3, first 2 shown]
	v_add_co_u32 v1, s5, s2, v2
	s_delay_alu instid0(VALU_DEP_1) | instskip(SKIP_1) | instid1(VALU_DEP_3)
	v_add_co_ci_u32_e64 v9, null, s3, 0, s5
	v_cvt_f16_u16_e32 v8, v8
	v_add_co_u32 v0, vcc_lo, v1, v0
	s_delay_alu instid0(VALU_DEP_3)
	v_add_co_ci_u32_e32 v1, vcc_lo, 0, v9, vcc_lo
	v_lshlrev_b32_e64 v9, v3, 1
	v_lshlrev_b32_e64 v3, v3, 2
	s_waitcnt lgkmcnt(0)
	s_lshr_b32 s5, s4, 16
	s_clause 0x1
	global_load_u16 v0, v[0:1], off offset:48
	global_load_u16 v1, v2, s[2:3] offset:16
	s_mov_b32 s3, 0
	s_lshl_b32 s2, s15, 8
	v_lshlrev_b32_e32 v4, 7, v4
	s_lshl_b64 s[2:3], s[2:3], 1
	v_mul_f16_e32 v6, s5, v6
	v_mul_f16_e32 v5, s4, v5
	s_add_u32 s0, s0, s2
	v_mul_f16_e32 v8, s5, v8
	s_addc_u32 s1, s1, s3
	v_add_co_u32 v4, s0, s0, v4
	v_lshlrev_b32_e32 v2, 1, v2
	v_add_co_ci_u32_e64 v10, null, s1, 0, s0
	s_waitcnt vmcnt(1)
	v_lshrrev_b16 v11, 8, v0
	s_waitcnt vmcnt(0)
	v_lshrrev_b16 v12, 8, v1
	v_and_b32_e32 v1, 0xff, v1
	v_lshrrev_b16 v14, 4, v0
	v_and_b32_e32 v13, 15, v0
	v_and_b32_e32 v11, 15, v11
	;; [unrolled: 1-line block ×5, first 2 shown]
	v_lshrrev_b16 v0, 12, v0
	v_and_b32_e32 v14, 15, v14
	v_and_b32_e32 v9, v9, v12
	v_cmp_ne_u32_e32 vcc_lo, 0, v15
	v_and_b32_e32 v3, v3, v12
	v_cndmask_b32_e64 v15, 0, 1, vcc_lo
	v_cmp_ne_u32_e32 vcc_lo, 0, v1
	s_delay_alu instid0(VALU_DEP_2) | instskip(SKIP_2) | instid1(VALU_DEP_2)
	v_lshl_or_b32 v12, v15, 4, v13
	v_cndmask_b32_e64 v1, 0, 1, vcc_lo
	v_cmp_ne_u32_e32 vcc_lo, 0, v9
	v_lshl_or_b32 v1, v1, 4, v14
	v_cndmask_b32_e64 v9, 0, 1, vcc_lo
	v_cmp_ne_u32_e32 vcc_lo, 0, v3
	s_delay_alu instid0(VALU_DEP_3) | instskip(NEXT) | instid1(VALU_DEP_3)
	v_cvt_f32_ubyte0_e32 v1, v1
	v_lshl_or_b32 v9, v9, 4, v11
	v_cndmask_b32_e64 v3, 0, 1, vcc_lo
	s_delay_alu instid0(VALU_DEP_3) | instskip(NEXT) | instid1(VALU_DEP_3)
	v_cvt_f16_f32_e32 v1, v1
	v_cvt_f32_ubyte0_e32 v9, v9
	s_delay_alu instid0(VALU_DEP_3) | instskip(SKIP_2) | instid1(VALU_DEP_4)
	v_lshl_or_b32 v0, v3, 4, v0
	v_mul_f16_e32 v3, s4, v7
	v_cvt_f32_ubyte0_e32 v7, v12
	v_cvt_f16_f32_e32 v9, v9
	s_delay_alu instid0(VALU_DEP_4) | instskip(NEXT) | instid1(VALU_DEP_4)
	v_cvt_f32_ubyte0_e32 v0, v0
	v_fma_f16 v11, v3, v1, -v8
	s_delay_alu instid0(VALU_DEP_4) | instskip(NEXT) | instid1(VALU_DEP_3)
	v_cvt_f16_f32_e32 v7, v7
	v_cvt_f16_f32_e32 v0, v0
	s_delay_alu instid0(VALU_DEP_2) | instskip(SKIP_1) | instid1(VALU_DEP_3)
	v_fma_f16 v7, v5, v7, -v6
	v_fma_f16 v5, v5, v9, -v6
	;; [unrolled: 1-line block ×3, first 2 shown]
	v_add_co_u32 v0, vcc_lo, v4, v2
	v_add_co_ci_u32_e32 v1, vcc_lo, 0, v10, vcc_lo
	s_delay_alu instid0(VALU_DEP_4) | instskip(NEXT) | instid1(VALU_DEP_4)
	v_pack_b32_f16 v2, v7, v5
	v_pack_b32_f16 v3, v11, v3
	s_clause 0x1
	global_store_b32 v[0:1], v2, off
	global_store_b32 v[0:1], v3, off offset:64
	s_nop 0
	s_sendmsg sendmsg(MSG_DEALLOC_VGPRS)
	s_endpgm
	.section	.rodata,"a",@progbits
	.p2align	6, 0x0
	.amdhsa_kernel _ZL21dequantize_block_q5_KIN3c104HalfEEvPKvPT_
		.amdhsa_group_segment_fixed_size 0
		.amdhsa_private_segment_fixed_size 0
		.amdhsa_kernarg_size 16
		.amdhsa_user_sgpr_count 15
		.amdhsa_user_sgpr_dispatch_ptr 0
		.amdhsa_user_sgpr_queue_ptr 0
		.amdhsa_user_sgpr_kernarg_segment_ptr 1
		.amdhsa_user_sgpr_dispatch_id 0
		.amdhsa_user_sgpr_private_segment_size 0
		.amdhsa_wavefront_size32 1
		.amdhsa_uses_dynamic_stack 0
		.amdhsa_enable_private_segment 0
		.amdhsa_system_sgpr_workgroup_id_x 1
		.amdhsa_system_sgpr_workgroup_id_y 0
		.amdhsa_system_sgpr_workgroup_id_z 0
		.amdhsa_system_sgpr_workgroup_info 0
		.amdhsa_system_vgpr_workitem_id 0
		.amdhsa_next_free_vgpr 16
		.amdhsa_next_free_sgpr 16
		.amdhsa_reserve_vcc 1
		.amdhsa_float_round_mode_32 0
		.amdhsa_float_round_mode_16_64 0
		.amdhsa_float_denorm_mode_32 3
		.amdhsa_float_denorm_mode_16_64 3
		.amdhsa_dx10_clamp 1
		.amdhsa_ieee_mode 1
		.amdhsa_fp16_overflow 0
		.amdhsa_workgroup_processor_mode 1
		.amdhsa_memory_ordered 1
		.amdhsa_forward_progress 0
		.amdhsa_shared_vgpr_count 0
		.amdhsa_exception_fp_ieee_invalid_op 0
		.amdhsa_exception_fp_denorm_src 0
		.amdhsa_exception_fp_ieee_div_zero 0
		.amdhsa_exception_fp_ieee_overflow 0
		.amdhsa_exception_fp_ieee_underflow 0
		.amdhsa_exception_fp_ieee_inexact 0
		.amdhsa_exception_int_div_zero 0
	.end_amdhsa_kernel
	.section	.text._ZL21dequantize_block_q5_KIN3c104HalfEEvPKvPT_,"axG",@progbits,_ZL21dequantize_block_q5_KIN3c104HalfEEvPKvPT_,comdat
.Lfunc_end27:
	.size	_ZL21dequantize_block_q5_KIN3c104HalfEEvPKvPT_, .Lfunc_end27-_ZL21dequantize_block_q5_KIN3c104HalfEEvPKvPT_
                                        ; -- End function
	.section	.AMDGPU.csdata,"",@progbits
; Kernel info:
; codeLenInByte = 932
; NumSgprs: 18
; NumVgprs: 16
; ScratchSize: 0
; MemoryBound: 0
; FloatMode: 240
; IeeeMode: 1
; LDSByteSize: 0 bytes/workgroup (compile time only)
; SGPRBlocks: 2
; VGPRBlocks: 1
; NumSGPRsForWavesPerEU: 18
; NumVGPRsForWavesPerEU: 16
; Occupancy: 16
; WaveLimiterHint : 0
; COMPUTE_PGM_RSRC2:SCRATCH_EN: 0
; COMPUTE_PGM_RSRC2:USER_SGPR: 15
; COMPUTE_PGM_RSRC2:TRAP_HANDLER: 0
; COMPUTE_PGM_RSRC2:TGID_X_EN: 1
; COMPUTE_PGM_RSRC2:TGID_Y_EN: 0
; COMPUTE_PGM_RSRC2:TGID_Z_EN: 0
; COMPUTE_PGM_RSRC2:TIDIG_COMP_CNT: 0
	.section	.text._ZL21dequantize_block_q6_KIN3c104HalfEEvPKvPT_,"axG",@progbits,_ZL21dequantize_block_q6_KIN3c104HalfEEvPKvPT_,comdat
	.globl	_ZL21dequantize_block_q6_KIN3c104HalfEEvPKvPT_ ; -- Begin function _ZL21dequantize_block_q6_KIN3c104HalfEEvPKvPT_
	.p2align	8
	.type	_ZL21dequantize_block_q6_KIN3c104HalfEEvPKvPT_,@function
_ZL21dequantize_block_q6_KIN3c104HalfEEvPKvPT_: ; @_ZL21dequantize_block_q6_KIN3c104HalfEEvPKvPT_
; %bb.0:
	s_load_b128 s[0:3], s[0:1], 0x0
	v_lshrrev_b32_e32 v3, 5, v0
	s_mov_b32 s5, 0
	s_lshl_b32 s4, s15, 8
	s_mul_hi_u32 s6, s15, 0xd2
	s_lshl_b64 s[4:5], s[4:5], 1
	v_lshlrev_b32_e32 v1, 6, v3
	s_mulk_i32 s15, 0xd2
	v_dual_mov_b32 v9, 0 :: v_dual_and_b32 v4, 31, v0
	s_waitcnt lgkmcnt(0)
	s_add_u32 s2, s2, s4
	s_addc_u32 s3, s3, s5
	s_add_u32 s0, s0, s15
	s_addc_u32 s1, s1, s6
	v_add_co_u32 v1, s4, s0, v1
	s_delay_alu instid0(VALU_DEP_1)
	v_add_co_ci_u32_e64 v2, null, s1, 0, s4
	global_load_u8 v5, v0, s[0:1] offset:128
	v_add_co_u32 v1, vcc_lo, v1, v4
	v_add_co_ci_u32_e32 v2, vcc_lo, 0, v2, vcc_lo
	v_bfe_u32 v0, v0, 4, 1
	s_clause 0x1
	global_load_u8 v6, v[1:2], off
	global_load_u8 v1, v[1:2], off offset:32
	v_lshl_or_b32 v0, v3, 3, v0
	s_clause 0x4
	global_load_i8 v2, v0, s[0:1] offset:192
	global_load_i8 v7, v0, s[0:1] offset:194
	;; [unrolled: 1-line block ×4, first 2 shown]
	global_load_u16 v9, v9, s[0:1] offset:208
	v_lshlrev_b32_e32 v3, 8, v3
	s_delay_alu instid0(VALU_DEP_1)
	v_add_co_u32 v3, s0, s2, v3
	s_waitcnt vmcnt(7)
	v_lshlrev_b16 v10, 4, v5
	v_lshlrev_b16 v11, 2, v5
	v_lshrrev_b16 v12, 2, v5
	v_and_b32_e32 v5, 48, v5
	s_delay_alu instid0(VALU_DEP_4) | instskip(NEXT) | instid1(VALU_DEP_4)
	v_and_b32_e32 v10, 48, v10
	v_and_b32_e32 v11, 48, v11
	s_waitcnt vmcnt(6)
	v_and_b32_e32 v13, 15, v6
	s_waitcnt vmcnt(5)
	v_and_b32_e32 v14, 15, v1
	v_lshrrev_b16 v6, 4, v6
	v_and_b32_e32 v12, 48, v12
	v_lshrrev_b16 v1, 4, v1
	v_or_b32_e32 v10, v13, v10
	v_or_b32_e32 v11, v14, v11
	v_or_b32_e32 v5, v6, v5
	s_delay_alu instid0(VALU_DEP_4) | instskip(NEXT) | instid1(VALU_DEP_4)
	v_or_b32_e32 v1, v1, v12
	v_and_b32_e32 v6, 0xffff, v10
	s_delay_alu instid0(VALU_DEP_4) | instskip(NEXT) | instid1(VALU_DEP_4)
	v_and_b32_e32 v10, 0xffff, v11
	v_and_b32_e32 v5, 0xffff, v5
	s_delay_alu instid0(VALU_DEP_4) | instskip(NEXT) | instid1(VALU_DEP_4)
	v_and_b32_e32 v1, 0xffff, v1
	v_subrev_nc_u32_e32 v6, 32, v6
	s_delay_alu instid0(VALU_DEP_4) | instskip(NEXT) | instid1(VALU_DEP_4)
	v_subrev_nc_u32_e32 v10, 32, v10
	v_subrev_nc_u32_e32 v5, 32, v5
	s_delay_alu instid0(VALU_DEP_4)
	v_subrev_nc_u32_e32 v1, 32, v1
	s_waitcnt vmcnt(4)
	v_mul_i32_i24_e32 v2, v6, v2
	s_waitcnt vmcnt(3)
	v_mul_i32_i24_e32 v6, v10, v7
	;; [unrolled: 2-line block ×4, first 2 shown]
	v_cvt_f32_i32_e32 v2, v2
	v_lshlrev_b32_e32 v1, 1, v4
	v_cvt_f32_i32_e32 v4, v6
	v_cvt_f32_i32_e32 v5, v5
	;; [unrolled: 1-line block ×3, first 2 shown]
	v_add_co_ci_u32_e64 v6, null, s3, 0, s0
	v_cvt_f16_f32_e32 v2, v2
	v_cvt_f16_f32_e32 v4, v4
	;; [unrolled: 1-line block ×4, first 2 shown]
	v_add_co_u32 v0, vcc_lo, v3, v1
	v_add_co_ci_u32_e32 v1, vcc_lo, 0, v6, vcc_lo
	s_waitcnt vmcnt(0)
	v_mul_f16_e32 v2, v9, v2
	v_mul_f16_e32 v3, v9, v4
	v_mul_f16_e32 v4, v9, v5
	v_mul_f16_e32 v5, v9, v7
	s_clause 0x3
	global_store_b16 v[0:1], v2, off
	global_store_b16 v[0:1], v3, off offset:64
	global_store_b16 v[0:1], v4, off offset:128
	;; [unrolled: 1-line block ×3, first 2 shown]
	s_nop 0
	s_sendmsg sendmsg(MSG_DEALLOC_VGPRS)
	s_endpgm
	.section	.rodata,"a",@progbits
	.p2align	6, 0x0
	.amdhsa_kernel _ZL21dequantize_block_q6_KIN3c104HalfEEvPKvPT_
		.amdhsa_group_segment_fixed_size 0
		.amdhsa_private_segment_fixed_size 0
		.amdhsa_kernarg_size 16
		.amdhsa_user_sgpr_count 15
		.amdhsa_user_sgpr_dispatch_ptr 0
		.amdhsa_user_sgpr_queue_ptr 0
		.amdhsa_user_sgpr_kernarg_segment_ptr 1
		.amdhsa_user_sgpr_dispatch_id 0
		.amdhsa_user_sgpr_private_segment_size 0
		.amdhsa_wavefront_size32 1
		.amdhsa_uses_dynamic_stack 0
		.amdhsa_enable_private_segment 0
		.amdhsa_system_sgpr_workgroup_id_x 1
		.amdhsa_system_sgpr_workgroup_id_y 0
		.amdhsa_system_sgpr_workgroup_id_z 0
		.amdhsa_system_sgpr_workgroup_info 0
		.amdhsa_system_vgpr_workitem_id 0
		.amdhsa_next_free_vgpr 15
		.amdhsa_next_free_sgpr 16
		.amdhsa_reserve_vcc 1
		.amdhsa_float_round_mode_32 0
		.amdhsa_float_round_mode_16_64 0
		.amdhsa_float_denorm_mode_32 3
		.amdhsa_float_denorm_mode_16_64 3
		.amdhsa_dx10_clamp 1
		.amdhsa_ieee_mode 1
		.amdhsa_fp16_overflow 0
		.amdhsa_workgroup_processor_mode 1
		.amdhsa_memory_ordered 1
		.amdhsa_forward_progress 0
		.amdhsa_shared_vgpr_count 0
		.amdhsa_exception_fp_ieee_invalid_op 0
		.amdhsa_exception_fp_denorm_src 0
		.amdhsa_exception_fp_ieee_div_zero 0
		.amdhsa_exception_fp_ieee_overflow 0
		.amdhsa_exception_fp_ieee_underflow 0
		.amdhsa_exception_fp_ieee_inexact 0
		.amdhsa_exception_int_div_zero 0
	.end_amdhsa_kernel
	.section	.text._ZL21dequantize_block_q6_KIN3c104HalfEEvPKvPT_,"axG",@progbits,_ZL21dequantize_block_q6_KIN3c104HalfEEvPKvPT_,comdat
.Lfunc_end28:
	.size	_ZL21dequantize_block_q6_KIN3c104HalfEEvPKvPT_, .Lfunc_end28-_ZL21dequantize_block_q6_KIN3c104HalfEEvPKvPT_
                                        ; -- End function
	.section	.AMDGPU.csdata,"",@progbits
; Kernel info:
; codeLenInByte = 524
; NumSgprs: 18
; NumVgprs: 15
; ScratchSize: 0
; MemoryBound: 0
; FloatMode: 240
; IeeeMode: 1
; LDSByteSize: 0 bytes/workgroup (compile time only)
; SGPRBlocks: 2
; VGPRBlocks: 1
; NumSGPRsForWavesPerEU: 18
; NumVGPRsForWavesPerEU: 15
; Occupancy: 16
; WaveLimiterHint : 0
; COMPUTE_PGM_RSRC2:SCRATCH_EN: 0
; COMPUTE_PGM_RSRC2:USER_SGPR: 15
; COMPUTE_PGM_RSRC2:TRAP_HANDLER: 0
; COMPUTE_PGM_RSRC2:TGID_X_EN: 1
; COMPUTE_PGM_RSRC2:TGID_Y_EN: 0
; COMPUTE_PGM_RSRC2:TGID_Z_EN: 0
; COMPUTE_PGM_RSRC2:TIDIG_COMP_CNT: 0
	.section	.text._ZL24dequantize_block_iq2_xxsIN3c104HalfEEvPKvPT_,"axG",@progbits,_ZL24dequantize_block_iq2_xxsIN3c104HalfEEvPKvPT_,comdat
	.globl	_ZL24dequantize_block_iq2_xxsIN3c104HalfEEvPKvPT_ ; -- Begin function _ZL24dequantize_block_iq2_xxsIN3c104HalfEEvPKvPT_
	.p2align	8
	.type	_ZL24dequantize_block_iq2_xxsIN3c104HalfEEvPKvPT_,@function
_ZL24dequantize_block_iq2_xxsIN3c104HalfEEvPKvPT_: ; @_ZL24dequantize_block_iq2_xxsIN3c104HalfEEvPKvPT_
; %bb.0:
	s_load_b128 s[0:3], s[0:1], 0x0
	v_and_b32_e32 v3, 7, v0
	s_mov_b32 s5, 0
	s_lshl_b32 s4, s15, 8
	s_mul_hi_u32 s6, s15, 0x42
	s_lshl_b64 s[4:5], s[4:5], 1
	v_lshlrev_b32_e32 v5, 3, v3
	s_mulk_i32 s15, 0x42
	v_lshrrev_b32_e32 v4, 3, v0
	s_waitcnt lgkmcnt(0)
	s_add_u32 s4, s2, s4
	s_addc_u32 s5, s3, s5
	s_add_u32 s0, s0, s15
	s_addc_u32 s1, s1, s6
	v_add_co_u32 v1, s2, s0, v5
	s_delay_alu instid0(VALU_DEP_1) | instskip(NEXT) | instid1(VALU_DEP_2)
	v_add_co_ci_u32_e64 v2, null, s1, 0, s2
	v_add_co_u32 v1, vcc_lo, v1, v4
	s_delay_alu instid0(VALU_DEP_2)
	v_add_co_ci_u32_e32 v2, vcc_lo, 0, v2, vcc_lo
	s_clause 0x1
	global_load_u8 v1, v[1:2], off offset:2
	global_load_b32 v5, v5, s[0:1] offset:6
	v_mov_b32_e32 v2, 0
	global_load_u16 v6, v2, s[0:1]
	v_mul_u32_u24_e32 v2, 7, v4
	s_getpc_b64 s[0:1]
	s_add_u32 s0, s0, _ZL11iq2xxs_grid@rel32@lo+4
	s_addc_u32 s1, s1, _ZL11iq2xxs_grid@rel32@hi+12
	s_getpc_b64 s[2:3]
	s_add_u32 s2, s2, _ZL12ksigns_iq2xs@rel32@lo+4
	s_addc_u32 s3, s3, _ZL12ksigns_iq2xs@rel32@hi+12
	s_waitcnt vmcnt(1)
	v_bfe_u32 v4, v5, v2, 7
	v_lshrrev_b32_e32 v5, 28, v5
	s_delay_alu instid0(VALU_DEP_1) | instskip(SKIP_3) | instid1(VALU_DEP_2)
	v_cvt_f32_ubyte0_e32 v5, v5
	v_and_b32_e32 v0, 0x3f8, v0
	s_waitcnt vmcnt(0)
	v_cvt_f32_f16_e32 v6, v6
	v_dual_add_f32 v5, 0.5, v5 :: v_dual_lshlrev_b32 v0, 1, v0
	s_delay_alu instid0(VALU_DEP_1) | instskip(NEXT) | instid1(VALU_DEP_1)
	v_mul_f32_e32 v5, v5, v6
	v_mul_f32_e32 v5, 0x3e800000, v5
	v_lshlrev_b32_e32 v1, 3, v1
	global_load_b64 v[1:2], v1, s[0:1]
	global_load_i8 v7, v4, s[2:3]
	s_waitcnt vmcnt(1)
	v_cvt_f32_ubyte0_e32 v8, v1
	v_cvt_f32_ubyte2_e32 v12, v1
	s_waitcnt vmcnt(0)
	v_and_b32_e32 v14, 8, v7
	v_and_b32_e32 v9, 1, v7
	v_cvt_f32_ubyte1_e32 v10, v1
	v_cvt_f32_ubyte3_e32 v1, v1
	v_mul_f32_e32 v12, v5, v12
	v_cvt_f32_ubyte0_e32 v15, v2
	v_cvt_f32_ubyte1_e32 v17, v2
	v_cvt_f32_ubyte2_e32 v19, v2
	v_cvt_f32_ubyte3_e32 v2, v2
	v_dual_mul_f32 v8, v5, v8 :: v_dual_and_b32 v11, 2, v7
	v_cmp_eq_u16_e32 vcc_lo, 0, v9
	v_dual_mul_f32 v10, v5, v10 :: v_dual_lshlrev_b32 v3, 6, v3
	v_and_b32_e32 v13, 4, v7
	v_dual_mul_f32 v1, v5, v1 :: v_dual_and_b32 v16, 16, v7
	v_dual_mul_f32 v17, v5, v17 :: v_dual_and_b32 v18, 32, v7
	v_mul_f32_e32 v15, v5, v15
	v_mul_f32_e32 v19, v5, v19
	;; [unrolled: 1-line block ×3, first 2 shown]
	v_cndmask_b32_e64 v5, -v8, v8, vcc_lo
	v_cmp_eq_u16_e32 vcc_lo, 0, v11
	v_add_co_u32 v3, s0, s4, v3
	s_delay_alu instid0(VALU_DEP_1) | instskip(SKIP_2) | instid1(VALU_DEP_2)
	v_add_co_ci_u32_e64 v6, null, s5, 0, s0
	v_cndmask_b32_e64 v8, -v10, v10, vcc_lo
	v_cmp_eq_u16_e32 vcc_lo, 0, v13
	v_cvt_f16_f32_e32 v8, v8
	v_cndmask_b32_e64 v9, -v12, v12, vcc_lo
	v_cmp_eq_u16_e32 vcc_lo, 0, v14
	s_delay_alu instid0(VALU_DEP_2) | instskip(SKIP_2) | instid1(VALU_DEP_2)
	v_cvt_f16_f32_e32 v9, v9
	v_cndmask_b32_e64 v1, -v1, v1, vcc_lo
	v_cmp_eq_u16_e32 vcc_lo, 0, v16
	v_cvt_f16_f32_e32 v1, v1
	v_cndmask_b32_e64 v10, -v15, v15, vcc_lo
	v_cmp_eq_u16_e32 vcc_lo, 0, v18
	s_delay_alu instid0(VALU_DEP_3) | instskip(NEXT) | instid1(VALU_DEP_3)
	v_pack_b32_f16 v1, v9, v1
	v_cvt_f16_f32_e32 v10, v10
	v_cndmask_b32_e64 v11, -v17, v17, vcc_lo
	v_cmp_gt_u32_e32 vcc_lo, 64, v4
	s_delay_alu instid0(VALU_DEP_2) | instskip(SKIP_3) | instid1(VALU_DEP_3)
	v_cvt_f16_f32_e32 v11, v11
	v_cndmask_b32_e64 v4, -v19, v19, vcc_lo
	v_cmp_gt_i16_e32 vcc_lo, 0, v7
	v_cvt_f16_f32_e32 v7, v5
	v_cvt_f16_f32_e32 v12, v4
	v_cndmask_b32_e64 v2, v2, -v2, vcc_lo
	v_add_co_u32 v4, vcc_lo, v3, v0
	v_add_co_ci_u32_e32 v5, vcc_lo, 0, v6, vcc_lo
	s_delay_alu instid0(VALU_DEP_3) | instskip(SKIP_1) | instid1(VALU_DEP_2)
	v_cvt_f16_f32_e32 v2, v2
	v_pack_b32_f16 v0, v7, v8
	v_pack_b32_f16 v3, v12, v2
	;; [unrolled: 1-line block ×3, first 2 shown]
	global_store_b128 v[4:5], v[0:3], off
	s_nop 0
	s_sendmsg sendmsg(MSG_DEALLOC_VGPRS)
	s_endpgm
	.section	.rodata,"a",@progbits
	.p2align	6, 0x0
	.amdhsa_kernel _ZL24dequantize_block_iq2_xxsIN3c104HalfEEvPKvPT_
		.amdhsa_group_segment_fixed_size 0
		.amdhsa_private_segment_fixed_size 0
		.amdhsa_kernarg_size 16
		.amdhsa_user_sgpr_count 15
		.amdhsa_user_sgpr_dispatch_ptr 0
		.amdhsa_user_sgpr_queue_ptr 0
		.amdhsa_user_sgpr_kernarg_segment_ptr 1
		.amdhsa_user_sgpr_dispatch_id 0
		.amdhsa_user_sgpr_private_segment_size 0
		.amdhsa_wavefront_size32 1
		.amdhsa_uses_dynamic_stack 0
		.amdhsa_enable_private_segment 0
		.amdhsa_system_sgpr_workgroup_id_x 1
		.amdhsa_system_sgpr_workgroup_id_y 0
		.amdhsa_system_sgpr_workgroup_id_z 0
		.amdhsa_system_sgpr_workgroup_info 0
		.amdhsa_system_vgpr_workitem_id 0
		.amdhsa_next_free_vgpr 20
		.amdhsa_next_free_sgpr 16
		.amdhsa_reserve_vcc 1
		.amdhsa_float_round_mode_32 0
		.amdhsa_float_round_mode_16_64 0
		.amdhsa_float_denorm_mode_32 3
		.amdhsa_float_denorm_mode_16_64 3
		.amdhsa_dx10_clamp 1
		.amdhsa_ieee_mode 1
		.amdhsa_fp16_overflow 0
		.amdhsa_workgroup_processor_mode 1
		.amdhsa_memory_ordered 1
		.amdhsa_forward_progress 0
		.amdhsa_shared_vgpr_count 0
		.amdhsa_exception_fp_ieee_invalid_op 0
		.amdhsa_exception_fp_denorm_src 0
		.amdhsa_exception_fp_ieee_div_zero 0
		.amdhsa_exception_fp_ieee_overflow 0
		.amdhsa_exception_fp_ieee_underflow 0
		.amdhsa_exception_fp_ieee_inexact 0
		.amdhsa_exception_int_div_zero 0
	.end_amdhsa_kernel
	.section	.text._ZL24dequantize_block_iq2_xxsIN3c104HalfEEvPKvPT_,"axG",@progbits,_ZL24dequantize_block_iq2_xxsIN3c104HalfEEvPKvPT_,comdat
.Lfunc_end29:
	.size	_ZL24dequantize_block_iq2_xxsIN3c104HalfEEvPKvPT_, .Lfunc_end29-_ZL24dequantize_block_iq2_xxsIN3c104HalfEEvPKvPT_
                                        ; -- End function
	.section	.AMDGPU.csdata,"",@progbits
; Kernel info:
; codeLenInByte = 588
; NumSgprs: 18
; NumVgprs: 20
; ScratchSize: 0
; MemoryBound: 0
; FloatMode: 240
; IeeeMode: 1
; LDSByteSize: 0 bytes/workgroup (compile time only)
; SGPRBlocks: 2
; VGPRBlocks: 2
; NumSGPRsForWavesPerEU: 18
; NumVGPRsForWavesPerEU: 20
; Occupancy: 16
; WaveLimiterHint : 0
; COMPUTE_PGM_RSRC2:SCRATCH_EN: 0
; COMPUTE_PGM_RSRC2:USER_SGPR: 15
; COMPUTE_PGM_RSRC2:TRAP_HANDLER: 0
; COMPUTE_PGM_RSRC2:TGID_X_EN: 1
; COMPUTE_PGM_RSRC2:TGID_Y_EN: 0
; COMPUTE_PGM_RSRC2:TGID_Z_EN: 0
; COMPUTE_PGM_RSRC2:TIDIG_COMP_CNT: 0
	.section	.text._ZL23dequantize_block_iq2_xsIN3c104HalfEEvPKvPT_,"axG",@progbits,_ZL23dequantize_block_iq2_xsIN3c104HalfEEvPKvPT_,comdat
	.globl	_ZL23dequantize_block_iq2_xsIN3c104HalfEEvPKvPT_ ; -- Begin function _ZL23dequantize_block_iq2_xsIN3c104HalfEEvPKvPT_
	.p2align	8
	.type	_ZL23dequantize_block_iq2_xsIN3c104HalfEEvPKvPT_,@function
_ZL23dequantize_block_iq2_xsIN3c104HalfEEvPKvPT_: ; @_ZL23dequantize_block_iq2_xsIN3c104HalfEEvPKvPT_
; %bb.0:
	s_load_b128 s[0:3], s[0:1], 0x0
	v_and_b32_e32 v5, 7, v0
	s_mov_b32 s5, 0
	s_lshl_b32 s4, s15, 8
	v_lshrrev_b32_e32 v6, 2, v0
	s_lshl_b64 s[4:5], s[4:5], 1
	v_lshlrev_b32_e32 v1, 3, v5
	s_mul_hi_u32 s6, s15, 0x4a
	s_mulk_i32 s15, 0x4a
	v_and_b32_e32 v2, 0xfe, v6
	s_waitcnt lgkmcnt(0)
	s_add_u32 s4, s2, s4
	s_addc_u32 s5, s3, s5
	s_add_u32 s0, s0, s15
	s_addc_u32 s1, s1, s6
	v_add_co_u32 v1, s2, s0, v1
	s_delay_alu instid0(VALU_DEP_1) | instskip(NEXT) | instid1(VALU_DEP_2)
	v_add_co_ci_u32_e64 v3, null, s1, 0, s2
	v_add_co_u32 v1, vcc_lo, v1, v2
	s_delay_alu instid0(VALU_DEP_2)
	v_add_co_ci_u32_e32 v2, vcc_lo, 0, v3, vcc_lo
	global_load_u16 v7, v[1:2], off offset:2
	v_mov_b32_e32 v1, 0
	s_clause 0x1
	global_load_u8 v8, v5, s[0:1] offset:66
	global_load_u16 v9, v1, s[0:1]
	s_getpc_b64 s[0:1]
	s_add_u32 s0, s0, _ZL12ksigns_iq2xs@rel32@lo+4
	s_addc_u32 s1, s1, _ZL12ksigns_iq2xs@rel32@hi+12
	s_getpc_b64 s[2:3]
	s_add_u32 s2, s2, _ZL10iq2xs_grid@rel32@lo+4
	s_addc_u32 s3, s3, _ZL10iq2xs_grid@rel32@hi+12
	s_waitcnt vmcnt(2)
	v_and_b32_e32 v1, 0x1ff, v7
	v_lshrrev_b16 v2, 9, v7
	s_delay_alu instid0(VALU_DEP_2) | instskip(NEXT) | instid1(VALU_DEP_2)
	v_and_b32_e32 v1, 0xffff, v1
	v_and_b32_e32 v2, 0xffff, v2
	s_delay_alu instid0(VALU_DEP_2) | instskip(NEXT) | instid1(VALU_DEP_2)
	v_lshlrev_b32_e32 v3, 3, v1
	v_add_co_u32 v1, s0, v2, s0
	s_delay_alu instid0(VALU_DEP_1)
	v_add_co_ci_u32_e64 v2, null, 0, s1, s0
	global_load_b64 v[3:4], v3, s[2:3]
	global_load_i8 v1, v[1:2], off
	v_and_b32_e32 v2, 0xfc, v6
	s_waitcnt vmcnt(2)
	v_cvt_f32_f16_e32 v6, v9
	s_delay_alu instid0(VALU_DEP_2) | instskip(NEXT) | instid1(VALU_DEP_1)
	v_bfe_u32 v2, v8, v2, 4
	v_cvt_f32_ubyte0_e32 v2, v2
	s_delay_alu instid0(VALU_DEP_1) | instskip(NEXT) | instid1(VALU_DEP_1)
	v_add_f32_e32 v2, 0.5, v2
	v_mul_f32_e32 v2, v2, v6
	s_delay_alu instid0(VALU_DEP_1)
	v_mul_f32_e32 v2, 0x3e800000, v2
	s_waitcnt vmcnt(1)
	v_cvt_f32_ubyte0_e32 v8, v3
	v_cvt_f32_ubyte1_e32 v10, v3
	v_cvt_f32_ubyte2_e32 v12, v3
	v_cvt_f32_ubyte3_e32 v3, v3
	v_and_b32_e32 v0, 0x3f8, v0
	v_cvt_f32_ubyte0_e32 v15, v4
	v_cvt_f32_ubyte1_e32 v17, v4
	v_cvt_f32_ubyte2_e32 v19, v4
	v_mul_f32_e32 v3, v2, v3
	v_cvt_f32_ubyte3_e32 v4, v4
	s_waitcnt vmcnt(0)
	v_and_b32_e32 v9, 1, v1
	v_dual_mul_f32 v12, v2, v12 :: v_dual_lshlrev_b32 v5, 6, v5
	v_dual_mul_f32 v15, v2, v15 :: v_dual_lshlrev_b32 v0, 1, v0
	v_and_b32_e32 v11, 2, v1
	v_dual_mul_f32 v19, v2, v19 :: v_dual_and_b32 v14, 8, v1
	v_mul_f32_e32 v8, v2, v8
	v_mul_f32_e32 v10, v2, v10
	;; [unrolled: 1-line block ×4, first 2 shown]
	v_cmp_eq_u16_e32 vcc_lo, 0, v9
	v_and_b32_e32 v13, 4, v1
	v_and_b32_e32 v16, 16, v1
	;; [unrolled: 1-line block ×3, first 2 shown]
	v_add_co_u32 v5, s0, s4, v5
	v_cndmask_b32_e64 v4, -v8, v8, vcc_lo
	v_cmp_eq_u16_e32 vcc_lo, 0, v11
	v_add_co_ci_u32_e64 v6, null, s5, 0, s0
	v_cndmask_b32_e64 v8, -v10, v10, vcc_lo
	v_cmp_eq_u16_e32 vcc_lo, 0, v13
	s_delay_alu instid0(VALU_DEP_2) | instskip(SKIP_3) | instid1(VALU_DEP_3)
	v_cvt_f16_f32_e32 v8, v8
	v_cndmask_b32_e64 v9, -v12, v12, vcc_lo
	v_cmp_eq_u16_e32 vcc_lo, 0, v14
	v_cvt_f16_f32_e32 v12, v4
	v_cvt_f16_f32_e32 v9, v9
	v_cndmask_b32_e64 v3, -v3, v3, vcc_lo
	v_cmp_eq_u16_e32 vcc_lo, 0, v16
	s_delay_alu instid0(VALU_DEP_2)
	v_cvt_f16_f32_e32 v13, v3
	v_cndmask_b32_e64 v10, -v15, v15, vcc_lo
	v_cmp_eq_u16_e32 vcc_lo, 0, v18
	v_cndmask_b32_e64 v11, -v17, v17, vcc_lo
	v_cmp_gt_i16_e32 vcc_lo, 0, v7
	v_cndmask_b32_e64 v7, v19, -v19, vcc_lo
	v_cmp_gt_i16_e32 vcc_lo, 0, v1
	s_delay_alu instid0(VALU_DEP_2) | instskip(SKIP_4) | instid1(VALU_DEP_4)
	v_cvt_f16_f32_e32 v3, v7
	v_cndmask_b32_e64 v1, v2, -v2, vcc_lo
	v_cvt_f16_f32_e32 v2, v10
	v_cvt_f16_f32_e32 v10, v11
	v_add_co_u32 v4, vcc_lo, v5, v0
	v_cvt_f16_f32_e32 v1, v1
	v_add_co_ci_u32_e32 v5, vcc_lo, 0, v6, vcc_lo
	s_delay_alu instid0(VALU_DEP_4) | instskip(SKIP_1) | instid1(VALU_DEP_4)
	v_pack_b32_f16 v2, v2, v10
	v_pack_b32_f16 v0, v12, v8
	v_pack_b32_f16 v3, v3, v1
	v_pack_b32_f16 v1, v9, v13
	global_store_b128 v[4:5], v[0:3], off
	s_nop 0
	s_sendmsg sendmsg(MSG_DEALLOC_VGPRS)
	s_endpgm
	.section	.rodata,"a",@progbits
	.p2align	6, 0x0
	.amdhsa_kernel _ZL23dequantize_block_iq2_xsIN3c104HalfEEvPKvPT_
		.amdhsa_group_segment_fixed_size 0
		.amdhsa_private_segment_fixed_size 0
		.amdhsa_kernarg_size 16
		.amdhsa_user_sgpr_count 15
		.amdhsa_user_sgpr_dispatch_ptr 0
		.amdhsa_user_sgpr_queue_ptr 0
		.amdhsa_user_sgpr_kernarg_segment_ptr 1
		.amdhsa_user_sgpr_dispatch_id 0
		.amdhsa_user_sgpr_private_segment_size 0
		.amdhsa_wavefront_size32 1
		.amdhsa_uses_dynamic_stack 0
		.amdhsa_enable_private_segment 0
		.amdhsa_system_sgpr_workgroup_id_x 1
		.amdhsa_system_sgpr_workgroup_id_y 0
		.amdhsa_system_sgpr_workgroup_id_z 0
		.amdhsa_system_sgpr_workgroup_info 0
		.amdhsa_system_vgpr_workitem_id 0
		.amdhsa_next_free_vgpr 20
		.amdhsa_next_free_sgpr 16
		.amdhsa_reserve_vcc 1
		.amdhsa_float_round_mode_32 0
		.amdhsa_float_round_mode_16_64 0
		.amdhsa_float_denorm_mode_32 3
		.amdhsa_float_denorm_mode_16_64 3
		.amdhsa_dx10_clamp 1
		.amdhsa_ieee_mode 1
		.amdhsa_fp16_overflow 0
		.amdhsa_workgroup_processor_mode 1
		.amdhsa_memory_ordered 1
		.amdhsa_forward_progress 0
		.amdhsa_shared_vgpr_count 0
		.amdhsa_exception_fp_ieee_invalid_op 0
		.amdhsa_exception_fp_denorm_src 0
		.amdhsa_exception_fp_ieee_div_zero 0
		.amdhsa_exception_fp_ieee_overflow 0
		.amdhsa_exception_fp_ieee_underflow 0
		.amdhsa_exception_fp_ieee_inexact 0
		.amdhsa_exception_int_div_zero 0
	.end_amdhsa_kernel
	.section	.text._ZL23dequantize_block_iq2_xsIN3c104HalfEEvPKvPT_,"axG",@progbits,_ZL23dequantize_block_iq2_xsIN3c104HalfEEvPKvPT_,comdat
.Lfunc_end30:
	.size	_ZL23dequantize_block_iq2_xsIN3c104HalfEEvPKvPT_, .Lfunc_end30-_ZL23dequantize_block_iq2_xsIN3c104HalfEEvPKvPT_
                                        ; -- End function
	.section	.AMDGPU.csdata,"",@progbits
; Kernel info:
; codeLenInByte = 656
; NumSgprs: 18
; NumVgprs: 20
; ScratchSize: 0
; MemoryBound: 0
; FloatMode: 240
; IeeeMode: 1
; LDSByteSize: 0 bytes/workgroup (compile time only)
; SGPRBlocks: 2
; VGPRBlocks: 2
; NumSGPRsForWavesPerEU: 18
; NumVGPRsForWavesPerEU: 20
; Occupancy: 16
; WaveLimiterHint : 0
; COMPUTE_PGM_RSRC2:SCRATCH_EN: 0
; COMPUTE_PGM_RSRC2:USER_SGPR: 15
; COMPUTE_PGM_RSRC2:TRAP_HANDLER: 0
; COMPUTE_PGM_RSRC2:TGID_X_EN: 1
; COMPUTE_PGM_RSRC2:TGID_Y_EN: 0
; COMPUTE_PGM_RSRC2:TGID_Z_EN: 0
; COMPUTE_PGM_RSRC2:TIDIG_COMP_CNT: 0
	.section	.text._ZL24dequantize_block_iq3_xxsIN3c104HalfEEvPKvPT_,"axG",@progbits,_ZL24dequantize_block_iq3_xxsIN3c104HalfEEvPKvPT_,comdat
	.globl	_ZL24dequantize_block_iq3_xxsIN3c104HalfEEvPKvPT_ ; -- Begin function _ZL24dequantize_block_iq3_xxsIN3c104HalfEEvPKvPT_
	.p2align	8
	.type	_ZL24dequantize_block_iq3_xxsIN3c104HalfEEvPKvPT_,@function
_ZL24dequantize_block_iq3_xxsIN3c104HalfEEvPKvPT_: ; @_ZL24dequantize_block_iq3_xxsIN3c104HalfEEvPKvPT_
; %bb.0:
	s_load_b128 s[0:3], s[0:1], 0x0
	v_and_b32_e32 v3, 7, v0
	s_mov_b32 s5, 0
	s_lshl_b32 s4, s15, 8
	v_lshrrev_b32_e32 v4, 3, v0
	s_lshl_b64 s[4:5], s[4:5], 1
	v_lshlrev_b32_e32 v1, 3, v3
	s_mul_hi_u32 s6, s15, 0x62
	s_mulk_i32 s15, 0x62
	v_lshlrev_b32_e32 v2, 1, v4
	v_mul_u32_u24_e32 v4, 7, v4
	s_waitcnt lgkmcnt(0)
	s_add_u32 s4, s2, s4
	s_addc_u32 s5, s3, s5
	s_add_u32 s0, s0, s15
	s_addc_u32 s1, s1, s6
	v_add_co_u32 v1, s2, s0, v1
	s_delay_alu instid0(VALU_DEP_1) | instskip(NEXT) | instid1(VALU_DEP_2)
	v_add_co_ci_u32_e64 v5, null, s1, 0, s2
	v_add_co_u32 v1, vcc_lo, v1, v2
	s_delay_alu instid0(VALU_DEP_2)
	v_add_co_ci_u32_e32 v2, vcc_lo, 0, v5, vcc_lo
	v_lshlrev_b32_e32 v5, 2, v3
	s_clause 0x1
	global_load_u16 v1, v[1:2], off offset:2
	global_load_b32 v2, v5, s[0:1] offset:66
	v_mov_b32_e32 v5, 0
	global_load_u16 v5, v5, s[0:1]
	s_getpc_b64 s[0:1]
	s_add_u32 s0, s0, _ZL12ksigns_iq2xs@rel32@lo+4
	s_addc_u32 s1, s1, _ZL12ksigns_iq2xs@rel32@hi+12
	s_getpc_b64 s[2:3]
	s_add_u32 s2, s2, _ZL11iq3xxs_grid@rel32@lo+4
	s_addc_u32 s3, s3, _ZL11iq3xxs_grid@rel32@hi+12
	s_waitcnt vmcnt(1)
	v_bfe_u32 v4, v2, v4, 7
	v_lshrrev_b32_e32 v2, 28, v2
	global_load_i8 v7, v4, s[0:1]
	v_cvt_f32_ubyte0_e32 v2, v2
	s_waitcnt vmcnt(1)
	v_cvt_f32_f16_e32 v5, v5
	s_delay_alu instid0(VALU_DEP_2) | instskip(NEXT) | instid1(VALU_DEP_1)
	v_dual_add_f32 v2, 0.5, v2 :: v_dual_lshlrev_b32 v3, 6, v3
	v_mul_f32_e32 v2, v2, v5
	s_delay_alu instid0(VALU_DEP_2) | instskip(NEXT) | instid1(VALU_DEP_1)
	v_add_co_u32 v3, s0, s4, v3
	v_add_co_ci_u32_e64 v5, null, s5, 0, s0
	s_delay_alu instid0(VALU_DEP_3) | instskip(SKIP_2) | instid1(VALU_DEP_2)
	v_mul_f32_e32 v2, 0.5, v2
	v_and_b32_e32 v6, 0xff, v1
	v_lshrrev_b16 v1, 8, v1
	v_lshlrev_b32_e32 v6, 2, v6
	global_load_b32 v6, v6, s[2:3]
	s_waitcnt vmcnt(1)
	v_and_b32_e32 v10, 2, v7
	v_and_b32_e32 v12, 4, v7
	;; [unrolled: 1-line block ×5, first 2 shown]
	s_waitcnt vmcnt(0)
	v_cvt_f32_ubyte2_e32 v16, v6
	v_and_b32_e32 v1, 0xffff, v1
	v_cvt_f32_ubyte0_e32 v13, v6
	v_cvt_f32_ubyte1_e32 v15, v6
	v_cvt_f32_ubyte3_e32 v6, v6
	s_delay_alu instid0(VALU_DEP_4) | instskip(NEXT) | instid1(VALU_DEP_4)
	v_dual_mul_f32 v16, v2, v16 :: v_dual_lshlrev_b32 v1, 2, v1
	v_mul_f32_e32 v13, v2, v13
	s_delay_alu instid0(VALU_DEP_4) | instskip(NEXT) | instid1(VALU_DEP_4)
	v_mul_f32_e32 v15, v2, v15
	v_mul_f32_e32 v6, v2, v6
	global_load_b32 v1, v1, s[2:3]
	s_waitcnt vmcnt(0)
	v_cvt_f32_ubyte0_e32 v17, v1
	v_cvt_f32_ubyte1_e32 v18, v1
	v_cvt_f32_ubyte2_e32 v19, v1
	v_cvt_f32_ubyte3_e32 v1, v1
	v_and_b32_e32 v8, 1, v7
	s_delay_alu instid0(VALU_DEP_2) | instskip(NEXT) | instid1(VALU_DEP_2)
	v_dual_mul_f32 v1, v2, v1 :: v_dual_and_b32 v0, 0x3f8, v0
	v_cmp_eq_u16_e32 vcc_lo, 0, v8
	v_cndmask_b32_e64 v8, -v13, v13, vcc_lo
	v_mul_f32_e32 v13, v2, v17
	v_cmp_eq_u16_e32 vcc_lo, 0, v10
	v_lshlrev_b32_e32 v0, 1, v0
	s_delay_alu instid0(VALU_DEP_4)
	v_cvt_f16_f32_e32 v8, v8
	v_cndmask_b32_e64 v10, -v15, v15, vcc_lo
	v_mul_f32_e32 v15, v2, v18
	v_cmp_eq_u16_e32 vcc_lo, 0, v12
	v_cndmask_b32_e64 v12, -v16, v16, vcc_lo
	v_cmp_eq_u16_e32 vcc_lo, 0, v14
	v_mul_f32_e32 v16, v2, v19
	v_cndmask_b32_e64 v6, -v6, v6, vcc_lo
	v_cmp_eq_u16_e32 vcc_lo, 0, v9
	v_cvt_f16_f32_e32 v9, v10
	s_delay_alu instid0(VALU_DEP_3) | instskip(SKIP_3) | instid1(VALU_DEP_3)
	v_cvt_f16_f32_e32 v6, v6
	v_cndmask_b32_e64 v2, -v13, v13, vcc_lo
	v_cmp_eq_u16_e32 vcc_lo, 0, v11
	v_cvt_f16_f32_e32 v11, v12
	v_cvt_f16_f32_e32 v2, v2
	v_cndmask_b32_e64 v10, -v15, v15, vcc_lo
	v_cmp_gt_u32_e32 vcc_lo, 64, v4
	v_cndmask_b32_e64 v4, -v16, v16, vcc_lo
	v_cmp_gt_i16_e32 vcc_lo, 0, v7
	s_delay_alu instid0(VALU_DEP_4) | instskip(NEXT) | instid1(VALU_DEP_3)
	v_cvt_f16_f32_e32 v7, v10
	v_cvt_f16_f32_e32 v10, v4
	v_cndmask_b32_e64 v1, v1, -v1, vcc_lo
	v_add_co_u32 v4, vcc_lo, v3, v0
	v_add_co_ci_u32_e32 v5, vcc_lo, 0, v5, vcc_lo
	s_delay_alu instid0(VALU_DEP_3) | instskip(SKIP_3) | instid1(VALU_DEP_4)
	v_cvt_f16_f32_e32 v12, v1
	v_pack_b32_f16 v1, v11, v6
	v_pack_b32_f16 v2, v2, v7
	;; [unrolled: 1-line block ×4, first 2 shown]
	global_store_b128 v[4:5], v[0:3], off
	s_nop 0
	s_sendmsg sendmsg(MSG_DEALLOC_VGPRS)
	s_endpgm
	.section	.rodata,"a",@progbits
	.p2align	6, 0x0
	.amdhsa_kernel _ZL24dequantize_block_iq3_xxsIN3c104HalfEEvPKvPT_
		.amdhsa_group_segment_fixed_size 0
		.amdhsa_private_segment_fixed_size 0
		.amdhsa_kernarg_size 16
		.amdhsa_user_sgpr_count 15
		.amdhsa_user_sgpr_dispatch_ptr 0
		.amdhsa_user_sgpr_queue_ptr 0
		.amdhsa_user_sgpr_kernarg_segment_ptr 1
		.amdhsa_user_sgpr_dispatch_id 0
		.amdhsa_user_sgpr_private_segment_size 0
		.amdhsa_wavefront_size32 1
		.amdhsa_uses_dynamic_stack 0
		.amdhsa_enable_private_segment 0
		.amdhsa_system_sgpr_workgroup_id_x 1
		.amdhsa_system_sgpr_workgroup_id_y 0
		.amdhsa_system_sgpr_workgroup_id_z 0
		.amdhsa_system_sgpr_workgroup_info 0
		.amdhsa_system_vgpr_workitem_id 0
		.amdhsa_next_free_vgpr 20
		.amdhsa_next_free_sgpr 16
		.amdhsa_reserve_vcc 1
		.amdhsa_float_round_mode_32 0
		.amdhsa_float_round_mode_16_64 0
		.amdhsa_float_denorm_mode_32 3
		.amdhsa_float_denorm_mode_16_64 3
		.amdhsa_dx10_clamp 1
		.amdhsa_ieee_mode 1
		.amdhsa_fp16_overflow 0
		.amdhsa_workgroup_processor_mode 1
		.amdhsa_memory_ordered 1
		.amdhsa_forward_progress 0
		.amdhsa_shared_vgpr_count 0
		.amdhsa_exception_fp_ieee_invalid_op 0
		.amdhsa_exception_fp_denorm_src 0
		.amdhsa_exception_fp_ieee_div_zero 0
		.amdhsa_exception_fp_ieee_overflow 0
		.amdhsa_exception_fp_ieee_underflow 0
		.amdhsa_exception_fp_ieee_inexact 0
		.amdhsa_exception_int_div_zero 0
	.end_amdhsa_kernel
	.section	.text._ZL24dequantize_block_iq3_xxsIN3c104HalfEEvPKvPT_,"axG",@progbits,_ZL24dequantize_block_iq3_xxsIN3c104HalfEEvPKvPT_,comdat
.Lfunc_end31:
	.size	_ZL24dequantize_block_iq3_xxsIN3c104HalfEEvPKvPT_, .Lfunc_end31-_ZL24dequantize_block_iq3_xxsIN3c104HalfEEvPKvPT_
                                        ; -- End function
	.section	.AMDGPU.csdata,"",@progbits
; Kernel info:
; codeLenInByte = 644
; NumSgprs: 18
; NumVgprs: 20
; ScratchSize: 0
; MemoryBound: 0
; FloatMode: 240
; IeeeMode: 1
; LDSByteSize: 0 bytes/workgroup (compile time only)
; SGPRBlocks: 2
; VGPRBlocks: 2
; NumSGPRsForWavesPerEU: 18
; NumVGPRsForWavesPerEU: 20
; Occupancy: 16
; WaveLimiterHint : 0
; COMPUTE_PGM_RSRC2:SCRATCH_EN: 0
; COMPUTE_PGM_RSRC2:USER_SGPR: 15
; COMPUTE_PGM_RSRC2:TRAP_HANDLER: 0
; COMPUTE_PGM_RSRC2:TGID_X_EN: 1
; COMPUTE_PGM_RSRC2:TGID_Y_EN: 0
; COMPUTE_PGM_RSRC2:TGID_Z_EN: 0
; COMPUTE_PGM_RSRC2:TIDIG_COMP_CNT: 0
	.section	.text._ZL22dequantize_block_iq1_sIN3c104HalfEEvPKvPT_,"axG",@progbits,_ZL22dequantize_block_iq1_sIN3c104HalfEEvPKvPT_,comdat
	.globl	_ZL22dequantize_block_iq1_sIN3c104HalfEEvPKvPT_ ; -- Begin function _ZL22dequantize_block_iq1_sIN3c104HalfEEvPKvPT_
	.p2align	8
	.type	_ZL22dequantize_block_iq1_sIN3c104HalfEEvPKvPT_,@function
_ZL22dequantize_block_iq1_sIN3c104HalfEEvPKvPT_: ; @_ZL22dequantize_block_iq1_sIN3c104HalfEEvPKvPT_
; %bb.0:
	s_load_b128 s[0:3], s[0:1], 0x0
	v_and_b32_e32 v3, 7, v0
	s_mov_b32 s4, s15
	s_mov_b32 s5, 0
	v_lshrrev_b32_e32 v4, 3, v0
	s_lshl_b64 s[6:7], s[4:5], 9
	s_mul_i32 s4, s15, 50
	v_lshlrev_b32_e32 v1, 1, v3
	s_mul_hi_u32 s5, s15, 50
	v_lshlrev_b32_e32 v2, 2, v3
	v_and_b32_e32 v0, 0x3f8, v0
	s_delay_alu instid0(VALU_DEP_1)
	v_lshlrev_b32_e32 v7, 1, v0
	s_waitcnt lgkmcnt(0)
	s_add_u32 s2, s2, s6
	s_addc_u32 s3, s3, s7
	s_add_u32 s0, s0, s4
	s_addc_u32 s1, s1, s5
	global_load_u16 v5, v1, s[0:1] offset:34
	v_add_co_u32 v1, s4, v2, v4
	s_delay_alu instid0(VALU_DEP_1) | instskip(SKIP_1) | instid1(VALU_DEP_3)
	v_add_co_ci_u32_e64 v2, null, 0, 0, s4
	v_mul_u32_u24_e32 v4, 3, v4
	v_add_co_u32 v1, vcc_lo, s0, v1
	s_delay_alu instid0(VALU_DEP_3)
	v_add_co_ci_u32_e32 v2, vcc_lo, s1, v2, vcc_lo
	global_load_u8 v1, v[1:2], off offset:2
	v_dual_mov_b32 v2, 0 :: v_dual_lshlrev_b32 v3, 6, v3
	global_load_u16 v2, v2, s[0:1]
	s_getpc_b64 s[0:1]
	s_add_u32 s0, s0, _ZL13iq1s_grid_gpu@rel32@lo+4
	s_addc_u32 s1, s1, _ZL13iq1s_grid_gpu@rel32@hi+12
	s_waitcnt vmcnt(2)
	v_and_b32_e32 v6, 0xffff, v5
	v_cmp_lt_i16_e32 vcc_lo, -1, v5
	s_delay_alu instid0(VALU_DEP_2) | instskip(SKIP_1) | instid1(VALU_DEP_2)
	v_lshrrev_b32_e32 v4, v4, v6
	v_mov_b32_e32 v6, 0xbf600000
	v_lshlrev_b32_e32 v4, 8, v4
	s_waitcnt vmcnt(1)
	s_delay_alu instid0(VALU_DEP_1) | instskip(SKIP_3) | instid1(VALU_DEP_2)
	v_and_or_b32 v1, 0x700, v4, v1
	v_lshrrev_b16 v4, 11, v5
	s_waitcnt vmcnt(0)
	v_cvt_f32_f16_e32 v0, v2
	v_and_b32_e32 v4, 14, v4
	s_delay_alu instid0(VALU_DEP_1) | instskip(NEXT) | instid1(VALU_DEP_1)
	v_or_b32_e32 v4, 1, v4
	v_cvt_f32_ubyte0_e32 v2, v4
	v_lshlrev_b32_e32 v1, 3, v1
	global_load_b32 v1, v1, s[0:1]
	v_add_co_u32 v4, s0, s2, v3
	v_cndmask_b32_e32 v3, 0xbf900000, v6, vcc_lo
	v_mul_f32_e32 v6, v0, v2
	v_add_co_ci_u32_e64 v8, null, s3, 0, s0
	s_waitcnt vmcnt(0)
	v_and_b32_e32 v2, 15, v1
	v_bfe_u32 v5, v1, 8, 4
	v_bfe_u32 v9, v1, 16, 4
	;; [unrolled: 1-line block ×4, first 2 shown]
	v_and_b32_e32 v0, 0xf0f0f0f, v1
	v_bfe_u32 v11, v1, 12, 4
	v_lshrrev_b32_e32 v1, 28, v1
	v_cvt_f32_ubyte0_e32 v2, v2
	v_cvt_f32_ubyte0_e32 v5, v5
	;; [unrolled: 1-line block ×6, first 2 shown]
	v_cvt_f32_ubyte3_e32 v0, v0
	v_cvt_f32_ubyte0_e32 v1, v1
	v_add_f32_e32 v2, v3, v2
	v_add_f32_e32 v13, v3, v5
	;; [unrolled: 1-line block ×8, first 2 shown]
	v_fma_mixlo_f16 v0, v6, v2, 0
	v_fma_mixlo_f16 v1, v6, v5, 0
	;; [unrolled: 1-line block ×4, first 2 shown]
	v_add_co_u32 v4, vcc_lo, v4, v7
	v_add_co_ci_u32_e32 v5, vcc_lo, 0, v8, vcc_lo
	s_delay_alu instid0(VALU_DEP_3)
	v_fma_mixhi_f16 v3, v6, v12, 0
	v_fma_mixhi_f16 v2, v6, v11, 0
	v_fma_mixhi_f16 v1, v6, v14, 0
	v_fma_mixhi_f16 v0, v6, v13, 0
	global_store_b128 v[4:5], v[0:3], off
	s_nop 0
	s_sendmsg sendmsg(MSG_DEALLOC_VGPRS)
	s_endpgm
	.section	.rodata,"a",@progbits
	.p2align	6, 0x0
	.amdhsa_kernel _ZL22dequantize_block_iq1_sIN3c104HalfEEvPKvPT_
		.amdhsa_group_segment_fixed_size 0
		.amdhsa_private_segment_fixed_size 0
		.amdhsa_kernarg_size 16
		.amdhsa_user_sgpr_count 15
		.amdhsa_user_sgpr_dispatch_ptr 0
		.amdhsa_user_sgpr_queue_ptr 0
		.amdhsa_user_sgpr_kernarg_segment_ptr 1
		.amdhsa_user_sgpr_dispatch_id 0
		.amdhsa_user_sgpr_private_segment_size 0
		.amdhsa_wavefront_size32 1
		.amdhsa_uses_dynamic_stack 0
		.amdhsa_enable_private_segment 0
		.amdhsa_system_sgpr_workgroup_id_x 1
		.amdhsa_system_sgpr_workgroup_id_y 0
		.amdhsa_system_sgpr_workgroup_id_z 0
		.amdhsa_system_sgpr_workgroup_info 0
		.amdhsa_system_vgpr_workitem_id 0
		.amdhsa_next_free_vgpr 15
		.amdhsa_next_free_sgpr 16
		.amdhsa_reserve_vcc 1
		.amdhsa_float_round_mode_32 0
		.amdhsa_float_round_mode_16_64 0
		.amdhsa_float_denorm_mode_32 3
		.amdhsa_float_denorm_mode_16_64 3
		.amdhsa_dx10_clamp 1
		.amdhsa_ieee_mode 1
		.amdhsa_fp16_overflow 0
		.amdhsa_workgroup_processor_mode 1
		.amdhsa_memory_ordered 1
		.amdhsa_forward_progress 0
		.amdhsa_shared_vgpr_count 0
		.amdhsa_exception_fp_ieee_invalid_op 0
		.amdhsa_exception_fp_denorm_src 0
		.amdhsa_exception_fp_ieee_div_zero 0
		.amdhsa_exception_fp_ieee_overflow 0
		.amdhsa_exception_fp_ieee_underflow 0
		.amdhsa_exception_fp_ieee_inexact 0
		.amdhsa_exception_int_div_zero 0
	.end_amdhsa_kernel
	.section	.text._ZL22dequantize_block_iq1_sIN3c104HalfEEvPKvPT_,"axG",@progbits,_ZL22dequantize_block_iq1_sIN3c104HalfEEvPKvPT_,comdat
.Lfunc_end32:
	.size	_ZL22dequantize_block_iq1_sIN3c104HalfEEvPKvPT_, .Lfunc_end32-_ZL22dequantize_block_iq1_sIN3c104HalfEEvPKvPT_
                                        ; -- End function
	.section	.AMDGPU.csdata,"",@progbits
; Kernel info:
; codeLenInByte = 524
; NumSgprs: 18
; NumVgprs: 15
; ScratchSize: 0
; MemoryBound: 0
; FloatMode: 240
; IeeeMode: 1
; LDSByteSize: 0 bytes/workgroup (compile time only)
; SGPRBlocks: 2
; VGPRBlocks: 1
; NumSGPRsForWavesPerEU: 18
; NumVGPRsForWavesPerEU: 15
; Occupancy: 16
; WaveLimiterHint : 0
; COMPUTE_PGM_RSRC2:SCRATCH_EN: 0
; COMPUTE_PGM_RSRC2:USER_SGPR: 15
; COMPUTE_PGM_RSRC2:TRAP_HANDLER: 0
; COMPUTE_PGM_RSRC2:TGID_X_EN: 1
; COMPUTE_PGM_RSRC2:TGID_Y_EN: 0
; COMPUTE_PGM_RSRC2:TGID_Z_EN: 0
; COMPUTE_PGM_RSRC2:TIDIG_COMP_CNT: 0
	.section	.text._ZL23dequantize_block_iq4_nlIN3c104HalfEEvPKvPT_,"axG",@progbits,_ZL23dequantize_block_iq4_nlIN3c104HalfEEvPKvPT_,comdat
	.globl	_ZL23dequantize_block_iq4_nlIN3c104HalfEEvPKvPT_ ; -- Begin function _ZL23dequantize_block_iq4_nlIN3c104HalfEEvPKvPT_
	.p2align	8
	.type	_ZL23dequantize_block_iq4_nlIN3c104HalfEEvPKvPT_,@function
_ZL23dequantize_block_iq4_nlIN3c104HalfEEvPKvPT_: ; @_ZL23dequantize_block_iq4_nlIN3c104HalfEEvPKvPT_
; %bb.0:
	s_load_b128 s[0:3], s[0:1], 0x0
	s_lshl_b32 s4, s15, 3
	s_mul_i32 s5, s15, 0x90
	v_and_b32_e32 v4, 7, v0
	s_mul_hi_u32 s4, s4, 18
	v_lshrrev_b32_e32 v2, 1, v0
	s_delay_alu instid0(VALU_DEP_1) | instskip(SKIP_3) | instid1(SALU_CYCLE_1)
	v_and_b32_e32 v5, 0x1fc, v2
	s_waitcnt lgkmcnt(0)
	s_add_u32 s0, s0, s5
	s_addc_u32 s1, s1, s4
	v_mad_u64_u32 v[0:1], null, v4, 18, s[0:1]
	s_mov_b32 s1, 0
	s_lshl_b32 s0, s15, 8
	s_delay_alu instid0(SALU_CYCLE_1) | instskip(NEXT) | instid1(SALU_CYCLE_1)
	s_lshl_b64 s[0:1], s[0:1], 1
	s_add_u32 s2, s2, s0
	s_delay_alu instid0(VALU_DEP_1) | instskip(NEXT) | instid1(VALU_DEP_2)
	v_add_co_u32 v2, vcc_lo, v0, v5
	v_add_co_ci_u32_e32 v3, vcc_lo, 0, v1, vcc_lo
	s_addc_u32 s3, s3, s1
	s_getpc_b64 s[0:1]
	s_add_u32 s0, s0, _ZL13kvalues_iq4nl@rel32@lo+4
	s_addc_u32 s1, s1, _ZL13kvalues_iq4nl@rel32@hi+12
	s_clause 0x1
	global_load_u16 v6, v[0:1], off
	global_load_b32 v2, v[2:3], off offset:2
	s_waitcnt vmcnt(0)
	v_lshrrev_b16 v0, 4, v2
	v_lshrrev_b32_e32 v1, 8, v2
	v_lshrrev_b32_e32 v3, 24, v2
	v_and_b32_e32 v7, 15, v2
	v_bfe_u32 v8, v2, 8, 4
	v_and_b32_e32 v0, 15, v0
	v_lshrrev_b16 v1, 4, v1
	v_lshrrev_b16 v3, 4, v3
	v_bfe_u32 v9, v2, 16, 4
	v_bfe_u32 v10, v2, 20, 4
	v_and_b32_e32 v0, 0xffff, v0
	v_and_b32_e32 v11, 15, v1
	v_bfe_u32 v12, v2, 24, 4
	v_and_b32_e32 v2, 0xffff, v3
	s_delay_alu instid0(VALU_DEP_4) | instskip(NEXT) | instid1(VALU_DEP_1)
	v_add_co_u32 v0, s4, v0, s0
	v_add_co_ci_u32_e64 v1, null, 0, s1, s4
	v_and_b32_e32 v3, 0xffff, v11
	s_clause 0x2
	global_load_i8 v7, v7, s[0:1]
	global_load_i8 v11, v[0:1], off
	global_load_i8 v8, v8, s[0:1]
	v_add_co_u32 v0, s4, v3, s0
	s_delay_alu instid0(VALU_DEP_1) | instskip(SKIP_1) | instid1(VALU_DEP_1)
	v_add_co_ci_u32_e64 v1, null, 0, s1, s4
	v_add_co_u32 v2, s4, v2, s0
	v_add_co_ci_u32_e64 v3, null, 0, s1, s4
	s_clause 0x4
	global_load_i8 v9, v9, s[0:1]
	global_load_i8 v10, v10, s[0:1]
	global_load_i8 v1, v[0:1], off
	global_load_i8 v12, v12, s[0:1]
	global_load_i8 v3, v[2:3], off
	v_lshlrev_b32_e32 v0, 6, v4
	v_lshlrev_b32_e32 v4, 1, v5
	s_waitcnt vmcnt(7)
	v_cvt_f32_i32_e32 v2, v7
	s_waitcnt vmcnt(6)
	v_cvt_f32_i32_e32 v5, v11
	v_add_co_u32 v7, s0, s2, v0
	s_delay_alu instid0(VALU_DEP_1) | instskip(SKIP_1) | instid1(VALU_DEP_4)
	v_add_co_ci_u32_e64 v11, null, s3, 0, s0
	v_fma_mixlo_f16 v0, v6, v2, 0 op_sel_hi:[1,0,0]
	v_fma_mixlo_f16 v2, v6, v5, 0 op_sel_hi:[1,0,0]
	s_waitcnt vmcnt(5)
	v_cvt_f32_i32_e32 v8, v8
	s_waitcnt vmcnt(4)
	v_cvt_f32_i32_e32 v5, v9
	;; [unrolled: 2-line block ×6, first 2 shown]
	v_fma_mixlo_f16 v1, v6, v5, 0 op_sel_hi:[1,0,0]
	v_fma_mixlo_f16 v3, v6, v9, 0 op_sel_hi:[1,0,0]
	v_add_co_u32 v4, vcc_lo, v7, v4
	v_add_co_ci_u32_e32 v5, vcc_lo, 0, v11, vcc_lo
	v_fma_mixhi_f16 v0, v6, v8, 0 op_sel_hi:[1,0,0]
	v_fma_mixhi_f16 v1, v6, v12, 0 op_sel_hi:[1,0,0]
	;; [unrolled: 1-line block ×4, first 2 shown]
	s_clause 0x1
	global_store_b64 v[4:5], v[0:1], off
	global_store_b64 v[4:5], v[2:3], off offset:32
	s_nop 0
	s_sendmsg sendmsg(MSG_DEALLOC_VGPRS)
	s_endpgm
	.section	.rodata,"a",@progbits
	.p2align	6, 0x0
	.amdhsa_kernel _ZL23dequantize_block_iq4_nlIN3c104HalfEEvPKvPT_
		.amdhsa_group_segment_fixed_size 0
		.amdhsa_private_segment_fixed_size 0
		.amdhsa_kernarg_size 16
		.amdhsa_user_sgpr_count 15
		.amdhsa_user_sgpr_dispatch_ptr 0
		.amdhsa_user_sgpr_queue_ptr 0
		.amdhsa_user_sgpr_kernarg_segment_ptr 1
		.amdhsa_user_sgpr_dispatch_id 0
		.amdhsa_user_sgpr_private_segment_size 0
		.amdhsa_wavefront_size32 1
		.amdhsa_uses_dynamic_stack 0
		.amdhsa_enable_private_segment 0
		.amdhsa_system_sgpr_workgroup_id_x 1
		.amdhsa_system_sgpr_workgroup_id_y 0
		.amdhsa_system_sgpr_workgroup_id_z 0
		.amdhsa_system_sgpr_workgroup_info 0
		.amdhsa_system_vgpr_workitem_id 0
		.amdhsa_next_free_vgpr 14
		.amdhsa_next_free_sgpr 16
		.amdhsa_reserve_vcc 1
		.amdhsa_float_round_mode_32 0
		.amdhsa_float_round_mode_16_64 0
		.amdhsa_float_denorm_mode_32 3
		.amdhsa_float_denorm_mode_16_64 3
		.amdhsa_dx10_clamp 1
		.amdhsa_ieee_mode 1
		.amdhsa_fp16_overflow 0
		.amdhsa_workgroup_processor_mode 1
		.amdhsa_memory_ordered 1
		.amdhsa_forward_progress 0
		.amdhsa_shared_vgpr_count 0
		.amdhsa_exception_fp_ieee_invalid_op 0
		.amdhsa_exception_fp_denorm_src 0
		.amdhsa_exception_fp_ieee_div_zero 0
		.amdhsa_exception_fp_ieee_overflow 0
		.amdhsa_exception_fp_ieee_underflow 0
		.amdhsa_exception_fp_ieee_inexact 0
		.amdhsa_exception_int_div_zero 0
	.end_amdhsa_kernel
	.section	.text._ZL23dequantize_block_iq4_nlIN3c104HalfEEvPKvPT_,"axG",@progbits,_ZL23dequantize_block_iq4_nlIN3c104HalfEEvPKvPT_,comdat
.Lfunc_end33:
	.size	_ZL23dequantize_block_iq4_nlIN3c104HalfEEvPKvPT_, .Lfunc_end33-_ZL23dequantize_block_iq4_nlIN3c104HalfEEvPKvPT_
                                        ; -- End function
	.section	.AMDGPU.csdata,"",@progbits
; Kernel info:
; codeLenInByte = 576
; NumSgprs: 18
; NumVgprs: 14
; ScratchSize: 0
; MemoryBound: 0
; FloatMode: 240
; IeeeMode: 1
; LDSByteSize: 0 bytes/workgroup (compile time only)
; SGPRBlocks: 2
; VGPRBlocks: 1
; NumSGPRsForWavesPerEU: 18
; NumVGPRsForWavesPerEU: 14
; Occupancy: 16
; WaveLimiterHint : 0
; COMPUTE_PGM_RSRC2:SCRATCH_EN: 0
; COMPUTE_PGM_RSRC2:USER_SGPR: 15
; COMPUTE_PGM_RSRC2:TRAP_HANDLER: 0
; COMPUTE_PGM_RSRC2:TGID_X_EN: 1
; COMPUTE_PGM_RSRC2:TGID_Y_EN: 0
; COMPUTE_PGM_RSRC2:TGID_Z_EN: 0
; COMPUTE_PGM_RSRC2:TIDIG_COMP_CNT: 0
	.section	.text._ZL22dequantize_block_iq3_sIN3c104HalfEEvPKvPT_,"axG",@progbits,_ZL22dequantize_block_iq3_sIN3c104HalfEEvPKvPT_,comdat
	.globl	_ZL22dequantize_block_iq3_sIN3c104HalfEEvPKvPT_ ; -- Begin function _ZL22dequantize_block_iq3_sIN3c104HalfEEvPKvPT_
	.p2align	8
	.type	_ZL22dequantize_block_iq3_sIN3c104HalfEEvPKvPT_,@function
_ZL22dequantize_block_iq3_sIN3c104HalfEEvPKvPT_: ; @_ZL22dequantize_block_iq3_sIN3c104HalfEEvPKvPT_
; %bb.0:
	s_load_b128 s[0:3], s[0:1], 0x0
	v_and_b32_e32 v3, 7, v0
	s_mov_b32 s5, 0
	s_lshl_b32 s4, s15, 8
	v_lshrrev_b32_e32 v4, 3, v0
	s_lshl_b64 s[4:5], s[4:5], 1
	v_lshlrev_b32_e32 v1, 3, v3
	s_mul_hi_u32 s6, s15, 0x6e
	s_mulk_i32 s15, 0x6e
	v_lshlrev_b32_e32 v5, 1, v4
	v_lshl_add_u32 v4, v3, 2, v4
	s_delay_alu instid0(VALU_DEP_2)
	v_sub_nc_u32_e32 v8, 8, v5
	s_waitcnt lgkmcnt(0)
	s_add_u32 s2, s2, s4
	s_addc_u32 s3, s3, s5
	s_add_u32 s0, s0, s15
	s_addc_u32 s1, s1, s6
	v_add_co_u32 v1, s4, s0, v1
	s_delay_alu instid0(VALU_DEP_1) | instskip(NEXT) | instid1(VALU_DEP_2)
	v_add_co_ci_u32_e64 v2, null, s1, 0, s4
	v_add_co_u32 v1, vcc_lo, v1, v5
	s_delay_alu instid0(VALU_DEP_2)
	v_add_co_ci_u32_e32 v2, vcc_lo, 0, v2, vcc_lo
	v_sub_nc_u32_e32 v5, 7, v5
	s_clause 0x1
	global_load_u8 v6, v3, s[0:1] offset:66
	global_load_u16 v1, v[1:2], off offset:2
	v_mov_b32_e32 v7, 0
	v_bfe_u32 v2, v0, 1, 2
	global_load_u8 v2, v2, s[0:1] offset:106
	s_waitcnt vmcnt(2)
	v_lshlrev_b32_e32 v8, v8, v6
	s_waitcnt vmcnt(1)
	v_and_b32_e32 v9, 0xff, v1
	v_lshrrev_b16 v1, 8, v1
	v_lshlrev_b32_e32 v5, v5, v6
	s_clause 0x1
	global_load_i8 v4, v4, s[0:1] offset:74
	global_load_u16 v7, v7, s[0:1]
	s_getpc_b64 s[0:1]
	s_add_u32 s0, s0, _ZL10iq3xs_grid@rel32@lo+4
	s_addc_u32 s1, s1, _ZL10iq3xs_grid@rel32@hi+12
	v_and_or_b32 v6, 0x100, v8, v9
	v_and_b32_e32 v1, 0xffff, v1
	s_delay_alu instid0(VALU_DEP_2) | instskip(NEXT) | instid1(VALU_DEP_2)
	v_lshlrev_b32_e32 v6, 2, v6
	v_and_or_b32 v1, 0x100, v5, v1
	global_load_b32 v5, v6, s[0:1]
	v_lshlrev_b32_e32 v1, 2, v1
	global_load_b32 v1, v1, s[0:1]
	s_waitcnt vmcnt(3)
	v_and_b32_e32 v11, 4, v4
	v_and_b32_e32 v14, 8, v4
	;; [unrolled: 1-line block ×5, first 2 shown]
	s_waitcnt vmcnt(1)
	v_cvt_f32_ubyte1_e32 v15, v5
	v_lshlrev_b32_e32 v6, 2, v0
	v_cvt_f32_ubyte0_e32 v13, v5
	v_cvt_f32_ubyte2_e32 v16, v5
	v_cvt_f32_ubyte3_e32 v5, v5
	s_delay_alu instid0(VALU_DEP_4)
	v_and_b32_e32 v6, 4, v6
	s_waitcnt vmcnt(0)
	v_cvt_f32_ubyte0_e32 v17, v1
	v_cvt_f32_ubyte1_e32 v18, v1
	v_cvt_f32_ubyte2_e32 v19, v1
	v_cvt_f32_ubyte3_e32 v1, v1
	v_bfe_u32 v2, v2, v6, 4
	v_cvt_f32_f16_e32 v6, v7
	s_delay_alu instid0(VALU_DEP_2) | instskip(NEXT) | instid1(VALU_DEP_1)
	v_cvt_f32_ubyte0_e32 v2, v2
	v_dual_add_f32 v2, 0.5, v2 :: v_dual_lshlrev_b32 v3, 6, v3
	s_delay_alu instid0(VALU_DEP_1) | instskip(SKIP_1) | instid1(VALU_DEP_3)
	v_mul_f32_e32 v2, v2, v6
	v_and_b32_e32 v6, 2, v4
	v_add_co_u32 v3, s0, s2, v3
	s_delay_alu instid0(VALU_DEP_1) | instskip(NEXT) | instid1(VALU_DEP_4)
	v_add_co_ci_u32_e64 v7, null, s3, 0, s0
	v_mul_f32_e32 v2, 0.5, v2
	v_and_b32_e32 v8, 1, v4
	s_delay_alu instid0(VALU_DEP_2) | instskip(SKIP_1) | instid1(VALU_DEP_3)
	v_dual_mul_f32 v13, v2, v13 :: v_dual_and_b32 v0, 0x3f8, v0
	v_mul_f32_e32 v1, v2, v1
	v_cmp_eq_u16_e32 vcc_lo, 0, v8
	v_mul_f32_e32 v15, v2, v15
	v_mul_f32_e32 v16, v2, v16
	;; [unrolled: 1-line block ×3, first 2 shown]
	v_cndmask_b32_e64 v8, -v13, v13, vcc_lo
	v_mul_f32_e32 v13, v2, v17
	v_cmp_eq_u16_e32 vcc_lo, 0, v6
	v_lshlrev_b32_e32 v0, 1, v0
	s_delay_alu instid0(VALU_DEP_4) | instskip(SKIP_3) | instid1(VALU_DEP_3)
	v_cvt_f16_f32_e32 v8, v8
	v_cndmask_b32_e64 v6, -v15, v15, vcc_lo
	v_mul_f32_e32 v15, v2, v18
	v_cmp_eq_u16_e32 vcc_lo, 0, v11
	v_cvt_f16_f32_e32 v6, v6
	v_cndmask_b32_e64 v11, -v16, v16, vcc_lo
	v_cmp_eq_u16_e32 vcc_lo, 0, v14
	v_mul_f32_e32 v16, v2, v19
	v_cndmask_b32_e64 v5, -v5, v5, vcc_lo
	v_cmp_eq_u16_e32 vcc_lo, 0, v9
	v_cndmask_b32_e64 v2, -v13, v13, vcc_lo
	v_cmp_eq_u16_e32 vcc_lo, 0, v10
	v_cvt_f16_f32_e32 v10, v11
	s_delay_alu instid0(VALU_DEP_3) | instskip(SKIP_3) | instid1(VALU_DEP_3)
	v_cvt_f16_f32_e32 v2, v2
	v_cndmask_b32_e64 v9, -v15, v15, vcc_lo
	v_cmp_eq_u16_e32 vcc_lo, 0, v12
	v_cvt_f16_f32_e32 v12, v5
	v_cvt_f16_f32_e32 v9, v9
	v_cndmask_b32_e64 v11, -v16, v16, vcc_lo
	v_cmp_gt_i16_e32 vcc_lo, 0, v4
	s_delay_alu instid0(VALU_DEP_3) | instskip(NEXT) | instid1(VALU_DEP_3)
	v_pack_b32_f16 v2, v2, v9
	v_cvt_f16_f32_e32 v11, v11
	v_cndmask_b32_e64 v1, v1, -v1, vcc_lo
	v_add_co_u32 v4, vcc_lo, v3, v0
	v_add_co_ci_u32_e32 v5, vcc_lo, 0, v7, vcc_lo
	s_delay_alu instid0(VALU_DEP_3) | instskip(SKIP_2) | instid1(VALU_DEP_3)
	v_cvt_f16_f32_e32 v13, v1
	v_pack_b32_f16 v1, v10, v12
	v_pack_b32_f16 v0, v8, v6
	;; [unrolled: 1-line block ×3, first 2 shown]
	global_store_b128 v[4:5], v[0:3], off
	s_nop 0
	s_sendmsg sendmsg(MSG_DEALLOC_VGPRS)
	s_endpgm
	.section	.rodata,"a",@progbits
	.p2align	6, 0x0
	.amdhsa_kernel _ZL22dequantize_block_iq3_sIN3c104HalfEEvPKvPT_
		.amdhsa_group_segment_fixed_size 0
		.amdhsa_private_segment_fixed_size 0
		.amdhsa_kernarg_size 16
		.amdhsa_user_sgpr_count 15
		.amdhsa_user_sgpr_dispatch_ptr 0
		.amdhsa_user_sgpr_queue_ptr 0
		.amdhsa_user_sgpr_kernarg_segment_ptr 1
		.amdhsa_user_sgpr_dispatch_id 0
		.amdhsa_user_sgpr_private_segment_size 0
		.amdhsa_wavefront_size32 1
		.amdhsa_uses_dynamic_stack 0
		.amdhsa_enable_private_segment 0
		.amdhsa_system_sgpr_workgroup_id_x 1
		.amdhsa_system_sgpr_workgroup_id_y 0
		.amdhsa_system_sgpr_workgroup_id_z 0
		.amdhsa_system_sgpr_workgroup_info 0
		.amdhsa_system_vgpr_workitem_id 0
		.amdhsa_next_free_vgpr 20
		.amdhsa_next_free_sgpr 16
		.amdhsa_reserve_vcc 1
		.amdhsa_float_round_mode_32 0
		.amdhsa_float_round_mode_16_64 0
		.amdhsa_float_denorm_mode_32 3
		.amdhsa_float_denorm_mode_16_64 3
		.amdhsa_dx10_clamp 1
		.amdhsa_ieee_mode 1
		.amdhsa_fp16_overflow 0
		.amdhsa_workgroup_processor_mode 1
		.amdhsa_memory_ordered 1
		.amdhsa_forward_progress 0
		.amdhsa_shared_vgpr_count 0
		.amdhsa_exception_fp_ieee_invalid_op 0
		.amdhsa_exception_fp_denorm_src 0
		.amdhsa_exception_fp_ieee_div_zero 0
		.amdhsa_exception_fp_ieee_overflow 0
		.amdhsa_exception_fp_ieee_underflow 0
		.amdhsa_exception_fp_ieee_inexact 0
		.amdhsa_exception_int_div_zero 0
	.end_amdhsa_kernel
	.section	.text._ZL22dequantize_block_iq3_sIN3c104HalfEEvPKvPT_,"axG",@progbits,_ZL22dequantize_block_iq3_sIN3c104HalfEEvPKvPT_,comdat
.Lfunc_end34:
	.size	_ZL22dequantize_block_iq3_sIN3c104HalfEEvPKvPT_, .Lfunc_end34-_ZL22dequantize_block_iq3_sIN3c104HalfEEvPKvPT_
                                        ; -- End function
	.section	.AMDGPU.csdata,"",@progbits
; Kernel info:
; codeLenInByte = 696
; NumSgprs: 18
; NumVgprs: 20
; ScratchSize: 0
; MemoryBound: 0
; FloatMode: 240
; IeeeMode: 1
; LDSByteSize: 0 bytes/workgroup (compile time only)
; SGPRBlocks: 2
; VGPRBlocks: 2
; NumSGPRsForWavesPerEU: 18
; NumVGPRsForWavesPerEU: 20
; Occupancy: 16
; WaveLimiterHint : 0
; COMPUTE_PGM_RSRC2:SCRATCH_EN: 0
; COMPUTE_PGM_RSRC2:USER_SGPR: 15
; COMPUTE_PGM_RSRC2:TRAP_HANDLER: 0
; COMPUTE_PGM_RSRC2:TGID_X_EN: 1
; COMPUTE_PGM_RSRC2:TGID_Y_EN: 0
; COMPUTE_PGM_RSRC2:TGID_Z_EN: 0
; COMPUTE_PGM_RSRC2:TIDIG_COMP_CNT: 0
	.section	.text._ZL22dequantize_block_iq2_sIN3c104HalfEEvPKvPT_,"axG",@progbits,_ZL22dequantize_block_iq2_sIN3c104HalfEEvPKvPT_,comdat
	.globl	_ZL22dequantize_block_iq2_sIN3c104HalfEEvPKvPT_ ; -- Begin function _ZL22dequantize_block_iq2_sIN3c104HalfEEvPKvPT_
	.p2align	8
	.type	_ZL22dequantize_block_iq2_sIN3c104HalfEEvPKvPT_,@function
_ZL22dequantize_block_iq2_sIN3c104HalfEEvPKvPT_: ; @_ZL22dequantize_block_iq2_sIN3c104HalfEEvPKvPT_
; %bb.0:
	s_load_b128 s[0:3], s[0:1], 0x0
	v_dual_mov_b32 v8, 0 :: v_dual_and_b32 v3, 7, v0
	s_mov_b32 s5, 0
	s_lshl_b32 s4, s15, 8
	v_lshrrev_b32_e32 v1, 3, v0
	s_delay_alu instid0(VALU_DEP_2)
	v_lshlrev_b32_e32 v2, 2, v3
	s_lshl_b64 s[4:5], s[4:5], 1
	s_mul_hi_u32 s6, s15, 0x52
	s_mulk_i32 s15, 0x52
	v_lshlrev_b32_e32 v6, 1, v1
	v_add_nc_u32_e32 v4, v2, v1
	s_delay_alu instid0(VALU_DEP_2)
	v_sub_nc_u32_e32 v6, 8, v6
	s_waitcnt lgkmcnt(0)
	s_add_u32 s2, s2, s4
	s_addc_u32 s3, s3, s5
	s_add_u32 s0, s0, s15
	s_addc_u32 s1, s1, s6
	v_add_co_u32 v1, s4, v1, v2
	s_clause 0x1
	global_load_u8 v5, v3, s[0:1] offset:66
	global_load_u8 v4, v4, s[0:1] offset:2
	v_add_co_ci_u32_e64 v2, null, 0, 0, s4
	global_load_u8 v7, v3, s[0:1] offset:74
	s_add_u32 s4, s0, 2
	s_addc_u32 s5, s1, 0
	v_add_co_u32 v1, vcc_lo, s4, v1
	v_add_co_ci_u32_e32 v2, vcc_lo, s5, v2, vcc_lo
	s_clause 0x1
	global_load_i8 v9, v[1:2], off offset:32
	global_load_u16 v8, v8, s[0:1]
	s_getpc_b64 s[0:1]
	s_add_u32 s0, s0, _ZL9iq2s_grid@rel32@lo+4
	s_addc_u32 s1, s1, _ZL9iq2s_grid@rel32@hi+12
	s_waitcnt vmcnt(4)
	v_lshlrev_b32_e32 v1, v6, v5
	s_waitcnt vmcnt(3)
	s_delay_alu instid0(VALU_DEP_1) | instskip(SKIP_1) | instid1(VALU_DEP_1)
	v_and_or_b32 v1, 0x300, v1, v4
	v_lshrrev_b32_e32 v4, 2, v0
	v_and_b32_e32 v4, 0xfc, v4
	s_waitcnt vmcnt(1)
	v_and_b32_e32 v10, 4, v9
	s_waitcnt vmcnt(0)
	v_cvt_f32_f16_e32 v5, v8
	v_and_b32_e32 v8, 2, v9
	v_bfe_u32 v4, v7, v4, 4
	v_and_b32_e32 v12, 32, v9
	s_delay_alu instid0(VALU_DEP_2) | instskip(NEXT) | instid1(VALU_DEP_1)
	v_cvt_f32_ubyte0_e32 v4, v4
	v_dual_add_f32 v4, 0.5, v4 :: v_dual_lshlrev_b32 v3, 6, v3
	s_delay_alu instid0(VALU_DEP_1) | instskip(NEXT) | instid1(VALU_DEP_1)
	v_mul_f32_e32 v4, v4, v5
	v_dual_mul_f32 v4, 0x3e800000, v4 :: v_dual_lshlrev_b32 v1, 3, v1
	global_load_b64 v[1:2], v1, s[0:1]
	v_add_co_u32 v3, s0, s2, v3
	s_delay_alu instid0(VALU_DEP_1)
	v_add_co_ci_u32_e64 v6, null, s3, 0, s0
	s_waitcnt vmcnt(0)
	v_cvt_f32_ubyte0_e32 v14, v1
	v_and_b32_e32 v7, 1, v9
	v_cvt_f32_ubyte1_e32 v15, v1
	v_cvt_f32_ubyte2_e32 v16, v1
	v_cvt_f32_ubyte3_e32 v1, v1
	v_mul_f32_e32 v14, v4, v14
	v_cvt_f32_ubyte0_e32 v17, v2
	v_and_b32_e32 v0, 0x3f8, v0
	v_cvt_f32_ubyte1_e32 v18, v2
	v_cvt_f32_ubyte2_e32 v19, v2
	v_cvt_f32_ubyte3_e32 v2, v2
	v_mul_f32_e32 v17, v4, v17
	v_cmp_eq_u16_e32 vcc_lo, 0, v7
	s_delay_alu instid0(VALU_DEP_4)
	v_dual_mul_f32 v19, v4, v19 :: v_dual_lshlrev_b32 v0, 1, v0
	v_dual_mul_f32 v16, v4, v16 :: v_dual_and_b32 v5, 8, v9
	v_dual_mul_f32 v18, v4, v18 :: v_dual_and_b32 v11, 16, v9
	;; [unrolled: 1-line block ×3, first 2 shown]
	v_mul_f32_e32 v15, v4, v15
	v_mul_f32_e32 v1, v4, v1
	v_cndmask_b32_e64 v4, -v14, v14, vcc_lo
	v_cmp_eq_u16_e32 vcc_lo, 0, v8
	s_delay_alu instid0(VALU_DEP_4) | instskip(SKIP_1) | instid1(VALU_DEP_2)
	v_cndmask_b32_e64 v7, -v15, v15, vcc_lo
	v_cmp_eq_u16_e32 vcc_lo, 0, v10
	v_cvt_f16_f32_e32 v7, v7
	v_cndmask_b32_e64 v8, -v16, v16, vcc_lo
	v_cmp_eq_u16_e32 vcc_lo, 0, v5
	s_delay_alu instid0(VALU_DEP_2) | instskip(SKIP_2) | instid1(VALU_DEP_2)
	v_cvt_f16_f32_e32 v8, v8
	v_cndmask_b32_e64 v1, -v1, v1, vcc_lo
	v_cmp_eq_u16_e32 vcc_lo, 0, v11
	v_cvt_f16_f32_e32 v1, v1
	v_cndmask_b32_e64 v5, -v17, v17, vcc_lo
	v_cmp_eq_u16_e32 vcc_lo, 0, v12
	s_delay_alu instid0(VALU_DEP_3) | instskip(NEXT) | instid1(VALU_DEP_3)
	v_pack_b32_f16 v1, v8, v1
	v_cvt_f16_f32_e32 v12, v5
	v_cndmask_b32_e64 v10, -v18, v18, vcc_lo
	v_cmp_eq_u16_e32 vcc_lo, 0, v13
	s_delay_alu instid0(VALU_DEP_2) | instskip(SKIP_3) | instid1(VALU_DEP_3)
	v_cvt_f16_f32_e32 v10, v10
	v_cndmask_b32_e64 v11, -v19, v19, vcc_lo
	v_cmp_gt_i16_e32 vcc_lo, 0, v9
	v_cvt_f16_f32_e32 v9, v4
	v_cvt_f16_f32_e32 v11, v11
	v_cndmask_b32_e64 v2, v2, -v2, vcc_lo
	v_add_co_u32 v4, vcc_lo, v3, v0
	v_add_co_ci_u32_e32 v5, vcc_lo, 0, v6, vcc_lo
	s_delay_alu instid0(VALU_DEP_3) | instskip(SKIP_1) | instid1(VALU_DEP_2)
	v_cvt_f16_f32_e32 v2, v2
	v_pack_b32_f16 v0, v9, v7
	v_pack_b32_f16 v3, v11, v2
	;; [unrolled: 1-line block ×3, first 2 shown]
	global_store_b128 v[4:5], v[0:3], off
	s_nop 0
	s_sendmsg sendmsg(MSG_DEALLOC_VGPRS)
	s_endpgm
	.section	.rodata,"a",@progbits
	.p2align	6, 0x0
	.amdhsa_kernel _ZL22dequantize_block_iq2_sIN3c104HalfEEvPKvPT_
		.amdhsa_group_segment_fixed_size 0
		.amdhsa_private_segment_fixed_size 0
		.amdhsa_kernarg_size 16
		.amdhsa_user_sgpr_count 15
		.amdhsa_user_sgpr_dispatch_ptr 0
		.amdhsa_user_sgpr_queue_ptr 0
		.amdhsa_user_sgpr_kernarg_segment_ptr 1
		.amdhsa_user_sgpr_dispatch_id 0
		.amdhsa_user_sgpr_private_segment_size 0
		.amdhsa_wavefront_size32 1
		.amdhsa_uses_dynamic_stack 0
		.amdhsa_enable_private_segment 0
		.amdhsa_system_sgpr_workgroup_id_x 1
		.amdhsa_system_sgpr_workgroup_id_y 0
		.amdhsa_system_sgpr_workgroup_id_z 0
		.amdhsa_system_sgpr_workgroup_info 0
		.amdhsa_system_vgpr_workitem_id 0
		.amdhsa_next_free_vgpr 20
		.amdhsa_next_free_sgpr 16
		.amdhsa_reserve_vcc 1
		.amdhsa_float_round_mode_32 0
		.amdhsa_float_round_mode_16_64 0
		.amdhsa_float_denorm_mode_32 3
		.amdhsa_float_denorm_mode_16_64 3
		.amdhsa_dx10_clamp 1
		.amdhsa_ieee_mode 1
		.amdhsa_fp16_overflow 0
		.amdhsa_workgroup_processor_mode 1
		.amdhsa_memory_ordered 1
		.amdhsa_forward_progress 0
		.amdhsa_shared_vgpr_count 0
		.amdhsa_exception_fp_ieee_invalid_op 0
		.amdhsa_exception_fp_denorm_src 0
		.amdhsa_exception_fp_ieee_div_zero 0
		.amdhsa_exception_fp_ieee_overflow 0
		.amdhsa_exception_fp_ieee_underflow 0
		.amdhsa_exception_fp_ieee_inexact 0
		.amdhsa_exception_int_div_zero 0
	.end_amdhsa_kernel
	.section	.text._ZL22dequantize_block_iq2_sIN3c104HalfEEvPKvPT_,"axG",@progbits,_ZL22dequantize_block_iq2_sIN3c104HalfEEvPKvPT_,comdat
.Lfunc_end35:
	.size	_ZL22dequantize_block_iq2_sIN3c104HalfEEvPKvPT_, .Lfunc_end35-_ZL22dequantize_block_iq2_sIN3c104HalfEEvPKvPT_
                                        ; -- End function
	.section	.AMDGPU.csdata,"",@progbits
; Kernel info:
; codeLenInByte = 640
; NumSgprs: 18
; NumVgprs: 20
; ScratchSize: 0
; MemoryBound: 0
; FloatMode: 240
; IeeeMode: 1
; LDSByteSize: 0 bytes/workgroup (compile time only)
; SGPRBlocks: 2
; VGPRBlocks: 2
; NumSGPRsForWavesPerEU: 18
; NumVGPRsForWavesPerEU: 20
; Occupancy: 16
; WaveLimiterHint : 0
; COMPUTE_PGM_RSRC2:SCRATCH_EN: 0
; COMPUTE_PGM_RSRC2:USER_SGPR: 15
; COMPUTE_PGM_RSRC2:TRAP_HANDLER: 0
; COMPUTE_PGM_RSRC2:TGID_X_EN: 1
; COMPUTE_PGM_RSRC2:TGID_Y_EN: 0
; COMPUTE_PGM_RSRC2:TGID_Z_EN: 0
; COMPUTE_PGM_RSRC2:TIDIG_COMP_CNT: 0
	.section	.text._ZL23dequantize_block_iq4_xsIN3c104HalfEEvPKvPT_,"axG",@progbits,_ZL23dequantize_block_iq4_xsIN3c104HalfEEvPKvPT_,comdat
	.globl	_ZL23dequantize_block_iq4_xsIN3c104HalfEEvPKvPT_ ; -- Begin function _ZL23dequantize_block_iq4_xsIN3c104HalfEEvPKvPT_
	.p2align	8
	.type	_ZL23dequantize_block_iq4_xsIN3c104HalfEEvPKvPT_,@function
_ZL23dequantize_block_iq4_xsIN3c104HalfEEvPKvPT_: ; @_ZL23dequantize_block_iq4_xsIN3c104HalfEEvPKvPT_
; %bb.0:
	s_load_b128 s[0:3], s[0:1], 0x0
	v_lshrrev_b32_e32 v1, 1, v0
	v_and_b32_e32 v5, 7, v0
	s_mov_b32 s5, 0
	s_lshl_b32 s4, s15, 8
	s_mul_hi_u32 s6, s15, 0x88
	s_lshl_b64 s[4:5], s[4:5], 1
	v_and_b32_e32 v6, 0x1fc, v1
	v_lshlrev_b32_e32 v1, 4, v5
	s_mulk_i32 s15, 0x88
	s_waitcnt lgkmcnt(0)
	s_add_u32 s2, s2, s4
	s_addc_u32 s3, s3, s5
	s_add_u32 s0, s0, s15
	s_addc_u32 s1, s1, s6
	v_add_co_u32 v1, s4, s0, v1
	s_delay_alu instid0(VALU_DEP_1) | instskip(NEXT) | instid1(VALU_DEP_2)
	v_add_co_ci_u32_e64 v2, null, s1, 0, s4
	v_add_co_u32 v1, vcc_lo, v1, v6
	s_delay_alu instid0(VALU_DEP_2)
	v_add_co_ci_u32_e32 v2, vcc_lo, 0, v2, vcc_lo
	global_load_b32 v3, v[1:2], off offset:8
	v_mov_b32_e32 v1, 0
	global_load_b32 v7, v1, s[0:1]
	v_bfe_u32 v1, v0, 1, 2
	v_lshlrev_b32_e32 v0, 2, v0
	global_load_u8 v8, v1, s[0:1] offset:4
	s_getpc_b64 s[0:1]
	s_add_u32 s0, s0, _ZL13kvalues_iq4nl@rel32@lo+4
	s_addc_u32 s1, s1, _ZL13kvalues_iq4nl@rel32@hi+12
	v_and_b32_e32 v0, 4, v0
	s_waitcnt vmcnt(2)
	v_lshrrev_b16 v2, 4, v3
	v_lshrrev_b32_e32 v1, 8, v3
	v_lshrrev_b32_e32 v4, 24, v3
	v_and_b32_e32 v9, 15, v3
	v_bfe_u32 v10, v3, 8, 4
	v_and_b32_e32 v2, 15, v2
	v_lshrrev_b16 v1, 4, v1
	v_lshrrev_b16 v4, 4, v4
	v_bfe_u32 v11, v3, 16, 4
	v_bfe_u32 v12, v3, 20, 4
	v_and_b32_e32 v2, 0xffff, v2
	v_and_b32_e32 v13, 15, v1
	v_bfe_u32 v14, v3, 24, 4
	v_and_b32_e32 v3, 0xffff, v4
	s_waitcnt vmcnt(0)
	v_bfe_u32 v0, v8, v0, 4
	v_add_co_u32 v1, s4, v2, s0
	v_and_b32_e32 v4, 0xffff, v13
	v_add_co_ci_u32_e64 v2, null, 0, s1, s4
	s_clause 0x2
	global_load_i8 v9, v9, s[0:1]
	global_load_i8 v13, v[1:2], off
	global_load_i8 v10, v10, s[0:1]
	v_add_co_u32 v1, s4, v4, s0
	s_delay_alu instid0(VALU_DEP_1) | instskip(SKIP_1) | instid1(VALU_DEP_1)
	v_add_co_ci_u32_e64 v2, null, 0, s1, s4
	v_add_co_u32 v3, s4, v3, s0
	v_add_co_ci_u32_e64 v4, null, 0, s1, s4
	s_clause 0x4
	global_load_i8 v11, v11, s[0:1]
	global_load_i8 v12, v12, s[0:1]
	global_load_i8 v1, v[1:2], off
	global_load_i8 v14, v14, s[0:1]
	global_load_i8 v3, v[3:4], off
	v_lshlrev_b32_e32 v2, 1, v5
	v_lshrrev_b32_e32 v4, 16, v7
	s_delay_alu instid0(VALU_DEP_1) | instskip(SKIP_2) | instid1(VALU_DEP_3)
	v_lshrrev_b32_e32 v2, v2, v4
	v_lshlrev_b32_e32 v4, 6, v5
	v_lshlrev_b32_e32 v5, 1, v6
	;; [unrolled: 1-line block ×3, first 2 shown]
	s_delay_alu instid0(VALU_DEP_3) | instskip(NEXT) | instid1(VALU_DEP_2)
	v_add_co_u32 v4, s0, s2, v4
	v_and_or_b32 v0, v2, 48, v0
	v_cvt_f32_f16_e32 v2, v7
	v_add_co_ci_u32_e64 v7, null, s3, 0, s0
	s_delay_alu instid0(VALU_DEP_4) | instskip(NEXT) | instid1(VALU_DEP_4)
	v_add_co_u32 v4, vcc_lo, v4, v5
	v_subrev_nc_u32_e32 v0, 32, v0
	s_delay_alu instid0(VALU_DEP_3) | instskip(NEXT) | instid1(VALU_DEP_2)
	v_add_co_ci_u32_e32 v5, vcc_lo, 0, v7, vcc_lo
	v_cvt_f32_i32_e32 v0, v0
	s_delay_alu instid0(VALU_DEP_1)
	v_mul_f32_e32 v6, v2, v0
	s_waitcnt vmcnt(7)
	v_cvt_f32_i32_e32 v0, v9
	s_waitcnt vmcnt(6)
	v_cvt_f32_i32_e32 v2, v13
	;; [unrolled: 2-line block ×3, first 2 shown]
	v_fma_mixlo_f16 v0, v6, v0, 0
	s_delay_alu instid0(VALU_DEP_3)
	v_fma_mixlo_f16 v2, v6, v2, 0
	s_waitcnt vmcnt(4)
	v_cvt_f32_i32_e32 v9, v11
	s_waitcnt vmcnt(3)
	v_cvt_f32_i32_e32 v10, v12
	;; [unrolled: 2-line block ×5, first 2 shown]
	v_fma_mixlo_f16 v1, v6, v9, 0
	v_fma_mixlo_f16 v3, v6, v10, 0
	v_fma_mixhi_f16 v0, v6, v8, 0
	v_fma_mixhi_f16 v2, v6, v11, 0
	s_delay_alu instid0(VALU_DEP_4) | instskip(NEXT) | instid1(VALU_DEP_4)
	v_fma_mixhi_f16 v1, v6, v12, 0
	v_fma_mixhi_f16 v3, v6, v13, 0
	s_clause 0x1
	global_store_b64 v[4:5], v[0:1], off
	global_store_b64 v[4:5], v[2:3], off offset:32
	s_nop 0
	s_sendmsg sendmsg(MSG_DEALLOC_VGPRS)
	s_endpgm
	.section	.rodata,"a",@progbits
	.p2align	6, 0x0
	.amdhsa_kernel _ZL23dequantize_block_iq4_xsIN3c104HalfEEvPKvPT_
		.amdhsa_group_segment_fixed_size 0
		.amdhsa_private_segment_fixed_size 0
		.amdhsa_kernarg_size 16
		.amdhsa_user_sgpr_count 15
		.amdhsa_user_sgpr_dispatch_ptr 0
		.amdhsa_user_sgpr_queue_ptr 0
		.amdhsa_user_sgpr_kernarg_segment_ptr 1
		.amdhsa_user_sgpr_dispatch_id 0
		.amdhsa_user_sgpr_private_segment_size 0
		.amdhsa_wavefront_size32 1
		.amdhsa_uses_dynamic_stack 0
		.amdhsa_enable_private_segment 0
		.amdhsa_system_sgpr_workgroup_id_x 1
		.amdhsa_system_sgpr_workgroup_id_y 0
		.amdhsa_system_sgpr_workgroup_id_z 0
		.amdhsa_system_sgpr_workgroup_info 0
		.amdhsa_system_vgpr_workitem_id 0
		.amdhsa_next_free_vgpr 15
		.amdhsa_next_free_sgpr 16
		.amdhsa_reserve_vcc 1
		.amdhsa_float_round_mode_32 0
		.amdhsa_float_round_mode_16_64 0
		.amdhsa_float_denorm_mode_32 3
		.amdhsa_float_denorm_mode_16_64 3
		.amdhsa_dx10_clamp 1
		.amdhsa_ieee_mode 1
		.amdhsa_fp16_overflow 0
		.amdhsa_workgroup_processor_mode 1
		.amdhsa_memory_ordered 1
		.amdhsa_forward_progress 0
		.amdhsa_shared_vgpr_count 0
		.amdhsa_exception_fp_ieee_invalid_op 0
		.amdhsa_exception_fp_denorm_src 0
		.amdhsa_exception_fp_ieee_div_zero 0
		.amdhsa_exception_fp_ieee_overflow 0
		.amdhsa_exception_fp_ieee_underflow 0
		.amdhsa_exception_fp_ieee_inexact 0
		.amdhsa_exception_int_div_zero 0
	.end_amdhsa_kernel
	.section	.text._ZL23dequantize_block_iq4_xsIN3c104HalfEEvPKvPT_,"axG",@progbits,_ZL23dequantize_block_iq4_xsIN3c104HalfEEvPKvPT_,comdat
.Lfunc_end36:
	.size	_ZL23dequantize_block_iq4_xsIN3c104HalfEEvPKvPT_, .Lfunc_end36-_ZL23dequantize_block_iq4_xsIN3c104HalfEEvPKvPT_
                                        ; -- End function
	.section	.AMDGPU.csdata,"",@progbits
; Kernel info:
; codeLenInByte = 676
; NumSgprs: 18
; NumVgprs: 15
; ScratchSize: 0
; MemoryBound: 0
; FloatMode: 240
; IeeeMode: 1
; LDSByteSize: 0 bytes/workgroup (compile time only)
; SGPRBlocks: 2
; VGPRBlocks: 1
; NumSGPRsForWavesPerEU: 18
; NumVGPRsForWavesPerEU: 15
; Occupancy: 16
; WaveLimiterHint : 0
; COMPUTE_PGM_RSRC2:SCRATCH_EN: 0
; COMPUTE_PGM_RSRC2:USER_SGPR: 15
; COMPUTE_PGM_RSRC2:TRAP_HANDLER: 0
; COMPUTE_PGM_RSRC2:TGID_X_EN: 1
; COMPUTE_PGM_RSRC2:TGID_Y_EN: 0
; COMPUTE_PGM_RSRC2:TGID_Z_EN: 0
; COMPUTE_PGM_RSRC2:TIDIG_COMP_CNT: 0
	.section	.text._ZL22dequantize_block_iq1_mIN3c104HalfEEvPKvPT_,"axG",@progbits,_ZL22dequantize_block_iq1_mIN3c104HalfEEvPKvPT_,comdat
	.globl	_ZL22dequantize_block_iq1_mIN3c104HalfEEvPKvPT_ ; -- Begin function _ZL22dequantize_block_iq1_mIN3c104HalfEEvPKvPT_
	.p2align	8
	.type	_ZL22dequantize_block_iq1_mIN3c104HalfEEvPKvPT_,@function
_ZL22dequantize_block_iq1_mIN3c104HalfEEvPKvPT_: ; @_ZL22dequantize_block_iq1_mIN3c104HalfEEvPKvPT_
; %bb.0:
	s_load_b128 s[0:3], s[0:1], 0x0
	v_and_b32_e32 v3, 7, v0
	v_lshrrev_b32_e32 v1, 4, v0
	s_mov_b32 s4, s15
	s_mov_b32 s5, 0
	v_lshrrev_b32_e32 v4, 3, v0
	v_lshlrev_b32_e32 v2, 1, v3
	s_lshl_b64 s[6:7], s[4:5], 9
	s_mul_i32 s4, s15, 56
	v_lshlrev_b32_e32 v5, 2, v3
	s_mul_hi_u32 s5, s15, 56
	v_add_co_u32 v6, s8, v2, v1
	s_delay_alu instid0(VALU_DEP_1) | instskip(SKIP_2) | instid1(VALU_DEP_2)
	v_add_co_ci_u32_e64 v2, null, 0, 0, s8
	v_lshrrev_b32_e32 v8, 1, v0
	v_and_b32_e32 v0, 0x3f8, v0
	v_and_b32_e32 v8, 4, v8
	s_waitcnt lgkmcnt(0)
	s_add_u32 s2, s2, s6
	s_addc_u32 s3, s3, s7
	s_add_u32 s0, s0, s4
	s_addc_u32 s1, s1, s5
	v_add_co_u32 v1, vcc_lo, s0, v6
	v_add_co_ci_u32_e32 v2, vcc_lo, s1, v2, vcc_lo
	v_add_co_u32 v4, s4, v5, v4
	s_delay_alu instid0(VALU_DEP_1)
	v_add_co_ci_u32_e64 v5, null, 0, 0, s4
	global_load_u8 v7, v[1:2], off offset:32
	v_add_co_u32 v1, vcc_lo, s0, v4
	v_add_co_ci_u32_e32 v2, vcc_lo, s1, v5, vcc_lo
	v_lshrrev_b32_e32 v5, 1, v6
	v_and_b32_e32 v6, 3, v6
	global_load_u8 v4, v[1:2], off
	v_mov_b32_e32 v1, 0
	v_and_b32_e32 v5, 62, v5
	v_mul_u32_u24_e32 v6, 3, v6
	s_clause 0x1
	global_load_b64 v[1:2], v1, s[0:1] offset:48
	global_load_u16 v5, v5, s[0:1] offset:48
	s_getpc_b64 s[0:1]
	s_add_u32 s0, s0, _ZL13iq1s_grid_gpu@rel32@lo+4
	s_addc_u32 s1, s1, _ZL13iq1s_grid_gpu@rel32@hi+12
	s_waitcnt vmcnt(3)
	v_lshrrev_b32_e32 v7, v8, v7
	s_delay_alu instid0(VALU_DEP_1) | instskip(SKIP_1) | instid1(VALU_DEP_1)
	v_lshlrev_b32_e32 v8, 8, v7
	s_waitcnt vmcnt(2)
	v_and_or_b32 v4, 0x700, v8, v4
	s_waitcnt vmcnt(1)
	v_lshrrev_b32_e32 v8, 16, v1
	v_bfe_u32 v1, v1, 12, 4
	s_waitcnt vmcnt(0)
	v_lshrrev_b32_e32 v5, v6, v5
	s_delay_alu instid0(VALU_DEP_3) | instskip(SKIP_1) | instid1(VALU_DEP_2)
	v_lshl_or_b32 v8, v2, 16, v8
	v_lshrrev_b32_e32 v2, 16, v2
	v_pk_lshrrev_b16 v8, 0x40008, v8
	s_delay_alu instid0(VALU_DEP_2) | instskip(NEXT) | instid1(VALU_DEP_2)
	v_and_b32_e32 v2, 0xf000, v2
	v_and_b32_e32 v8, 0xf0000f0, v8
	s_delay_alu instid0(VALU_DEP_1) | instskip(SKIP_3) | instid1(VALU_DEP_3)
	v_or_b32_e32 v1, v8, v1
	v_lshrrev_b32_e32 v6, 16, v8
	v_lshlrev_b32_e32 v8, 1, v0
	v_and_b32_e32 v0, 8, v7
	v_or_b32_e32 v1, v1, v6
	v_mov_b32_e32 v6, 0xbf600000
	s_delay_alu instid0(VALU_DEP_3) | instskip(NEXT) | instid1(VALU_DEP_3)
	v_cmp_eq_u32_e32 vcc_lo, 0, v0
	v_or_b32_e32 v1, v1, v2
	v_lshlrev_b32_e32 v2, 6, v3
	s_delay_alu instid0(VALU_DEP_4)
	v_cndmask_b32_e32 v0, 0xbf900000, v6, vcc_lo
	v_lshlrev_b32_e32 v4, 3, v4
	v_lshlrev_b32_e32 v5, 1, v5
	v_cvt_f32_f16_e32 v1, v1
	global_load_b32 v4, v4, s[0:1]
	v_and_or_b32 v5, v5, 14, 1
	s_delay_alu instid0(VALU_DEP_1) | instskip(SKIP_1) | instid1(VALU_DEP_1)
	v_cvt_f32_ubyte0_e32 v3, v5
	v_add_co_u32 v5, s0, s2, v2
	v_add_co_ci_u32_e64 v7, null, s3, 0, s0
	s_waitcnt vmcnt(0)
	s_delay_alu instid0(VALU_DEP_3)
	v_dual_mul_f32 v6, v1, v3 :: v_dual_and_b32 v1, 0xf0f0f0f, v4
	v_and_b32_e32 v2, 15, v4
	v_bfe_u32 v3, v4, 8, 4
	v_bfe_u32 v9, v4, 16, 4
	v_bfe_u32 v10, v4, 4, 4
	v_bfe_u32 v12, v4, 20, 4
	v_bfe_u32 v11, v4, 12, 4
	v_lshrrev_b32_e32 v4, 28, v4
	v_cvt_f32_ubyte0_e32 v2, v2
	v_cvt_f32_ubyte0_e32 v3, v3
	;; [unrolled: 1-line block ×4, first 2 shown]
	v_cvt_f32_ubyte3_e32 v1, v1
	v_add_f32_e32 v2, v0, v2
	v_cvt_f32_ubyte0_e32 v12, v12
	v_cvt_f32_ubyte0_e32 v11, v11
	;; [unrolled: 1-line block ×3, first 2 shown]
	v_add_f32_e32 v13, v0, v3
	v_add_f32_e32 v14, v0, v1
	;; [unrolled: 1-line block ×7, first 2 shown]
	v_fma_mixlo_f16 v0, v6, v2, 0
	v_fma_mixlo_f16 v1, v6, v1, 0
	;; [unrolled: 1-line block ×4, first 2 shown]
	v_add_co_u32 v4, vcc_lo, v5, v8
	v_add_co_ci_u32_e32 v5, vcc_lo, 0, v7, vcc_lo
	s_delay_alu instid0(VALU_DEP_3)
	v_fma_mixhi_f16 v3, v6, v10, 0
	v_fma_mixhi_f16 v2, v6, v11, 0
	;; [unrolled: 1-line block ×4, first 2 shown]
	global_store_b128 v[4:5], v[0:3], off
	s_nop 0
	s_sendmsg sendmsg(MSG_DEALLOC_VGPRS)
	s_endpgm
	.section	.rodata,"a",@progbits
	.p2align	6, 0x0
	.amdhsa_kernel _ZL22dequantize_block_iq1_mIN3c104HalfEEvPKvPT_
		.amdhsa_group_segment_fixed_size 0
		.amdhsa_private_segment_fixed_size 0
		.amdhsa_kernarg_size 16
		.amdhsa_user_sgpr_count 15
		.amdhsa_user_sgpr_dispatch_ptr 0
		.amdhsa_user_sgpr_queue_ptr 0
		.amdhsa_user_sgpr_kernarg_segment_ptr 1
		.amdhsa_user_sgpr_dispatch_id 0
		.amdhsa_user_sgpr_private_segment_size 0
		.amdhsa_wavefront_size32 1
		.amdhsa_uses_dynamic_stack 0
		.amdhsa_enable_private_segment 0
		.amdhsa_system_sgpr_workgroup_id_x 1
		.amdhsa_system_sgpr_workgroup_id_y 0
		.amdhsa_system_sgpr_workgroup_id_z 0
		.amdhsa_system_sgpr_workgroup_info 0
		.amdhsa_system_vgpr_workitem_id 0
		.amdhsa_next_free_vgpr 15
		.amdhsa_next_free_sgpr 16
		.amdhsa_reserve_vcc 1
		.amdhsa_float_round_mode_32 0
		.amdhsa_float_round_mode_16_64 0
		.amdhsa_float_denorm_mode_32 3
		.amdhsa_float_denorm_mode_16_64 3
		.amdhsa_dx10_clamp 1
		.amdhsa_ieee_mode 1
		.amdhsa_fp16_overflow 0
		.amdhsa_workgroup_processor_mode 1
		.amdhsa_memory_ordered 1
		.amdhsa_forward_progress 0
		.amdhsa_shared_vgpr_count 0
		.amdhsa_exception_fp_ieee_invalid_op 0
		.amdhsa_exception_fp_denorm_src 0
		.amdhsa_exception_fp_ieee_div_zero 0
		.amdhsa_exception_fp_ieee_overflow 0
		.amdhsa_exception_fp_ieee_underflow 0
		.amdhsa_exception_fp_ieee_inexact 0
		.amdhsa_exception_int_div_zero 0
	.end_amdhsa_kernel
	.section	.text._ZL22dequantize_block_iq1_mIN3c104HalfEEvPKvPT_,"axG",@progbits,_ZL22dequantize_block_iq1_mIN3c104HalfEEvPKvPT_,comdat
.Lfunc_end37:
	.size	_ZL22dequantize_block_iq1_mIN3c104HalfEEvPKvPT_, .Lfunc_end37-_ZL22dequantize_block_iq1_mIN3c104HalfEEvPKvPT_
                                        ; -- End function
	.section	.AMDGPU.csdata,"",@progbits
; Kernel info:
; codeLenInByte = 672
; NumSgprs: 18
; NumVgprs: 15
; ScratchSize: 0
; MemoryBound: 0
; FloatMode: 240
; IeeeMode: 1
; LDSByteSize: 0 bytes/workgroup (compile time only)
; SGPRBlocks: 2
; VGPRBlocks: 1
; NumSGPRsForWavesPerEU: 18
; NumVGPRsForWavesPerEU: 15
; Occupancy: 16
; WaveLimiterHint : 0
; COMPUTE_PGM_RSRC2:SCRATCH_EN: 0
; COMPUTE_PGM_RSRC2:USER_SGPR: 15
; COMPUTE_PGM_RSRC2:TRAP_HANDLER: 0
; COMPUTE_PGM_RSRC2:TGID_X_EN: 1
; COMPUTE_PGM_RSRC2:TGID_Y_EN: 0
; COMPUTE_PGM_RSRC2:TGID_Z_EN: 0
; COMPUTE_PGM_RSRC2:TIDIG_COMP_CNT: 0
	.section	.text._ZL16dequantize_blockILi32ELi2EXadL_ZL15dequantize_q4_0PKviiR7__half2EEN3c108BFloat16EEvS1_PT2_l,"axG",@progbits,_ZL16dequantize_blockILi32ELi2EXadL_ZL15dequantize_q4_0PKviiR7__half2EEN3c108BFloat16EEvS1_PT2_l,comdat
	.globl	_ZL16dequantize_blockILi32ELi2EXadL_ZL15dequantize_q4_0PKviiR7__half2EEN3c108BFloat16EEvS1_PT2_l ; -- Begin function _ZL16dequantize_blockILi32ELi2EXadL_ZL15dequantize_q4_0PKviiR7__half2EEN3c108BFloat16EEvS1_PT2_l
	.p2align	8
	.type	_ZL16dequantize_blockILi32ELi2EXadL_ZL15dequantize_q4_0PKviiR7__half2EEN3c108BFloat16EEvS1_PT2_l,@function
_ZL16dequantize_blockILi32ELi2EXadL_ZL15dequantize_q4_0PKviiR7__half2EEN3c108BFloat16EEvS1_PT2_l: ; @_ZL16dequantize_blockILi32ELi2EXadL_ZL15dequantize_q4_0PKviiR7__half2EEN3c108BFloat16EEvS1_PT2_l
; %bb.0:
	s_clause 0x1
	s_load_b32 s4, s[0:1], 0x24
	s_load_b64 s[2:3], s[0:1], 0x10
	v_mov_b32_e32 v1, 0
	s_waitcnt lgkmcnt(0)
	s_and_b32 s4, s4, 0xffff
	s_delay_alu instid0(VALU_DEP_1) | instid1(SALU_CYCLE_1)
	v_mad_u64_u32 v[2:3], null, s4, s15, v[0:1]
	s_delay_alu instid0(VALU_DEP_1) | instskip(NEXT) | instid1(VALU_DEP_1)
	v_lshlrev_b64 v[0:1], 1, v[2:3]
	v_cmp_gt_i64_e32 vcc_lo, s[2:3], v[0:1]
	s_and_saveexec_b32 s2, vcc_lo
	s_cbranch_execz .LBB38_2
; %bb.1:
	s_load_b128 s[0:3], s[0:1], 0x0
	v_alignbit_b32 v1, v3, v2, 4
	v_and_b32_e32 v5, 15, v2
	s_waitcnt lgkmcnt(0)
	s_delay_alu instid0(VALU_DEP_2) | instskip(NEXT) | instid1(VALU_DEP_1)
	v_mad_i64_i32 v[3:4], null, v1, 18, s[0:1]
	v_add_co_u32 v1, vcc_lo, v3, v5
	s_delay_alu instid0(VALU_DEP_2)
	v_add_co_ci_u32_e32 v2, vcc_lo, 0, v4, vcc_lo
	s_clause 0x1
	global_load_u8 v1, v[1:2], off offset:2
	global_load_u16 v2, v[3:4], off
	s_waitcnt vmcnt(1)
	v_and_b32_e32 v3, 15, v1
	v_lshrrev_b32_e32 v1, 4, v1
	s_delay_alu instid0(VALU_DEP_2) | instskip(NEXT) | instid1(VALU_DEP_2)
	v_cvt_f32_ubyte0_e32 v3, v3
	v_cvt_f32_ubyte0_e32 v1, v1
	s_delay_alu instid0(VALU_DEP_2) | instskip(NEXT) | instid1(VALU_DEP_2)
	v_cvt_f16_f32_e32 v3, v3
	v_cvt_f16_f32_e32 v1, v1
	s_delay_alu instid0(VALU_DEP_1) | instskip(NEXT) | instid1(VALU_DEP_1)
	v_pack_b32_f16 v1, v3, v1
	v_pk_add_f16 v1, 0xc800, v1 op_sel_hi:[0,1]
	s_waitcnt vmcnt(0)
	s_delay_alu instid0(VALU_DEP_1) | instskip(NEXT) | instid1(VALU_DEP_1)
	v_pk_mul_f16 v2, v2, v1 op_sel_hi:[0,1]
	v_cvt_f32_f16_e32 v1, v2
	v_cmp_o_f16_e32 vcc_lo, v2, v2
	v_lshrrev_b32_e32 v3, 16, v2
	s_delay_alu instid0(VALU_DEP_3) | instskip(NEXT) | instid1(VALU_DEP_2)
	v_bfe_u32 v4, v1, 16, 1
	v_cvt_f32_f16_e32 v6, v3
	s_delay_alu instid0(VALU_DEP_2) | instskip(NEXT) | instid1(VALU_DEP_1)
	v_add3_u32 v4, v1, v4, 0x7fff
	v_lshrrev_b32_e32 v4, 16, v4
	s_delay_alu instid0(VALU_DEP_1) | instskip(SKIP_2) | instid1(VALU_DEP_2)
	v_cndmask_b32_e32 v2, 0x7fc0, v4, vcc_lo
	v_and_or_b32 v0, 0xffffffe0, v0, v5
	v_bfe_u32 v5, v6, 16, 1
	v_ashrrev_i32_e32 v1, 31, v0
	s_delay_alu instid0(VALU_DEP_2) | instskip(NEXT) | instid1(VALU_DEP_2)
	v_add3_u32 v5, v6, v5, 0x7fff
	v_lshlrev_b64 v[0:1], 1, v[0:1]
	s_delay_alu instid0(VALU_DEP_2) | instskip(NEXT) | instid1(VALU_DEP_2)
	v_lshrrev_b32_e32 v4, 16, v5
	v_add_co_u32 v0, vcc_lo, s2, v0
	s_delay_alu instid0(VALU_DEP_3) | instskip(SKIP_1) | instid1(VALU_DEP_4)
	v_add_co_ci_u32_e32 v1, vcc_lo, s3, v1, vcc_lo
	v_cmp_o_f16_e32 vcc_lo, v3, v3
	v_cndmask_b32_e32 v3, 0x7fc0, v4, vcc_lo
	s_clause 0x1
	global_store_b16 v[0:1], v2, off
	global_store_b16 v[0:1], v3, off offset:32
.LBB38_2:
	s_nop 0
	s_sendmsg sendmsg(MSG_DEALLOC_VGPRS)
	s_endpgm
	.section	.rodata,"a",@progbits
	.p2align	6, 0x0
	.amdhsa_kernel _ZL16dequantize_blockILi32ELi2EXadL_ZL15dequantize_q4_0PKviiR7__half2EEN3c108BFloat16EEvS1_PT2_l
		.amdhsa_group_segment_fixed_size 0
		.amdhsa_private_segment_fixed_size 0
		.amdhsa_kernarg_size 280
		.amdhsa_user_sgpr_count 15
		.amdhsa_user_sgpr_dispatch_ptr 0
		.amdhsa_user_sgpr_queue_ptr 0
		.amdhsa_user_sgpr_kernarg_segment_ptr 1
		.amdhsa_user_sgpr_dispatch_id 0
		.amdhsa_user_sgpr_private_segment_size 0
		.amdhsa_wavefront_size32 1
		.amdhsa_uses_dynamic_stack 0
		.amdhsa_enable_private_segment 0
		.amdhsa_system_sgpr_workgroup_id_x 1
		.amdhsa_system_sgpr_workgroup_id_y 0
		.amdhsa_system_sgpr_workgroup_id_z 0
		.amdhsa_system_sgpr_workgroup_info 0
		.amdhsa_system_vgpr_workitem_id 0
		.amdhsa_next_free_vgpr 7
		.amdhsa_next_free_sgpr 16
		.amdhsa_reserve_vcc 1
		.amdhsa_float_round_mode_32 0
		.amdhsa_float_round_mode_16_64 0
		.amdhsa_float_denorm_mode_32 3
		.amdhsa_float_denorm_mode_16_64 3
		.amdhsa_dx10_clamp 1
		.amdhsa_ieee_mode 1
		.amdhsa_fp16_overflow 0
		.amdhsa_workgroup_processor_mode 1
		.amdhsa_memory_ordered 1
		.amdhsa_forward_progress 0
		.amdhsa_shared_vgpr_count 0
		.amdhsa_exception_fp_ieee_invalid_op 0
		.amdhsa_exception_fp_denorm_src 0
		.amdhsa_exception_fp_ieee_div_zero 0
		.amdhsa_exception_fp_ieee_overflow 0
		.amdhsa_exception_fp_ieee_underflow 0
		.amdhsa_exception_fp_ieee_inexact 0
		.amdhsa_exception_int_div_zero 0
	.end_amdhsa_kernel
	.section	.text._ZL16dequantize_blockILi32ELi2EXadL_ZL15dequantize_q4_0PKviiR7__half2EEN3c108BFloat16EEvS1_PT2_l,"axG",@progbits,_ZL16dequantize_blockILi32ELi2EXadL_ZL15dequantize_q4_0PKviiR7__half2EEN3c108BFloat16EEvS1_PT2_l,comdat
.Lfunc_end38:
	.size	_ZL16dequantize_blockILi32ELi2EXadL_ZL15dequantize_q4_0PKviiR7__half2EEN3c108BFloat16EEvS1_PT2_l, .Lfunc_end38-_ZL16dequantize_blockILi32ELi2EXadL_ZL15dequantize_q4_0PKviiR7__half2EEN3c108BFloat16EEvS1_PT2_l
                                        ; -- End function
	.section	.AMDGPU.csdata,"",@progbits
; Kernel info:
; codeLenInByte = 396
; NumSgprs: 18
; NumVgprs: 7
; ScratchSize: 0
; MemoryBound: 0
; FloatMode: 240
; IeeeMode: 1
; LDSByteSize: 0 bytes/workgroup (compile time only)
; SGPRBlocks: 2
; VGPRBlocks: 0
; NumSGPRsForWavesPerEU: 18
; NumVGPRsForWavesPerEU: 7
; Occupancy: 16
; WaveLimiterHint : 0
; COMPUTE_PGM_RSRC2:SCRATCH_EN: 0
; COMPUTE_PGM_RSRC2:USER_SGPR: 15
; COMPUTE_PGM_RSRC2:TRAP_HANDLER: 0
; COMPUTE_PGM_RSRC2:TGID_X_EN: 1
; COMPUTE_PGM_RSRC2:TGID_Y_EN: 0
; COMPUTE_PGM_RSRC2:TGID_Z_EN: 0
; COMPUTE_PGM_RSRC2:TIDIG_COMP_CNT: 0
	.section	.text._ZL16dequantize_blockILi32ELi2EXadL_ZL15dequantize_q4_1PKviiR7__half2EEN3c108BFloat16EEvS1_PT2_l,"axG",@progbits,_ZL16dequantize_blockILi32ELi2EXadL_ZL15dequantize_q4_1PKviiR7__half2EEN3c108BFloat16EEvS1_PT2_l,comdat
	.globl	_ZL16dequantize_blockILi32ELi2EXadL_ZL15dequantize_q4_1PKviiR7__half2EEN3c108BFloat16EEvS1_PT2_l ; -- Begin function _ZL16dequantize_blockILi32ELi2EXadL_ZL15dequantize_q4_1PKviiR7__half2EEN3c108BFloat16EEvS1_PT2_l
	.p2align	8
	.type	_ZL16dequantize_blockILi32ELi2EXadL_ZL15dequantize_q4_1PKviiR7__half2EEN3c108BFloat16EEvS1_PT2_l,@function
_ZL16dequantize_blockILi32ELi2EXadL_ZL15dequantize_q4_1PKviiR7__half2EEN3c108BFloat16EEvS1_PT2_l: ; @_ZL16dequantize_blockILi32ELi2EXadL_ZL15dequantize_q4_1PKviiR7__half2EEN3c108BFloat16EEvS1_PT2_l
; %bb.0:
	s_clause 0x1
	s_load_b32 s4, s[0:1], 0x24
	s_load_b64 s[2:3], s[0:1], 0x10
	v_mov_b32_e32 v1, 0
	s_waitcnt lgkmcnt(0)
	s_and_b32 s4, s4, 0xffff
	s_delay_alu instid0(VALU_DEP_1) | instid1(SALU_CYCLE_1)
	v_mad_u64_u32 v[2:3], null, s4, s15, v[0:1]
	s_delay_alu instid0(VALU_DEP_1) | instskip(NEXT) | instid1(VALU_DEP_1)
	v_lshlrev_b64 v[0:1], 1, v[2:3]
	v_cmp_gt_i64_e32 vcc_lo, s[2:3], v[0:1]
	s_and_saveexec_b32 s2, vcc_lo
	s_cbranch_execz .LBB39_2
; %bb.1:
	s_load_b128 s[0:3], s[0:1], 0x0
	v_alignbit_b32 v1, v3, v2, 4
	v_and_b32_e32 v5, 15, v2
	s_waitcnt lgkmcnt(0)
	s_delay_alu instid0(VALU_DEP_2) | instskip(NEXT) | instid1(VALU_DEP_1)
	v_mad_i64_i32 v[3:4], null, v1, 20, s[0:1]
	v_add_co_u32 v1, vcc_lo, v3, v5
	s_delay_alu instid0(VALU_DEP_2)
	v_add_co_ci_u32_e32 v2, vcc_lo, 0, v4, vcc_lo
	s_clause 0x1
	global_load_u8 v1, v[1:2], off offset:4
	global_load_b32 v2, v[3:4], off
	s_waitcnt vmcnt(1)
	v_and_b32_e32 v3, 15, v1
	v_lshrrev_b32_e32 v1, 4, v1
	s_delay_alu instid0(VALU_DEP_2) | instskip(NEXT) | instid1(VALU_DEP_2)
	v_cvt_f32_ubyte0_e32 v3, v3
	v_cvt_f32_ubyte0_e32 v1, v1
	s_delay_alu instid0(VALU_DEP_2) | instskip(NEXT) | instid1(VALU_DEP_2)
	v_cvt_f16_f32_e32 v3, v3
	v_cvt_f16_f32_e32 v1, v1
	s_delay_alu instid0(VALU_DEP_1) | instskip(SKIP_1) | instid1(VALU_DEP_1)
	v_pack_b32_f16 v1, v3, v1
	s_waitcnt vmcnt(0)
	v_pk_fma_f16 v2, v2, v1, v2 op_sel:[0,0,1] op_sel_hi:[0,1,1]
	s_delay_alu instid0(VALU_DEP_1) | instskip(SKIP_2) | instid1(VALU_DEP_3)
	v_cvt_f32_f16_e32 v1, v2
	v_cmp_o_f16_e32 vcc_lo, v2, v2
	v_lshrrev_b32_e32 v3, 16, v2
	v_bfe_u32 v4, v1, 16, 1
	s_delay_alu instid0(VALU_DEP_2) | instskip(NEXT) | instid1(VALU_DEP_2)
	v_cvt_f32_f16_e32 v6, v3
	v_add3_u32 v4, v1, v4, 0x7fff
	s_delay_alu instid0(VALU_DEP_1) | instskip(NEXT) | instid1(VALU_DEP_1)
	v_lshrrev_b32_e32 v4, 16, v4
	v_cndmask_b32_e32 v2, 0x7fc0, v4, vcc_lo
	v_and_or_b32 v0, 0xffffffe0, v0, v5
	v_bfe_u32 v5, v6, 16, 1
	s_delay_alu instid0(VALU_DEP_2) | instskip(NEXT) | instid1(VALU_DEP_2)
	v_ashrrev_i32_e32 v1, 31, v0
	v_add3_u32 v5, v6, v5, 0x7fff
	s_delay_alu instid0(VALU_DEP_2) | instskip(NEXT) | instid1(VALU_DEP_2)
	v_lshlrev_b64 v[0:1], 1, v[0:1]
	v_lshrrev_b32_e32 v4, 16, v5
	s_delay_alu instid0(VALU_DEP_2) | instskip(NEXT) | instid1(VALU_DEP_3)
	v_add_co_u32 v0, vcc_lo, s2, v0
	v_add_co_ci_u32_e32 v1, vcc_lo, s3, v1, vcc_lo
	v_cmp_o_f16_e32 vcc_lo, v3, v3
	s_delay_alu instid0(VALU_DEP_4)
	v_cndmask_b32_e32 v3, 0x7fc0, v4, vcc_lo
	s_clause 0x1
	global_store_b16 v[0:1], v2, off
	global_store_b16 v[0:1], v3, off offset:32
.LBB39_2:
	s_nop 0
	s_sendmsg sendmsg(MSG_DEALLOC_VGPRS)
	s_endpgm
	.section	.rodata,"a",@progbits
	.p2align	6, 0x0
	.amdhsa_kernel _ZL16dequantize_blockILi32ELi2EXadL_ZL15dequantize_q4_1PKviiR7__half2EEN3c108BFloat16EEvS1_PT2_l
		.amdhsa_group_segment_fixed_size 0
		.amdhsa_private_segment_fixed_size 0
		.amdhsa_kernarg_size 280
		.amdhsa_user_sgpr_count 15
		.amdhsa_user_sgpr_dispatch_ptr 0
		.amdhsa_user_sgpr_queue_ptr 0
		.amdhsa_user_sgpr_kernarg_segment_ptr 1
		.amdhsa_user_sgpr_dispatch_id 0
		.amdhsa_user_sgpr_private_segment_size 0
		.amdhsa_wavefront_size32 1
		.amdhsa_uses_dynamic_stack 0
		.amdhsa_enable_private_segment 0
		.amdhsa_system_sgpr_workgroup_id_x 1
		.amdhsa_system_sgpr_workgroup_id_y 0
		.amdhsa_system_sgpr_workgroup_id_z 0
		.amdhsa_system_sgpr_workgroup_info 0
		.amdhsa_system_vgpr_workitem_id 0
		.amdhsa_next_free_vgpr 7
		.amdhsa_next_free_sgpr 16
		.amdhsa_reserve_vcc 1
		.amdhsa_float_round_mode_32 0
		.amdhsa_float_round_mode_16_64 0
		.amdhsa_float_denorm_mode_32 3
		.amdhsa_float_denorm_mode_16_64 3
		.amdhsa_dx10_clamp 1
		.amdhsa_ieee_mode 1
		.amdhsa_fp16_overflow 0
		.amdhsa_workgroup_processor_mode 1
		.amdhsa_memory_ordered 1
		.amdhsa_forward_progress 0
		.amdhsa_shared_vgpr_count 0
		.amdhsa_exception_fp_ieee_invalid_op 0
		.amdhsa_exception_fp_denorm_src 0
		.amdhsa_exception_fp_ieee_div_zero 0
		.amdhsa_exception_fp_ieee_overflow 0
		.amdhsa_exception_fp_ieee_underflow 0
		.amdhsa_exception_fp_ieee_inexact 0
		.amdhsa_exception_int_div_zero 0
	.end_amdhsa_kernel
	.section	.text._ZL16dequantize_blockILi32ELi2EXadL_ZL15dequantize_q4_1PKviiR7__half2EEN3c108BFloat16EEvS1_PT2_l,"axG",@progbits,_ZL16dequantize_blockILi32ELi2EXadL_ZL15dequantize_q4_1PKviiR7__half2EEN3c108BFloat16EEvS1_PT2_l,comdat
.Lfunc_end39:
	.size	_ZL16dequantize_blockILi32ELi2EXadL_ZL15dequantize_q4_1PKviiR7__half2EEN3c108BFloat16EEvS1_PT2_l, .Lfunc_end39-_ZL16dequantize_blockILi32ELi2EXadL_ZL15dequantize_q4_1PKviiR7__half2EEN3c108BFloat16EEvS1_PT2_l
                                        ; -- End function
	.section	.AMDGPU.csdata,"",@progbits
; Kernel info:
; codeLenInByte = 384
; NumSgprs: 18
; NumVgprs: 7
; ScratchSize: 0
; MemoryBound: 0
; FloatMode: 240
; IeeeMode: 1
; LDSByteSize: 0 bytes/workgroup (compile time only)
; SGPRBlocks: 2
; VGPRBlocks: 0
; NumSGPRsForWavesPerEU: 18
; NumVGPRsForWavesPerEU: 7
; Occupancy: 16
; WaveLimiterHint : 0
; COMPUTE_PGM_RSRC2:SCRATCH_EN: 0
; COMPUTE_PGM_RSRC2:USER_SGPR: 15
; COMPUTE_PGM_RSRC2:TRAP_HANDLER: 0
; COMPUTE_PGM_RSRC2:TGID_X_EN: 1
; COMPUTE_PGM_RSRC2:TGID_Y_EN: 0
; COMPUTE_PGM_RSRC2:TGID_Z_EN: 0
; COMPUTE_PGM_RSRC2:TIDIG_COMP_CNT: 0
	.section	.text._ZL16dequantize_blockILi32ELi2EXadL_ZL15dequantize_q5_0PKviiR7__half2EEN3c108BFloat16EEvS1_PT2_l,"axG",@progbits,_ZL16dequantize_blockILi32ELi2EXadL_ZL15dequantize_q5_0PKviiR7__half2EEN3c108BFloat16EEvS1_PT2_l,comdat
	.globl	_ZL16dequantize_blockILi32ELi2EXadL_ZL15dequantize_q5_0PKviiR7__half2EEN3c108BFloat16EEvS1_PT2_l ; -- Begin function _ZL16dequantize_blockILi32ELi2EXadL_ZL15dequantize_q5_0PKviiR7__half2EEN3c108BFloat16EEvS1_PT2_l
	.p2align	8
	.type	_ZL16dequantize_blockILi32ELi2EXadL_ZL15dequantize_q5_0PKviiR7__half2EEN3c108BFloat16EEvS1_PT2_l,@function
_ZL16dequantize_blockILi32ELi2EXadL_ZL15dequantize_q5_0PKviiR7__half2EEN3c108BFloat16EEvS1_PT2_l: ; @_ZL16dequantize_blockILi32ELi2EXadL_ZL15dequantize_q5_0PKviiR7__half2EEN3c108BFloat16EEvS1_PT2_l
; %bb.0:
	s_clause 0x1
	s_load_b32 s4, s[0:1], 0x24
	s_load_b64 s[2:3], s[0:1], 0x10
	v_mov_b32_e32 v1, 0
	s_waitcnt lgkmcnt(0)
	s_and_b32 s4, s4, 0xffff
	s_delay_alu instid0(VALU_DEP_1) | instid1(SALU_CYCLE_1)
	v_mad_u64_u32 v[2:3], null, s4, s15, v[0:1]
	s_delay_alu instid0(VALU_DEP_1) | instskip(NEXT) | instid1(VALU_DEP_1)
	v_lshlrev_b64 v[0:1], 1, v[2:3]
	v_cmp_gt_i64_e32 vcc_lo, s[2:3], v[0:1]
	s_and_saveexec_b32 s2, vcc_lo
	s_cbranch_execz .LBB40_2
; %bb.1:
	s_load_b128 s[0:3], s[0:1], 0x0
	v_alignbit_b32 v1, v3, v2, 4
	v_and_b32_e32 v5, 15, v2
	s_waitcnt lgkmcnt(0)
	s_delay_alu instid0(VALU_DEP_2)
	v_mad_i64_i32 v[3:4], null, v1, 22, s[0:1]
	s_clause 0x1
	global_load_b32 v6, v[3:4], off
	global_load_u16 v7, v[3:4], off offset:4
	v_add_co_u32 v1, vcc_lo, v3, v5
	v_add_co_ci_u32_e32 v2, vcc_lo, 0, v4, vcc_lo
	v_add_nc_u32_e32 v3, 12, v5
	global_load_u8 v1, v[1:2], off offset:6
	s_waitcnt vmcnt(1)
	v_perm_b32 v2, v6, v7, 0x1000706
	s_delay_alu instid0(VALU_DEP_1)
	v_lshrrev_b32_e32 v4, v5, v2
	v_lshrrev_b32_e32 v2, v3, v2
	s_waitcnt vmcnt(0)
	v_and_b32_e32 v3, 15, v1
	v_lshrrev_b16 v1, 4, v1
	v_lshlrev_b32_e32 v4, 4, v4
	s_delay_alu instid0(VALU_DEP_2) | instskip(NEXT) | instid1(VALU_DEP_2)
	v_and_or_b32 v1, v2, 16, v1
	v_and_or_b32 v2, v4, 16, v3
	s_delay_alu instid0(VALU_DEP_2) | instskip(NEXT) | instid1(VALU_DEP_2)
	v_cvt_f32_ubyte0_e32 v1, v1
	v_cvt_f32_ubyte0_e32 v2, v2
	s_delay_alu instid0(VALU_DEP_2) | instskip(NEXT) | instid1(VALU_DEP_2)
	v_cvt_f16_f32_e32 v1, v1
	v_cvt_f16_f32_e32 v2, v2
	s_delay_alu instid0(VALU_DEP_1) | instskip(NEXT) | instid1(VALU_DEP_1)
	v_pack_b32_f16 v1, v2, v1
	v_pk_add_f16 v1, 0xcc00, v1 op_sel_hi:[0,1]
	s_delay_alu instid0(VALU_DEP_1) | instskip(NEXT) | instid1(VALU_DEP_1)
	v_pk_mul_f16 v2, v6, v1 op_sel_hi:[0,1]
	v_cvt_f32_f16_e32 v1, v2
	v_cmp_o_f16_e32 vcc_lo, v2, v2
	v_lshrrev_b32_e32 v3, 16, v2
	s_delay_alu instid0(VALU_DEP_3) | instskip(NEXT) | instid1(VALU_DEP_2)
	v_bfe_u32 v4, v1, 16, 1
	v_cvt_f32_f16_e32 v6, v3
	s_delay_alu instid0(VALU_DEP_2) | instskip(NEXT) | instid1(VALU_DEP_1)
	v_add3_u32 v4, v1, v4, 0x7fff
	v_lshrrev_b32_e32 v4, 16, v4
	s_delay_alu instid0(VALU_DEP_1) | instskip(SKIP_2) | instid1(VALU_DEP_2)
	v_cndmask_b32_e32 v2, 0x7fc0, v4, vcc_lo
	v_and_or_b32 v0, 0xffffffe0, v0, v5
	v_bfe_u32 v5, v6, 16, 1
	v_ashrrev_i32_e32 v1, 31, v0
	s_delay_alu instid0(VALU_DEP_2) | instskip(NEXT) | instid1(VALU_DEP_2)
	v_add3_u32 v5, v6, v5, 0x7fff
	v_lshlrev_b64 v[0:1], 1, v[0:1]
	s_delay_alu instid0(VALU_DEP_2) | instskip(NEXT) | instid1(VALU_DEP_2)
	v_lshrrev_b32_e32 v4, 16, v5
	v_add_co_u32 v0, vcc_lo, s2, v0
	s_delay_alu instid0(VALU_DEP_3) | instskip(SKIP_1) | instid1(VALU_DEP_4)
	v_add_co_ci_u32_e32 v1, vcc_lo, s3, v1, vcc_lo
	v_cmp_o_f16_e32 vcc_lo, v3, v3
	v_cndmask_b32_e32 v3, 0x7fc0, v4, vcc_lo
	s_clause 0x1
	global_store_b16 v[0:1], v2, off
	global_store_b16 v[0:1], v3, off offset:32
.LBB40_2:
	s_nop 0
	s_sendmsg sendmsg(MSG_DEALLOC_VGPRS)
	s_endpgm
	.section	.rodata,"a",@progbits
	.p2align	6, 0x0
	.amdhsa_kernel _ZL16dequantize_blockILi32ELi2EXadL_ZL15dequantize_q5_0PKviiR7__half2EEN3c108BFloat16EEvS1_PT2_l
		.amdhsa_group_segment_fixed_size 0
		.amdhsa_private_segment_fixed_size 0
		.amdhsa_kernarg_size 280
		.amdhsa_user_sgpr_count 15
		.amdhsa_user_sgpr_dispatch_ptr 0
		.amdhsa_user_sgpr_queue_ptr 0
		.amdhsa_user_sgpr_kernarg_segment_ptr 1
		.amdhsa_user_sgpr_dispatch_id 0
		.amdhsa_user_sgpr_private_segment_size 0
		.amdhsa_wavefront_size32 1
		.amdhsa_uses_dynamic_stack 0
		.amdhsa_enable_private_segment 0
		.amdhsa_system_sgpr_workgroup_id_x 1
		.amdhsa_system_sgpr_workgroup_id_y 0
		.amdhsa_system_sgpr_workgroup_id_z 0
		.amdhsa_system_sgpr_workgroup_info 0
		.amdhsa_system_vgpr_workitem_id 0
		.amdhsa_next_free_vgpr 8
		.amdhsa_next_free_sgpr 16
		.amdhsa_reserve_vcc 1
		.amdhsa_float_round_mode_32 0
		.amdhsa_float_round_mode_16_64 0
		.amdhsa_float_denorm_mode_32 3
		.amdhsa_float_denorm_mode_16_64 3
		.amdhsa_dx10_clamp 1
		.amdhsa_ieee_mode 1
		.amdhsa_fp16_overflow 0
		.amdhsa_workgroup_processor_mode 1
		.amdhsa_memory_ordered 1
		.amdhsa_forward_progress 0
		.amdhsa_shared_vgpr_count 0
		.amdhsa_exception_fp_ieee_invalid_op 0
		.amdhsa_exception_fp_denorm_src 0
		.amdhsa_exception_fp_ieee_div_zero 0
		.amdhsa_exception_fp_ieee_overflow 0
		.amdhsa_exception_fp_ieee_underflow 0
		.amdhsa_exception_fp_ieee_inexact 0
		.amdhsa_exception_int_div_zero 0
	.end_amdhsa_kernel
	.section	.text._ZL16dequantize_blockILi32ELi2EXadL_ZL15dequantize_q5_0PKviiR7__half2EEN3c108BFloat16EEvS1_PT2_l,"axG",@progbits,_ZL16dequantize_blockILi32ELi2EXadL_ZL15dequantize_q5_0PKviiR7__half2EEN3c108BFloat16EEvS1_PT2_l,comdat
.Lfunc_end40:
	.size	_ZL16dequantize_blockILi32ELi2EXadL_ZL15dequantize_q5_0PKviiR7__half2EEN3c108BFloat16EEvS1_PT2_l, .Lfunc_end40-_ZL16dequantize_blockILi32ELi2EXadL_ZL15dequantize_q5_0PKviiR7__half2EEN3c108BFloat16EEvS1_PT2_l
                                        ; -- End function
	.section	.AMDGPU.csdata,"",@progbits
; Kernel info:
; codeLenInByte = 456
; NumSgprs: 18
; NumVgprs: 8
; ScratchSize: 0
; MemoryBound: 0
; FloatMode: 240
; IeeeMode: 1
; LDSByteSize: 0 bytes/workgroup (compile time only)
; SGPRBlocks: 2
; VGPRBlocks: 0
; NumSGPRsForWavesPerEU: 18
; NumVGPRsForWavesPerEU: 8
; Occupancy: 16
; WaveLimiterHint : 0
; COMPUTE_PGM_RSRC2:SCRATCH_EN: 0
; COMPUTE_PGM_RSRC2:USER_SGPR: 15
; COMPUTE_PGM_RSRC2:TRAP_HANDLER: 0
; COMPUTE_PGM_RSRC2:TGID_X_EN: 1
; COMPUTE_PGM_RSRC2:TGID_Y_EN: 0
; COMPUTE_PGM_RSRC2:TGID_Z_EN: 0
; COMPUTE_PGM_RSRC2:TIDIG_COMP_CNT: 0
	.section	.text._ZL16dequantize_blockILi32ELi2EXadL_ZL15dequantize_q5_1PKviiR7__half2EEN3c108BFloat16EEvS1_PT2_l,"axG",@progbits,_ZL16dequantize_blockILi32ELi2EXadL_ZL15dequantize_q5_1PKviiR7__half2EEN3c108BFloat16EEvS1_PT2_l,comdat
	.globl	_ZL16dequantize_blockILi32ELi2EXadL_ZL15dequantize_q5_1PKviiR7__half2EEN3c108BFloat16EEvS1_PT2_l ; -- Begin function _ZL16dequantize_blockILi32ELi2EXadL_ZL15dequantize_q5_1PKviiR7__half2EEN3c108BFloat16EEvS1_PT2_l
	.p2align	8
	.type	_ZL16dequantize_blockILi32ELi2EXadL_ZL15dequantize_q5_1PKviiR7__half2EEN3c108BFloat16EEvS1_PT2_l,@function
_ZL16dequantize_blockILi32ELi2EXadL_ZL15dequantize_q5_1PKviiR7__half2EEN3c108BFloat16EEvS1_PT2_l: ; @_ZL16dequantize_blockILi32ELi2EXadL_ZL15dequantize_q5_1PKviiR7__half2EEN3c108BFloat16EEvS1_PT2_l
; %bb.0:
	s_clause 0x1
	s_load_b32 s4, s[0:1], 0x24
	s_load_b64 s[2:3], s[0:1], 0x10
	v_mov_b32_e32 v1, 0
	s_waitcnt lgkmcnt(0)
	s_and_b32 s4, s4, 0xffff
	s_delay_alu instid0(VALU_DEP_1) | instid1(SALU_CYCLE_1)
	v_mad_u64_u32 v[2:3], null, s4, s15, v[0:1]
	s_delay_alu instid0(VALU_DEP_1) | instskip(NEXT) | instid1(VALU_DEP_1)
	v_lshlrev_b64 v[0:1], 1, v[2:3]
	v_cmp_gt_i64_e32 vcc_lo, s[2:3], v[0:1]
	s_and_saveexec_b32 s2, vcc_lo
	s_cbranch_execz .LBB41_2
; %bb.1:
	s_load_b128 s[0:3], s[0:1], 0x0
	v_alignbit_b32 v1, v3, v2, 4
	v_and_b32_e32 v6, 15, v2
	s_delay_alu instid0(VALU_DEP_1) | instskip(SKIP_1) | instid1(VALU_DEP_3)
	v_and_or_b32 v0, 0xffffffe0, v0, v6
	s_waitcnt lgkmcnt(0)
	v_mad_i64_i32 v[3:4], null, v1, 24, s[0:1]
	s_clause 0x1
	global_load_u16 v5, v[3:4], off offset:6
	global_load_u16 v7, v[3:4], off offset:4
	v_add_co_u32 v1, vcc_lo, v3, v6
	v_add_co_ci_u32_e32 v2, vcc_lo, 0, v4, vcc_lo
	s_clause 0x1
	global_load_u8 v1, v[1:2], off offset:8
	global_load_b32 v2, v[3:4], off
	s_waitcnt vmcnt(3)
	v_lshrrev_b16 v3, 8, v5
	v_and_b32_e32 v4, 0xff, v5
	s_delay_alu instid0(VALU_DEP_2) | instskip(NEXT) | instid1(VALU_DEP_2)
	v_lshlrev_b32_e32 v3, 24, v3
	v_lshlrev_b32_e32 v4, 16, v4
	s_waitcnt vmcnt(2)
	s_delay_alu instid0(VALU_DEP_1)
	v_or3_b32 v3, v4, v7, v3
	v_add_nc_u32_e32 v4, 12, v6
	s_waitcnt vmcnt(1)
	v_and_b32_e32 v7, 15, v1
	v_lshrrev_b16 v1, 4, v1
	v_lshrrev_b32_e32 v5, v6, v3
	v_lshrrev_b32_e32 v3, v4, v3
	s_delay_alu instid0(VALU_DEP_2) | instskip(NEXT) | instid1(VALU_DEP_2)
	v_lshlrev_b32_e32 v4, 4, v5
	v_and_or_b32 v1, v3, 16, v1
	s_delay_alu instid0(VALU_DEP_2) | instskip(NEXT) | instid1(VALU_DEP_2)
	v_and_or_b32 v3, v4, 16, v7
	v_cvt_f32_ubyte0_e32 v1, v1
	s_delay_alu instid0(VALU_DEP_2) | instskip(NEXT) | instid1(VALU_DEP_2)
	v_cvt_f32_ubyte0_e32 v3, v3
	v_cvt_f16_f32_e32 v1, v1
	s_delay_alu instid0(VALU_DEP_2) | instskip(NEXT) | instid1(VALU_DEP_1)
	v_cvt_f16_f32_e32 v3, v3
	v_pack_b32_f16 v1, v3, v1
	s_waitcnt vmcnt(0)
	s_delay_alu instid0(VALU_DEP_1) | instskip(NEXT) | instid1(VALU_DEP_1)
	v_pk_fma_f16 v2, v2, v1, v2 op_sel:[0,0,1] op_sel_hi:[0,1,1]
	v_cvt_f32_f16_e32 v1, v2
	v_lshrrev_b32_e32 v3, 16, v2
	v_cmp_o_f16_e32 vcc_lo, v2, v2
	s_delay_alu instid0(VALU_DEP_3) | instskip(NEXT) | instid1(VALU_DEP_3)
	v_bfe_u32 v4, v1, 16, 1
	v_cvt_f32_f16_e32 v5, v3
	s_delay_alu instid0(VALU_DEP_2) | instskip(SKIP_1) | instid1(VALU_DEP_3)
	v_add3_u32 v4, v1, v4, 0x7fff
	v_ashrrev_i32_e32 v1, 31, v0
	v_bfe_u32 v6, v5, 16, 1
	s_delay_alu instid0(VALU_DEP_3) | instskip(NEXT) | instid1(VALU_DEP_3)
	v_lshrrev_b32_e32 v4, 16, v4
	v_lshlrev_b64 v[0:1], 1, v[0:1]
	s_delay_alu instid0(VALU_DEP_3) | instskip(NEXT) | instid1(VALU_DEP_3)
	v_add3_u32 v5, v5, v6, 0x7fff
	v_cndmask_b32_e32 v2, 0x7fc0, v4, vcc_lo
	s_delay_alu instid0(VALU_DEP_3) | instskip(NEXT) | instid1(VALU_DEP_4)
	v_add_co_u32 v0, vcc_lo, s2, v0
	v_add_co_ci_u32_e32 v1, vcc_lo, s3, v1, vcc_lo
	s_delay_alu instid0(VALU_DEP_4) | instskip(SKIP_1) | instid1(VALU_DEP_2)
	v_lshrrev_b32_e32 v4, 16, v5
	v_cmp_o_f16_e32 vcc_lo, v3, v3
	v_cndmask_b32_e32 v3, 0x7fc0, v4, vcc_lo
	s_clause 0x1
	global_store_b16 v[0:1], v2, off
	global_store_b16 v[0:1], v3, off offset:32
.LBB41_2:
	s_nop 0
	s_sendmsg sendmsg(MSG_DEALLOC_VGPRS)
	s_endpgm
	.section	.rodata,"a",@progbits
	.p2align	6, 0x0
	.amdhsa_kernel _ZL16dequantize_blockILi32ELi2EXadL_ZL15dequantize_q5_1PKviiR7__half2EEN3c108BFloat16EEvS1_PT2_l
		.amdhsa_group_segment_fixed_size 0
		.amdhsa_private_segment_fixed_size 0
		.amdhsa_kernarg_size 280
		.amdhsa_user_sgpr_count 15
		.amdhsa_user_sgpr_dispatch_ptr 0
		.amdhsa_user_sgpr_queue_ptr 0
		.amdhsa_user_sgpr_kernarg_segment_ptr 1
		.amdhsa_user_sgpr_dispatch_id 0
		.amdhsa_user_sgpr_private_segment_size 0
		.amdhsa_wavefront_size32 1
		.amdhsa_uses_dynamic_stack 0
		.amdhsa_enable_private_segment 0
		.amdhsa_system_sgpr_workgroup_id_x 1
		.amdhsa_system_sgpr_workgroup_id_y 0
		.amdhsa_system_sgpr_workgroup_id_z 0
		.amdhsa_system_sgpr_workgroup_info 0
		.amdhsa_system_vgpr_workitem_id 0
		.amdhsa_next_free_vgpr 8
		.amdhsa_next_free_sgpr 16
		.amdhsa_reserve_vcc 1
		.amdhsa_float_round_mode_32 0
		.amdhsa_float_round_mode_16_64 0
		.amdhsa_float_denorm_mode_32 3
		.amdhsa_float_denorm_mode_16_64 3
		.amdhsa_dx10_clamp 1
		.amdhsa_ieee_mode 1
		.amdhsa_fp16_overflow 0
		.amdhsa_workgroup_processor_mode 1
		.amdhsa_memory_ordered 1
		.amdhsa_forward_progress 0
		.amdhsa_shared_vgpr_count 0
		.amdhsa_exception_fp_ieee_invalid_op 0
		.amdhsa_exception_fp_denorm_src 0
		.amdhsa_exception_fp_ieee_div_zero 0
		.amdhsa_exception_fp_ieee_overflow 0
		.amdhsa_exception_fp_ieee_underflow 0
		.amdhsa_exception_fp_ieee_inexact 0
		.amdhsa_exception_int_div_zero 0
	.end_amdhsa_kernel
	.section	.text._ZL16dequantize_blockILi32ELi2EXadL_ZL15dequantize_q5_1PKviiR7__half2EEN3c108BFloat16EEvS1_PT2_l,"axG",@progbits,_ZL16dequantize_blockILi32ELi2EXadL_ZL15dequantize_q5_1PKviiR7__half2EEN3c108BFloat16EEvS1_PT2_l,comdat
.Lfunc_end41:
	.size	_ZL16dequantize_blockILi32ELi2EXadL_ZL15dequantize_q5_1PKviiR7__half2EEN3c108BFloat16EEvS1_PT2_l, .Lfunc_end41-_ZL16dequantize_blockILi32ELi2EXadL_ZL15dequantize_q5_1PKviiR7__half2EEN3c108BFloat16EEvS1_PT2_l
                                        ; -- End function
	.section	.AMDGPU.csdata,"",@progbits
; Kernel info:
; codeLenInByte = 488
; NumSgprs: 18
; NumVgprs: 8
; ScratchSize: 0
; MemoryBound: 0
; FloatMode: 240
; IeeeMode: 1
; LDSByteSize: 0 bytes/workgroup (compile time only)
; SGPRBlocks: 2
; VGPRBlocks: 0
; NumSGPRsForWavesPerEU: 18
; NumVGPRsForWavesPerEU: 8
; Occupancy: 16
; WaveLimiterHint : 0
; COMPUTE_PGM_RSRC2:SCRATCH_EN: 0
; COMPUTE_PGM_RSRC2:USER_SGPR: 15
; COMPUTE_PGM_RSRC2:TRAP_HANDLER: 0
; COMPUTE_PGM_RSRC2:TGID_X_EN: 1
; COMPUTE_PGM_RSRC2:TGID_Y_EN: 0
; COMPUTE_PGM_RSRC2:TGID_Z_EN: 0
; COMPUTE_PGM_RSRC2:TIDIG_COMP_CNT: 0
	.section	.text._ZL16dequantize_blockILi32ELi1EXadL_ZL15dequantize_q8_0PKviiR7__half2EEN3c108BFloat16EEvS1_PT2_l,"axG",@progbits,_ZL16dequantize_blockILi32ELi1EXadL_ZL15dequantize_q8_0PKviiR7__half2EEN3c108BFloat16EEvS1_PT2_l,comdat
	.globl	_ZL16dequantize_blockILi32ELi1EXadL_ZL15dequantize_q8_0PKviiR7__half2EEN3c108BFloat16EEvS1_PT2_l ; -- Begin function _ZL16dequantize_blockILi32ELi1EXadL_ZL15dequantize_q8_0PKviiR7__half2EEN3c108BFloat16EEvS1_PT2_l
	.p2align	8
	.type	_ZL16dequantize_blockILi32ELi1EXadL_ZL15dequantize_q8_0PKviiR7__half2EEN3c108BFloat16EEvS1_PT2_l,@function
_ZL16dequantize_blockILi32ELi1EXadL_ZL15dequantize_q8_0PKviiR7__half2EEN3c108BFloat16EEvS1_PT2_l: ; @_ZL16dequantize_blockILi32ELi1EXadL_ZL15dequantize_q8_0PKviiR7__half2EEN3c108BFloat16EEvS1_PT2_l
; %bb.0:
	s_clause 0x1
	s_load_b32 s4, s[0:1], 0x24
	s_load_b64 s[2:3], s[0:1], 0x10
	v_mov_b32_e32 v1, 0
	s_waitcnt lgkmcnt(0)
	s_and_b32 s4, s4, 0xffff
	s_delay_alu instid0(VALU_DEP_1) | instid1(SALU_CYCLE_1)
	v_mad_u64_u32 v[2:3], null, s4, s15, v[0:1]
	s_delay_alu instid0(VALU_DEP_1) | instskip(NEXT) | instid1(VALU_DEP_1)
	v_lshlrev_b64 v[4:5], 1, v[2:3]
	v_cmp_gt_i64_e32 vcc_lo, s[2:3], v[4:5]
	s_and_saveexec_b32 s2, vcc_lo
	s_cbranch_execz .LBB42_2
; %bb.1:
	s_load_b128 s[0:3], s[0:1], 0x0
	v_alignbit_b32 v0, v3, v2, 4
	v_lshlrev_b32_e32 v2, 1, v2
	s_waitcnt lgkmcnt(0)
	s_delay_alu instid0(VALU_DEP_2) | instskip(SKIP_1) | instid1(VALU_DEP_1)
	v_mad_i64_i32 v[5:6], null, v0, 34, s[0:1]
	v_and_b32_e32 v0, 30, v4
	v_add_co_u32 v3, vcc_lo, v5, v0
	s_delay_alu instid0(VALU_DEP_3)
	v_add_co_ci_u32_e32 v4, vcc_lo, 0, v6, vcc_lo
	s_clause 0x1
	global_load_u16 v0, v[3:4], off offset:2
	global_load_u16 v3, v[5:6], off
	s_waitcnt vmcnt(1)
	v_bfe_i32 v4, v0, 0, 8
	v_ashrrev_i16 v0, 8, v0
	s_delay_alu instid0(VALU_DEP_2) | instskip(NEXT) | instid1(VALU_DEP_2)
	v_cvt_f16_i16_e32 v4, v4
	v_cvt_f16_i16_e32 v0, v0
	s_delay_alu instid0(VALU_DEP_1) | instskip(SKIP_1) | instid1(VALU_DEP_1)
	v_pack_b32_f16 v0, v4, v0
	s_waitcnt vmcnt(0)
	v_pk_mul_f16 v3, v3, v0 op_sel_hi:[0,1]
	s_delay_alu instid0(VALU_DEP_1) | instskip(SKIP_2) | instid1(VALU_DEP_3)
	v_cvt_f32_f16_e32 v0, v3
	v_lshrrev_b32_e32 v4, 16, v3
	v_cmp_o_f16_e32 vcc_lo, v3, v3
	v_bfe_u32 v5, v0, 16, 1
	s_delay_alu instid0(VALU_DEP_3) | instskip(NEXT) | instid1(VALU_DEP_2)
	v_cvt_f32_f16_e32 v6, v4
	v_add3_u32 v0, v0, v5, 0x7fff
	s_delay_alu instid0(VALU_DEP_2) | instskip(NEXT) | instid1(VALU_DEP_2)
	v_bfe_u32 v5, v6, 16, 1
	v_lshrrev_b32_e32 v7, 16, v0
	v_ashrrev_i64 v[0:1], 31, v[1:2]
	s_delay_alu instid0(VALU_DEP_3) | instskip(NEXT) | instid1(VALU_DEP_3)
	v_add3_u32 v5, v6, v5, 0x7fff
	v_cndmask_b32_e32 v2, 0x7fc0, v7, vcc_lo
	s_delay_alu instid0(VALU_DEP_3) | instskip(NEXT) | instid1(VALU_DEP_4)
	v_add_co_u32 v0, vcc_lo, s2, v0
	v_add_co_ci_u32_e32 v1, vcc_lo, s3, v1, vcc_lo
	s_delay_alu instid0(VALU_DEP_4) | instskip(SKIP_1) | instid1(VALU_DEP_2)
	v_lshrrev_b32_e32 v3, 16, v5
	v_cmp_o_f16_e32 vcc_lo, v4, v4
	v_cndmask_b32_e32 v3, 0x7fc0, v3, vcc_lo
	s_clause 0x1
	global_store_b16 v[0:1], v2, off
	global_store_b16 v[0:1], v3, off offset:2
.LBB42_2:
	s_nop 0
	s_sendmsg sendmsg(MSG_DEALLOC_VGPRS)
	s_endpgm
	.section	.rodata,"a",@progbits
	.p2align	6, 0x0
	.amdhsa_kernel _ZL16dequantize_blockILi32ELi1EXadL_ZL15dequantize_q8_0PKviiR7__half2EEN3c108BFloat16EEvS1_PT2_l
		.amdhsa_group_segment_fixed_size 0
		.amdhsa_private_segment_fixed_size 0
		.amdhsa_kernarg_size 280
		.amdhsa_user_sgpr_count 15
		.amdhsa_user_sgpr_dispatch_ptr 0
		.amdhsa_user_sgpr_queue_ptr 0
		.amdhsa_user_sgpr_kernarg_segment_ptr 1
		.amdhsa_user_sgpr_dispatch_id 0
		.amdhsa_user_sgpr_private_segment_size 0
		.amdhsa_wavefront_size32 1
		.amdhsa_uses_dynamic_stack 0
		.amdhsa_enable_private_segment 0
		.amdhsa_system_sgpr_workgroup_id_x 1
		.amdhsa_system_sgpr_workgroup_id_y 0
		.amdhsa_system_sgpr_workgroup_id_z 0
		.amdhsa_system_sgpr_workgroup_info 0
		.amdhsa_system_vgpr_workitem_id 0
		.amdhsa_next_free_vgpr 8
		.amdhsa_next_free_sgpr 16
		.amdhsa_reserve_vcc 1
		.amdhsa_float_round_mode_32 0
		.amdhsa_float_round_mode_16_64 0
		.amdhsa_float_denorm_mode_32 3
		.amdhsa_float_denorm_mode_16_64 3
		.amdhsa_dx10_clamp 1
		.amdhsa_ieee_mode 1
		.amdhsa_fp16_overflow 0
		.amdhsa_workgroup_processor_mode 1
		.amdhsa_memory_ordered 1
		.amdhsa_forward_progress 0
		.amdhsa_shared_vgpr_count 0
		.amdhsa_exception_fp_ieee_invalid_op 0
		.amdhsa_exception_fp_denorm_src 0
		.amdhsa_exception_fp_ieee_div_zero 0
		.amdhsa_exception_fp_ieee_overflow 0
		.amdhsa_exception_fp_ieee_underflow 0
		.amdhsa_exception_fp_ieee_inexact 0
		.amdhsa_exception_int_div_zero 0
	.end_amdhsa_kernel
	.section	.text._ZL16dequantize_blockILi32ELi1EXadL_ZL15dequantize_q8_0PKviiR7__half2EEN3c108BFloat16EEvS1_PT2_l,"axG",@progbits,_ZL16dequantize_blockILi32ELi1EXadL_ZL15dequantize_q8_0PKviiR7__half2EEN3c108BFloat16EEvS1_PT2_l,comdat
.Lfunc_end42:
	.size	_ZL16dequantize_blockILi32ELi1EXadL_ZL15dequantize_q8_0PKviiR7__half2EEN3c108BFloat16EEvS1_PT2_l, .Lfunc_end42-_ZL16dequantize_blockILi32ELi1EXadL_ZL15dequantize_q8_0PKviiR7__half2EEN3c108BFloat16EEvS1_PT2_l
                                        ; -- End function
	.section	.AMDGPU.csdata,"",@progbits
; Kernel info:
; codeLenInByte = 364
; NumSgprs: 18
; NumVgprs: 8
; ScratchSize: 0
; MemoryBound: 0
; FloatMode: 240
; IeeeMode: 1
; LDSByteSize: 0 bytes/workgroup (compile time only)
; SGPRBlocks: 2
; VGPRBlocks: 0
; NumSGPRsForWavesPerEU: 18
; NumVGPRsForWavesPerEU: 8
; Occupancy: 16
; WaveLimiterHint : 0
; COMPUTE_PGM_RSRC2:SCRATCH_EN: 0
; COMPUTE_PGM_RSRC2:USER_SGPR: 15
; COMPUTE_PGM_RSRC2:TRAP_HANDLER: 0
; COMPUTE_PGM_RSRC2:TGID_X_EN: 1
; COMPUTE_PGM_RSRC2:TGID_Y_EN: 0
; COMPUTE_PGM_RSRC2:TGID_Z_EN: 0
; COMPUTE_PGM_RSRC2:TIDIG_COMP_CNT: 0
	.section	.text._ZL21dequantize_block_q2_KIN3c108BFloat16EEvPKvPT_,"axG",@progbits,_ZL21dequantize_block_q2_KIN3c108BFloat16EEvPKvPT_,comdat
	.globl	_ZL21dequantize_block_q2_KIN3c108BFloat16EEvPKvPT_ ; -- Begin function _ZL21dequantize_block_q2_KIN3c108BFloat16EEvPKvPT_
	.p2align	8
	.type	_ZL21dequantize_block_q2_KIN3c108BFloat16EEvPKvPT_,@function
_ZL21dequantize_block_q2_KIN3c108BFloat16EEvPKvPT_: ; @_ZL21dequantize_block_q2_KIN3c108BFloat16EEvPKvPT_
; %bb.0:
	s_load_b128 s[0:3], s[0:1], 0x0
	v_lshrrev_b32_e32 v1, 5, v0
	v_bfe_u32 v2, v0, 4, 1
	s_mul_i32 s4, s15, 0x54
	s_mul_hi_u32 s5, s15, 0x54
	s_delay_alu instid0(VALU_DEP_1)
	v_lshl_or_b32 v2, v1, 3, v2
	v_lshlrev_b32_e32 v1, 8, v1
	s_waitcnt lgkmcnt(0)
	s_add_u32 s0, s0, s4
	s_addc_u32 s1, s1, s5
	s_clause 0x4
	global_load_u8 v3, v2, s[0:1]
	global_load_u8 v4, v0, s[0:1] offset:16
	global_load_u8 v5, v2, s[0:1] offset:2
	global_load_u8 v6, v2, s[0:1] offset:4
	global_load_u8 v2, v2, s[0:1] offset:6
	s_load_b32 s4, s[0:1], 0x50
	s_mov_b32 s1, 0
	s_lshl_b32 s0, s15, 8
	v_and_b32_e32 v0, 31, v0
	s_lshl_b64 s[0:1], s[0:1], 1
	s_delay_alu instid0(SALU_CYCLE_1) | instskip(SKIP_1) | instid1(VALU_DEP_1)
	s_add_u32 s0, s2, s0
	s_addc_u32 s1, s3, s1
	v_lshlrev_b32_e32 v0, 1, v0
	v_add_co_u32 v1, s0, s0, v1
	s_delay_alu instid0(VALU_DEP_1) | instskip(NEXT) | instid1(VALU_DEP_2)
	v_add_co_ci_u32_e64 v14, null, s1, 0, s0
	v_add_co_u32 v0, vcc_lo, v1, v0
	s_delay_alu instid0(VALU_DEP_2)
	v_add_co_ci_u32_e32 v1, vcc_lo, 0, v14, vcc_lo
	s_waitcnt lgkmcnt(0)
	s_lshr_b32 s2, s4, 16
	s_waitcnt vmcnt(4)
	v_and_b32_e32 v7, 15, v3
	s_waitcnt vmcnt(3)
	v_and_b32_e32 v8, 3, v4
	;; [unrolled: 2-line block ×3, first 2 shown]
	v_lshrrev_b16 v3, 4, v3
	s_waitcnt vmcnt(0)
	v_and_b32_e32 v13, 15, v2
	v_and_b32_e32 v7, 0xffff, v7
	v_bfe_u32 v10, v4, 2, 2
	v_and_b32_e32 v11, 15, v6
	v_bfe_u32 v12, v4, 4, 2
	v_lshrrev_b32_e32 v4, 6, v4
	v_and_b32_e32 v9, 0xffff, v9
	v_and_b32_e32 v13, 0xffff, v13
	v_mul_u32_u24_e32 v7, v8, v7
	v_lshrrev_b16 v5, 4, v5
	v_lshrrev_b16 v2, 4, v2
	v_cvt_f16_u16_e32 v3, v3
	v_and_b32_e32 v11, 0xffff, v11
	v_mul_u32_u24_e32 v8, v10, v9
	v_mul_u32_u24_e32 v4, v4, v13
	v_cvt_f32_ubyte0_e32 v7, v7
	v_lshrrev_b16 v6, 4, v6
	v_cvt_f16_u16_e32 v5, v5
	v_cvt_f16_u16_e32 v2, v2
	v_mul_f16_e32 v3, s2, v3
	v_mul_u32_u24_e32 v9, v12, v11
	v_cvt_f32_ubyte0_e32 v8, v8
	v_cvt_f32_ubyte0_e32 v4, v4
	v_cvt_f16_f32_e32 v7, v7
	v_cvt_f16_u16_e32 v6, v6
	v_mul_f16_e32 v5, s2, v5
	v_cvt_f32_ubyte0_e32 v9, v9
	v_mul_f16_e32 v2, s2, v2
	v_cvt_f16_f32_e32 v8, v8
	v_cvt_f16_f32_e32 v4, v4
	v_fma_f16 v3, s4, v7, -v3
	v_mul_f16_e32 v6, s2, v6
	v_cvt_f16_f32_e32 v9, v9
	v_fma_f16 v5, s4, v8, -v5
	v_fma_f16 v2, s4, v4, -v2
	v_cvt_f32_f16_e32 v4, v3
	v_cmp_o_f16_e32 vcc_lo, v3, v3
	v_fma_f16 v6, s4, v9, -v6
	v_cvt_f32_f16_e32 v7, v5
	v_cvt_f32_f16_e32 v9, v2
	v_bfe_u32 v10, v4, 16, 1
	s_delay_alu instid0(VALU_DEP_4) | instskip(NEXT) | instid1(VALU_DEP_4)
	v_cvt_f32_f16_e32 v8, v6
	v_bfe_u32 v11, v7, 16, 1
	s_delay_alu instid0(VALU_DEP_4) | instskip(NEXT) | instid1(VALU_DEP_4)
	v_bfe_u32 v13, v9, 16, 1
	v_add3_u32 v4, v4, v10, 0x7fff
	s_delay_alu instid0(VALU_DEP_4) | instskip(NEXT) | instid1(VALU_DEP_4)
	v_bfe_u32 v12, v8, 16, 1
	v_add3_u32 v7, v7, v11, 0x7fff
	s_delay_alu instid0(VALU_DEP_4) | instskip(NEXT) | instid1(VALU_DEP_4)
	v_add3_u32 v9, v9, v13, 0x7fff
	v_lshrrev_b32_e32 v4, 16, v4
	s_delay_alu instid0(VALU_DEP_4) | instskip(NEXT) | instid1(VALU_DEP_4)
	v_add3_u32 v8, v8, v12, 0x7fff
	v_lshrrev_b32_e32 v7, 16, v7
	s_delay_alu instid0(VALU_DEP_4) | instskip(NEXT) | instid1(VALU_DEP_4)
	v_lshrrev_b32_e32 v9, 16, v9
	v_cndmask_b32_e32 v3, 0x7fc0, v4, vcc_lo
	v_cmp_o_f16_e32 vcc_lo, v5, v5
	v_lshrrev_b32_e32 v8, 16, v8
	v_cndmask_b32_e32 v4, 0x7fc0, v7, vcc_lo
	v_cmp_o_f16_e32 vcc_lo, v6, v6
	s_delay_alu instid0(VALU_DEP_3)
	v_cndmask_b32_e32 v5, 0x7fc0, v8, vcc_lo
	v_cmp_o_f16_e32 vcc_lo, v2, v2
	v_cndmask_b32_e32 v2, 0x7fc0, v9, vcc_lo
	s_clause 0x3
	global_store_b16 v[0:1], v3, off
	global_store_b16 v[0:1], v4, off offset:64
	global_store_b16 v[0:1], v5, off offset:128
	global_store_b16 v[0:1], v2, off offset:192
	s_nop 0
	s_sendmsg sendmsg(MSG_DEALLOC_VGPRS)
	s_endpgm
	.section	.rodata,"a",@progbits
	.p2align	6, 0x0
	.amdhsa_kernel _ZL21dequantize_block_q2_KIN3c108BFloat16EEvPKvPT_
		.amdhsa_group_segment_fixed_size 0
		.amdhsa_private_segment_fixed_size 0
		.amdhsa_kernarg_size 16
		.amdhsa_user_sgpr_count 15
		.amdhsa_user_sgpr_dispatch_ptr 0
		.amdhsa_user_sgpr_queue_ptr 0
		.amdhsa_user_sgpr_kernarg_segment_ptr 1
		.amdhsa_user_sgpr_dispatch_id 0
		.amdhsa_user_sgpr_private_segment_size 0
		.amdhsa_wavefront_size32 1
		.amdhsa_uses_dynamic_stack 0
		.amdhsa_enable_private_segment 0
		.amdhsa_system_sgpr_workgroup_id_x 1
		.amdhsa_system_sgpr_workgroup_id_y 0
		.amdhsa_system_sgpr_workgroup_id_z 0
		.amdhsa_system_sgpr_workgroup_info 0
		.amdhsa_system_vgpr_workitem_id 0
		.amdhsa_next_free_vgpr 15
		.amdhsa_next_free_sgpr 16
		.amdhsa_reserve_vcc 1
		.amdhsa_float_round_mode_32 0
		.amdhsa_float_round_mode_16_64 0
		.amdhsa_float_denorm_mode_32 3
		.amdhsa_float_denorm_mode_16_64 3
		.amdhsa_dx10_clamp 1
		.amdhsa_ieee_mode 1
		.amdhsa_fp16_overflow 0
		.amdhsa_workgroup_processor_mode 1
		.amdhsa_memory_ordered 1
		.amdhsa_forward_progress 0
		.amdhsa_shared_vgpr_count 0
		.amdhsa_exception_fp_ieee_invalid_op 0
		.amdhsa_exception_fp_denorm_src 0
		.amdhsa_exception_fp_ieee_div_zero 0
		.amdhsa_exception_fp_ieee_overflow 0
		.amdhsa_exception_fp_ieee_underflow 0
		.amdhsa_exception_fp_ieee_inexact 0
		.amdhsa_exception_int_div_zero 0
	.end_amdhsa_kernel
	.section	.text._ZL21dequantize_block_q2_KIN3c108BFloat16EEvPKvPT_,"axG",@progbits,_ZL21dequantize_block_q2_KIN3c108BFloat16EEvPKvPT_,comdat
.Lfunc_end43:
	.size	_ZL21dequantize_block_q2_KIN3c108BFloat16EEvPKvPT_, .Lfunc_end43-_ZL21dequantize_block_q2_KIN3c108BFloat16EEvPKvPT_
                                        ; -- End function
	.section	.AMDGPU.csdata,"",@progbits
; Kernel info:
; codeLenInByte = 660
; NumSgprs: 18
; NumVgprs: 15
; ScratchSize: 0
; MemoryBound: 0
; FloatMode: 240
; IeeeMode: 1
; LDSByteSize: 0 bytes/workgroup (compile time only)
; SGPRBlocks: 2
; VGPRBlocks: 1
; NumSGPRsForWavesPerEU: 18
; NumVGPRsForWavesPerEU: 15
; Occupancy: 16
; WaveLimiterHint : 0
; COMPUTE_PGM_RSRC2:SCRATCH_EN: 0
; COMPUTE_PGM_RSRC2:USER_SGPR: 15
; COMPUTE_PGM_RSRC2:TRAP_HANDLER: 0
; COMPUTE_PGM_RSRC2:TGID_X_EN: 1
; COMPUTE_PGM_RSRC2:TGID_Y_EN: 0
; COMPUTE_PGM_RSRC2:TGID_Z_EN: 0
; COMPUTE_PGM_RSRC2:TIDIG_COMP_CNT: 0
	.section	.text._ZL21dequantize_block_q3_KIN3c108BFloat16EEvPKvPT_,"axG",@progbits,_ZL21dequantize_block_q3_KIN3c108BFloat16EEvPKvPT_,comdat
	.globl	_ZL21dequantize_block_q3_KIN3c108BFloat16EEvPKvPT_ ; -- Begin function _ZL21dequantize_block_q3_KIN3c108BFloat16EEvPKvPT_
	.p2align	8
	.type	_ZL21dequantize_block_q3_KIN3c108BFloat16EEvPKvPT_,@function
_ZL21dequantize_block_q3_KIN3c108BFloat16EEvPKvPT_: ; @_ZL21dequantize_block_q3_KIN3c108BFloat16EEvPKvPT_
; %bb.0:
	v_lshrrev_b32_e32 v3, 5, v0
	v_lshrrev_b32_e32 v6, 3, v0
	s_load_b128 s[0:3], s[0:1], 0x0
	v_bfe_u32 v7, v0, 2, 1
	s_mov_b32 s4, s15
	v_lshlrev_b32_e32 v1, 2, v3
                                        ; implicit-def: $vgpr8
                                        ; implicit-def: $vgpr9
	s_mov_b32 s5, exec_lo
	s_delay_alu instid0(VALU_DEP_1) | instskip(NEXT) | instid1(VALU_DEP_1)
	v_sub_nc_u32_e32 v4, v6, v1
                                        ; implicit-def: $vgpr1_vgpr2
	v_lshlrev_b32_e32 v5, 1, v4
	s_delay_alu instid0(VALU_DEP_1) | instskip(NEXT) | instid1(VALU_DEP_1)
	v_lshl_add_u32 v11, v3, 3, v5
	v_or_b32_e32 v10, v11, v7
	s_delay_alu instid0(VALU_DEP_1)
	v_cmpx_lt_i32_e32 3, v10
	s_xor_b32 s6, exec_lo, s5
	s_cbranch_execz .LBB44_10
; %bb.1:
                                        ; implicit-def: $vgpr1_vgpr2
                                        ; implicit-def: $vgpr8
                                        ; implicit-def: $vgpr9
	s_mov_b32 s5, exec_lo
	v_cmpx_lt_u32_e32 7, v11
	s_xor_b32 s7, exec_lo, s5
	s_cbranch_execz .LBB44_7
; %bb.2:
	v_add_nc_u32_e32 v1, -8, v10
	s_mul_i32 s9, s4, 0x6e
	s_mul_hi_u32 s8, s4, 0x6e
	s_waitcnt lgkmcnt(0)
	s_add_u32 s10, s0, s9
	s_addc_u32 s11, s1, s8
	s_mov_b32 s5, 0
	global_load_u8 v1, v1, s[10:11] offset:96
	s_mov_b32 s10, exec_lo
                                        ; implicit-def: $vgpr9
	s_waitcnt vmcnt(0)
	v_lshrrev_b16 v8, 4, v1
	v_cmpx_lt_u32_e32 11, v11
	s_xor_b32 s10, exec_lo, s10
	s_cbranch_execz .LBB44_4
; %bb.3:
	v_add_nc_u32_e32 v1, -4, v10
	s_add_u32 s12, s0, s9
	s_addc_u32 s13, s1, s8
                                        ; implicit-def: $vgpr10
	global_load_u8 v1, v1, s[12:13] offset:96
	s_waitcnt vmcnt(0)
	v_lshrrev_b16 v9, 2, v1
.LBB44_4:
	s_or_saveexec_b32 s10, s10
	v_dual_mov_b32 v1, s4 :: v_dual_mov_b32 v2, s5
	s_xor_b32 exec_lo, exec_lo, s10
	s_cbranch_execz .LBB44_6
; %bb.5:
	s_add_u32 s12, s0, s9
	s_addc_u32 s13, s1, s8
	v_dual_mov_b32 v1, s4 :: v_dual_mov_b32 v2, s5
	global_load_u8 v9, v10, s[12:13] offset:96
.LBB44_6:
	s_or_b32 exec_lo, exec_lo, s10
                                        ; implicit-def: $vgpr10
.LBB44_7:
	s_and_not1_saveexec_b32 s7, s7
	s_cbranch_execz .LBB44_9
; %bb.8:
	s_mul_i32 s5, s4, 0x6e
	s_mul_hi_u32 s9, s4, 0x6e
	s_waitcnt lgkmcnt(0)
	s_add_u32 s8, s0, s5
	s_addc_u32 s9, s1, s9
	s_mov_b32 s5, 0
	s_clause 0x1
	global_load_u8 v1, v10, s[8:9] offset:96
	global_load_u8 v2, v10, s[8:9] offset:100
	s_waitcnt vmcnt(1)
	v_and_b32_e32 v8, 15, v1
	s_waitcnt vmcnt(0)
	v_lshlrev_b16 v9, 2, v2
	v_dual_mov_b32 v1, s4 :: v_dual_mov_b32 v2, s5
.LBB44_9:
	s_or_b32 exec_lo, exec_lo, s7
                                        ; implicit-def: $vgpr10
.LBB44_10:
	s_and_not1_saveexec_b32 s6, s6
	s_cbranch_execz .LBB44_12
; %bb.11:
	s_mul_i32 s5, s4, 0x6e
	v_ashrrev_i32_e32 v2, 31, v10
	s_mul_hi_u32 s7, s4, 0x6e
	s_waitcnt lgkmcnt(0)
	s_add_u32 s5, s0, s5
	s_addc_u32 s7, s1, s7
	v_add_co_u32 v1, vcc_lo, s5, v10
	v_add_co_ci_u32_e32 v2, vcc_lo, s7, v2, vcc_lo
	s_mov_b32 s5, 0
	s_clause 0x1
	global_load_u8 v8, v[1:2], off offset:96
	global_load_u8 v1, v[1:2], off offset:104
	s_waitcnt vmcnt(1)
	v_and_b32_e32 v8, 15, v8
	s_waitcnt vmcnt(0)
	v_lshlrev_b16 v9, 4, v1
	v_dual_mov_b32 v1, s4 :: v_dual_mov_b32 v2, s5
.LBB44_12:
	s_or_b32 exec_lo, exec_lo, s6
	s_waitcnt lgkmcnt(0)
	s_delay_alu instid0(VALU_DEP_1)
	v_mad_u64_u32 v[10:11], null, 0x6e, v1, s[0:1]
	s_waitcnt vmcnt(0)
	v_and_b32_e32 v9, 48, v9
	v_lshlrev_b32_e32 v13, 2, v0
	v_lshlrev_b32_e64 v6, v6, 1
	s_lshl_b32 s0, s4, 8
	s_mov_b32 s1, 0
	v_or_b32_e32 v8, v9, v8
	v_mov_b32_e32 v1, v11
	v_lshlrev_b32_e32 v3, 8, v3
	s_lshl_b64 s[0:1], s[0:1], 1
	s_delay_alu instid0(VALU_DEP_3) | instskip(NEXT) | instid1(VALU_DEP_3)
	v_and_b32_e32 v8, 0xff, v8
	v_mad_u64_u32 v[11:12], null, 0x6e, v2, v[1:2]
	v_and_b32_e32 v1, 12, v13
	s_add_u32 s0, s2, s0
	s_delay_alu instid0(VALU_DEP_3)
	v_subrev_nc_u32_e32 v8, 32, v8
	s_addc_u32 s1, s3, s1
	v_add_co_u32 v3, s0, s0, v3
	v_lshl_or_b32 v2, v7, 4, v1
	v_and_b32_e32 v7, 0x3e0, v0
	v_cvt_f32_i32_e32 v8, v8
	s_delay_alu instid0(VALU_DEP_3) | instskip(SKIP_1) | instid1(VALU_DEP_3)
	v_add_co_u32 v0, vcc_lo, v10, v2
	v_add_co_ci_u32_e32 v1, vcc_lo, 0, v11, vcc_lo
	v_cvt_f16_f32_e32 v8, v8
	s_delay_alu instid0(VALU_DEP_3) | instskip(NEXT) | instid1(VALU_DEP_3)
	v_add_co_u32 v12, vcc_lo, v0, v7
	v_add_co_ci_u32_e32 v13, vcc_lo, 0, v1, vcc_lo
	s_clause 0x2
	global_load_b32 v7, v[12:13], off offset:32
	global_load_b32 v0, v[0:1], off
	global_load_u16 v1, v[10:11], off offset:108
	v_lshlrev_b32_e32 v2, 1, v2
	s_waitcnt vmcnt(2)
	v_lshrrev_b32_e32 v9, 24, v7
	s_waitcnt vmcnt(1)
	v_lshrrev_b32_e32 v12, 16, v0
	v_lshrrev_b32_e32 v13, 8, v0
	;; [unrolled: 1-line block ×3, first 2 shown]
	v_and_b32_e32 v0, v0, v6
	v_bfe_u32 v10, v7, 8, 8
	v_and_b32_e32 v11, 0xff, v7
	v_bfe_u32 v7, v7, 16, 8
	v_and_b32_e32 v13, v13, v6
	v_and_b32_e32 v0, 0xff, v0
	v_lshrrev_b32_e32 v10, v5, v10
	v_lshrrev_b32_e32 v11, v5, v11
	;; [unrolled: 1-line block ×4, first 2 shown]
	v_and_b32_e32 v7, v12, v6
	v_and_b32_e32 v12, 0xff, v13
	v_cmp_eq_u32_e32 vcc_lo, 0, v0
	v_and_b32_e32 v6, v6, v14
	s_waitcnt vmcnt(0)
	v_mul_f16_e32 v8, v1, v8
	v_and_b32_e32 v7, 0xff, v7
	v_cndmask_b32_e64 v0, 0, -4, vcc_lo
	v_cmp_eq_u32_e32 vcc_lo, 0, v12
	s_delay_alu instid0(VALU_DEP_2) | instskip(SKIP_2) | instid1(VALU_DEP_3)
	v_and_or_b32 v0, v11, 3, v0
	v_cndmask_b32_e64 v12, 0, -4, vcc_lo
	v_cmp_eq_u32_e32 vcc_lo, 0, v6
	v_cvt_f32_i32_e32 v0, v0
	s_delay_alu instid0(VALU_DEP_3) | instskip(SKIP_2) | instid1(VALU_DEP_4)
	v_and_or_b32 v10, v10, 3, v12
	v_cndmask_b32_e64 v6, 0, -4, vcc_lo
	v_cmp_eq_u32_e32 vcc_lo, 0, v7
	v_cvt_f16_f32_e32 v0, v0
	s_delay_alu instid0(VALU_DEP_3) | instskip(SKIP_1) | instid1(VALU_DEP_2)
	v_and_or_b32 v6, v9, 3, v6
	v_cndmask_b32_e64 v7, 0, -4, vcc_lo
	v_cvt_f32_i32_e32 v6, v6
	s_delay_alu instid0(VALU_DEP_2) | instskip(SKIP_1) | instid1(VALU_DEP_3)
	v_and_or_b32 v5, v5, 3, v7
	v_cvt_f32_i32_e32 v7, v10
	v_cvt_f16_f32_e32 v1, v6
	s_delay_alu instid0(VALU_DEP_3) | instskip(NEXT) | instid1(VALU_DEP_3)
	v_cvt_f32_i32_e32 v5, v5
	v_cvt_f16_f32_e32 v7, v7
	s_delay_alu instid0(VALU_DEP_2) | instskip(NEXT) | instid1(VALU_DEP_2)
	v_cvt_f16_f32_e32 v5, v5
	v_pack_b32_f16 v6, v0, v7
	v_lshlrev_b32_e32 v0, 5, v4
	v_add_co_ci_u32_e64 v7, null, s1, 0, s0
	s_delay_alu instid0(VALU_DEP_4) | instskip(NEXT) | instid1(VALU_DEP_4)
	v_pack_b32_f16 v4, v5, v1
	v_pk_mul_f16 v5, v8, v6 op_sel_hi:[0,1]
	s_delay_alu instid0(VALU_DEP_4) | instskip(NEXT) | instid1(VALU_DEP_3)
	v_ashrrev_i32_e32 v1, 31, v0
	v_pk_mul_f16 v4, v8, v4 op_sel_hi:[0,1]
	s_delay_alu instid0(VALU_DEP_3) | instskip(SKIP_1) | instid1(VALU_DEP_4)
	v_cvt_f32_f16_e32 v8, v5
	v_lshrrev_b32_e32 v6, 16, v5
	v_lshlrev_b64 v[0:1], 1, v[0:1]
	s_delay_alu instid0(VALU_DEP_4) | instskip(NEXT) | instid1(VALU_DEP_4)
	v_cvt_f32_f16_e32 v10, v4
	v_bfe_u32 v12, v8, 16, 1
	v_lshrrev_b32_e32 v9, 16, v4
	v_cvt_f32_f16_e32 v11, v6
	v_add_co_u32 v0, vcc_lo, v3, v0
	v_bfe_u32 v14, v10, 16, 1
	v_add3_u32 v8, v8, v12, 0x7fff
	v_add_co_ci_u32_e32 v1, vcc_lo, v7, v1, vcc_lo
	v_cvt_f32_f16_e32 v13, v9
	v_bfe_u32 v15, v11, 16, 1
	v_add3_u32 v10, v10, v14, 0x7fff
	v_lshrrev_b32_e32 v3, 16, v8
	v_cmp_o_f16_e32 vcc_lo, v5, v5
	v_bfe_u32 v12, v13, 16, 1
	v_add3_u32 v11, v11, v15, 0x7fff
	v_lshrrev_b32_e32 v8, 16, v10
	v_cndmask_b32_e32 v5, 0x7fc0, v3, vcc_lo
	v_cmp_o_f16_e32 vcc_lo, v4, v4
	v_add3_u32 v7, v13, v12, 0x7fff
	v_lshrrev_b32_e32 v10, 16, v11
	v_cndmask_b32_e32 v4, 0x7fc0, v8, vcc_lo
	v_cmp_o_f16_e32 vcc_lo, v6, v6
	s_delay_alu instid0(VALU_DEP_4) | instskip(NEXT) | instid1(VALU_DEP_4)
	v_lshrrev_b32_e32 v3, 16, v7
	v_cndmask_b32_e32 v6, 0x7fc0, v10, vcc_lo
	v_cmp_o_f16_e32 vcc_lo, v9, v9
	s_delay_alu instid0(VALU_DEP_3) | instskip(SKIP_2) | instid1(VALU_DEP_3)
	v_cndmask_b32_e32 v3, 0x7fc0, v3, vcc_lo
	v_add_co_u32 v0, vcc_lo, v0, v2
	v_add_co_ci_u32_e32 v1, vcc_lo, 0, v1, vcc_lo
	v_perm_b32 v3, v3, v4, 0x5040100
	v_perm_b32 v2, v6, v5, 0x5040100
	global_store_b64 v[0:1], v[2:3], off
	s_nop 0
	s_sendmsg sendmsg(MSG_DEALLOC_VGPRS)
	s_endpgm
	.section	.rodata,"a",@progbits
	.p2align	6, 0x0
	.amdhsa_kernel _ZL21dequantize_block_q3_KIN3c108BFloat16EEvPKvPT_
		.amdhsa_group_segment_fixed_size 0
		.amdhsa_private_segment_fixed_size 0
		.amdhsa_kernarg_size 16
		.amdhsa_user_sgpr_count 15
		.amdhsa_user_sgpr_dispatch_ptr 0
		.amdhsa_user_sgpr_queue_ptr 0
		.amdhsa_user_sgpr_kernarg_segment_ptr 1
		.amdhsa_user_sgpr_dispatch_id 0
		.amdhsa_user_sgpr_private_segment_size 0
		.amdhsa_wavefront_size32 1
		.amdhsa_uses_dynamic_stack 0
		.amdhsa_enable_private_segment 0
		.amdhsa_system_sgpr_workgroup_id_x 1
		.amdhsa_system_sgpr_workgroup_id_y 0
		.amdhsa_system_sgpr_workgroup_id_z 0
		.amdhsa_system_sgpr_workgroup_info 0
		.amdhsa_system_vgpr_workitem_id 0
		.amdhsa_next_free_vgpr 16
		.amdhsa_next_free_sgpr 16
		.amdhsa_reserve_vcc 1
		.amdhsa_float_round_mode_32 0
		.amdhsa_float_round_mode_16_64 0
		.amdhsa_float_denorm_mode_32 3
		.amdhsa_float_denorm_mode_16_64 3
		.amdhsa_dx10_clamp 1
		.amdhsa_ieee_mode 1
		.amdhsa_fp16_overflow 0
		.amdhsa_workgroup_processor_mode 1
		.amdhsa_memory_ordered 1
		.amdhsa_forward_progress 0
		.amdhsa_shared_vgpr_count 0
		.amdhsa_exception_fp_ieee_invalid_op 0
		.amdhsa_exception_fp_denorm_src 0
		.amdhsa_exception_fp_ieee_div_zero 0
		.amdhsa_exception_fp_ieee_overflow 0
		.amdhsa_exception_fp_ieee_underflow 0
		.amdhsa_exception_fp_ieee_inexact 0
		.amdhsa_exception_int_div_zero 0
	.end_amdhsa_kernel
	.section	.text._ZL21dequantize_block_q3_KIN3c108BFloat16EEvPKvPT_,"axG",@progbits,_ZL21dequantize_block_q3_KIN3c108BFloat16EEvPKvPT_,comdat
.Lfunc_end44:
	.size	_ZL21dequantize_block_q3_KIN3c108BFloat16EEvPKvPT_, .Lfunc_end44-_ZL21dequantize_block_q3_KIN3c108BFloat16EEvPKvPT_
                                        ; -- End function
	.section	.AMDGPU.csdata,"",@progbits
; Kernel info:
; codeLenInByte = 1216
; NumSgprs: 18
; NumVgprs: 16
; ScratchSize: 0
; MemoryBound: 0
; FloatMode: 240
; IeeeMode: 1
; LDSByteSize: 0 bytes/workgroup (compile time only)
; SGPRBlocks: 2
; VGPRBlocks: 1
; NumSGPRsForWavesPerEU: 18
; NumVGPRsForWavesPerEU: 16
; Occupancy: 16
; WaveLimiterHint : 0
; COMPUTE_PGM_RSRC2:SCRATCH_EN: 0
; COMPUTE_PGM_RSRC2:USER_SGPR: 15
; COMPUTE_PGM_RSRC2:TRAP_HANDLER: 0
; COMPUTE_PGM_RSRC2:TGID_X_EN: 1
; COMPUTE_PGM_RSRC2:TGID_Y_EN: 0
; COMPUTE_PGM_RSRC2:TGID_Z_EN: 0
; COMPUTE_PGM_RSRC2:TIDIG_COMP_CNT: 0
	.section	.text._ZL21dequantize_block_q4_KIN3c108BFloat16EEvPKvPT_,"axG",@progbits,_ZL21dequantize_block_q4_KIN3c108BFloat16EEvPKvPT_,comdat
	.globl	_ZL21dequantize_block_q4_KIN3c108BFloat16EEvPKvPT_ ; -- Begin function _ZL21dequantize_block_q4_KIN3c108BFloat16EEvPKvPT_
	.p2align	8
	.type	_ZL21dequantize_block_q4_KIN3c108BFloat16EEvPKvPT_,@function
_ZL21dequantize_block_q4_KIN3c108BFloat16EEvPKvPT_: ; @_ZL21dequantize_block_q4_KIN3c108BFloat16EEvPKvPT_
; %bb.0:
	s_load_b64 s[2:3], s[0:1], 0x0
	v_lshrrev_b32_e32 v3, 3, v0
	s_mul_i32 s5, s15, 0x90
	s_mul_hi_u32 s4, s15, 0x90
	v_cmp_lt_u32_e32 vcc_lo, 15, v0
                                        ; implicit-def: $vgpr5
                                        ; implicit-def: $vgpr4
	s_delay_alu instid0(VALU_DEP_2) | instskip(SKIP_3) | instid1(VALU_DEP_1)
	v_lshlrev_b32_e32 v6, 1, v3
	s_waitcnt lgkmcnt(0)
	s_add_u32 s2, s2, s5
	s_addc_u32 s3, s3, s4
	v_add_co_u32 v1, s4, s2, v6
	s_delay_alu instid0(VALU_DEP_1) | instskip(SKIP_1) | instid1(SALU_CYCLE_1)
	v_add_co_ci_u32_e64 v2, null, s3, 0, s4
	s_and_saveexec_b32 s4, vcc_lo
	s_xor_b32 s4, exec_lo, s4
	s_cbranch_execz .LBB45_2
; %bb.1:
	s_clause 0x2
	global_load_u8 v4, v[1:2], off
	global_load_u8 v5, v[1:2], off offset:4
	global_load_u8 v1, v[1:2], off offset:8
	s_waitcnt vmcnt(2)
	v_lshrrev_b16 v2, 2, v4
	s_waitcnt vmcnt(1)
	v_lshrrev_b16 v4, 2, v5
	s_waitcnt vmcnt(0)
	v_and_b32_e32 v5, 15, v1
	v_lshrrev_b16 v1, 4, v1
	v_and_b32_e32 v2, 48, v2
	v_and_b32_e32 v7, 48, v4
	s_delay_alu instid0(VALU_DEP_2) | instskip(NEXT) | instid1(VALU_DEP_2)
	v_or_b32_e32 v4, v2, v5
	v_or_b32_e32 v5, v7, v1
                                        ; implicit-def: $vgpr1_vgpr2
.LBB45_2:
	s_and_not1_saveexec_b32 s4, s4
	s_cbranch_execz .LBB45_4
; %bb.3:
	s_clause 0x1
	global_load_u8 v4, v[1:2], off offset:4
	global_load_u8 v1, v[1:2], off offset:8
	s_waitcnt vmcnt(1)
	v_and_b32_e32 v4, 63, v4
	s_waitcnt vmcnt(0)
	v_and_b32_e32 v5, 63, v1
.LBB45_4:
	s_or_b32 exec_lo, exec_lo, s4
	s_load_b64 s[0:1], s[0:1], 0x8
	s_load_b32 s4, s[2:3], 0x0
	s_add_u32 s5, s2, 4
	s_addc_u32 s6, s3, 0
	v_add_co_u32 v1, s5, s5, v6
	s_delay_alu instid0(VALU_DEP_1) | instskip(SKIP_1) | instid1(SALU_CYCLE_1)
	v_add_co_ci_u32_e64 v2, null, s6, 0, s5
                                        ; implicit-def: $vgpr6
                                        ; implicit-def: $vgpr7
	s_and_saveexec_b32 s5, vcc_lo
	s_xor_b32 s5, exec_lo, s5
	s_cbranch_execz .LBB45_6
; %bb.5:
	s_clause 0x2
	global_load_u8 v6, v[1:2], off offset:-3
	global_load_u8 v7, v[1:2], off offset:1
	global_load_u8 v1, v[1:2], off offset:5
	s_waitcnt vmcnt(2)
	v_lshrrev_b16 v2, 2, v6
	s_waitcnt vmcnt(1)
	v_lshrrev_b16 v6, 2, v7
	s_waitcnt vmcnt(0)
	v_and_b32_e32 v7, 15, v1
	v_lshrrev_b16 v1, 4, v1
	v_and_b32_e32 v2, 48, v2
	v_and_b32_e32 v6, 48, v6
	s_delay_alu instid0(VALU_DEP_2) | instskip(NEXT) | instid1(VALU_DEP_2)
	v_or_b32_e32 v7, v2, v7
	v_or_b32_e32 v6, v6, v1
                                        ; implicit-def: $vgpr1_vgpr2
.LBB45_6:
	s_and_not1_saveexec_b32 s5, s5
	s_cbranch_execz .LBB45_8
; %bb.7:
	s_clause 0x1
	global_load_u8 v6, v[1:2], off offset:1
	global_load_u8 v1, v[1:2], off offset:5
	s_waitcnt vmcnt(1)
	v_and_b32_e32 v7, 63, v6
	s_waitcnt vmcnt(0)
	v_and_b32_e32 v6, 63, v1
.LBB45_8:
	s_or_b32 exec_lo, exec_lo, s5
	v_lshlrev_b32_e32 v0, 2, v0
	v_lshlrev_b32_e32 v1, 5, v3
	v_and_b32_e32 v4, 0xff, v4
	s_waitcnt lgkmcnt(0)
	s_lshr_b32 s5, s4, 16
	v_and_b32_e32 v6, 0xff, v6
	v_and_b32_e32 v2, 28, v0
	v_add_co_u32 v0, s2, s2, v1
	s_delay_alu instid0(VALU_DEP_1) | instskip(SKIP_1) | instid1(VALU_DEP_3)
	v_add_co_ci_u32_e64 v1, null, s3, 0, s2
	v_cvt_f16_u16_e32 v4, v4
	v_add_co_u32 v0, vcc_lo, v0, v2
	s_delay_alu instid0(VALU_DEP_3) | instskip(NEXT) | instid1(VALU_DEP_3)
	v_add_co_ci_u32_e32 v1, vcc_lo, 0, v1, vcc_lo
	v_mul_f16_e32 v4, s4, v4
	v_cvt_f16_u16_e32 v6, v6
	s_mov_b32 s3, 0
	global_load_b32 v0, v[0:1], off offset:16
	v_and_b32_e32 v1, 0xff, v5
	v_and_b32_e32 v5, 0xff, v7
	v_mul_f16_e32 v6, s5, v6
	s_lshl_b32 s2, s15, 8
	s_delay_alu instid0(VALU_DEP_3) | instskip(NEXT) | instid1(VALU_DEP_3)
	v_cvt_f16_u16_e32 v1, v1
	v_cvt_f16_u16_e32 v5, v5
	s_lshl_b64 s[2:3], s[2:3], 1
	s_delay_alu instid0(SALU_CYCLE_1) | instskip(NEXT) | instid1(VALU_DEP_2)
	s_add_u32 s0, s0, s2
	v_mul_f16_e32 v1, s5, v1
	s_delay_alu instid0(VALU_DEP_2)
	v_mul_f16_e32 v5, s4, v5
	s_addc_u32 s1, s1, s3
	s_waitcnt vmcnt(0)
	v_lshrrev_b32_e32 v9, 8, v0
	v_lshrrev_b32_e32 v8, 16, v0
	v_and_b32_e32 v10, 15, v0
	v_lshrrev_b32_e32 v11, 24, v0
	v_lshrrev_b16 v12, 4, v0
	v_and_b32_e32 v13, 15, v9
	v_lshrrev_b32_e32 v0, 20, v0
	v_cvt_f16_u16_e32 v10, v10
	v_lshrrev_b16 v9, 4, v9
	v_and_b32_e32 v8, 15, v8
	v_and_b32_e32 v14, 15, v11
	v_cvt_f16_u16_e32 v13, v13
	v_and_b32_e32 v12, 15, v12
	v_and_b32_e32 v0, 15, v0
	v_lshrrev_b16 v11, 4, v11
	v_and_b32_e32 v9, 15, v9
	v_cvt_f16_u16_e32 v14, v14
	v_cvt_f16_u16_e32 v8, v8
	v_pack_b32_f16 v10, v10, v13
	v_cvt_f16_u16_e32 v11, v11
	v_cvt_f16_u16_e32 v0, v0
	;; [unrolled: 1-line block ×4, first 2 shown]
	v_pack_b32_f16 v8, v8, v14
	v_pk_fma_f16 v10, v4, v10, v1 op_sel_hi:[0,1,0] neg_lo:[0,0,1] neg_hi:[0,0,1]
	v_pack_b32_f16 v0, v0, v11
	s_delay_alu instid0(VALU_DEP_4) | instskip(NEXT) | instid1(VALU_DEP_4)
	v_pack_b32_f16 v9, v12, v9
	v_pk_fma_f16 v1, v4, v8, v1 op_sel_hi:[0,1,0] neg_lo:[0,0,1] neg_hi:[0,0,1]
	s_delay_alu instid0(VALU_DEP_4) | instskip(NEXT) | instid1(VALU_DEP_4)
	v_cvt_f32_f16_e32 v8, v10
	v_pk_fma_f16 v0, v5, v0, v6 op_sel_hi:[0,1,0] neg_lo:[0,0,1] neg_hi:[0,0,1]
	v_lshrrev_b32_e32 v4, 16, v10
	v_pk_fma_f16 v5, v5, v9, v6 op_sel_hi:[0,1,0] neg_lo:[0,0,1] neg_hi:[0,0,1]
	v_cvt_f32_f16_e32 v9, v1
	v_bfe_u32 v14, v8, 16, 1
	v_cvt_f32_f16_e32 v12, v0
	v_cvt_f32_f16_e32 v13, v4
	v_cmp_o_f16_e32 vcc_lo, v10, v10
	v_bfe_u32 v18, v9, 16, 1
	v_add3_u32 v8, v8, v14, 0x7fff
	v_bfe_u32 v20, v12, 16, 1
	v_lshrrev_b32_e32 v6, 16, v1
	v_lshrrev_b32_e32 v15, 16, v5
	v_add3_u32 v9, v9, v18, 0x7fff
	v_lshrrev_b32_e32 v8, 16, v8
	v_cvt_f32_f16_e32 v16, v5
	v_bfe_u32 v21, v13, 16, 1
	v_add3_u32 v12, v12, v20, 0x7fff
	v_lshrrev_b32_e32 v9, 16, v9
	v_cndmask_b32_e32 v8, 0x7fc0, v8, vcc_lo
	v_cmp_o_f16_e32 vcc_lo, v1, v1
	v_lshrrev_b32_e32 v11, 16, v0
	v_cvt_f32_f16_e32 v17, v6
	v_cvt_f32_f16_e32 v14, v15
	v_bfe_u32 v22, v16, 16, 1
	v_add3_u32 v13, v13, v21, 0x7fff
	v_lshrrev_b32_e32 v12, 16, v12
	v_cndmask_b32_e32 v9, 0x7fc0, v9, vcc_lo
	v_cmp_o_f16_e32 vcc_lo, v0, v0
	v_lshlrev_b32_e32 v3, 7, v3
	v_cvt_f32_f16_e32 v19, v11
	v_bfe_u32 v23, v17, 16, 1
	v_bfe_u32 v20, v14, 16, 1
	v_cndmask_b32_e32 v12, 0x7fc0, v12, vcc_lo
	v_add3_u32 v16, v16, v22, 0x7fff
	v_lshrrev_b32_e32 v13, 16, v13
	v_cmp_o_f16_e32 vcc_lo, v4, v4
	v_bfe_u32 v18, v19, 16, 1
	v_add3_u32 v17, v17, v23, 0x7fff
	v_add3_u32 v10, v14, v20, 0x7fff
	v_lshrrev_b32_e32 v14, 16, v16
	v_cndmask_b32_e32 v4, 0x7fc0, v13, vcc_lo
	v_cmp_o_f16_e32 vcc_lo, v5, v5
	v_add3_u32 v18, v19, v18, 0x7fff
	v_lshrrev_b32_e32 v16, 16, v17
	v_lshrrev_b32_e32 v0, 16, v10
	v_add_co_u32 v3, s0, s0, v3
	v_cndmask_b32_e32 v10, 0x7fc0, v14, vcc_lo
	v_cmp_o_f16_e32 vcc_lo, v6, v6
	v_lshrrev_b32_e32 v1, 16, v18
	v_add_co_ci_u32_e64 v7, null, s1, 0, s0
	v_cndmask_b32_e32 v5, 0x7fc0, v16, vcc_lo
	v_cmp_o_f16_e32 vcc_lo, v11, v11
	s_delay_alu instid0(VALU_DEP_4) | instskip(SKIP_2) | instid1(VALU_DEP_1)
	v_cndmask_b32_e32 v6, 0x7fc0, v1, vcc_lo
	v_cmp_o_f16_e32 vcc_lo, v15, v15
	v_dual_cndmask_b32 v11, 0x7fc0, v0 :: v_dual_lshlrev_b32 v2, 1, v2
	v_add_co_u32 v0, vcc_lo, v3, v2
	v_add_co_ci_u32_e32 v1, vcc_lo, 0, v7, vcc_lo
	v_perm_b32 v3, v5, v9, 0x5040100
	v_perm_b32 v2, v4, v8, 0x5040100
	;; [unrolled: 1-line block ×4, first 2 shown]
	s_clause 0x1
	global_store_b64 v[0:1], v[2:3], off
	global_store_b64 v[0:1], v[4:5], off offset:64
	s_nop 0
	s_sendmsg sendmsg(MSG_DEALLOC_VGPRS)
	s_endpgm
	.section	.rodata,"a",@progbits
	.p2align	6, 0x0
	.amdhsa_kernel _ZL21dequantize_block_q4_KIN3c108BFloat16EEvPKvPT_
		.amdhsa_group_segment_fixed_size 0
		.amdhsa_private_segment_fixed_size 0
		.amdhsa_kernarg_size 16
		.amdhsa_user_sgpr_count 15
		.amdhsa_user_sgpr_dispatch_ptr 0
		.amdhsa_user_sgpr_queue_ptr 0
		.amdhsa_user_sgpr_kernarg_segment_ptr 1
		.amdhsa_user_sgpr_dispatch_id 0
		.amdhsa_user_sgpr_private_segment_size 0
		.amdhsa_wavefront_size32 1
		.amdhsa_uses_dynamic_stack 0
		.amdhsa_enable_private_segment 0
		.amdhsa_system_sgpr_workgroup_id_x 1
		.amdhsa_system_sgpr_workgroup_id_y 0
		.amdhsa_system_sgpr_workgroup_id_z 0
		.amdhsa_system_sgpr_workgroup_info 0
		.amdhsa_system_vgpr_workitem_id 0
		.amdhsa_next_free_vgpr 24
		.amdhsa_next_free_sgpr 16
		.amdhsa_reserve_vcc 1
		.amdhsa_float_round_mode_32 0
		.amdhsa_float_round_mode_16_64 0
		.amdhsa_float_denorm_mode_32 3
		.amdhsa_float_denorm_mode_16_64 3
		.amdhsa_dx10_clamp 1
		.amdhsa_ieee_mode 1
		.amdhsa_fp16_overflow 0
		.amdhsa_workgroup_processor_mode 1
		.amdhsa_memory_ordered 1
		.amdhsa_forward_progress 0
		.amdhsa_shared_vgpr_count 0
		.amdhsa_exception_fp_ieee_invalid_op 0
		.amdhsa_exception_fp_denorm_src 0
		.amdhsa_exception_fp_ieee_div_zero 0
		.amdhsa_exception_fp_ieee_overflow 0
		.amdhsa_exception_fp_ieee_underflow 0
		.amdhsa_exception_fp_ieee_inexact 0
		.amdhsa_exception_int_div_zero 0
	.end_amdhsa_kernel
	.section	.text._ZL21dequantize_block_q4_KIN3c108BFloat16EEvPKvPT_,"axG",@progbits,_ZL21dequantize_block_q4_KIN3c108BFloat16EEvPKvPT_,comdat
.Lfunc_end45:
	.size	_ZL21dequantize_block_q4_KIN3c108BFloat16EEvPKvPT_, .Lfunc_end45-_ZL21dequantize_block_q4_KIN3c108BFloat16EEvPKvPT_
                                        ; -- End function
	.section	.AMDGPU.csdata,"",@progbits
; Kernel info:
; codeLenInByte = 1204
; NumSgprs: 18
; NumVgprs: 24
; ScratchSize: 0
; MemoryBound: 0
; FloatMode: 240
; IeeeMode: 1
; LDSByteSize: 0 bytes/workgroup (compile time only)
; SGPRBlocks: 2
; VGPRBlocks: 2
; NumSGPRsForWavesPerEU: 18
; NumVGPRsForWavesPerEU: 24
; Occupancy: 16
; WaveLimiterHint : 0
; COMPUTE_PGM_RSRC2:SCRATCH_EN: 0
; COMPUTE_PGM_RSRC2:USER_SGPR: 15
; COMPUTE_PGM_RSRC2:TRAP_HANDLER: 0
; COMPUTE_PGM_RSRC2:TGID_X_EN: 1
; COMPUTE_PGM_RSRC2:TGID_Y_EN: 0
; COMPUTE_PGM_RSRC2:TGID_Z_EN: 0
; COMPUTE_PGM_RSRC2:TIDIG_COMP_CNT: 0
	.section	.text._ZL21dequantize_block_q5_KIN3c108BFloat16EEvPKvPT_,"axG",@progbits,_ZL21dequantize_block_q5_KIN3c108BFloat16EEvPKvPT_,comdat
	.globl	_ZL21dequantize_block_q5_KIN3c108BFloat16EEvPKvPT_ ; -- Begin function _ZL21dequantize_block_q5_KIN3c108BFloat16EEvPKvPT_
	.p2align	8
	.type	_ZL21dequantize_block_q5_KIN3c108BFloat16EEvPKvPT_,@function
_ZL21dequantize_block_q5_KIN3c108BFloat16EEvPKvPT_: ; @_ZL21dequantize_block_q5_KIN3c108BFloat16EEvPKvPT_
; %bb.0:
	s_load_b64 s[2:3], s[0:1], 0x0
	v_lshrrev_b32_e32 v4, 4, v0
	s_mul_i32 s5, s15, 0xb0
	s_mul_hi_u32 s4, s15, 0xb0
	v_cmp_lt_u32_e32 vcc_lo, 31, v0
                                        ; implicit-def: $vgpr6
                                        ; implicit-def: $vgpr5
	s_delay_alu instid0(VALU_DEP_2) | instskip(SKIP_3) | instid1(VALU_DEP_1)
	v_lshlrev_b32_e32 v3, 1, v4
	s_waitcnt lgkmcnt(0)
	s_add_u32 s2, s2, s5
	s_addc_u32 s3, s3, s4
	v_add_co_u32 v1, s4, s2, v3
	s_delay_alu instid0(VALU_DEP_1) | instskip(SKIP_1) | instid1(SALU_CYCLE_1)
	v_add_co_ci_u32_e64 v2, null, s3, 0, s4
	s_and_saveexec_b32 s4, vcc_lo
	s_xor_b32 s4, exec_lo, s4
	s_cbranch_execz .LBB46_2
; %bb.1:
	s_clause 0x2
	global_load_u8 v5, v[1:2], off
	global_load_u8 v6, v[1:2], off offset:4
	global_load_u8 v1, v[1:2], off offset:8
	s_waitcnt vmcnt(2)
	v_lshrrev_b16 v2, 2, v5
	s_waitcnt vmcnt(1)
	v_lshrrev_b16 v5, 2, v6
	s_waitcnt vmcnt(0)
	v_and_b32_e32 v6, 15, v1
	v_lshrrev_b16 v1, 4, v1
	v_and_b32_e32 v2, 48, v2
	v_and_b32_e32 v7, 48, v5
	s_delay_alu instid0(VALU_DEP_2) | instskip(NEXT) | instid1(VALU_DEP_2)
	v_or_b32_e32 v5, v2, v6
	v_or_b32_e32 v6, v7, v1
                                        ; implicit-def: $vgpr1_vgpr2
.LBB46_2:
	s_and_not1_saveexec_b32 s4, s4
	s_cbranch_execz .LBB46_4
; %bb.3:
	s_clause 0x1
	global_load_u8 v5, v[1:2], off offset:4
	global_load_u8 v1, v[1:2], off offset:8
	s_waitcnt vmcnt(1)
	v_and_b32_e32 v5, 63, v5
	s_waitcnt vmcnt(0)
	v_and_b32_e32 v6, 63, v1
.LBB46_4:
	s_or_b32 exec_lo, exec_lo, s4
	s_load_b64 s[0:1], s[0:1], 0x8
	s_load_b32 s4, s[2:3], 0x0
	s_add_u32 s5, s2, 4
	s_addc_u32 s6, s3, 0
	v_add_co_u32 v1, s5, s5, v3
	s_delay_alu instid0(VALU_DEP_1) | instskip(SKIP_1) | instid1(SALU_CYCLE_1)
	v_add_co_ci_u32_e64 v2, null, s6, 0, s5
                                        ; implicit-def: $vgpr8
                                        ; implicit-def: $vgpr7
	s_and_saveexec_b32 s5, vcc_lo
	s_xor_b32 s5, exec_lo, s5
	s_cbranch_execz .LBB46_6
; %bb.5:
	s_clause 0x2
	global_load_u8 v7, v[1:2], off offset:-3
	global_load_u8 v8, v[1:2], off offset:1
	global_load_u8 v1, v[1:2], off offset:5
	s_waitcnt vmcnt(2)
	v_lshrrev_b16 v2, 2, v7
	s_waitcnt vmcnt(1)
	v_lshrrev_b16 v7, 2, v8
	s_waitcnt vmcnt(0)
	v_and_b32_e32 v8, 15, v1
	v_lshrrev_b16 v1, 4, v1
	v_and_b32_e32 v2, 48, v2
	v_and_b32_e32 v9, 48, v7
	s_delay_alu instid0(VALU_DEP_2) | instskip(NEXT) | instid1(VALU_DEP_2)
	v_or_b32_e32 v7, v2, v8
	v_or_b32_e32 v8, v9, v1
                                        ; implicit-def: $vgpr1_vgpr2
.LBB46_6:
	s_and_not1_saveexec_b32 s5, s5
	s_cbranch_execz .LBB46_8
; %bb.7:
	s_clause 0x1
	global_load_u8 v7, v[1:2], off offset:1
	global_load_u8 v1, v[1:2], off offset:5
	s_waitcnt vmcnt(1)
	v_and_b32_e32 v7, 63, v7
	s_waitcnt vmcnt(0)
	v_and_b32_e32 v8, 63, v1
.LBB46_8:
	s_or_b32 exec_lo, exec_lo, s5
	v_lshlrev_b32_e32 v0, 1, v0
	v_and_b32_e32 v6, 0xff, v6
	v_and_b32_e32 v5, 0xff, v5
	v_and_b32_e32 v7, 0xff, v7
	v_and_b32_e32 v8, 0xff, v8
	v_and_b32_e32 v2, 30, v0
	v_lshlrev_b32_e32 v0, 5, v4
	v_cvt_f16_u16_e32 v6, v6
	v_cvt_f16_u16_e32 v5, v5
	;; [unrolled: 1-line block ×3, first 2 shown]
	v_add_co_u32 v1, s5, s2, v2
	s_delay_alu instid0(VALU_DEP_1) | instskip(SKIP_2) | instid1(VALU_DEP_2)
	v_add_co_ci_u32_e64 v9, null, s3, 0, s5
	s_waitcnt lgkmcnt(0)
	s_lshr_b32 s5, s4, 16
	v_add_co_u32 v0, vcc_lo, v1, v0
	s_delay_alu instid0(VALU_DEP_2)
	v_add_co_ci_u32_e32 v1, vcc_lo, 0, v9, vcc_lo
	v_lshlrev_b32_e64 v9, v3, 1
	v_lshlrev_b32_e64 v3, v3, 2
	v_cvt_f16_u16_e32 v8, v8
	s_clause 0x1
	global_load_u16 v0, v[0:1], off offset:48
	global_load_u16 v1, v2, s[2:3] offset:16
	v_mul_f16_e32 v6, s5, v6
	v_mul_f16_e32 v5, s4, v5
	v_mul_f16_e32 v7, s4, v7
	s_mov_b32 s3, 0
	s_lshl_b32 s2, s15, 8
	v_lshlrev_b32_e32 v4, 7, v4
	s_lshl_b64 s[2:3], s[2:3], 1
	s_delay_alu instid0(SALU_CYCLE_1) | instskip(SKIP_1) | instid1(VALU_DEP_1)
	s_add_u32 s0, s0, s2
	s_addc_u32 s1, s1, s3
	v_add_co_u32 v4, s0, s0, v4
	s_waitcnt vmcnt(1)
	v_and_b32_e32 v12, 15, v0
	s_waitcnt vmcnt(0)
	v_and_b32_e32 v11, 0xff, v1
	v_lshrrev_b16 v1, 8, v1
	v_lshrrev_b16 v13, 4, v0
	;; [unrolled: 1-line block ×4, first 2 shown]
	v_and_b32_e32 v14, v9, v11
	v_and_b32_e32 v1, 0xffff, v1
	;; [unrolled: 1-line block ×5, first 2 shown]
	v_cmp_ne_u32_e32 vcc_lo, 0, v14
	v_and_b32_e32 v9, v9, v1
	v_and_b32_e32 v1, v3, v1
	v_cndmask_b32_e64 v14, 0, 1, vcc_lo
	v_cmp_ne_u32_e32 vcc_lo, 0, v11
	s_delay_alu instid0(VALU_DEP_2) | instskip(SKIP_3) | instid1(VALU_DEP_4)
	v_lshl_or_b32 v3, v14, 4, v12
	v_cndmask_b32_e64 v11, 0, 1, vcc_lo
	v_cmp_ne_u32_e32 vcc_lo, 0, v9
	v_add_co_ci_u32_e64 v12, null, s1, 0, s0
	v_cvt_f32_ubyte0_e32 v3, v3
	s_delay_alu instid0(VALU_DEP_4) | instskip(SKIP_2) | instid1(VALU_DEP_4)
	v_lshl_or_b32 v11, v11, 4, v13
	v_cndmask_b32_e64 v9, 0, 1, vcc_lo
	v_cmp_ne_u32_e32 vcc_lo, 0, v1
	v_cvt_f16_f32_e32 v3, v3
	s_delay_alu instid0(VALU_DEP_3) | instskip(SKIP_2) | instid1(VALU_DEP_4)
	v_lshl_or_b32 v9, v9, 4, v10
	v_cndmask_b32_e64 v1, 0, 1, vcc_lo
	v_cvt_f32_ubyte0_e32 v10, v11
	v_fma_f16 v3, v5, v3, -v6
	s_delay_alu instid0(VALU_DEP_3)
	v_lshl_or_b32 v0, v1, 4, v0
	v_mul_f16_e32 v1, s5, v8
	v_cvt_f32_ubyte0_e32 v8, v9
	v_cvt_f16_f32_e32 v9, v10
	v_cvt_f32_f16_e32 v10, v3
	v_cvt_f32_ubyte0_e32 v0, v0
	v_cmp_o_f16_e32 vcc_lo, v3, v3
	v_cvt_f16_f32_e32 v8, v8
	v_fma_f16 v9, v7, v9, -v1
	s_delay_alu instid0(VALU_DEP_4) | instskip(NEXT) | instid1(VALU_DEP_3)
	v_cvt_f16_f32_e32 v0, v0
	v_fma_f16 v5, v5, v8, -v6
	s_delay_alu instid0(VALU_DEP_3) | instskip(NEXT) | instid1(VALU_DEP_3)
	v_cvt_f32_f16_e32 v6, v9
	v_fma_f16 v0, v7, v0, -v1
	v_bfe_u32 v1, v10, 16, 1
	s_delay_alu instid0(VALU_DEP_4) | instskip(NEXT) | instid1(VALU_DEP_4)
	v_cvt_f32_f16_e32 v7, v5
	v_bfe_u32 v8, v6, 16, 1
	s_delay_alu instid0(VALU_DEP_4) | instskip(NEXT) | instid1(VALU_DEP_4)
	v_cvt_f32_f16_e32 v11, v0
	v_add3_u32 v1, v10, v1, 0x7fff
	s_delay_alu instid0(VALU_DEP_4) | instskip(NEXT) | instid1(VALU_DEP_4)
	v_bfe_u32 v10, v7, 16, 1
	v_add3_u32 v6, v6, v8, 0x7fff
	s_delay_alu instid0(VALU_DEP_4) | instskip(NEXT) | instid1(VALU_DEP_4)
	v_bfe_u32 v13, v11, 16, 1
	v_lshrrev_b32_e32 v1, 16, v1
	s_delay_alu instid0(VALU_DEP_4) | instskip(NEXT) | instid1(VALU_DEP_4)
	v_add3_u32 v7, v7, v10, 0x7fff
	v_lshrrev_b32_e32 v6, 16, v6
	s_delay_alu instid0(VALU_DEP_4) | instskip(NEXT) | instid1(VALU_DEP_4)
	v_add3_u32 v8, v11, v13, 0x7fff
	v_cndmask_b32_e32 v3, 0x7fc0, v1, vcc_lo
	v_cmp_o_f16_e32 vcc_lo, v9, v9
	v_lshrrev_b32_e32 v1, 16, v7
	s_delay_alu instid0(VALU_DEP_4) | instskip(SKIP_2) | instid1(VALU_DEP_4)
	v_lshrrev_b32_e32 v7, 16, v8
	v_cndmask_b32_e32 v6, 0x7fc0, v6, vcc_lo
	v_cmp_o_f16_e32 vcc_lo, v5, v5
	v_cndmask_b32_e32 v5, 0x7fc0, v1, vcc_lo
	v_cmp_o_f16_e32 vcc_lo, v0, v0
	v_dual_cndmask_b32 v7, 0x7fc0, v7 :: v_dual_lshlrev_b32 v2, 1, v2
	s_delay_alu instid0(VALU_DEP_1) | instskip(SKIP_2) | instid1(VALU_DEP_4)
	v_add_co_u32 v0, vcc_lo, v4, v2
	v_add_co_ci_u32_e32 v1, vcc_lo, 0, v12, vcc_lo
	v_perm_b32 v2, v5, v3, 0x5040100
	v_perm_b32 v3, v7, v6, 0x5040100
	s_clause 0x1
	global_store_b32 v[0:1], v2, off
	global_store_b32 v[0:1], v3, off offset:64
	s_nop 0
	s_sendmsg sendmsg(MSG_DEALLOC_VGPRS)
	s_endpgm
	.section	.rodata,"a",@progbits
	.p2align	6, 0x0
	.amdhsa_kernel _ZL21dequantize_block_q5_KIN3c108BFloat16EEvPKvPT_
		.amdhsa_group_segment_fixed_size 0
		.amdhsa_private_segment_fixed_size 0
		.amdhsa_kernarg_size 16
		.amdhsa_user_sgpr_count 15
		.amdhsa_user_sgpr_dispatch_ptr 0
		.amdhsa_user_sgpr_queue_ptr 0
		.amdhsa_user_sgpr_kernarg_segment_ptr 1
		.amdhsa_user_sgpr_dispatch_id 0
		.amdhsa_user_sgpr_private_segment_size 0
		.amdhsa_wavefront_size32 1
		.amdhsa_uses_dynamic_stack 0
		.amdhsa_enable_private_segment 0
		.amdhsa_system_sgpr_workgroup_id_x 1
		.amdhsa_system_sgpr_workgroup_id_y 0
		.amdhsa_system_sgpr_workgroup_id_z 0
		.amdhsa_system_sgpr_workgroup_info 0
		.amdhsa_system_vgpr_workitem_id 0
		.amdhsa_next_free_vgpr 15
		.amdhsa_next_free_sgpr 16
		.amdhsa_reserve_vcc 1
		.amdhsa_float_round_mode_32 0
		.amdhsa_float_round_mode_16_64 0
		.amdhsa_float_denorm_mode_32 3
		.amdhsa_float_denorm_mode_16_64 3
		.amdhsa_dx10_clamp 1
		.amdhsa_ieee_mode 1
		.amdhsa_fp16_overflow 0
		.amdhsa_workgroup_processor_mode 1
		.amdhsa_memory_ordered 1
		.amdhsa_forward_progress 0
		.amdhsa_shared_vgpr_count 0
		.amdhsa_exception_fp_ieee_invalid_op 0
		.amdhsa_exception_fp_denorm_src 0
		.amdhsa_exception_fp_ieee_div_zero 0
		.amdhsa_exception_fp_ieee_overflow 0
		.amdhsa_exception_fp_ieee_underflow 0
		.amdhsa_exception_fp_ieee_inexact 0
		.amdhsa_exception_int_div_zero 0
	.end_amdhsa_kernel
	.section	.text._ZL21dequantize_block_q5_KIN3c108BFloat16EEvPKvPT_,"axG",@progbits,_ZL21dequantize_block_q5_KIN3c108BFloat16EEvPKvPT_,comdat
.Lfunc_end46:
	.size	_ZL21dequantize_block_q5_KIN3c108BFloat16EEvPKvPT_, .Lfunc_end46-_ZL21dequantize_block_q5_KIN3c108BFloat16EEvPKvPT_
                                        ; -- End function
	.section	.AMDGPU.csdata,"",@progbits
; Kernel info:
; codeLenInByte = 1128
; NumSgprs: 18
; NumVgprs: 15
; ScratchSize: 0
; MemoryBound: 0
; FloatMode: 240
; IeeeMode: 1
; LDSByteSize: 0 bytes/workgroup (compile time only)
; SGPRBlocks: 2
; VGPRBlocks: 1
; NumSGPRsForWavesPerEU: 18
; NumVGPRsForWavesPerEU: 15
; Occupancy: 16
; WaveLimiterHint : 0
; COMPUTE_PGM_RSRC2:SCRATCH_EN: 0
; COMPUTE_PGM_RSRC2:USER_SGPR: 15
; COMPUTE_PGM_RSRC2:TRAP_HANDLER: 0
; COMPUTE_PGM_RSRC2:TGID_X_EN: 1
; COMPUTE_PGM_RSRC2:TGID_Y_EN: 0
; COMPUTE_PGM_RSRC2:TGID_Z_EN: 0
; COMPUTE_PGM_RSRC2:TIDIG_COMP_CNT: 0
	.section	.text._ZL21dequantize_block_q6_KIN3c108BFloat16EEvPKvPT_,"axG",@progbits,_ZL21dequantize_block_q6_KIN3c108BFloat16EEvPKvPT_,comdat
	.globl	_ZL21dequantize_block_q6_KIN3c108BFloat16EEvPKvPT_ ; -- Begin function _ZL21dequantize_block_q6_KIN3c108BFloat16EEvPKvPT_
	.p2align	8
	.type	_ZL21dequantize_block_q6_KIN3c108BFloat16EEvPKvPT_,@function
_ZL21dequantize_block_q6_KIN3c108BFloat16EEvPKvPT_: ; @_ZL21dequantize_block_q6_KIN3c108BFloat16EEvPKvPT_
; %bb.0:
	s_load_b128 s[0:3], s[0:1], 0x0
	v_lshrrev_b32_e32 v3, 5, v0
	s_mov_b32 s5, 0
	s_lshl_b32 s4, s15, 8
	s_mul_hi_u32 s6, s15, 0xd2
	s_lshl_b64 s[4:5], s[4:5], 1
	v_lshlrev_b32_e32 v1, 6, v3
	s_mulk_i32 s15, 0xd2
	v_dual_mov_b32 v9, 0 :: v_dual_and_b32 v4, 31, v0
	s_waitcnt lgkmcnt(0)
	s_add_u32 s2, s2, s4
	s_addc_u32 s3, s3, s5
	s_add_u32 s0, s0, s15
	s_addc_u32 s1, s1, s6
	v_add_co_u32 v1, s4, s0, v1
	s_delay_alu instid0(VALU_DEP_1)
	v_add_co_ci_u32_e64 v2, null, s1, 0, s4
	global_load_u8 v5, v0, s[0:1] offset:128
	v_add_co_u32 v1, vcc_lo, v1, v4
	v_add_co_ci_u32_e32 v2, vcc_lo, 0, v2, vcc_lo
	v_bfe_u32 v0, v0, 4, 1
	v_lshlrev_b32_e32 v4, 1, v4
	s_clause 0x1
	global_load_u8 v6, v[1:2], off
	global_load_u8 v1, v[1:2], off offset:32
	v_lshl_or_b32 v0, v3, 3, v0
	s_clause 0x4
	global_load_i8 v2, v0, s[0:1] offset:192
	global_load_i8 v7, v0, s[0:1] offset:194
	;; [unrolled: 1-line block ×4, first 2 shown]
	global_load_u16 v9, v9, s[0:1] offset:208
	s_waitcnt vmcnt(7)
	v_lshlrev_b16 v10, 4, v5
	v_lshlrev_b16 v11, 2, v5
	v_lshrrev_b16 v12, 2, v5
	v_and_b32_e32 v5, 48, v5
	s_delay_alu instid0(VALU_DEP_3)
	v_and_b32_e32 v11, 48, v11
	s_waitcnt vmcnt(6)
	v_and_b32_e32 v13, 15, v6
	v_lshrrev_b16 v6, 4, v6
	v_and_b32_e32 v12, 48, v12
	s_waitcnt vmcnt(5)
	v_and_b32_e32 v14, 15, v1
	v_lshrrev_b16 v1, 4, v1
	v_or_b32_e32 v5, v6, v5
	s_delay_alu instid0(VALU_DEP_3) | instskip(NEXT) | instid1(VALU_DEP_3)
	v_or_b32_e32 v11, v14, v11
	v_or_b32_e32 v1, v1, v12
	s_delay_alu instid0(VALU_DEP_3) | instskip(NEXT) | instid1(VALU_DEP_2)
	v_and_b32_e32 v5, 0xffff, v5
	v_and_b32_e32 v1, 0xffff, v1
	s_delay_alu instid0(VALU_DEP_2) | instskip(NEXT) | instid1(VALU_DEP_2)
	v_subrev_nc_u32_e32 v5, 32, v5
	v_subrev_nc_u32_e32 v1, 32, v1
	s_waitcnt vmcnt(2)
	s_delay_alu instid0(VALU_DEP_2) | instskip(SKIP_1) | instid1(VALU_DEP_2)
	v_mul_i32_i24_e32 v5, v5, v8
	s_waitcnt vmcnt(1)
	v_mul_i32_i24_e32 v0, v1, v0
	s_delay_alu instid0(VALU_DEP_2) | instskip(NEXT) | instid1(VALU_DEP_2)
	v_cvt_f32_i32_e32 v5, v5
	v_cvt_f32_i32_e32 v0, v0
	s_delay_alu instid0(VALU_DEP_2) | instskip(NEXT) | instid1(VALU_DEP_2)
	v_cvt_f16_f32_e32 v5, v5
	v_cvt_f16_f32_e32 v0, v0
	s_waitcnt vmcnt(0)
	s_delay_alu instid0(VALU_DEP_2) | instskip(NEXT) | instid1(VALU_DEP_1)
	v_mul_f16_e32 v5, v9, v5
	v_cvt_f32_f16_e32 v8, v5
	s_delay_alu instid0(VALU_DEP_1) | instskip(NEXT) | instid1(VALU_DEP_1)
	v_bfe_u32 v12, v8, 16, 1
	v_add3_u32 v8, v8, v12, 0x7fff
	s_delay_alu instid0(VALU_DEP_1) | instskip(SKIP_1) | instid1(VALU_DEP_1)
	v_lshrrev_b32_e32 v8, 16, v8
	v_and_b32_e32 v10, 48, v10
	v_or_b32_e32 v10, v13, v10
	s_delay_alu instid0(VALU_DEP_1) | instskip(SKIP_1) | instid1(VALU_DEP_2)
	v_and_b32_e32 v6, 0xffff, v10
	v_and_b32_e32 v10, 0xffff, v11
	v_subrev_nc_u32_e32 v6, 32, v6
	s_delay_alu instid0(VALU_DEP_2) | instskip(NEXT) | instid1(VALU_DEP_2)
	v_subrev_nc_u32_e32 v10, 32, v10
	v_mul_i32_i24_e32 v2, v6, v2
	s_delay_alu instid0(VALU_DEP_2) | instskip(SKIP_2) | instid1(VALU_DEP_4)
	v_mul_i32_i24_e32 v6, v10, v7
	v_mul_f16_e32 v7, v9, v0
	v_lshlrev_b32_e32 v0, 8, v3
	v_cvt_f32_i32_e32 v1, v2
	s_delay_alu instid0(VALU_DEP_4) | instskip(NEXT) | instid1(VALU_DEP_3)
	v_cvt_f32_i32_e32 v2, v6
	v_add_co_u32 v0, s0, s2, v0
	s_delay_alu instid0(VALU_DEP_3) | instskip(NEXT) | instid1(VALU_DEP_3)
	v_cvt_f16_f32_e32 v1, v1
	v_cvt_f16_f32_e32 v2, v2
	v_add_co_ci_u32_e64 v14, null, s3, 0, s0
	s_delay_alu instid0(VALU_DEP_4) | instskip(NEXT) | instid1(VALU_DEP_4)
	v_add_co_u32 v0, vcc_lo, v0, v4
	v_mul_f16_e32 v6, v9, v1
	s_delay_alu instid0(VALU_DEP_4) | instskip(SKIP_1) | instid1(VALU_DEP_3)
	v_mul_f16_e32 v2, v9, v2
	v_cvt_f32_f16_e32 v9, v7
	v_cvt_f32_f16_e32 v1, v6
	s_delay_alu instid0(VALU_DEP_3) | instskip(NEXT) | instid1(VALU_DEP_3)
	v_cvt_f32_f16_e32 v3, v2
	v_bfe_u32 v13, v9, 16, 1
	s_delay_alu instid0(VALU_DEP_3) | instskip(NEXT) | instid1(VALU_DEP_3)
	v_bfe_u32 v10, v1, 16, 1
	v_bfe_u32 v11, v3, 16, 1
	s_delay_alu instid0(VALU_DEP_3) | instskip(NEXT) | instid1(VALU_DEP_3)
	v_add3_u32 v9, v9, v13, 0x7fff
	v_add3_u32 v10, v1, v10, 0x7fff
	v_add_co_ci_u32_e32 v1, vcc_lo, 0, v14, vcc_lo
	s_delay_alu instid0(VALU_DEP_4) | instskip(SKIP_1) | instid1(VALU_DEP_4)
	v_add3_u32 v3, v3, v11, 0x7fff
	v_cmp_o_f16_e32 vcc_lo, v6, v6
	v_lshrrev_b32_e32 v4, 16, v10
	v_lshrrev_b32_e32 v9, 16, v9
	s_delay_alu instid0(VALU_DEP_4) | instskip(NEXT) | instid1(VALU_DEP_3)
	v_lshrrev_b32_e32 v3, 16, v3
	v_cndmask_b32_e32 v4, 0x7fc0, v4, vcc_lo
	v_cmp_o_f16_e32 vcc_lo, v2, v2
	s_delay_alu instid0(VALU_DEP_3)
	v_cndmask_b32_e32 v2, 0x7fc0, v3, vcc_lo
	v_cmp_o_f16_e32 vcc_lo, v5, v5
	v_cndmask_b32_e32 v3, 0x7fc0, v8, vcc_lo
	v_cmp_o_f16_e32 vcc_lo, v7, v7
	v_cndmask_b32_e32 v5, 0x7fc0, v9, vcc_lo
	s_clause 0x3
	global_store_b16 v[0:1], v4, off
	global_store_b16 v[0:1], v2, off offset:64
	global_store_b16 v[0:1], v3, off offset:128
	;; [unrolled: 1-line block ×3, first 2 shown]
	s_nop 0
	s_sendmsg sendmsg(MSG_DEALLOC_VGPRS)
	s_endpgm
	.section	.rodata,"a",@progbits
	.p2align	6, 0x0
	.amdhsa_kernel _ZL21dequantize_block_q6_KIN3c108BFloat16EEvPKvPT_
		.amdhsa_group_segment_fixed_size 0
		.amdhsa_private_segment_fixed_size 0
		.amdhsa_kernarg_size 16
		.amdhsa_user_sgpr_count 15
		.amdhsa_user_sgpr_dispatch_ptr 0
		.amdhsa_user_sgpr_queue_ptr 0
		.amdhsa_user_sgpr_kernarg_segment_ptr 1
		.amdhsa_user_sgpr_dispatch_id 0
		.amdhsa_user_sgpr_private_segment_size 0
		.amdhsa_wavefront_size32 1
		.amdhsa_uses_dynamic_stack 0
		.amdhsa_enable_private_segment 0
		.amdhsa_system_sgpr_workgroup_id_x 1
		.amdhsa_system_sgpr_workgroup_id_y 0
		.amdhsa_system_sgpr_workgroup_id_z 0
		.amdhsa_system_sgpr_workgroup_info 0
		.amdhsa_system_vgpr_workitem_id 0
		.amdhsa_next_free_vgpr 15
		.amdhsa_next_free_sgpr 16
		.amdhsa_reserve_vcc 1
		.amdhsa_float_round_mode_32 0
		.amdhsa_float_round_mode_16_64 0
		.amdhsa_float_denorm_mode_32 3
		.amdhsa_float_denorm_mode_16_64 3
		.amdhsa_dx10_clamp 1
		.amdhsa_ieee_mode 1
		.amdhsa_fp16_overflow 0
		.amdhsa_workgroup_processor_mode 1
		.amdhsa_memory_ordered 1
		.amdhsa_forward_progress 0
		.amdhsa_shared_vgpr_count 0
		.amdhsa_exception_fp_ieee_invalid_op 0
		.amdhsa_exception_fp_denorm_src 0
		.amdhsa_exception_fp_ieee_div_zero 0
		.amdhsa_exception_fp_ieee_overflow 0
		.amdhsa_exception_fp_ieee_underflow 0
		.amdhsa_exception_fp_ieee_inexact 0
		.amdhsa_exception_int_div_zero 0
	.end_amdhsa_kernel
	.section	.text._ZL21dequantize_block_q6_KIN3c108BFloat16EEvPKvPT_,"axG",@progbits,_ZL21dequantize_block_q6_KIN3c108BFloat16EEvPKvPT_,comdat
.Lfunc_end47:
	.size	_ZL21dequantize_block_q6_KIN3c108BFloat16EEvPKvPT_, .Lfunc_end47-_ZL21dequantize_block_q6_KIN3c108BFloat16EEvPKvPT_
                                        ; -- End function
	.section	.AMDGPU.csdata,"",@progbits
; Kernel info:
; codeLenInByte = 740
; NumSgprs: 18
; NumVgprs: 15
; ScratchSize: 0
; MemoryBound: 0
; FloatMode: 240
; IeeeMode: 1
; LDSByteSize: 0 bytes/workgroup (compile time only)
; SGPRBlocks: 2
; VGPRBlocks: 1
; NumSGPRsForWavesPerEU: 18
; NumVGPRsForWavesPerEU: 15
; Occupancy: 16
; WaveLimiterHint : 0
; COMPUTE_PGM_RSRC2:SCRATCH_EN: 0
; COMPUTE_PGM_RSRC2:USER_SGPR: 15
; COMPUTE_PGM_RSRC2:TRAP_HANDLER: 0
; COMPUTE_PGM_RSRC2:TGID_X_EN: 1
; COMPUTE_PGM_RSRC2:TGID_Y_EN: 0
; COMPUTE_PGM_RSRC2:TGID_Z_EN: 0
; COMPUTE_PGM_RSRC2:TIDIG_COMP_CNT: 0
	.section	.text._ZL24dequantize_block_iq2_xxsIN3c108BFloat16EEvPKvPT_,"axG",@progbits,_ZL24dequantize_block_iq2_xxsIN3c108BFloat16EEvPKvPT_,comdat
	.globl	_ZL24dequantize_block_iq2_xxsIN3c108BFloat16EEvPKvPT_ ; -- Begin function _ZL24dequantize_block_iq2_xxsIN3c108BFloat16EEvPKvPT_
	.p2align	8
	.type	_ZL24dequantize_block_iq2_xxsIN3c108BFloat16EEvPKvPT_,@function
_ZL24dequantize_block_iq2_xxsIN3c108BFloat16EEvPKvPT_: ; @_ZL24dequantize_block_iq2_xxsIN3c108BFloat16EEvPKvPT_
; %bb.0:
	s_load_b128 s[0:3], s[0:1], 0x0
	v_and_b32_e32 v3, 7, v0
	s_mov_b32 s5, 0
	s_lshl_b32 s4, s15, 8
	s_mul_hi_u32 s6, s15, 0x42
	s_lshl_b64 s[4:5], s[4:5], 1
	v_lshlrev_b32_e32 v5, 3, v3
	s_mulk_i32 s15, 0x42
	v_lshrrev_b32_e32 v4, 3, v0
	s_waitcnt lgkmcnt(0)
	s_add_u32 s4, s2, s4
	s_addc_u32 s5, s3, s5
	s_add_u32 s0, s0, s15
	s_addc_u32 s1, s1, s6
	v_add_co_u32 v1, s2, s0, v5
	s_delay_alu instid0(VALU_DEP_1) | instskip(NEXT) | instid1(VALU_DEP_2)
	v_add_co_ci_u32_e64 v2, null, s1, 0, s2
	v_add_co_u32 v1, vcc_lo, v1, v4
	s_delay_alu instid0(VALU_DEP_2)
	v_add_co_ci_u32_e32 v2, vcc_lo, 0, v2, vcc_lo
	s_clause 0x1
	global_load_u8 v1, v[1:2], off offset:2
	global_load_b32 v5, v5, s[0:1] offset:6
	v_mov_b32_e32 v2, 0
	global_load_u16 v6, v2, s[0:1]
	v_mul_u32_u24_e32 v2, 7, v4
	s_getpc_b64 s[0:1]
	s_add_u32 s0, s0, _ZL11iq2xxs_grid@rel32@lo+4
	s_addc_u32 s1, s1, _ZL11iq2xxs_grid@rel32@hi+12
	s_getpc_b64 s[2:3]
	s_add_u32 s2, s2, _ZL12ksigns_iq2xs@rel32@lo+4
	s_addc_u32 s3, s3, _ZL12ksigns_iq2xs@rel32@hi+12
	s_waitcnt vmcnt(1)
	v_bfe_u32 v4, v5, v2, 7
	v_lshrrev_b32_e32 v5, 28, v5
	s_delay_alu instid0(VALU_DEP_1) | instskip(SKIP_3) | instid1(VALU_DEP_2)
	v_cvt_f32_ubyte0_e32 v5, v5
	v_and_b32_e32 v0, 0x3f8, v0
	s_waitcnt vmcnt(0)
	v_cvt_f32_f16_e32 v6, v6
	v_dual_add_f32 v5, 0.5, v5 :: v_dual_lshlrev_b32 v0, 1, v0
	s_delay_alu instid0(VALU_DEP_1) | instskip(NEXT) | instid1(VALU_DEP_1)
	v_mul_f32_e32 v5, v5, v6
	v_mul_f32_e32 v5, 0x3e800000, v5
	v_lshlrev_b32_e32 v1, 3, v1
	global_load_b64 v[1:2], v1, s[0:1]
	global_load_i8 v7, v4, s[2:3]
	s_waitcnt vmcnt(1)
	v_cvt_f32_ubyte0_e32 v8, v1
	v_cvt_f32_ubyte2_e32 v12, v1
	s_waitcnt vmcnt(0)
	v_and_b32_e32 v14, 8, v7
	v_and_b32_e32 v9, 1, v7
	v_cvt_f32_ubyte1_e32 v10, v1
	v_cvt_f32_ubyte3_e32 v1, v1
	v_mul_f32_e32 v12, v5, v12
	v_cvt_f32_ubyte0_e32 v15, v2
	v_cvt_f32_ubyte2_e32 v18, v2
	v_and_b32_e32 v11, 2, v7
	v_cvt_f32_ubyte1_e32 v19, v2
	v_cvt_f32_ubyte3_e32 v2, v2
	v_mul_f32_e32 v8, v5, v8
	v_mul_f32_e32 v18, v5, v18
	v_cmp_eq_u16_e32 vcc_lo, 0, v9
	v_dual_mul_f32 v10, v5, v10 :: v_dual_lshlrev_b32 v3, 6, v3
	v_dual_mul_f32 v2, v5, v2 :: v_dual_and_b32 v13, 4, v7
	v_dual_mul_f32 v1, v5, v1 :: v_dual_and_b32 v16, 16, v7
	v_mul_f32_e32 v15, v5, v15
	v_mul_f32_e32 v19, v5, v19
	v_cndmask_b32_e64 v5, -v8, v8, vcc_lo
	v_cmp_eq_u16_e32 vcc_lo, 0, v11
	v_and_b32_e32 v17, 32, v7
	v_add_co_u32 v3, s0, s4, v3
	s_delay_alu instid0(VALU_DEP_1) | instskip(SKIP_4) | instid1(VALU_DEP_4)
	v_add_co_ci_u32_e64 v6, null, s5, 0, s0
	v_cndmask_b32_e64 v8, -v10, v10, vcc_lo
	v_cmp_eq_u16_e32 vcc_lo, 0, v13
	v_cndmask_b32_e64 v9, -v12, v12, vcc_lo
	v_cmp_eq_u16_e32 vcc_lo, 0, v14
	v_bfe_u32 v12, v8, 16, 1
	s_delay_alu instid0(VALU_DEP_3) | instskip(SKIP_2) | instid1(VALU_DEP_4)
	v_bfe_u32 v13, v9, 16, 1
	v_cndmask_b32_e64 v1, -v1, v1, vcc_lo
	v_cmp_eq_u16_e32 vcc_lo, 0, v16
	v_add3_u32 v12, v8, v12, 0x7fff
	s_delay_alu instid0(VALU_DEP_4) | instskip(NEXT) | instid1(VALU_DEP_4)
	v_add3_u32 v13, v9, v13, 0x7fff
	v_bfe_u32 v14, v1, 16, 1
	v_cndmask_b32_e64 v10, -v15, v15, vcc_lo
	v_cmp_gt_u32_e32 vcc_lo, 64, v4
	v_lshrrev_b32_e32 v12, 16, v12
	v_lshrrev_b32_e32 v13, 16, v13
	v_add3_u32 v14, v1, v14, 0x7fff
	v_bfe_u32 v15, v10, 16, 1
	v_cndmask_b32_e64 v4, -v18, v18, vcc_lo
	v_cmp_eq_u16_e32 vcc_lo, 0, v17
	s_delay_alu instid0(VALU_DEP_4) | instskip(NEXT) | instid1(VALU_DEP_4)
	v_lshrrev_b32_e32 v14, 16, v14
	v_add3_u32 v15, v10, v15, 0x7fff
	s_delay_alu instid0(VALU_DEP_4)
	v_bfe_u32 v17, v4, 16, 1
	v_cndmask_b32_e64 v11, -v19, v19, vcc_lo
	v_cmp_gt_i16_e32 vcc_lo, 0, v7
	v_bfe_u32 v7, v5, 16, 1
	v_lshrrev_b32_e32 v15, 16, v15
	v_add3_u32 v17, v4, v17, 0x7fff
	v_bfe_u32 v16, v11, 16, 1
	v_cndmask_b32_e64 v2, v2, -v2, vcc_lo
	v_add3_u32 v7, v5, v7, 0x7fff
	v_cmp_o_f32_e32 vcc_lo, v5, v5
	v_lshrrev_b32_e32 v17, 16, v17
	v_add3_u32 v16, v11, v16, 0x7fff
	v_bfe_u32 v18, v2, 16, 1
	v_lshrrev_b32_e32 v7, 16, v7
	s_delay_alu instid0(VALU_DEP_3) | instskip(NEXT) | instid1(VALU_DEP_3)
	v_lshrrev_b32_e32 v16, 16, v16
	v_add3_u32 v18, v2, v18, 0x7fff
	s_delay_alu instid0(VALU_DEP_3) | instskip(SKIP_1) | instid1(VALU_DEP_3)
	v_cndmask_b32_e32 v7, 0x7fc0, v7, vcc_lo
	v_cmp_o_f32_e32 vcc_lo, v8, v8
	v_lshrrev_b32_e32 v18, 16, v18
	v_cndmask_b32_e32 v8, 0x7fc0, v12, vcc_lo
	v_cmp_o_f32_e32 vcc_lo, v9, v9
	v_cndmask_b32_e32 v9, 0x7fc0, v13, vcc_lo
	v_cmp_o_f32_e32 vcc_lo, v1, v1
	;; [unrolled: 2-line block ×3, first 2 shown]
	s_delay_alu instid0(VALU_DEP_2)
	v_perm_b32 v1, v1, v9, 0x5040100
	v_cndmask_b32_e32 v10, 0x7fc0, v15, vcc_lo
	v_cmp_o_f32_e32 vcc_lo, v11, v11
	v_cndmask_b32_e32 v11, 0x7fc0, v16, vcc_lo
	v_cmp_o_f32_e32 vcc_lo, v4, v4
	;; [unrolled: 2-line block ×3, first 2 shown]
	v_cndmask_b32_e32 v2, 0x7fc0, v18, vcc_lo
	v_add_co_u32 v4, vcc_lo, v3, v0
	v_add_co_ci_u32_e32 v5, vcc_lo, 0, v6, vcc_lo
	s_delay_alu instid0(VALU_DEP_3)
	v_perm_b32 v3, v2, v12, 0x5040100
	v_perm_b32 v2, v11, v10, 0x5040100
	;; [unrolled: 1-line block ×3, first 2 shown]
	global_store_b128 v[4:5], v[0:3], off
	s_nop 0
	s_sendmsg sendmsg(MSG_DEALLOC_VGPRS)
	s_endpgm
	.section	.rodata,"a",@progbits
	.p2align	6, 0x0
	.amdhsa_kernel _ZL24dequantize_block_iq2_xxsIN3c108BFloat16EEvPKvPT_
		.amdhsa_group_segment_fixed_size 0
		.amdhsa_private_segment_fixed_size 0
		.amdhsa_kernarg_size 16
		.amdhsa_user_sgpr_count 15
		.amdhsa_user_sgpr_dispatch_ptr 0
		.amdhsa_user_sgpr_queue_ptr 0
		.amdhsa_user_sgpr_kernarg_segment_ptr 1
		.amdhsa_user_sgpr_dispatch_id 0
		.amdhsa_user_sgpr_private_segment_size 0
		.amdhsa_wavefront_size32 1
		.amdhsa_uses_dynamic_stack 0
		.amdhsa_enable_private_segment 0
		.amdhsa_system_sgpr_workgroup_id_x 1
		.amdhsa_system_sgpr_workgroup_id_y 0
		.amdhsa_system_sgpr_workgroup_id_z 0
		.amdhsa_system_sgpr_workgroup_info 0
		.amdhsa_system_vgpr_workitem_id 0
		.amdhsa_next_free_vgpr 20
		.amdhsa_next_free_sgpr 16
		.amdhsa_reserve_vcc 1
		.amdhsa_float_round_mode_32 0
		.amdhsa_float_round_mode_16_64 0
		.amdhsa_float_denorm_mode_32 3
		.amdhsa_float_denorm_mode_16_64 3
		.amdhsa_dx10_clamp 1
		.amdhsa_ieee_mode 1
		.amdhsa_fp16_overflow 0
		.amdhsa_workgroup_processor_mode 1
		.amdhsa_memory_ordered 1
		.amdhsa_forward_progress 0
		.amdhsa_shared_vgpr_count 0
		.amdhsa_exception_fp_ieee_invalid_op 0
		.amdhsa_exception_fp_denorm_src 0
		.amdhsa_exception_fp_ieee_div_zero 0
		.amdhsa_exception_fp_ieee_overflow 0
		.amdhsa_exception_fp_ieee_underflow 0
		.amdhsa_exception_fp_ieee_inexact 0
		.amdhsa_exception_int_div_zero 0
	.end_amdhsa_kernel
	.section	.text._ZL24dequantize_block_iq2_xxsIN3c108BFloat16EEvPKvPT_,"axG",@progbits,_ZL24dequantize_block_iq2_xxsIN3c108BFloat16EEvPKvPT_,comdat
.Lfunc_end48:
	.size	_ZL24dequantize_block_iq2_xxsIN3c108BFloat16EEvPKvPT_, .Lfunc_end48-_ZL24dequantize_block_iq2_xxsIN3c108BFloat16EEvPKvPT_
                                        ; -- End function
	.section	.AMDGPU.csdata,"",@progbits
; Kernel info:
; codeLenInByte = 876
; NumSgprs: 18
; NumVgprs: 20
; ScratchSize: 0
; MemoryBound: 0
; FloatMode: 240
; IeeeMode: 1
; LDSByteSize: 0 bytes/workgroup (compile time only)
; SGPRBlocks: 2
; VGPRBlocks: 2
; NumSGPRsForWavesPerEU: 18
; NumVGPRsForWavesPerEU: 20
; Occupancy: 16
; WaveLimiterHint : 0
; COMPUTE_PGM_RSRC2:SCRATCH_EN: 0
; COMPUTE_PGM_RSRC2:USER_SGPR: 15
; COMPUTE_PGM_RSRC2:TRAP_HANDLER: 0
; COMPUTE_PGM_RSRC2:TGID_X_EN: 1
; COMPUTE_PGM_RSRC2:TGID_Y_EN: 0
; COMPUTE_PGM_RSRC2:TGID_Z_EN: 0
; COMPUTE_PGM_RSRC2:TIDIG_COMP_CNT: 0
	.section	.text._ZL23dequantize_block_iq2_xsIN3c108BFloat16EEvPKvPT_,"axG",@progbits,_ZL23dequantize_block_iq2_xsIN3c108BFloat16EEvPKvPT_,comdat
	.globl	_ZL23dequantize_block_iq2_xsIN3c108BFloat16EEvPKvPT_ ; -- Begin function _ZL23dequantize_block_iq2_xsIN3c108BFloat16EEvPKvPT_
	.p2align	8
	.type	_ZL23dequantize_block_iq2_xsIN3c108BFloat16EEvPKvPT_,@function
_ZL23dequantize_block_iq2_xsIN3c108BFloat16EEvPKvPT_: ; @_ZL23dequantize_block_iq2_xsIN3c108BFloat16EEvPKvPT_
; %bb.0:
	s_load_b128 s[0:3], s[0:1], 0x0
	v_and_b32_e32 v5, 7, v0
	s_mov_b32 s5, 0
	s_lshl_b32 s4, s15, 8
	v_lshrrev_b32_e32 v6, 2, v0
	s_lshl_b64 s[4:5], s[4:5], 1
	v_lshlrev_b32_e32 v1, 3, v5
	s_mul_hi_u32 s6, s15, 0x4a
	s_mulk_i32 s15, 0x4a
	v_and_b32_e32 v2, 0xfe, v6
	s_waitcnt lgkmcnt(0)
	s_add_u32 s4, s2, s4
	s_addc_u32 s5, s3, s5
	s_add_u32 s0, s0, s15
	s_addc_u32 s1, s1, s6
	v_add_co_u32 v1, s2, s0, v1
	s_delay_alu instid0(VALU_DEP_1) | instskip(NEXT) | instid1(VALU_DEP_2)
	v_add_co_ci_u32_e64 v3, null, s1, 0, s2
	v_add_co_u32 v1, vcc_lo, v1, v2
	s_delay_alu instid0(VALU_DEP_2)
	v_add_co_ci_u32_e32 v2, vcc_lo, 0, v3, vcc_lo
	global_load_u16 v7, v[1:2], off offset:2
	v_mov_b32_e32 v1, 0
	s_clause 0x1
	global_load_u8 v8, v5, s[0:1] offset:66
	global_load_u16 v9, v1, s[0:1]
	s_getpc_b64 s[0:1]
	s_add_u32 s0, s0, _ZL12ksigns_iq2xs@rel32@lo+4
	s_addc_u32 s1, s1, _ZL12ksigns_iq2xs@rel32@hi+12
	s_getpc_b64 s[2:3]
	s_add_u32 s2, s2, _ZL10iq2xs_grid@rel32@lo+4
	s_addc_u32 s3, s3, _ZL10iq2xs_grid@rel32@hi+12
	s_waitcnt vmcnt(2)
	v_and_b32_e32 v1, 0x1ff, v7
	v_lshrrev_b16 v2, 9, v7
	s_delay_alu instid0(VALU_DEP_2) | instskip(NEXT) | instid1(VALU_DEP_2)
	v_and_b32_e32 v1, 0xffff, v1
	v_and_b32_e32 v2, 0xffff, v2
	s_delay_alu instid0(VALU_DEP_2) | instskip(NEXT) | instid1(VALU_DEP_2)
	v_lshlrev_b32_e32 v3, 3, v1
	v_add_co_u32 v1, s0, v2, s0
	s_delay_alu instid0(VALU_DEP_1)
	v_add_co_ci_u32_e64 v2, null, 0, s1, s0
	global_load_b64 v[3:4], v3, s[2:3]
	global_load_i8 v1, v[1:2], off
	v_and_b32_e32 v2, 0xfc, v6
	s_waitcnt vmcnt(2)
	v_cvt_f32_f16_e32 v6, v9
	s_delay_alu instid0(VALU_DEP_2) | instskip(NEXT) | instid1(VALU_DEP_1)
	v_bfe_u32 v2, v8, v2, 4
	v_cvt_f32_ubyte0_e32 v2, v2
	s_delay_alu instid0(VALU_DEP_1) | instskip(NEXT) | instid1(VALU_DEP_1)
	v_add_f32_e32 v2, 0.5, v2
	v_mul_f32_e32 v2, v2, v6
	s_delay_alu instid0(VALU_DEP_1)
	v_mul_f32_e32 v2, 0x3e800000, v2
	s_waitcnt vmcnt(1)
	v_cvt_f32_ubyte0_e32 v8, v3
	v_cvt_f32_ubyte1_e32 v10, v3
	v_cvt_f32_ubyte2_e32 v12, v3
	v_cvt_f32_ubyte3_e32 v3, v3
	v_and_b32_e32 v0, 0x3f8, v0
	v_cvt_f32_ubyte0_e32 v15, v4
	v_cvt_f32_ubyte1_e32 v17, v4
	v_cvt_f32_ubyte2_e32 v19, v4
	v_mul_f32_e32 v3, v2, v3
	v_cvt_f32_ubyte3_e32 v4, v4
	s_waitcnt vmcnt(0)
	v_and_b32_e32 v9, 1, v1
	v_dual_mul_f32 v12, v2, v12 :: v_dual_lshlrev_b32 v5, 6, v5
	v_dual_mul_f32 v15, v2, v15 :: v_dual_lshlrev_b32 v0, 1, v0
	v_and_b32_e32 v11, 2, v1
	v_dual_mul_f32 v19, v2, v19 :: v_dual_and_b32 v14, 8, v1
	v_mul_f32_e32 v8, v2, v8
	v_mul_f32_e32 v10, v2, v10
	;; [unrolled: 1-line block ×4, first 2 shown]
	v_cmp_eq_u16_e32 vcc_lo, 0, v9
	v_and_b32_e32 v13, 4, v1
	v_and_b32_e32 v16, 16, v1
	;; [unrolled: 1-line block ×3, first 2 shown]
	v_add_co_u32 v5, s0, s4, v5
	v_cndmask_b32_e64 v4, -v8, v8, vcc_lo
	v_cmp_eq_u16_e32 vcc_lo, 0, v11
	v_add_co_ci_u32_e64 v6, null, s5, 0, s0
	v_cndmask_b32_e64 v8, -v10, v10, vcc_lo
	v_cmp_eq_u16_e32 vcc_lo, 0, v13
	v_cndmask_b32_e64 v9, -v12, v12, vcc_lo
	v_cmp_eq_u16_e32 vcc_lo, 0, v14
	s_delay_alu instid0(VALU_DEP_4) | instskip(NEXT) | instid1(VALU_DEP_3)
	v_bfe_u32 v12, v8, 16, 1
	v_bfe_u32 v13, v9, 16, 1
	v_cndmask_b32_e64 v3, -v3, v3, vcc_lo
	v_cmp_eq_u16_e32 vcc_lo, 0, v16
	s_delay_alu instid0(VALU_DEP_4) | instskip(NEXT) | instid1(VALU_DEP_4)
	v_add3_u32 v12, v8, v12, 0x7fff
	v_add3_u32 v13, v9, v13, 0x7fff
	s_delay_alu instid0(VALU_DEP_4)
	v_bfe_u32 v14, v3, 16, 1
	v_cndmask_b32_e64 v10, -v15, v15, vcc_lo
	v_cmp_gt_i16_e32 vcc_lo, 0, v7
	v_lshrrev_b32_e32 v12, 16, v12
	v_lshrrev_b32_e32 v13, 16, v13
	v_add3_u32 v14, v3, v14, 0x7fff
	v_bfe_u32 v15, v10, 16, 1
	v_cndmask_b32_e64 v7, v19, -v19, vcc_lo
	v_cmp_eq_u16_e32 vcc_lo, 0, v18
	s_delay_alu instid0(VALU_DEP_4) | instskip(NEXT) | instid1(VALU_DEP_4)
	v_lshrrev_b32_e32 v14, 16, v14
	v_add3_u32 v15, v10, v15, 0x7fff
	v_cndmask_b32_e64 v11, -v17, v17, vcc_lo
	v_cmp_gt_i16_e32 vcc_lo, 0, v1
	v_bfe_u32 v17, v7, 16, 1
	s_delay_alu instid0(VALU_DEP_4) | instskip(NEXT) | instid1(VALU_DEP_4)
	v_lshrrev_b32_e32 v15, 16, v15
	v_bfe_u32 v16, v11, 16, 1
	v_cndmask_b32_e64 v1, v2, -v2, vcc_lo
	v_bfe_u32 v2, v4, 16, 1
	v_cmp_o_f32_e32 vcc_lo, v4, v4
	v_add3_u32 v17, v7, v17, 0x7fff
	v_add3_u32 v16, v11, v16, 0x7fff
	v_bfe_u32 v18, v1, 16, 1
	v_add3_u32 v2, v4, v2, 0x7fff
	s_delay_alu instid0(VALU_DEP_4) | instskip(NEXT) | instid1(VALU_DEP_4)
	v_lshrrev_b32_e32 v17, 16, v17
	v_lshrrev_b32_e32 v16, 16, v16
	s_delay_alu instid0(VALU_DEP_4) | instskip(NEXT) | instid1(VALU_DEP_4)
	v_add3_u32 v18, v1, v18, 0x7fff
	v_lshrrev_b32_e32 v2, 16, v2
	s_delay_alu instid0(VALU_DEP_2) | instskip(NEXT) | instid1(VALU_DEP_2)
	v_lshrrev_b32_e32 v18, 16, v18
	v_cndmask_b32_e32 v19, 0x7fc0, v2, vcc_lo
	v_cmp_o_f32_e32 vcc_lo, v8, v8
	v_cndmask_b32_e32 v8, 0x7fc0, v12, vcc_lo
	v_cmp_o_f32_e32 vcc_lo, v9, v9
	;; [unrolled: 2-line block ×6, first 2 shown]
	s_delay_alu instid0(VALU_DEP_2)
	v_perm_b32 v2, v10, v2, 0x5040100
	v_cndmask_b32_e32 v3, 0x7fc0, v17, vcc_lo
	v_cmp_o_f32_e32 vcc_lo, v1, v1
	v_cndmask_b32_e32 v1, 0x7fc0, v18, vcc_lo
	v_add_co_u32 v4, vcc_lo, v5, v0
	v_add_co_ci_u32_e32 v5, vcc_lo, 0, v6, vcc_lo
	s_delay_alu instid0(VALU_DEP_3)
	v_perm_b32 v3, v1, v3, 0x5040100
	v_perm_b32 v1, v12, v9, 0x5040100
	;; [unrolled: 1-line block ×3, first 2 shown]
	global_store_b128 v[4:5], v[0:3], off
	s_nop 0
	s_sendmsg sendmsg(MSG_DEALLOC_VGPRS)
	s_endpgm
	.section	.rodata,"a",@progbits
	.p2align	6, 0x0
	.amdhsa_kernel _ZL23dequantize_block_iq2_xsIN3c108BFloat16EEvPKvPT_
		.amdhsa_group_segment_fixed_size 0
		.amdhsa_private_segment_fixed_size 0
		.amdhsa_kernarg_size 16
		.amdhsa_user_sgpr_count 15
		.amdhsa_user_sgpr_dispatch_ptr 0
		.amdhsa_user_sgpr_queue_ptr 0
		.amdhsa_user_sgpr_kernarg_segment_ptr 1
		.amdhsa_user_sgpr_dispatch_id 0
		.amdhsa_user_sgpr_private_segment_size 0
		.amdhsa_wavefront_size32 1
		.amdhsa_uses_dynamic_stack 0
		.amdhsa_enable_private_segment 0
		.amdhsa_system_sgpr_workgroup_id_x 1
		.amdhsa_system_sgpr_workgroup_id_y 0
		.amdhsa_system_sgpr_workgroup_id_z 0
		.amdhsa_system_sgpr_workgroup_info 0
		.amdhsa_system_vgpr_workitem_id 0
		.amdhsa_next_free_vgpr 20
		.amdhsa_next_free_sgpr 16
		.amdhsa_reserve_vcc 1
		.amdhsa_float_round_mode_32 0
		.amdhsa_float_round_mode_16_64 0
		.amdhsa_float_denorm_mode_32 3
		.amdhsa_float_denorm_mode_16_64 3
		.amdhsa_dx10_clamp 1
		.amdhsa_ieee_mode 1
		.amdhsa_fp16_overflow 0
		.amdhsa_workgroup_processor_mode 1
		.amdhsa_memory_ordered 1
		.amdhsa_forward_progress 0
		.amdhsa_shared_vgpr_count 0
		.amdhsa_exception_fp_ieee_invalid_op 0
		.amdhsa_exception_fp_denorm_src 0
		.amdhsa_exception_fp_ieee_div_zero 0
		.amdhsa_exception_fp_ieee_overflow 0
		.amdhsa_exception_fp_ieee_underflow 0
		.amdhsa_exception_fp_ieee_inexact 0
		.amdhsa_exception_int_div_zero 0
	.end_amdhsa_kernel
	.section	.text._ZL23dequantize_block_iq2_xsIN3c108BFloat16EEvPKvPT_,"axG",@progbits,_ZL23dequantize_block_iq2_xsIN3c108BFloat16EEvPKvPT_,comdat
.Lfunc_end49:
	.size	_ZL23dequantize_block_iq2_xsIN3c108BFloat16EEvPKvPT_, .Lfunc_end49-_ZL23dequantize_block_iq2_xsIN3c108BFloat16EEvPKvPT_
                                        ; -- End function
	.section	.AMDGPU.csdata,"",@progbits
; Kernel info:
; codeLenInByte = 952
; NumSgprs: 18
; NumVgprs: 20
; ScratchSize: 0
; MemoryBound: 0
; FloatMode: 240
; IeeeMode: 1
; LDSByteSize: 0 bytes/workgroup (compile time only)
; SGPRBlocks: 2
; VGPRBlocks: 2
; NumSGPRsForWavesPerEU: 18
; NumVGPRsForWavesPerEU: 20
; Occupancy: 16
; WaveLimiterHint : 0
; COMPUTE_PGM_RSRC2:SCRATCH_EN: 0
; COMPUTE_PGM_RSRC2:USER_SGPR: 15
; COMPUTE_PGM_RSRC2:TRAP_HANDLER: 0
; COMPUTE_PGM_RSRC2:TGID_X_EN: 1
; COMPUTE_PGM_RSRC2:TGID_Y_EN: 0
; COMPUTE_PGM_RSRC2:TGID_Z_EN: 0
; COMPUTE_PGM_RSRC2:TIDIG_COMP_CNT: 0
	.section	.text._ZL24dequantize_block_iq3_xxsIN3c108BFloat16EEvPKvPT_,"axG",@progbits,_ZL24dequantize_block_iq3_xxsIN3c108BFloat16EEvPKvPT_,comdat
	.globl	_ZL24dequantize_block_iq3_xxsIN3c108BFloat16EEvPKvPT_ ; -- Begin function _ZL24dequantize_block_iq3_xxsIN3c108BFloat16EEvPKvPT_
	.p2align	8
	.type	_ZL24dequantize_block_iq3_xxsIN3c108BFloat16EEvPKvPT_,@function
_ZL24dequantize_block_iq3_xxsIN3c108BFloat16EEvPKvPT_: ; @_ZL24dequantize_block_iq3_xxsIN3c108BFloat16EEvPKvPT_
; %bb.0:
	s_load_b128 s[0:3], s[0:1], 0x0
	v_and_b32_e32 v3, 7, v0
	s_mov_b32 s5, 0
	s_lshl_b32 s4, s15, 8
	v_lshrrev_b32_e32 v4, 3, v0
	s_lshl_b64 s[4:5], s[4:5], 1
	v_lshlrev_b32_e32 v1, 3, v3
	s_mul_hi_u32 s6, s15, 0x62
	s_mulk_i32 s15, 0x62
	v_lshlrev_b32_e32 v2, 1, v4
	v_mul_u32_u24_e32 v4, 7, v4
	s_waitcnt lgkmcnt(0)
	s_add_u32 s4, s2, s4
	s_addc_u32 s5, s3, s5
	s_add_u32 s0, s0, s15
	s_addc_u32 s1, s1, s6
	v_add_co_u32 v1, s2, s0, v1
	s_delay_alu instid0(VALU_DEP_1) | instskip(NEXT) | instid1(VALU_DEP_2)
	v_add_co_ci_u32_e64 v5, null, s1, 0, s2
	v_add_co_u32 v1, vcc_lo, v1, v2
	s_delay_alu instid0(VALU_DEP_2)
	v_add_co_ci_u32_e32 v2, vcc_lo, 0, v5, vcc_lo
	v_lshlrev_b32_e32 v5, 2, v3
	s_clause 0x1
	global_load_u16 v1, v[1:2], off offset:2
	global_load_b32 v2, v5, s[0:1] offset:66
	v_mov_b32_e32 v5, 0
	global_load_u16 v5, v5, s[0:1]
	s_getpc_b64 s[0:1]
	s_add_u32 s0, s0, _ZL12ksigns_iq2xs@rel32@lo+4
	s_addc_u32 s1, s1, _ZL12ksigns_iq2xs@rel32@hi+12
	s_getpc_b64 s[2:3]
	s_add_u32 s2, s2, _ZL11iq3xxs_grid@rel32@lo+4
	s_addc_u32 s3, s3, _ZL11iq3xxs_grid@rel32@hi+12
	s_waitcnt vmcnt(1)
	v_bfe_u32 v4, v2, v4, 7
	v_lshrrev_b32_e32 v2, 28, v2
	global_load_i8 v7, v4, s[0:1]
	v_cvt_f32_ubyte0_e32 v2, v2
	s_waitcnt vmcnt(1)
	v_cvt_f32_f16_e32 v5, v5
	s_delay_alu instid0(VALU_DEP_2) | instskip(NEXT) | instid1(VALU_DEP_1)
	v_add_f32_e32 v2, 0.5, v2
	v_mul_f32_e32 v2, v2, v5
	s_delay_alu instid0(VALU_DEP_1) | instskip(SKIP_2) | instid1(VALU_DEP_2)
	v_mul_f32_e32 v2, 0.5, v2
	v_and_b32_e32 v6, 0xff, v1
	v_lshrrev_b16 v1, 8, v1
	v_lshlrev_b32_e32 v6, 2, v6
	global_load_b32 v6, v6, s[2:3]
	s_waitcnt vmcnt(1)
	v_and_b32_e32 v10, 2, v7
	v_and_b32_e32 v12, 4, v7
	;; [unrolled: 1-line block ×3, first 2 shown]
	s_waitcnt vmcnt(0)
	v_cvt_f32_ubyte2_e32 v16, v6
	v_and_b32_e32 v1, 0xffff, v1
	v_cvt_f32_ubyte0_e32 v13, v6
	v_cvt_f32_ubyte1_e32 v15, v6
	v_cvt_f32_ubyte3_e32 v6, v6
	s_delay_alu instid0(VALU_DEP_4) | instskip(NEXT) | instid1(VALU_DEP_4)
	v_dual_mul_f32 v16, v2, v16 :: v_dual_lshlrev_b32 v1, 2, v1
	v_mul_f32_e32 v13, v2, v13
	s_delay_alu instid0(VALU_DEP_4) | instskip(NEXT) | instid1(VALU_DEP_4)
	v_mul_f32_e32 v15, v2, v15
	v_mul_f32_e32 v6, v2, v6
	global_load_b32 v1, v1, s[2:3]
	s_waitcnt vmcnt(0)
	v_cvt_f32_ubyte0_e32 v17, v1
	v_cvt_f32_ubyte2_e32 v18, v1
	v_cvt_f32_ubyte1_e32 v19, v1
	v_cvt_f32_ubyte3_e32 v1, v1
	v_and_b32_e32 v8, 1, v7
	v_and_b32_e32 v0, 0x3f8, v0
	v_lshlrev_b32_e32 v3, 6, v3
	s_delay_alu instid0(VALU_DEP_4) | instskip(NEXT) | instid1(VALU_DEP_4)
	v_mul_f32_e32 v1, v2, v1
	v_cmp_eq_u16_e32 vcc_lo, 0, v8
	v_cndmask_b32_e64 v8, -v13, v13, vcc_lo
	v_cmp_eq_u16_e32 vcc_lo, 0, v10
	v_dual_mul_f32 v13, v2, v17 :: v_dual_lshlrev_b32 v0, 1, v0
	v_cndmask_b32_e64 v10, -v15, v15, vcc_lo
	v_mul_f32_e32 v15, v2, v19
	v_cmp_eq_u16_e32 vcc_lo, 0, v12
	v_cndmask_b32_e64 v12, -v16, v16, vcc_lo
	v_mul_f32_e32 v16, v2, v18
	v_bfe_u32 v2, v8, 16, 1
	v_cmp_eq_u16_e32 vcc_lo, 0, v14
	v_add_co_u32 v3, s0, s4, v3
	v_bfe_u32 v14, v12, 16, 1
	s_delay_alu instid0(VALU_DEP_4) | instskip(SKIP_2) | instid1(VALU_DEP_4)
	v_add3_u32 v2, v8, v2, 0x7fff
	v_cndmask_b32_e64 v6, -v6, v6, vcc_lo
	v_add_co_ci_u32_e64 v5, null, s5, 0, s0
	v_add3_u32 v14, v12, v14, 0x7fff
	s_delay_alu instid0(VALU_DEP_4) | instskip(SKIP_1) | instid1(VALU_DEP_3)
	v_lshrrev_b32_e32 v2, 16, v2
	v_and_b32_e32 v9, 16, v7
	v_lshrrev_b32_e32 v14, 16, v14
	v_and_b32_e32 v11, 32, v7
	s_delay_alu instid0(VALU_DEP_3)
	v_cmp_eq_u16_e32 vcc_lo, 0, v9
	v_cndmask_b32_e64 v9, -v13, v13, vcc_lo
	v_cmp_gt_u32_e32 vcc_lo, 64, v4
	v_bfe_u32 v13, v10, 16, 1
	v_cndmask_b32_e64 v4, -v16, v16, vcc_lo
	v_cmp_eq_u16_e32 vcc_lo, 0, v11
	s_delay_alu instid0(VALU_DEP_3) | instskip(NEXT) | instid1(VALU_DEP_3)
	v_add3_u32 v13, v10, v13, 0x7fff
	v_bfe_u32 v17, v4, 16, 1
	v_cndmask_b32_e64 v11, -v15, v15, vcc_lo
	v_cmp_gt_i16_e32 vcc_lo, 0, v7
	v_bfe_u32 v7, v9, 16, 1
	v_bfe_u32 v15, v6, 16, 1
	v_lshrrev_b32_e32 v13, 16, v13
	v_bfe_u32 v16, v11, 16, 1
	v_cndmask_b32_e64 v1, v1, -v1, vcc_lo
	v_cmp_o_f32_e32 vcc_lo, v8, v8
	v_add3_u32 v7, v9, v7, 0x7fff
	v_add3_u32 v15, v6, v15, 0x7fff
	;; [unrolled: 1-line block ×3, first 2 shown]
	v_bfe_u32 v18, v1, 16, 1
	v_cndmask_b32_e32 v8, 0x7fc0, v2, vcc_lo
	v_cmp_o_f32_e32 vcc_lo, v10, v10
	v_lshrrev_b32_e32 v2, 16, v7
	v_lshrrev_b32_e32 v15, 16, v15
	v_add3_u32 v17, v4, v17, 0x7fff
	v_add3_u32 v18, v1, v18, 0x7fff
	v_cndmask_b32_e32 v7, 0x7fc0, v13, vcc_lo
	v_cmp_o_f32_e32 vcc_lo, v12, v12
	v_lshrrev_b32_e32 v12, 16, v16
	v_lshrrev_b32_e32 v13, 16, v17
	v_cndmask_b32_e32 v10, 0x7fc0, v14, vcc_lo
	v_cmp_o_f32_e32 vcc_lo, v6, v6
	v_lshrrev_b32_e32 v14, 16, v18
	v_cndmask_b32_e32 v6, 0x7fc0, v15, vcc_lo
	v_cmp_o_f32_e32 vcc_lo, v9, v9
	v_cndmask_b32_e32 v2, 0x7fc0, v2, vcc_lo
	v_cmp_o_f32_e32 vcc_lo, v11, v11
	;; [unrolled: 2-line block ×3, first 2 shown]
	s_delay_alu instid0(VALU_DEP_2)
	v_perm_b32 v2, v9, v2, 0x5040100
	v_cndmask_b32_e32 v11, 0x7fc0, v13, vcc_lo
	v_cmp_o_f32_e32 vcc_lo, v1, v1
	v_perm_b32 v1, v6, v10, 0x5040100
	v_cndmask_b32_e32 v12, 0x7fc0, v14, vcc_lo
	v_add_co_u32 v4, vcc_lo, v3, v0
	v_add_co_ci_u32_e32 v5, vcc_lo, 0, v5, vcc_lo
	s_delay_alu instid0(VALU_DEP_3)
	v_perm_b32 v3, v12, v11, 0x5040100
	v_perm_b32 v0, v7, v8, 0x5040100
	global_store_b128 v[4:5], v[0:3], off
	s_nop 0
	s_sendmsg sendmsg(MSG_DEALLOC_VGPRS)
	s_endpgm
	.section	.rodata,"a",@progbits
	.p2align	6, 0x0
	.amdhsa_kernel _ZL24dequantize_block_iq3_xxsIN3c108BFloat16EEvPKvPT_
		.amdhsa_group_segment_fixed_size 0
		.amdhsa_private_segment_fixed_size 0
		.amdhsa_kernarg_size 16
		.amdhsa_user_sgpr_count 15
		.amdhsa_user_sgpr_dispatch_ptr 0
		.amdhsa_user_sgpr_queue_ptr 0
		.amdhsa_user_sgpr_kernarg_segment_ptr 1
		.amdhsa_user_sgpr_dispatch_id 0
		.amdhsa_user_sgpr_private_segment_size 0
		.amdhsa_wavefront_size32 1
		.amdhsa_uses_dynamic_stack 0
		.amdhsa_enable_private_segment 0
		.amdhsa_system_sgpr_workgroup_id_x 1
		.amdhsa_system_sgpr_workgroup_id_y 0
		.amdhsa_system_sgpr_workgroup_id_z 0
		.amdhsa_system_sgpr_workgroup_info 0
		.amdhsa_system_vgpr_workitem_id 0
		.amdhsa_next_free_vgpr 20
		.amdhsa_next_free_sgpr 16
		.amdhsa_reserve_vcc 1
		.amdhsa_float_round_mode_32 0
		.amdhsa_float_round_mode_16_64 0
		.amdhsa_float_denorm_mode_32 3
		.amdhsa_float_denorm_mode_16_64 3
		.amdhsa_dx10_clamp 1
		.amdhsa_ieee_mode 1
		.amdhsa_fp16_overflow 0
		.amdhsa_workgroup_processor_mode 1
		.amdhsa_memory_ordered 1
		.amdhsa_forward_progress 0
		.amdhsa_shared_vgpr_count 0
		.amdhsa_exception_fp_ieee_invalid_op 0
		.amdhsa_exception_fp_denorm_src 0
		.amdhsa_exception_fp_ieee_div_zero 0
		.amdhsa_exception_fp_ieee_overflow 0
		.amdhsa_exception_fp_ieee_underflow 0
		.amdhsa_exception_fp_ieee_inexact 0
		.amdhsa_exception_int_div_zero 0
	.end_amdhsa_kernel
	.section	.text._ZL24dequantize_block_iq3_xxsIN3c108BFloat16EEvPKvPT_,"axG",@progbits,_ZL24dequantize_block_iq3_xxsIN3c108BFloat16EEvPKvPT_,comdat
.Lfunc_end50:
	.size	_ZL24dequantize_block_iq3_xxsIN3c108BFloat16EEvPKvPT_, .Lfunc_end50-_ZL24dequantize_block_iq3_xxsIN3c108BFloat16EEvPKvPT_
                                        ; -- End function
	.section	.AMDGPU.csdata,"",@progbits
; Kernel info:
; codeLenInByte = 920
; NumSgprs: 18
; NumVgprs: 20
; ScratchSize: 0
; MemoryBound: 0
; FloatMode: 240
; IeeeMode: 1
; LDSByteSize: 0 bytes/workgroup (compile time only)
; SGPRBlocks: 2
; VGPRBlocks: 2
; NumSGPRsForWavesPerEU: 18
; NumVGPRsForWavesPerEU: 20
; Occupancy: 16
; WaveLimiterHint : 0
; COMPUTE_PGM_RSRC2:SCRATCH_EN: 0
; COMPUTE_PGM_RSRC2:USER_SGPR: 15
; COMPUTE_PGM_RSRC2:TRAP_HANDLER: 0
; COMPUTE_PGM_RSRC2:TGID_X_EN: 1
; COMPUTE_PGM_RSRC2:TGID_Y_EN: 0
; COMPUTE_PGM_RSRC2:TGID_Z_EN: 0
; COMPUTE_PGM_RSRC2:TIDIG_COMP_CNT: 0
	.section	.text._ZL22dequantize_block_iq1_sIN3c108BFloat16EEvPKvPT_,"axG",@progbits,_ZL22dequantize_block_iq1_sIN3c108BFloat16EEvPKvPT_,comdat
	.globl	_ZL22dequantize_block_iq1_sIN3c108BFloat16EEvPKvPT_ ; -- Begin function _ZL22dequantize_block_iq1_sIN3c108BFloat16EEvPKvPT_
	.p2align	8
	.type	_ZL22dequantize_block_iq1_sIN3c108BFloat16EEvPKvPT_,@function
_ZL22dequantize_block_iq1_sIN3c108BFloat16EEvPKvPT_: ; @_ZL22dequantize_block_iq1_sIN3c108BFloat16EEvPKvPT_
; %bb.0:
	s_load_b128 s[0:3], s[0:1], 0x0
	v_and_b32_e32 v3, 7, v0
	s_mov_b32 s4, s15
	s_mov_b32 s5, 0
	v_lshrrev_b32_e32 v4, 3, v0
	s_lshl_b64 s[6:7], s[4:5], 9
	s_mul_i32 s4, s15, 50
	v_lshlrev_b32_e32 v1, 1, v3
	s_mul_hi_u32 s5, s15, 50
	v_lshlrev_b32_e32 v2, 2, v3
	s_waitcnt lgkmcnt(0)
	s_add_u32 s2, s2, s6
	s_addc_u32 s3, s3, s7
	s_add_u32 s0, s0, s4
	s_addc_u32 s1, s1, s5
	global_load_u16 v5, v1, s[0:1] offset:34
	v_add_co_u32 v1, s4, v2, v4
	s_delay_alu instid0(VALU_DEP_1) | instskip(SKIP_1) | instid1(VALU_DEP_3)
	v_add_co_ci_u32_e64 v2, null, 0, 0, s4
	v_mul_u32_u24_e32 v4, 3, v4
	v_add_co_u32 v1, vcc_lo, s0, v1
	s_delay_alu instid0(VALU_DEP_3)
	v_add_co_ci_u32_e32 v2, vcc_lo, s1, v2, vcc_lo
	global_load_u8 v1, v[1:2], off offset:2
	v_mov_b32_e32 v2, 0
	global_load_u16 v2, v2, s[0:1]
	s_getpc_b64 s[0:1]
	s_add_u32 s0, s0, _ZL13iq1s_grid_gpu@rel32@lo+4
	s_addc_u32 s1, s1, _ZL13iq1s_grid_gpu@rel32@hi+12
	s_waitcnt vmcnt(2)
	v_and_b32_e32 v6, 0xffff, v5
	v_cmp_lt_i16_e32 vcc_lo, -1, v5
	s_delay_alu instid0(VALU_DEP_2) | instskip(SKIP_1) | instid1(VALU_DEP_2)
	v_lshrrev_b32_e32 v4, v4, v6
	v_mov_b32_e32 v6, 0xbf600000
	v_lshlrev_b32_e32 v4, 8, v4
	s_waitcnt vmcnt(1)
	s_delay_alu instid0(VALU_DEP_1) | instskip(SKIP_4) | instid1(VALU_DEP_3)
	v_and_or_b32 v1, 0x700, v4, v1
	v_lshrrev_b16 v4, 11, v5
	v_cndmask_b32_e32 v5, 0xbf900000, v6, vcc_lo
	s_waitcnt vmcnt(0)
	v_cvt_f32_f16_e32 v2, v2
	v_and_b32_e32 v4, 14, v4
	s_delay_alu instid0(VALU_DEP_1) | instskip(NEXT) | instid1(VALU_DEP_1)
	v_or_b32_e32 v4, 1, v4
	v_cvt_f32_ubyte0_e32 v4, v4
	s_delay_alu instid0(VALU_DEP_1)
	v_dual_mul_f32 v2, v2, v4 :: v_dual_lshlrev_b32 v1, 3, v1
	global_load_b32 v1, v1, s[0:1]
	s_waitcnt vmcnt(0)
	v_bfe_u32 v9, v1, 16, 4
	v_lshrrev_b32_e32 v12, 28, v1
	v_bfe_u32 v6, v1, 8, 4
	v_and_b32_e32 v8, 15, v1
	v_bfe_u32 v10, v1, 12, 4
	v_bfe_u32 v11, v1, 4, 4
	v_cvt_f32_ubyte0_e32 v9, v9
	v_cvt_f32_ubyte0_e32 v12, v12
	v_and_b32_e32 v4, 0xf0f0f0f, v1
	v_bfe_u32 v1, v1, 20, 4
	v_cvt_f32_ubyte0_e32 v8, v8
	v_dual_add_f32 v9, v5, v9 :: v_dual_and_b32 v0, 0x3f8, v0
	s_delay_alu instid0(VALU_DEP_4) | instskip(NEXT) | instid1(VALU_DEP_4)
	v_cvt_f32_ubyte3_e32 v4, v4
	v_cvt_f32_ubyte0_e32 v1, v1
	s_delay_alu instid0(VALU_DEP_4) | instskip(NEXT) | instid1(VALU_DEP_4)
	v_dual_add_f32 v8, v5, v8 :: v_dual_lshlrev_b32 v3, 6, v3
	v_mul_f32_e32 v9, v2, v9
	v_cvt_f32_ubyte0_e32 v6, v6
	s_delay_alu instid0(VALU_DEP_4)
	v_add_f32_e32 v1, v5, v1
	v_add_f32_e32 v4, v5, v4
	v_cvt_f32_ubyte0_e32 v10, v10
	v_bfe_u32 v13, v9, 16, 1
	v_cvt_f32_ubyte0_e32 v11, v11
	v_dual_mul_f32 v1, v2, v1 :: v_dual_add_f32 v6, v5, v6
	v_mul_f32_e32 v8, v2, v8
	s_delay_alu instid0(VALU_DEP_4) | instskip(NEXT) | instid1(VALU_DEP_4)
	v_add3_u32 v13, v9, v13, 0x7fff
	v_add_f32_e32 v11, v5, v11
	s_delay_alu instid0(VALU_DEP_4)
	v_bfe_u32 v17, v1, 16, 1
	v_lshlrev_b32_e32 v0, 1, v0
	v_mul_f32_e32 v4, v2, v4
	v_lshrrev_b32_e32 v13, 16, v13
	v_dual_mul_f32 v11, v2, v11 :: v_dual_add_f32 v10, v5, v10
	v_add_f32_e32 v5, v5, v12
	v_add3_u32 v17, v1, v17, 0x7fff
	v_cmp_o_f32_e32 vcc_lo, v8, v8
	v_bfe_u32 v14, v4, 16, 1
	v_mul_f32_e32 v10, v2, v10
	v_mul_f32_e32 v5, v2, v5
	v_lshrrev_b32_e32 v17, 16, v17
	v_mul_f32_e32 v6, v2, v6
	v_bfe_u32 v2, v8, 16, 1
	v_bfe_u32 v15, v11, 16, 1
	v_add3_u32 v14, v4, v14, 0x7fff
	v_bfe_u32 v16, v10, 16, 1
	v_bfe_u32 v12, v6, 16, 1
	v_add3_u32 v2, v8, v2, 0x7fff
	v_add3_u32 v15, v11, v15, 0x7fff
	v_lshrrev_b32_e32 v14, 16, v14
	v_add3_u32 v16, v10, v16, 0x7fff
	v_add3_u32 v12, v6, v12, 0x7fff
	v_lshrrev_b32_e32 v2, 16, v2
	v_lshrrev_b32_e32 v15, 16, v15
	v_bfe_u32 v18, v5, 16, 1
	v_lshrrev_b32_e32 v16, 16, v16
	v_lshrrev_b32_e32 v12, 16, v12
	v_cndmask_b32_e32 v8, 0x7fc0, v2, vcc_lo
	v_cmp_o_f32_e32 vcc_lo, v6, v6
	v_add3_u32 v18, v5, v18, 0x7fff
	v_add_co_u32 v3, s0, s2, v3
	s_delay_alu instid0(VALU_DEP_1)
	v_add_co_ci_u32_e64 v7, null, s3, 0, s0
	v_cndmask_b32_e32 v6, 0x7fc0, v12, vcc_lo
	v_cmp_o_f32_e32 vcc_lo, v9, v9
	v_lshrrev_b32_e32 v18, 16, v18
	v_cndmask_b32_e32 v9, 0x7fc0, v13, vcc_lo
	v_cmp_o_f32_e32 vcc_lo, v4, v4
	v_cndmask_b32_e32 v12, 0x7fc0, v14, vcc_lo
	v_cmp_o_f32_e32 vcc_lo, v11, v11
	;; [unrolled: 2-line block ×4, first 2 shown]
	s_delay_alu instid0(VALU_DEP_2)
	v_perm_b32 v2, v10, v2, 0x5040100
	v_cndmask_b32_e32 v1, 0x7fc0, v17, vcc_lo
	v_cmp_o_f32_e32 vcc_lo, v5, v5
	v_cndmask_b32_e32 v11, 0x7fc0, v18, vcc_lo
	v_add_co_u32 v4, vcc_lo, v3, v0
	v_add_co_ci_u32_e32 v5, vcc_lo, 0, v7, vcc_lo
	s_delay_alu instid0(VALU_DEP_3)
	v_perm_b32 v3, v11, v1, 0x5040100
	v_perm_b32 v1, v12, v9, 0x5040100
	;; [unrolled: 1-line block ×3, first 2 shown]
	global_store_b128 v[4:5], v[0:3], off
	s_nop 0
	s_sendmsg sendmsg(MSG_DEALLOC_VGPRS)
	s_endpgm
	.section	.rodata,"a",@progbits
	.p2align	6, 0x0
	.amdhsa_kernel _ZL22dequantize_block_iq1_sIN3c108BFloat16EEvPKvPT_
		.amdhsa_group_segment_fixed_size 0
		.amdhsa_private_segment_fixed_size 0
		.amdhsa_kernarg_size 16
		.amdhsa_user_sgpr_count 15
		.amdhsa_user_sgpr_dispatch_ptr 0
		.amdhsa_user_sgpr_queue_ptr 0
		.amdhsa_user_sgpr_kernarg_segment_ptr 1
		.amdhsa_user_sgpr_dispatch_id 0
		.amdhsa_user_sgpr_private_segment_size 0
		.amdhsa_wavefront_size32 1
		.amdhsa_uses_dynamic_stack 0
		.amdhsa_enable_private_segment 0
		.amdhsa_system_sgpr_workgroup_id_x 1
		.amdhsa_system_sgpr_workgroup_id_y 0
		.amdhsa_system_sgpr_workgroup_id_z 0
		.amdhsa_system_sgpr_workgroup_info 0
		.amdhsa_system_vgpr_workitem_id 0
		.amdhsa_next_free_vgpr 19
		.amdhsa_next_free_sgpr 16
		.amdhsa_reserve_vcc 1
		.amdhsa_float_round_mode_32 0
		.amdhsa_float_round_mode_16_64 0
		.amdhsa_float_denorm_mode_32 3
		.amdhsa_float_denorm_mode_16_64 3
		.amdhsa_dx10_clamp 1
		.amdhsa_ieee_mode 1
		.amdhsa_fp16_overflow 0
		.amdhsa_workgroup_processor_mode 1
		.amdhsa_memory_ordered 1
		.amdhsa_forward_progress 0
		.amdhsa_shared_vgpr_count 0
		.amdhsa_exception_fp_ieee_invalid_op 0
		.amdhsa_exception_fp_denorm_src 0
		.amdhsa_exception_fp_ieee_div_zero 0
		.amdhsa_exception_fp_ieee_overflow 0
		.amdhsa_exception_fp_ieee_underflow 0
		.amdhsa_exception_fp_ieee_inexact 0
		.amdhsa_exception_int_div_zero 0
	.end_amdhsa_kernel
	.section	.text._ZL22dequantize_block_iq1_sIN3c108BFloat16EEvPKvPT_,"axG",@progbits,_ZL22dequantize_block_iq1_sIN3c108BFloat16EEvPKvPT_,comdat
.Lfunc_end51:
	.size	_ZL22dequantize_block_iq1_sIN3c108BFloat16EEvPKvPT_, .Lfunc_end51-_ZL22dequantize_block_iq1_sIN3c108BFloat16EEvPKvPT_
                                        ; -- End function
	.section	.AMDGPU.csdata,"",@progbits
; Kernel info:
; codeLenInByte = 856
; NumSgprs: 18
; NumVgprs: 19
; ScratchSize: 0
; MemoryBound: 0
; FloatMode: 240
; IeeeMode: 1
; LDSByteSize: 0 bytes/workgroup (compile time only)
; SGPRBlocks: 2
; VGPRBlocks: 2
; NumSGPRsForWavesPerEU: 18
; NumVGPRsForWavesPerEU: 19
; Occupancy: 16
; WaveLimiterHint : 0
; COMPUTE_PGM_RSRC2:SCRATCH_EN: 0
; COMPUTE_PGM_RSRC2:USER_SGPR: 15
; COMPUTE_PGM_RSRC2:TRAP_HANDLER: 0
; COMPUTE_PGM_RSRC2:TGID_X_EN: 1
; COMPUTE_PGM_RSRC2:TGID_Y_EN: 0
; COMPUTE_PGM_RSRC2:TGID_Z_EN: 0
; COMPUTE_PGM_RSRC2:TIDIG_COMP_CNT: 0
	.section	.text._ZL23dequantize_block_iq4_nlIN3c108BFloat16EEvPKvPT_,"axG",@progbits,_ZL23dequantize_block_iq4_nlIN3c108BFloat16EEvPKvPT_,comdat
	.globl	_ZL23dequantize_block_iq4_nlIN3c108BFloat16EEvPKvPT_ ; -- Begin function _ZL23dequantize_block_iq4_nlIN3c108BFloat16EEvPKvPT_
	.p2align	8
	.type	_ZL23dequantize_block_iq4_nlIN3c108BFloat16EEvPKvPT_,@function
_ZL23dequantize_block_iq4_nlIN3c108BFloat16EEvPKvPT_: ; @_ZL23dequantize_block_iq4_nlIN3c108BFloat16EEvPKvPT_
; %bb.0:
	s_load_b128 s[0:3], s[0:1], 0x0
	s_lshl_b32 s4, s15, 3
	s_mul_i32 s5, s15, 0x90
	v_and_b32_e32 v4, 7, v0
	s_mul_hi_u32 s4, s4, 18
	v_lshrrev_b32_e32 v2, 1, v0
	s_delay_alu instid0(VALU_DEP_1) | instskip(SKIP_3) | instid1(SALU_CYCLE_1)
	v_and_b32_e32 v5, 0x1fc, v2
	s_waitcnt lgkmcnt(0)
	s_add_u32 s0, s0, s5
	s_addc_u32 s1, s1, s4
	v_mad_u64_u32 v[0:1], null, v4, 18, s[0:1]
	s_mov_b32 s1, 0
	s_lshl_b32 s0, s15, 8
	s_delay_alu instid0(SALU_CYCLE_1) | instskip(NEXT) | instid1(SALU_CYCLE_1)
	s_lshl_b64 s[0:1], s[0:1], 1
	s_add_u32 s2, s2, s0
	s_delay_alu instid0(VALU_DEP_1) | instskip(NEXT) | instid1(VALU_DEP_2)
	v_add_co_u32 v2, vcc_lo, v0, v5
	v_add_co_ci_u32_e32 v3, vcc_lo, 0, v1, vcc_lo
	s_addc_u32 s3, s3, s1
	s_getpc_b64 s[0:1]
	s_add_u32 s0, s0, _ZL13kvalues_iq4nl@rel32@lo+4
	s_addc_u32 s1, s1, _ZL13kvalues_iq4nl@rel32@hi+12
	s_clause 0x1
	global_load_u16 v6, v[0:1], off
	global_load_b32 v2, v[2:3], off offset:2
	s_waitcnt vmcnt(0)
	v_lshrrev_b16 v0, 4, v2
	v_lshrrev_b32_e32 v1, 8, v2
	v_and_b32_e32 v3, 15, v2
	v_lshrrev_b32_e32 v7, 24, v2
	v_bfe_u32 v8, v2, 8, 4
	v_and_b32_e32 v0, 15, v0
	v_lshrrev_b16 v1, 4, v1
	global_load_i8 v9, v3, s[0:1]
	v_lshrrev_b16 v3, 4, v7
	v_bfe_u32 v10, v2, 16, 4
	v_and_b32_e32 v0, 0xffff, v0
	v_and_b32_e32 v7, 15, v1
	v_bfe_u32 v11, v2, 20, 4
	v_bfe_u32 v12, v2, 24, 4
	v_and_b32_e32 v3, 0xffff, v3
	v_add_co_u32 v0, s4, v0, s0
	s_delay_alu instid0(VALU_DEP_1)
	v_add_co_ci_u32_e64 v1, null, 0, s1, s4
	v_and_b32_e32 v2, 0xffff, v7
	s_clause 0x1
	global_load_i8 v7, v[0:1], off
	global_load_i8 v8, v8, s[0:1]
	v_add_co_u32 v0, s4, v2, s0
	s_delay_alu instid0(VALU_DEP_1) | instskip(SKIP_1) | instid1(VALU_DEP_1)
	v_add_co_ci_u32_e64 v1, null, 0, s1, s4
	v_add_co_u32 v2, s4, v3, s0
	v_add_co_ci_u32_e64 v3, null, 0, s1, s4
	s_clause 0x4
	global_load_i8 v0, v[0:1], off
	global_load_i8 v1, v10, s[0:1]
	global_load_i8 v10, v12, s[0:1]
	;; [unrolled: 1-line block ×3, first 2 shown]
	global_load_i8 v2, v[2:3], off
	v_cvt_f32_f16_e32 v3, v6
	s_waitcnt vmcnt(7)
	v_cvt_f32_i32_e32 v6, v9
	s_delay_alu instid0(VALU_DEP_1) | instskip(NEXT) | instid1(VALU_DEP_1)
	v_mul_f32_e32 v6, v3, v6
	v_bfe_u32 v9, v6, 16, 1
	v_cmp_o_f32_e32 vcc_lo, v6, v6
	s_waitcnt vmcnt(6)
	v_cvt_f32_i32_e32 v7, v7
	s_waitcnt vmcnt(5)
	v_cvt_f32_i32_e32 v8, v8
	v_add3_u32 v9, v6, v9, 0x7fff
	s_delay_alu instid0(VALU_DEP_3) | instskip(NEXT) | instid1(VALU_DEP_3)
	v_mul_f32_e32 v7, v3, v7
	v_mul_f32_e32 v8, v3, v8
	s_delay_alu instid0(VALU_DEP_3)
	v_lshrrev_b32_e32 v9, 16, v9
	s_waitcnt vmcnt(4)
	v_cvt_f32_i32_e32 v0, v0
	s_waitcnt vmcnt(3)
	v_cvt_f32_i32_e32 v1, v1
	;; [unrolled: 2-line block ×5, first 2 shown]
	v_bfe_u32 v13, v8, 16, 1
	v_dual_mul_f32 v0, v3, v0 :: v_dual_lshlrev_b32 v5, 1, v5
	v_cndmask_b32_e32 v6, 0x7fc0, v9, vcc_lo
	v_bfe_u32 v9, v7, 16, 1
	v_mul_f32_e32 v10, v3, v10
	v_mul_f32_e32 v1, v3, v1
	;; [unrolled: 1-line block ×4, first 2 shown]
	v_add3_u32 v11, v8, v13, 0x7fff
	v_bfe_u32 v13, v0, 16, 1
	v_add3_u32 v9, v7, v9, 0x7fff
	v_cmp_o_f32_e32 vcc_lo, v8, v8
	v_bfe_u32 v14, v1, 16, 1
	v_lshrrev_b32_e32 v11, 16, v11
	v_add3_u32 v13, v0, v13, 0x7fff
	v_lshrrev_b32_e32 v9, 16, v9
	v_bfe_u32 v16, v3, 16, 1
	v_add3_u32 v14, v1, v14, 0x7fff
	v_cndmask_b32_e32 v8, 0x7fc0, v11, vcc_lo
	v_cmp_o_f32_e32 vcc_lo, v7, v7
	v_lshlrev_b32_e32 v4, 6, v4
	v_lshrrev_b32_e32 v11, 16, v13
	v_add3_u32 v16, v3, v16, 0x7fff
	v_cndmask_b32_e32 v7, 0x7fc0, v9, vcc_lo
	v_cmp_o_f32_e32 vcc_lo, v0, v0
	v_lshrrev_b32_e32 v9, 16, v14
	s_delay_alu instid0(VALU_DEP_4)
	v_lshrrev_b32_e32 v14, 16, v16
	v_add_co_u32 v4, s0, s2, v4
	v_cndmask_b32_e32 v11, 0x7fc0, v11, vcc_lo
	v_bfe_u32 v15, v10, 16, 1
	v_cmp_o_f32_e32 vcc_lo, v1, v1
	v_add_co_ci_u32_e64 v12, null, s3, 0, s0
	s_delay_alu instid0(VALU_DEP_3) | instskip(SKIP_3) | instid1(VALU_DEP_4)
	v_add3_u32 v15, v10, v15, 0x7fff
	v_cndmask_b32_e32 v9, 0x7fc0, v9, vcc_lo
	v_bfe_u32 v17, v2, 16, 1
	v_cmp_o_f32_e32 vcc_lo, v10, v10
	v_lshrrev_b32_e32 v13, 16, v15
	s_delay_alu instid0(VALU_DEP_3) | instskip(NEXT) | instid1(VALU_DEP_2)
	v_add3_u32 v17, v2, v17, 0x7fff
	v_cndmask_b32_e32 v10, 0x7fc0, v13, vcc_lo
	v_cmp_o_f32_e32 vcc_lo, v3, v3
	s_delay_alu instid0(VALU_DEP_3) | instskip(NEXT) | instid1(VALU_DEP_3)
	v_lshrrev_b32_e32 v15, 16, v17
	v_perm_b32 v3, v10, v9, 0x5040100
	v_cndmask_b32_e32 v13, 0x7fc0, v14, vcc_lo
	v_cmp_o_f32_e32 vcc_lo, v2, v2
	v_perm_b32 v2, v8, v6, 0x5040100
	v_cndmask_b32_e32 v14, 0x7fc0, v15, vcc_lo
	v_add_co_u32 v0, vcc_lo, v4, v5
	v_add_co_ci_u32_e32 v1, vcc_lo, 0, v12, vcc_lo
	s_delay_alu instid0(VALU_DEP_3)
	v_perm_b32 v5, v14, v13, 0x5040100
	v_perm_b32 v4, v11, v7, 0x5040100
	s_clause 0x1
	global_store_b64 v[0:1], v[2:3], off
	global_store_b64 v[0:1], v[4:5], off offset:32
	s_nop 0
	s_sendmsg sendmsg(MSG_DEALLOC_VGPRS)
	s_endpgm
	.section	.rodata,"a",@progbits
	.p2align	6, 0x0
	.amdhsa_kernel _ZL23dequantize_block_iq4_nlIN3c108BFloat16EEvPKvPT_
		.amdhsa_group_segment_fixed_size 0
		.amdhsa_private_segment_fixed_size 0
		.amdhsa_kernarg_size 16
		.amdhsa_user_sgpr_count 15
		.amdhsa_user_sgpr_dispatch_ptr 0
		.amdhsa_user_sgpr_queue_ptr 0
		.amdhsa_user_sgpr_kernarg_segment_ptr 1
		.amdhsa_user_sgpr_dispatch_id 0
		.amdhsa_user_sgpr_private_segment_size 0
		.amdhsa_wavefront_size32 1
		.amdhsa_uses_dynamic_stack 0
		.amdhsa_enable_private_segment 0
		.amdhsa_system_sgpr_workgroup_id_x 1
		.amdhsa_system_sgpr_workgroup_id_y 0
		.amdhsa_system_sgpr_workgroup_id_z 0
		.amdhsa_system_sgpr_workgroup_info 0
		.amdhsa_system_vgpr_workitem_id 0
		.amdhsa_next_free_vgpr 18
		.amdhsa_next_free_sgpr 16
		.amdhsa_reserve_vcc 1
		.amdhsa_float_round_mode_32 0
		.amdhsa_float_round_mode_16_64 0
		.amdhsa_float_denorm_mode_32 3
		.amdhsa_float_denorm_mode_16_64 3
		.amdhsa_dx10_clamp 1
		.amdhsa_ieee_mode 1
		.amdhsa_fp16_overflow 0
		.amdhsa_workgroup_processor_mode 1
		.amdhsa_memory_ordered 1
		.amdhsa_forward_progress 0
		.amdhsa_shared_vgpr_count 0
		.amdhsa_exception_fp_ieee_invalid_op 0
		.amdhsa_exception_fp_denorm_src 0
		.amdhsa_exception_fp_ieee_div_zero 0
		.amdhsa_exception_fp_ieee_overflow 0
		.amdhsa_exception_fp_ieee_underflow 0
		.amdhsa_exception_fp_ieee_inexact 0
		.amdhsa_exception_int_div_zero 0
	.end_amdhsa_kernel
	.section	.text._ZL23dequantize_block_iq4_nlIN3c108BFloat16EEvPKvPT_,"axG",@progbits,_ZL23dequantize_block_iq4_nlIN3c108BFloat16EEvPKvPT_,comdat
.Lfunc_end52:
	.size	_ZL23dequantize_block_iq4_nlIN3c108BFloat16EEvPKvPT_, .Lfunc_end52-_ZL23dequantize_block_iq4_nlIN3c108BFloat16EEvPKvPT_
                                        ; -- End function
	.section	.AMDGPU.csdata,"",@progbits
; Kernel info:
; codeLenInByte = 912
; NumSgprs: 18
; NumVgprs: 18
; ScratchSize: 0
; MemoryBound: 0
; FloatMode: 240
; IeeeMode: 1
; LDSByteSize: 0 bytes/workgroup (compile time only)
; SGPRBlocks: 2
; VGPRBlocks: 2
; NumSGPRsForWavesPerEU: 18
; NumVGPRsForWavesPerEU: 18
; Occupancy: 16
; WaveLimiterHint : 0
; COMPUTE_PGM_RSRC2:SCRATCH_EN: 0
; COMPUTE_PGM_RSRC2:USER_SGPR: 15
; COMPUTE_PGM_RSRC2:TRAP_HANDLER: 0
; COMPUTE_PGM_RSRC2:TGID_X_EN: 1
; COMPUTE_PGM_RSRC2:TGID_Y_EN: 0
; COMPUTE_PGM_RSRC2:TGID_Z_EN: 0
; COMPUTE_PGM_RSRC2:TIDIG_COMP_CNT: 0
	.section	.text._ZL22dequantize_block_iq3_sIN3c108BFloat16EEvPKvPT_,"axG",@progbits,_ZL22dequantize_block_iq3_sIN3c108BFloat16EEvPKvPT_,comdat
	.globl	_ZL22dequantize_block_iq3_sIN3c108BFloat16EEvPKvPT_ ; -- Begin function _ZL22dequantize_block_iq3_sIN3c108BFloat16EEvPKvPT_
	.p2align	8
	.type	_ZL22dequantize_block_iq3_sIN3c108BFloat16EEvPKvPT_,@function
_ZL22dequantize_block_iq3_sIN3c108BFloat16EEvPKvPT_: ; @_ZL22dequantize_block_iq3_sIN3c108BFloat16EEvPKvPT_
; %bb.0:
	s_load_b128 s[0:3], s[0:1], 0x0
	v_and_b32_e32 v3, 7, v0
	s_mov_b32 s5, 0
	s_lshl_b32 s4, s15, 8
	v_lshrrev_b32_e32 v4, 3, v0
	s_lshl_b64 s[4:5], s[4:5], 1
	v_lshlrev_b32_e32 v1, 3, v3
	s_mul_hi_u32 s6, s15, 0x6e
	s_mulk_i32 s15, 0x6e
	v_lshlrev_b32_e32 v5, 1, v4
	v_lshl_add_u32 v4, v3, 2, v4
	s_delay_alu instid0(VALU_DEP_2)
	v_sub_nc_u32_e32 v8, 8, v5
	s_waitcnt lgkmcnt(0)
	s_add_u32 s2, s2, s4
	s_addc_u32 s3, s3, s5
	s_add_u32 s0, s0, s15
	s_addc_u32 s1, s1, s6
	v_add_co_u32 v1, s4, s0, v1
	s_delay_alu instid0(VALU_DEP_1) | instskip(NEXT) | instid1(VALU_DEP_2)
	v_add_co_ci_u32_e64 v2, null, s1, 0, s4
	v_add_co_u32 v1, vcc_lo, v1, v5
	s_delay_alu instid0(VALU_DEP_2)
	v_add_co_ci_u32_e32 v2, vcc_lo, 0, v2, vcc_lo
	v_sub_nc_u32_e32 v5, 7, v5
	s_clause 0x1
	global_load_u8 v6, v3, s[0:1] offset:66
	global_load_u16 v1, v[1:2], off offset:2
	v_mov_b32_e32 v7, 0
	v_bfe_u32 v2, v0, 1, 2
	global_load_u8 v2, v2, s[0:1] offset:106
	s_waitcnt vmcnt(2)
	v_lshlrev_b32_e32 v8, v8, v6
	s_waitcnt vmcnt(1)
	v_and_b32_e32 v9, 0xff, v1
	v_lshrrev_b16 v1, 8, v1
	v_lshlrev_b32_e32 v5, v5, v6
	s_clause 0x1
	global_load_i8 v4, v4, s[0:1] offset:74
	global_load_u16 v7, v7, s[0:1]
	s_getpc_b64 s[0:1]
	s_add_u32 s0, s0, _ZL10iq3xs_grid@rel32@lo+4
	s_addc_u32 s1, s1, _ZL10iq3xs_grid@rel32@hi+12
	v_and_or_b32 v6, 0x100, v8, v9
	v_and_b32_e32 v1, 0xffff, v1
	s_delay_alu instid0(VALU_DEP_2) | instskip(NEXT) | instid1(VALU_DEP_2)
	v_lshlrev_b32_e32 v6, 2, v6
	v_and_or_b32 v1, 0x100, v5, v1
	global_load_b32 v5, v6, s[0:1]
	v_lshlrev_b32_e32 v1, 2, v1
	global_load_b32 v1, v1, s[0:1]
	s_waitcnt vmcnt(3)
	v_and_b32_e32 v11, 4, v4
	v_and_b32_e32 v14, 8, v4
	;; [unrolled: 1-line block ×5, first 2 shown]
	s_waitcnt vmcnt(1)
	v_cvt_f32_ubyte1_e32 v15, v5
	v_lshlrev_b32_e32 v6, 2, v0
	v_cvt_f32_ubyte0_e32 v13, v5
	v_cvt_f32_ubyte2_e32 v16, v5
	v_cvt_f32_ubyte3_e32 v5, v5
	s_delay_alu instid0(VALU_DEP_4)
	v_and_b32_e32 v6, 4, v6
	s_waitcnt vmcnt(0)
	v_cvt_f32_ubyte0_e32 v17, v1
	v_cvt_f32_ubyte1_e32 v18, v1
	v_cvt_f32_ubyte2_e32 v19, v1
	v_cvt_f32_ubyte3_e32 v1, v1
	v_bfe_u32 v2, v2, v6, 4
	v_cvt_f32_f16_e32 v6, v7
	s_delay_alu instid0(VALU_DEP_2) | instskip(NEXT) | instid1(VALU_DEP_1)
	v_cvt_f32_ubyte0_e32 v2, v2
	v_add_f32_e32 v2, 0.5, v2
	s_delay_alu instid0(VALU_DEP_1) | instskip(SKIP_1) | instid1(VALU_DEP_2)
	v_mul_f32_e32 v2, v2, v6
	v_and_b32_e32 v6, 2, v4
	v_mul_f32_e32 v2, 0.5, v2
	v_and_b32_e32 v8, 1, v4
	s_delay_alu instid0(VALU_DEP_2) | instskip(SKIP_1) | instid1(VALU_DEP_3)
	v_dual_mul_f32 v13, v2, v13 :: v_dual_and_b32 v0, 0x3f8, v0
	v_mul_f32_e32 v1, v2, v1
	v_cmp_eq_u16_e32 vcc_lo, 0, v8
	v_mul_f32_e32 v15, v2, v15
	v_mul_f32_e32 v16, v2, v16
	;; [unrolled: 1-line block ×3, first 2 shown]
	v_cndmask_b32_e64 v8, -v13, v13, vcc_lo
	v_mul_f32_e32 v13, v2, v17
	v_cmp_eq_u16_e32 vcc_lo, 0, v6
	v_lshlrev_b32_e32 v0, 1, v0
	v_cndmask_b32_e64 v6, -v15, v15, vcc_lo
	v_mul_f32_e32 v15, v2, v18
	v_cmp_eq_u16_e32 vcc_lo, 0, v11
	v_cndmask_b32_e64 v11, -v16, v16, vcc_lo
	v_cmp_eq_u16_e32 vcc_lo, 0, v14
	v_mul_f32_e32 v16, v2, v19
	v_bfe_u32 v2, v8, 16, 1
	s_delay_alu instid0(VALU_DEP_4) | instskip(SKIP_2) | instid1(VALU_DEP_4)
	v_bfe_u32 v14, v11, 16, 1
	v_cndmask_b32_e64 v5, -v5, v5, vcc_lo
	v_cmp_eq_u16_e32 vcc_lo, 0, v9
	v_add3_u32 v2, v8, v2, 0x7fff
	s_delay_alu instid0(VALU_DEP_4)
	v_add3_u32 v14, v11, v14, 0x7fff
	v_cndmask_b32_e64 v9, -v13, v13, vcc_lo
	v_cmp_eq_u16_e32 vcc_lo, 0, v10
	v_bfe_u32 v13, v6, 16, 1
	v_lshrrev_b32_e32 v2, 16, v2
	v_lshrrev_b32_e32 v14, 16, v14
	v_cndmask_b32_e64 v10, -v15, v15, vcc_lo
	v_cmp_gt_i16_e32 vcc_lo, 0, v4
	v_add3_u32 v13, v6, v13, 0x7fff
	v_bfe_u32 v15, v5, 16, 1
	v_cndmask_b32_e64 v1, v1, -v1, vcc_lo
	v_cmp_eq_u16_e32 vcc_lo, 0, v12
	s_delay_alu instid0(VALU_DEP_4)
	v_lshrrev_b32_e32 v13, 16, v13
	v_bfe_u32 v12, v9, 16, 1
	v_add3_u32 v15, v5, v15, 0x7fff
	v_bfe_u32 v18, v1, 16, 1
	v_cndmask_b32_e64 v4, -v16, v16, vcc_lo
	v_cmp_o_f32_e32 vcc_lo, v8, v8
	v_bfe_u32 v16, v10, 16, 1
	v_add3_u32 v12, v9, v12, 0x7fff
	v_lshrrev_b32_e32 v15, 16, v15
	v_bfe_u32 v17, v4, 16, 1
	v_cndmask_b32_e32 v8, 0x7fc0, v2, vcc_lo
	v_cmp_o_f32_e32 vcc_lo, v6, v6
	v_lshlrev_b32_e32 v3, 6, v3
	v_add3_u32 v16, v10, v16, 0x7fff
	v_lshrrev_b32_e32 v2, 16, v12
	v_add3_u32 v17, v4, v17, 0x7fff
	v_cndmask_b32_e32 v6, 0x7fc0, v13, vcc_lo
	v_cmp_o_f32_e32 vcc_lo, v11, v11
	v_lshrrev_b32_e32 v12, 16, v16
	v_add3_u32 v18, v1, v18, 0x7fff
	v_add_co_u32 v3, s0, s2, v3
	v_cndmask_b32_e32 v11, 0x7fc0, v14, vcc_lo
	v_cmp_o_f32_e32 vcc_lo, v5, v5
	v_lshrrev_b32_e32 v5, 16, v17
	v_lshrrev_b32_e32 v14, 16, v18
	v_add_co_ci_u32_e64 v7, null, s3, 0, s0
	v_cndmask_b32_e32 v13, 0x7fc0, v15, vcc_lo
	v_cmp_o_f32_e32 vcc_lo, v9, v9
	v_cndmask_b32_e32 v2, 0x7fc0, v2, vcc_lo
	v_cmp_o_f32_e32 vcc_lo, v10, v10
	;; [unrolled: 2-line block ×3, first 2 shown]
	s_delay_alu instid0(VALU_DEP_2)
	v_perm_b32 v2, v9, v2, 0x5040100
	v_cndmask_b32_e32 v10, 0x7fc0, v5, vcc_lo
	v_cmp_o_f32_e32 vcc_lo, v1, v1
	v_perm_b32 v1, v13, v11, 0x5040100
	v_cndmask_b32_e32 v12, 0x7fc0, v14, vcc_lo
	v_add_co_u32 v4, vcc_lo, v3, v0
	v_add_co_ci_u32_e32 v5, vcc_lo, 0, v7, vcc_lo
	s_delay_alu instid0(VALU_DEP_3)
	v_perm_b32 v3, v12, v10, 0x5040100
	v_perm_b32 v0, v6, v8, 0x5040100
	global_store_b128 v[4:5], v[0:3], off
	s_nop 0
	s_sendmsg sendmsg(MSG_DEALLOC_VGPRS)
	s_endpgm
	.section	.rodata,"a",@progbits
	.p2align	6, 0x0
	.amdhsa_kernel _ZL22dequantize_block_iq3_sIN3c108BFloat16EEvPKvPT_
		.amdhsa_group_segment_fixed_size 0
		.amdhsa_private_segment_fixed_size 0
		.amdhsa_kernarg_size 16
		.amdhsa_user_sgpr_count 15
		.amdhsa_user_sgpr_dispatch_ptr 0
		.amdhsa_user_sgpr_queue_ptr 0
		.amdhsa_user_sgpr_kernarg_segment_ptr 1
		.amdhsa_user_sgpr_dispatch_id 0
		.amdhsa_user_sgpr_private_segment_size 0
		.amdhsa_wavefront_size32 1
		.amdhsa_uses_dynamic_stack 0
		.amdhsa_enable_private_segment 0
		.amdhsa_system_sgpr_workgroup_id_x 1
		.amdhsa_system_sgpr_workgroup_id_y 0
		.amdhsa_system_sgpr_workgroup_id_z 0
		.amdhsa_system_sgpr_workgroup_info 0
		.amdhsa_system_vgpr_workitem_id 0
		.amdhsa_next_free_vgpr 20
		.amdhsa_next_free_sgpr 16
		.amdhsa_reserve_vcc 1
		.amdhsa_float_round_mode_32 0
		.amdhsa_float_round_mode_16_64 0
		.amdhsa_float_denorm_mode_32 3
		.amdhsa_float_denorm_mode_16_64 3
		.amdhsa_dx10_clamp 1
		.amdhsa_ieee_mode 1
		.amdhsa_fp16_overflow 0
		.amdhsa_workgroup_processor_mode 1
		.amdhsa_memory_ordered 1
		.amdhsa_forward_progress 0
		.amdhsa_shared_vgpr_count 0
		.amdhsa_exception_fp_ieee_invalid_op 0
		.amdhsa_exception_fp_denorm_src 0
		.amdhsa_exception_fp_ieee_div_zero 0
		.amdhsa_exception_fp_ieee_overflow 0
		.amdhsa_exception_fp_ieee_underflow 0
		.amdhsa_exception_fp_ieee_inexact 0
		.amdhsa_exception_int_div_zero 0
	.end_amdhsa_kernel
	.section	.text._ZL22dequantize_block_iq3_sIN3c108BFloat16EEvPKvPT_,"axG",@progbits,_ZL22dequantize_block_iq3_sIN3c108BFloat16EEvPKvPT_,comdat
.Lfunc_end53:
	.size	_ZL22dequantize_block_iq3_sIN3c108BFloat16EEvPKvPT_, .Lfunc_end53-_ZL22dequantize_block_iq3_sIN3c108BFloat16EEvPKvPT_
                                        ; -- End function
	.section	.AMDGPU.csdata,"",@progbits
; Kernel info:
; codeLenInByte = 968
; NumSgprs: 18
; NumVgprs: 20
; ScratchSize: 0
; MemoryBound: 0
; FloatMode: 240
; IeeeMode: 1
; LDSByteSize: 0 bytes/workgroup (compile time only)
; SGPRBlocks: 2
; VGPRBlocks: 2
; NumSGPRsForWavesPerEU: 18
; NumVGPRsForWavesPerEU: 20
; Occupancy: 16
; WaveLimiterHint : 0
; COMPUTE_PGM_RSRC2:SCRATCH_EN: 0
; COMPUTE_PGM_RSRC2:USER_SGPR: 15
; COMPUTE_PGM_RSRC2:TRAP_HANDLER: 0
; COMPUTE_PGM_RSRC2:TGID_X_EN: 1
; COMPUTE_PGM_RSRC2:TGID_Y_EN: 0
; COMPUTE_PGM_RSRC2:TGID_Z_EN: 0
; COMPUTE_PGM_RSRC2:TIDIG_COMP_CNT: 0
	.section	.text._ZL22dequantize_block_iq2_sIN3c108BFloat16EEvPKvPT_,"axG",@progbits,_ZL22dequantize_block_iq2_sIN3c108BFloat16EEvPKvPT_,comdat
	.globl	_ZL22dequantize_block_iq2_sIN3c108BFloat16EEvPKvPT_ ; -- Begin function _ZL22dequantize_block_iq2_sIN3c108BFloat16EEvPKvPT_
	.p2align	8
	.type	_ZL22dequantize_block_iq2_sIN3c108BFloat16EEvPKvPT_,@function
_ZL22dequantize_block_iq2_sIN3c108BFloat16EEvPKvPT_: ; @_ZL22dequantize_block_iq2_sIN3c108BFloat16EEvPKvPT_
; %bb.0:
	s_load_b128 s[0:3], s[0:1], 0x0
	v_dual_mov_b32 v8, 0 :: v_dual_and_b32 v3, 7, v0
	s_mov_b32 s5, 0
	s_lshl_b32 s4, s15, 8
	v_lshrrev_b32_e32 v1, 3, v0
	s_delay_alu instid0(VALU_DEP_2)
	v_lshlrev_b32_e32 v2, 2, v3
	s_lshl_b64 s[4:5], s[4:5], 1
	s_mul_hi_u32 s6, s15, 0x52
	s_mulk_i32 s15, 0x52
	v_lshlrev_b32_e32 v6, 1, v1
	v_add_nc_u32_e32 v4, v2, v1
	s_delay_alu instid0(VALU_DEP_2)
	v_sub_nc_u32_e32 v6, 8, v6
	s_waitcnt lgkmcnt(0)
	s_add_u32 s2, s2, s4
	s_addc_u32 s3, s3, s5
	s_add_u32 s0, s0, s15
	s_addc_u32 s1, s1, s6
	v_add_co_u32 v1, s4, v1, v2
	s_clause 0x1
	global_load_u8 v5, v3, s[0:1] offset:66
	global_load_u8 v4, v4, s[0:1] offset:2
	v_add_co_ci_u32_e64 v2, null, 0, 0, s4
	global_load_u8 v7, v3, s[0:1] offset:74
	s_add_u32 s4, s0, 2
	s_addc_u32 s5, s1, 0
	v_add_co_u32 v1, vcc_lo, s4, v1
	v_add_co_ci_u32_e32 v2, vcc_lo, s5, v2, vcc_lo
	s_clause 0x1
	global_load_i8 v9, v[1:2], off offset:32
	global_load_u16 v8, v8, s[0:1]
	s_getpc_b64 s[0:1]
	s_add_u32 s0, s0, _ZL9iq2s_grid@rel32@lo+4
	s_addc_u32 s1, s1, _ZL9iq2s_grid@rel32@hi+12
	s_waitcnt vmcnt(4)
	v_lshlrev_b32_e32 v1, v6, v5
	s_waitcnt vmcnt(3)
	s_delay_alu instid0(VALU_DEP_1) | instskip(SKIP_1) | instid1(VALU_DEP_1)
	v_and_or_b32 v1, 0x300, v1, v4
	v_lshrrev_b32_e32 v4, 2, v0
	v_and_b32_e32 v4, 0xfc, v4
	s_waitcnt vmcnt(1)
	v_and_b32_e32 v10, 4, v9
	s_waitcnt vmcnt(0)
	v_cvt_f32_f16_e32 v5, v8
	v_and_b32_e32 v8, 2, v9
	v_bfe_u32 v4, v7, v4, 4
	v_and_b32_e32 v12, 32, v9
	s_delay_alu instid0(VALU_DEP_2) | instskip(NEXT) | instid1(VALU_DEP_1)
	v_cvt_f32_ubyte0_e32 v4, v4
	v_dual_add_f32 v4, 0.5, v4 :: v_dual_lshlrev_b32 v3, 6, v3
	s_delay_alu instid0(VALU_DEP_1) | instskip(NEXT) | instid1(VALU_DEP_1)
	v_mul_f32_e32 v4, v4, v5
	v_dual_mul_f32 v4, 0x3e800000, v4 :: v_dual_lshlrev_b32 v1, 3, v1
	global_load_b64 v[1:2], v1, s[0:1]
	v_add_co_u32 v3, s0, s2, v3
	s_delay_alu instid0(VALU_DEP_1)
	v_add_co_ci_u32_e64 v6, null, s3, 0, s0
	s_waitcnt vmcnt(0)
	v_cvt_f32_ubyte0_e32 v14, v1
	v_and_b32_e32 v7, 1, v9
	v_cvt_f32_ubyte1_e32 v15, v1
	v_cvt_f32_ubyte2_e32 v16, v1
	v_cvt_f32_ubyte3_e32 v1, v1
	v_mul_f32_e32 v14, v4, v14
	v_cvt_f32_ubyte0_e32 v17, v2
	v_and_b32_e32 v0, 0x3f8, v0
	v_cvt_f32_ubyte1_e32 v18, v2
	v_cvt_f32_ubyte2_e32 v19, v2
	v_cvt_f32_ubyte3_e32 v2, v2
	v_mul_f32_e32 v17, v4, v17
	v_cmp_eq_u16_e32 vcc_lo, 0, v7
	s_delay_alu instid0(VALU_DEP_4)
	v_dual_mul_f32 v19, v4, v19 :: v_dual_lshlrev_b32 v0, 1, v0
	v_dual_mul_f32 v16, v4, v16 :: v_dual_and_b32 v5, 8, v9
	v_dual_mul_f32 v18, v4, v18 :: v_dual_and_b32 v11, 16, v9
	;; [unrolled: 1-line block ×3, first 2 shown]
	v_mul_f32_e32 v15, v4, v15
	v_mul_f32_e32 v1, v4, v1
	v_cndmask_b32_e64 v4, -v14, v14, vcc_lo
	v_cmp_eq_u16_e32 vcc_lo, 0, v8
	s_delay_alu instid0(VALU_DEP_4)
	v_cndmask_b32_e64 v7, -v15, v15, vcc_lo
	v_cmp_eq_u16_e32 vcc_lo, 0, v10
	v_cndmask_b32_e64 v8, -v16, v16, vcc_lo
	v_cmp_eq_u16_e32 vcc_lo, 0, v5
	v_cndmask_b32_e64 v1, -v1, v1, vcc_lo
	v_cmp_eq_u16_e32 vcc_lo, 0, v11
	v_bfe_u32 v11, v4, 16, 1
	s_delay_alu instid0(VALU_DEP_3)
	v_bfe_u32 v14, v1, 16, 1
	v_cndmask_b32_e64 v5, -v17, v17, vcc_lo
	v_cmp_eq_u16_e32 vcc_lo, 0, v12
	v_bfe_u32 v12, v7, 16, 1
	v_add3_u32 v11, v4, v11, 0x7fff
	v_add3_u32 v14, v1, v14, 0x7fff
	v_bfe_u32 v15, v5, 16, 1
	v_cndmask_b32_e64 v10, -v18, v18, vcc_lo
	v_cmp_gt_i16_e32 vcc_lo, 0, v9
	v_add3_u32 v12, v7, v12, 0x7fff
	v_lshrrev_b32_e32 v11, 16, v11
	v_add3_u32 v15, v5, v15, 0x7fff
	v_bfe_u32 v16, v10, 16, 1
	v_cndmask_b32_e64 v2, v2, -v2, vcc_lo
	v_cmp_eq_u16_e32 vcc_lo, 0, v13
	v_bfe_u32 v13, v8, 16, 1
	v_lshrrev_b32_e32 v12, 16, v12
	v_lshrrev_b32_e32 v14, 16, v14
	v_add3_u32 v16, v10, v16, 0x7fff
	v_cndmask_b32_e64 v9, -v19, v19, vcc_lo
	v_cmp_o_f32_e32 vcc_lo, v4, v4
	v_add3_u32 v13, v8, v13, 0x7fff
	v_lshrrev_b32_e32 v15, 16, v15
	v_bfe_u32 v18, v2, 16, 1
	v_bfe_u32 v17, v9, 16, 1
	v_cndmask_b32_e32 v11, 0x7fc0, v11, vcc_lo
	v_cmp_o_f32_e32 vcc_lo, v7, v7
	v_lshrrev_b32_e32 v13, 16, v13
	v_lshrrev_b32_e32 v16, 16, v16
	v_add3_u32 v17, v9, v17, 0x7fff
	v_add3_u32 v18, v2, v18, 0x7fff
	v_cndmask_b32_e32 v7, 0x7fc0, v12, vcc_lo
	v_cmp_o_f32_e32 vcc_lo, v8, v8
	s_delay_alu instid0(VALU_DEP_4) | instskip(NEXT) | instid1(VALU_DEP_4)
	v_lshrrev_b32_e32 v17, 16, v17
	v_lshrrev_b32_e32 v18, 16, v18
	v_cndmask_b32_e32 v8, 0x7fc0, v13, vcc_lo
	v_cmp_o_f32_e32 vcc_lo, v1, v1
	v_cndmask_b32_e32 v1, 0x7fc0, v14, vcc_lo
	v_cmp_o_f32_e32 vcc_lo, v5, v5
	s_delay_alu instid0(VALU_DEP_2)
	v_perm_b32 v1, v1, v8, 0x5040100
	v_cndmask_b32_e32 v12, 0x7fc0, v15, vcc_lo
	v_cmp_o_f32_e32 vcc_lo, v10, v10
	v_cndmask_b32_e32 v10, 0x7fc0, v16, vcc_lo
	v_cmp_o_f32_e32 vcc_lo, v9, v9
	;; [unrolled: 2-line block ×3, first 2 shown]
	v_cndmask_b32_e32 v2, 0x7fc0, v18, vcc_lo
	v_add_co_u32 v4, vcc_lo, v3, v0
	v_add_co_ci_u32_e32 v5, vcc_lo, 0, v6, vcc_lo
	s_delay_alu instid0(VALU_DEP_3)
	v_perm_b32 v3, v2, v9, 0x5040100
	v_perm_b32 v2, v10, v12, 0x5040100
	;; [unrolled: 1-line block ×3, first 2 shown]
	global_store_b128 v[4:5], v[0:3], off
	s_nop 0
	s_sendmsg sendmsg(MSG_DEALLOC_VGPRS)
	s_endpgm
	.section	.rodata,"a",@progbits
	.p2align	6, 0x0
	.amdhsa_kernel _ZL22dequantize_block_iq2_sIN3c108BFloat16EEvPKvPT_
		.amdhsa_group_segment_fixed_size 0
		.amdhsa_private_segment_fixed_size 0
		.amdhsa_kernarg_size 16
		.amdhsa_user_sgpr_count 15
		.amdhsa_user_sgpr_dispatch_ptr 0
		.amdhsa_user_sgpr_queue_ptr 0
		.amdhsa_user_sgpr_kernarg_segment_ptr 1
		.amdhsa_user_sgpr_dispatch_id 0
		.amdhsa_user_sgpr_private_segment_size 0
		.amdhsa_wavefront_size32 1
		.amdhsa_uses_dynamic_stack 0
		.amdhsa_enable_private_segment 0
		.amdhsa_system_sgpr_workgroup_id_x 1
		.amdhsa_system_sgpr_workgroup_id_y 0
		.amdhsa_system_sgpr_workgroup_id_z 0
		.amdhsa_system_sgpr_workgroup_info 0
		.amdhsa_system_vgpr_workitem_id 0
		.amdhsa_next_free_vgpr 20
		.amdhsa_next_free_sgpr 16
		.amdhsa_reserve_vcc 1
		.amdhsa_float_round_mode_32 0
		.amdhsa_float_round_mode_16_64 0
		.amdhsa_float_denorm_mode_32 3
		.amdhsa_float_denorm_mode_16_64 3
		.amdhsa_dx10_clamp 1
		.amdhsa_ieee_mode 1
		.amdhsa_fp16_overflow 0
		.amdhsa_workgroup_processor_mode 1
		.amdhsa_memory_ordered 1
		.amdhsa_forward_progress 0
		.amdhsa_shared_vgpr_count 0
		.amdhsa_exception_fp_ieee_invalid_op 0
		.amdhsa_exception_fp_denorm_src 0
		.amdhsa_exception_fp_ieee_div_zero 0
		.amdhsa_exception_fp_ieee_overflow 0
		.amdhsa_exception_fp_ieee_underflow 0
		.amdhsa_exception_fp_ieee_inexact 0
		.amdhsa_exception_int_div_zero 0
	.end_amdhsa_kernel
	.section	.text._ZL22dequantize_block_iq2_sIN3c108BFloat16EEvPKvPT_,"axG",@progbits,_ZL22dequantize_block_iq2_sIN3c108BFloat16EEvPKvPT_,comdat
.Lfunc_end54:
	.size	_ZL22dequantize_block_iq2_sIN3c108BFloat16EEvPKvPT_, .Lfunc_end54-_ZL22dequantize_block_iq2_sIN3c108BFloat16EEvPKvPT_
                                        ; -- End function
	.section	.AMDGPU.csdata,"",@progbits
; Kernel info:
; codeLenInByte = 912
; NumSgprs: 18
; NumVgprs: 20
; ScratchSize: 0
; MemoryBound: 0
; FloatMode: 240
; IeeeMode: 1
; LDSByteSize: 0 bytes/workgroup (compile time only)
; SGPRBlocks: 2
; VGPRBlocks: 2
; NumSGPRsForWavesPerEU: 18
; NumVGPRsForWavesPerEU: 20
; Occupancy: 16
; WaveLimiterHint : 0
; COMPUTE_PGM_RSRC2:SCRATCH_EN: 0
; COMPUTE_PGM_RSRC2:USER_SGPR: 15
; COMPUTE_PGM_RSRC2:TRAP_HANDLER: 0
; COMPUTE_PGM_RSRC2:TGID_X_EN: 1
; COMPUTE_PGM_RSRC2:TGID_Y_EN: 0
; COMPUTE_PGM_RSRC2:TGID_Z_EN: 0
; COMPUTE_PGM_RSRC2:TIDIG_COMP_CNT: 0
	.section	.text._ZL23dequantize_block_iq4_xsIN3c108BFloat16EEvPKvPT_,"axG",@progbits,_ZL23dequantize_block_iq4_xsIN3c108BFloat16EEvPKvPT_,comdat
	.globl	_ZL23dequantize_block_iq4_xsIN3c108BFloat16EEvPKvPT_ ; -- Begin function _ZL23dequantize_block_iq4_xsIN3c108BFloat16EEvPKvPT_
	.p2align	8
	.type	_ZL23dequantize_block_iq4_xsIN3c108BFloat16EEvPKvPT_,@function
_ZL23dequantize_block_iq4_xsIN3c108BFloat16EEvPKvPT_: ; @_ZL23dequantize_block_iq4_xsIN3c108BFloat16EEvPKvPT_
; %bb.0:
	s_load_b128 s[0:3], s[0:1], 0x0
	v_lshrrev_b32_e32 v1, 1, v0
	v_and_b32_e32 v5, 7, v0
	s_mov_b32 s5, 0
	s_lshl_b32 s4, s15, 8
	s_mul_hi_u32 s6, s15, 0x88
	s_lshl_b64 s[4:5], s[4:5], 1
	v_and_b32_e32 v6, 0x1fc, v1
	v_lshlrev_b32_e32 v1, 4, v5
	s_mulk_i32 s15, 0x88
	s_waitcnt lgkmcnt(0)
	s_add_u32 s2, s2, s4
	s_addc_u32 s3, s3, s5
	s_add_u32 s0, s0, s15
	s_addc_u32 s1, s1, s6
	v_add_co_u32 v1, s4, s0, v1
	s_delay_alu instid0(VALU_DEP_1) | instskip(NEXT) | instid1(VALU_DEP_2)
	v_add_co_ci_u32_e64 v2, null, s1, 0, s4
	v_add_co_u32 v1, vcc_lo, v1, v6
	s_delay_alu instid0(VALU_DEP_2)
	v_add_co_ci_u32_e32 v2, vcc_lo, 0, v2, vcc_lo
	global_load_b32 v3, v[1:2], off offset:8
	v_mov_b32_e32 v1, 0
	global_load_b32 v7, v1, s[0:1]
	v_bfe_u32 v1, v0, 1, 2
	v_lshlrev_b32_e32 v0, 2, v0
	global_load_u8 v8, v1, s[0:1] offset:4
	s_getpc_b64 s[0:1]
	s_add_u32 s0, s0, _ZL13kvalues_iq4nl@rel32@lo+4
	s_addc_u32 s1, s1, _ZL13kvalues_iq4nl@rel32@hi+12
	v_and_b32_e32 v0, 4, v0
	s_waitcnt vmcnt(2)
	v_lshrrev_b16 v1, 4, v3
	v_lshrrev_b32_e32 v2, 8, v3
	v_and_b32_e32 v4, 15, v3
	v_lshrrev_b32_e32 v9, 24, v3
	v_bfe_u32 v10, v3, 8, 4
	v_and_b32_e32 v1, 15, v1
	v_lshrrev_b16 v2, 4, v2
	global_load_i8 v11, v4, s[0:1]
	v_lshrrev_b16 v4, 4, v9
	v_bfe_u32 v12, v3, 16, 4
	v_and_b32_e32 v1, 0xffff, v1
	v_and_b32_e32 v9, 15, v2
	v_bfe_u32 v13, v3, 20, 4
	v_bfe_u32 v14, v3, 24, 4
	v_and_b32_e32 v4, 0xffff, v4
	v_add_co_u32 v1, s4, v1, s0
	s_delay_alu instid0(VALU_DEP_1)
	v_add_co_ci_u32_e64 v2, null, 0, s1, s4
	v_and_b32_e32 v3, 0xffff, v9
	s_waitcnt vmcnt(1)
	v_bfe_u32 v0, v8, v0, 4
	s_clause 0x1
	global_load_i8 v9, v[1:2], off
	global_load_i8 v10, v10, s[0:1]
	v_add_co_u32 v1, s4, v3, s0
	s_delay_alu instid0(VALU_DEP_1) | instskip(SKIP_1) | instid1(VALU_DEP_1)
	v_add_co_ci_u32_e64 v2, null, 0, s1, s4
	v_add_co_u32 v3, s4, v4, s0
	v_add_co_ci_u32_e64 v4, null, 0, s1, s4
	s_clause 0x4
	global_load_i8 v1, v[1:2], off
	global_load_i8 v2, v12, s[0:1]
	global_load_i8 v12, v14, s[0:1]
	;; [unrolled: 1-line block ×3, first 2 shown]
	global_load_i8 v3, v[3:4], off
	v_lshlrev_b32_e32 v4, 1, v5
	v_lshrrev_b32_e32 v14, 16, v7
	s_delay_alu instid0(VALU_DEP_1)
	v_lshrrev_b32_e32 v4, v4, v14
	s_waitcnt vmcnt(6)
	v_cvt_f32_i32_e32 v9, v9
	s_waitcnt vmcnt(5)
	v_cvt_f32_i32_e32 v8, v10
	s_waitcnt vmcnt(4)
	v_cvt_f32_i32_e32 v1, v1
	s_waitcnt vmcnt(3)
	v_cvt_f32_i32_e32 v2, v2
	s_waitcnt vmcnt(0)
	v_cvt_f32_i32_e32 v3, v3
	v_lshlrev_b32_e32 v4, 4, v4
	s_delay_alu instid0(VALU_DEP_1) | instskip(SKIP_1) | instid1(VALU_DEP_2)
	v_and_or_b32 v0, v4, 48, v0
	v_cvt_f32_f16_e32 v4, v7
	v_subrev_nc_u32_e32 v0, 32, v0
	s_delay_alu instid0(VALU_DEP_1) | instskip(NEXT) | instid1(VALU_DEP_1)
	v_cvt_f32_i32_e32 v0, v0
	v_mul_f32_e32 v0, v4, v0
	v_cvt_f32_i32_e32 v4, v11
	v_cvt_f32_i32_e32 v11, v12
	;; [unrolled: 1-line block ×3, first 2 shown]
	s_delay_alu instid0(VALU_DEP_4) | instskip(NEXT) | instid1(VALU_DEP_4)
	v_mul_f32_e32 v3, v0, v3
	v_mul_f32_e32 v4, v0, v4
	;; [unrolled: 1-line block ×6, first 2 shown]
	v_bfe_u32 v7, v4, 16, 1
	v_bfe_u32 v13, v8, 16, 1
	v_cmp_o_f32_e32 vcc_lo, v4, v4
	v_mul_f32_e32 v2, v0, v2
	v_mul_f32_e32 v0, v0, v12
	v_add3_u32 v7, v4, v7, 0x7fff
	v_add3_u32 v12, v8, v13, 0x7fff
	v_bfe_u32 v13, v1, 16, 1
	v_bfe_u32 v14, v2, 16, 1
	;; [unrolled: 1-line block ×3, first 2 shown]
	v_lshrrev_b32_e32 v7, 16, v7
	v_lshrrev_b32_e32 v12, 16, v12
	v_add3_u32 v13, v1, v13, 0x7fff
	v_add3_u32 v14, v2, v14, 0x7fff
	v_bfe_u32 v16, v0, 16, 1
	v_cndmask_b32_e32 v4, 0x7fc0, v7, vcc_lo
	v_bfe_u32 v7, v9, 16, 1
	v_cmp_o_f32_e32 vcc_lo, v8, v8
	v_lshlrev_b32_e32 v5, 6, v5
	v_add3_u32 v15, v11, v15, 0x7fff
	v_bfe_u32 v17, v3, 16, 1
	v_add3_u32 v7, v9, v7, 0x7fff
	v_cndmask_b32_e32 v8, 0x7fc0, v12, vcc_lo
	v_cmp_o_f32_e32 vcc_lo, v9, v9
	v_lshrrev_b32_e32 v12, 16, v13
	v_lshrrev_b32_e32 v9, 16, v14
	;; [unrolled: 1-line block ×3, first 2 shown]
	v_add3_u32 v16, v0, v16, 0x7fff
	v_lshrrev_b32_e32 v13, 16, v15
	v_add3_u32 v17, v3, v17, 0x7fff
	v_add_co_u32 v5, s0, s2, v5
	v_cndmask_b32_e32 v7, 0x7fc0, v7, vcc_lo
	v_cmp_o_f32_e32 vcc_lo, v1, v1
	v_lshrrev_b32_e32 v14, 16, v16
	v_lshrrev_b32_e32 v15, 16, v17
	v_add_co_ci_u32_e64 v10, null, s3, 0, s0
	v_cndmask_b32_e32 v12, 0x7fc0, v12, vcc_lo
	v_cmp_o_f32_e32 vcc_lo, v2, v2
	v_perm_b32 v2, v8, v4, 0x5040100
	s_delay_alu instid0(VALU_DEP_3)
	v_perm_b32 v4, v12, v7, 0x5040100
	v_cndmask_b32_e32 v9, 0x7fc0, v9, vcc_lo
	v_cmp_o_f32_e32 vcc_lo, v11, v11
	v_dual_cndmask_b32 v11, 0x7fc0, v13 :: v_dual_lshlrev_b32 v6, 1, v6
	v_cmp_o_f32_e32 vcc_lo, v0, v0
	v_cndmask_b32_e32 v13, 0x7fc0, v14, vcc_lo
	v_cmp_o_f32_e32 vcc_lo, v3, v3
	s_delay_alu instid0(VALU_DEP_4) | instskip(SKIP_3) | instid1(VALU_DEP_3)
	v_perm_b32 v3, v11, v9, 0x5040100
	v_cndmask_b32_e32 v14, 0x7fc0, v15, vcc_lo
	v_add_co_u32 v0, vcc_lo, v5, v6
	v_add_co_ci_u32_e32 v1, vcc_lo, 0, v10, vcc_lo
	v_perm_b32 v5, v14, v13, 0x5040100
	s_clause 0x1
	global_store_b64 v[0:1], v[2:3], off
	global_store_b64 v[0:1], v[4:5], off offset:32
	s_nop 0
	s_sendmsg sendmsg(MSG_DEALLOC_VGPRS)
	s_endpgm
	.section	.rodata,"a",@progbits
	.p2align	6, 0x0
	.amdhsa_kernel _ZL23dequantize_block_iq4_xsIN3c108BFloat16EEvPKvPT_
		.amdhsa_group_segment_fixed_size 0
		.amdhsa_private_segment_fixed_size 0
		.amdhsa_kernarg_size 16
		.amdhsa_user_sgpr_count 15
		.amdhsa_user_sgpr_dispatch_ptr 0
		.amdhsa_user_sgpr_queue_ptr 0
		.amdhsa_user_sgpr_kernarg_segment_ptr 1
		.amdhsa_user_sgpr_dispatch_id 0
		.amdhsa_user_sgpr_private_segment_size 0
		.amdhsa_wavefront_size32 1
		.amdhsa_uses_dynamic_stack 0
		.amdhsa_enable_private_segment 0
		.amdhsa_system_sgpr_workgroup_id_x 1
		.amdhsa_system_sgpr_workgroup_id_y 0
		.amdhsa_system_sgpr_workgroup_id_z 0
		.amdhsa_system_sgpr_workgroup_info 0
		.amdhsa_system_vgpr_workitem_id 0
		.amdhsa_next_free_vgpr 18
		.amdhsa_next_free_sgpr 16
		.amdhsa_reserve_vcc 1
		.amdhsa_float_round_mode_32 0
		.amdhsa_float_round_mode_16_64 0
		.amdhsa_float_denorm_mode_32 3
		.amdhsa_float_denorm_mode_16_64 3
		.amdhsa_dx10_clamp 1
		.amdhsa_ieee_mode 1
		.amdhsa_fp16_overflow 0
		.amdhsa_workgroup_processor_mode 1
		.amdhsa_memory_ordered 1
		.amdhsa_forward_progress 0
		.amdhsa_shared_vgpr_count 0
		.amdhsa_exception_fp_ieee_invalid_op 0
		.amdhsa_exception_fp_denorm_src 0
		.amdhsa_exception_fp_ieee_div_zero 0
		.amdhsa_exception_fp_ieee_overflow 0
		.amdhsa_exception_fp_ieee_underflow 0
		.amdhsa_exception_fp_ieee_inexact 0
		.amdhsa_exception_int_div_zero 0
	.end_amdhsa_kernel
	.section	.text._ZL23dequantize_block_iq4_xsIN3c108BFloat16EEvPKvPT_,"axG",@progbits,_ZL23dequantize_block_iq4_xsIN3c108BFloat16EEvPKvPT_,comdat
.Lfunc_end55:
	.size	_ZL23dequantize_block_iq4_xsIN3c108BFloat16EEvPKvPT_, .Lfunc_end55-_ZL23dequantize_block_iq4_xsIN3c108BFloat16EEvPKvPT_
                                        ; -- End function
	.section	.AMDGPU.csdata,"",@progbits
; Kernel info:
; codeLenInByte = 968
; NumSgprs: 18
; NumVgprs: 18
; ScratchSize: 0
; MemoryBound: 0
; FloatMode: 240
; IeeeMode: 1
; LDSByteSize: 0 bytes/workgroup (compile time only)
; SGPRBlocks: 2
; VGPRBlocks: 2
; NumSGPRsForWavesPerEU: 18
; NumVGPRsForWavesPerEU: 18
; Occupancy: 16
; WaveLimiterHint : 0
; COMPUTE_PGM_RSRC2:SCRATCH_EN: 0
; COMPUTE_PGM_RSRC2:USER_SGPR: 15
; COMPUTE_PGM_RSRC2:TRAP_HANDLER: 0
; COMPUTE_PGM_RSRC2:TGID_X_EN: 1
; COMPUTE_PGM_RSRC2:TGID_Y_EN: 0
; COMPUTE_PGM_RSRC2:TGID_Z_EN: 0
; COMPUTE_PGM_RSRC2:TIDIG_COMP_CNT: 0
	.section	.text._ZL22dequantize_block_iq1_mIN3c108BFloat16EEvPKvPT_,"axG",@progbits,_ZL22dequantize_block_iq1_mIN3c108BFloat16EEvPKvPT_,comdat
	.globl	_ZL22dequantize_block_iq1_mIN3c108BFloat16EEvPKvPT_ ; -- Begin function _ZL22dequantize_block_iq1_mIN3c108BFloat16EEvPKvPT_
	.p2align	8
	.type	_ZL22dequantize_block_iq1_mIN3c108BFloat16EEvPKvPT_,@function
_ZL22dequantize_block_iq1_mIN3c108BFloat16EEvPKvPT_: ; @_ZL22dequantize_block_iq1_mIN3c108BFloat16EEvPKvPT_
; %bb.0:
	s_load_b128 s[0:3], s[0:1], 0x0
	v_and_b32_e32 v3, 7, v0
	v_lshrrev_b32_e32 v1, 4, v0
	s_mov_b32 s4, s15
	s_mov_b32 s5, 0
	v_lshrrev_b32_e32 v4, 3, v0
	v_lshlrev_b32_e32 v2, 1, v3
	s_lshl_b64 s[6:7], s[4:5], 9
	s_mul_i32 s4, s15, 56
	v_lshlrev_b32_e32 v5, 2, v3
	s_mul_hi_u32 s5, s15, 56
	v_add_co_u32 v6, s8, v2, v1
	s_delay_alu instid0(VALU_DEP_1) | instskip(SKIP_1) | instid1(VALU_DEP_1)
	v_add_co_ci_u32_e64 v2, null, 0, 0, s8
	v_lshrrev_b32_e32 v8, 1, v0
	v_and_b32_e32 v8, 4, v8
	s_waitcnt lgkmcnt(0)
	s_add_u32 s2, s2, s6
	s_addc_u32 s3, s3, s7
	s_add_u32 s0, s0, s4
	s_addc_u32 s1, s1, s5
	v_add_co_u32 v1, vcc_lo, s0, v6
	v_add_co_ci_u32_e32 v2, vcc_lo, s1, v2, vcc_lo
	v_add_co_u32 v4, s4, v5, v4
	s_delay_alu instid0(VALU_DEP_1)
	v_add_co_ci_u32_e64 v5, null, 0, 0, s4
	global_load_u8 v7, v[1:2], off offset:32
	v_add_co_u32 v1, vcc_lo, s0, v4
	v_add_co_ci_u32_e32 v2, vcc_lo, s1, v5, vcc_lo
	v_lshrrev_b32_e32 v5, 1, v6
	v_and_b32_e32 v6, 3, v6
	global_load_u8 v4, v[1:2], off
	v_mov_b32_e32 v1, 0
	v_and_b32_e32 v5, 62, v5
	v_mul_u32_u24_e32 v6, 3, v6
	s_clause 0x1
	global_load_b64 v[1:2], v1, s[0:1] offset:48
	global_load_u16 v5, v5, s[0:1] offset:48
	s_getpc_b64 s[0:1]
	s_add_u32 s0, s0, _ZL13iq1s_grid_gpu@rel32@lo+4
	s_addc_u32 s1, s1, _ZL13iq1s_grid_gpu@rel32@hi+12
	s_waitcnt vmcnt(3)
	v_lshrrev_b32_e32 v7, v8, v7
	s_waitcnt vmcnt(0)
	v_lshrrev_b32_e32 v5, v6, v5
	s_delay_alu instid0(VALU_DEP_1) | instskip(NEXT) | instid1(VALU_DEP_1)
	v_lshlrev_b32_e32 v5, 1, v5
	v_and_or_b32 v5, v5, 14, 1
	s_delay_alu instid0(VALU_DEP_1) | instskip(SKIP_1) | instid1(VALU_DEP_1)
	v_cvt_f32_ubyte0_e32 v5, v5
	v_lshlrev_b32_e32 v8, 8, v7
	v_and_or_b32 v4, 0x700, v8, v4
	v_lshrrev_b32_e32 v8, 16, v1
	v_bfe_u32 v1, v1, 12, 4
	s_delay_alu instid0(VALU_DEP_2) | instskip(SKIP_1) | instid1(VALU_DEP_2)
	v_lshl_or_b32 v8, v2, 16, v8
	v_lshrrev_b32_e32 v2, 16, v2
	v_pk_lshrrev_b16 v8, 0x40008, v8
	s_delay_alu instid0(VALU_DEP_2) | instskip(NEXT) | instid1(VALU_DEP_2)
	v_and_b32_e32 v2, 0xf000, v2
	v_and_b32_e32 v8, 0xf0000f0, v8
	s_delay_alu instid0(VALU_DEP_1) | instskip(SKIP_1) | instid1(VALU_DEP_1)
	v_or_b32_e32 v1, v8, v1
	v_lshrrev_b32_e32 v6, 16, v8
	v_or_b32_e32 v1, v1, v6
	v_mov_b32_e32 v6, 0xbf600000
	s_delay_alu instid0(VALU_DEP_2) | instskip(NEXT) | instid1(VALU_DEP_1)
	v_or_b32_e32 v1, v1, v2
	v_cvt_f32_f16_e32 v1, v1
	s_delay_alu instid0(VALU_DEP_1) | instskip(SKIP_1) | instid1(VALU_DEP_1)
	v_dual_mul_f32 v1, v1, v5 :: v_dual_lshlrev_b32 v2, 6, v3
	v_and_b32_e32 v3, 8, v7
	v_cmp_eq_u32_e32 vcc_lo, 0, v3
	v_dual_cndmask_b32 v3, 0xbf900000, v6 :: v_dual_lshlrev_b32 v4, 3, v4
	global_load_b32 v4, v4, s[0:1]
	s_waitcnt vmcnt(0)
	v_bfe_u32 v10, v4, 12, 4
	v_bfe_u32 v9, v4, 16, 4
	;; [unrolled: 1-line block ×3, first 2 shown]
	v_and_b32_e32 v8, 15, v4
	v_bfe_u32 v6, v4, 8, 4
	v_cvt_f32_ubyte0_e32 v10, v10
	v_cvt_f32_ubyte0_e32 v9, v9
	v_cvt_f32_ubyte0_e32 v11, v11
	v_lshrrev_b32_e32 v12, 28, v4
	v_cvt_f32_ubyte0_e32 v8, v8
	v_dual_add_f32 v10, v3, v10 :: v_dual_and_b32 v5, 0xf0f0f0f, v4
	v_add_f32_e32 v9, v3, v9
	v_add_f32_e32 v11, v3, v11
	v_bfe_u32 v4, v4, 20, 4
	s_delay_alu instid0(VALU_DEP_4)
	v_mul_f32_e32 v10, v1, v10
	v_cvt_f32_ubyte3_e32 v5, v5
	v_mul_f32_e32 v9, v1, v9
	v_mul_f32_e32 v11, v1, v11
	v_cvt_f32_ubyte0_e32 v6, v6
	v_cvt_f32_ubyte0_e32 v12, v12
	v_dual_add_f32 v5, v3, v5 :: v_dual_and_b32 v0, 0x3f8, v0
	v_bfe_u32 v13, v9, 16, 1
	v_bfe_u32 v15, v11, 16, 1
	v_cvt_f32_ubyte0_e32 v4, v4
	s_delay_alu instid0(VALU_DEP_4) | instskip(SKIP_3) | instid1(VALU_DEP_4)
	v_dual_mul_f32 v5, v1, v5 :: v_dual_lshlrev_b32 v0, 1, v0
	v_add_f32_e32 v8, v3, v8
	v_add3_u32 v13, v9, v13, 0x7fff
	v_add3_u32 v15, v11, v15, 0x7fff
	v_bfe_u32 v14, v5, 16, 1
	v_add_f32_e32 v6, v3, v6
	v_bfe_u32 v16, v10, 16, 1
	v_lshrrev_b32_e32 v13, 16, v13
	v_add_f32_e32 v4, v3, v4
	v_add_f32_e32 v3, v3, v12
	v_add3_u32 v14, v5, v14, 0x7fff
	v_lshrrev_b32_e32 v15, 16, v15
	v_mul_f32_e32 v8, v1, v8
	v_mul_f32_e32 v6, v1, v6
	;; [unrolled: 1-line block ×3, first 2 shown]
	v_lshrrev_b32_e32 v14, 16, v14
	v_mul_f32_e32 v1, v1, v4
	v_bfe_u32 v4, v8, 16, 1
	v_bfe_u32 v12, v6, 16, 1
	v_cmp_o_f32_e32 vcc_lo, v8, v8
	v_add3_u32 v16, v10, v16, 0x7fff
	v_bfe_u32 v18, v3, 16, 1
	v_add3_u32 v4, v8, v4, 0x7fff
	v_add3_u32 v12, v6, v12, 0x7fff
	v_add_co_u32 v2, s0, s2, v2
	v_lshrrev_b32_e32 v16, 16, v16
	s_delay_alu instid0(VALU_DEP_4) | instskip(NEXT) | instid1(VALU_DEP_4)
	v_lshrrev_b32_e32 v4, 16, v4
	v_lshrrev_b32_e32 v12, 16, v12
	v_add3_u32 v18, v3, v18, 0x7fff
	v_add_co_ci_u32_e64 v7, null, s3, 0, s0
	s_delay_alu instid0(VALU_DEP_4) | instskip(SKIP_1) | instid1(VALU_DEP_4)
	v_cndmask_b32_e32 v8, 0x7fc0, v4, vcc_lo
	v_cmp_o_f32_e32 vcc_lo, v6, v6
	v_lshrrev_b32_e32 v18, 16, v18
	v_cndmask_b32_e32 v6, 0x7fc0, v12, vcc_lo
	v_cmp_o_f32_e32 vcc_lo, v9, v9
	v_cndmask_b32_e32 v9, 0x7fc0, v13, vcc_lo
	v_cmp_o_f32_e32 vcc_lo, v5, v5
	v_cndmask_b32_e32 v12, 0x7fc0, v14, vcc_lo
	v_bfe_u32 v17, v1, 16, 1
	v_cmp_o_f32_e32 vcc_lo, v11, v11
	s_delay_alu instid0(VALU_DEP_2) | instskip(SKIP_2) | instid1(VALU_DEP_3)
	v_add3_u32 v17, v1, v17, 0x7fff
	v_cndmask_b32_e32 v11, 0x7fc0, v15, vcc_lo
	v_cmp_o_f32_e32 vcc_lo, v10, v10
	v_lshrrev_b32_e32 v17, 16, v17
	v_cndmask_b32_e32 v10, 0x7fc0, v16, vcc_lo
	v_cmp_o_f32_e32 vcc_lo, v1, v1
	s_delay_alu instid0(VALU_DEP_3) | instskip(SKIP_4) | instid1(VALU_DEP_3)
	v_cndmask_b32_e32 v1, 0x7fc0, v17, vcc_lo
	v_cmp_o_f32_e32 vcc_lo, v3, v3
	v_cndmask_b32_e32 v3, 0x7fc0, v18, vcc_lo
	v_add_co_u32 v4, vcc_lo, v2, v0
	v_add_co_ci_u32_e32 v5, vcc_lo, 0, v7, vcc_lo
	v_perm_b32 v3, v3, v1, 0x5040100
	v_perm_b32 v2, v10, v11, 0x5040100
	;; [unrolled: 1-line block ×4, first 2 shown]
	global_store_b128 v[4:5], v[0:3], off
	s_nop 0
	s_sendmsg sendmsg(MSG_DEALLOC_VGPRS)
	s_endpgm
	.section	.rodata,"a",@progbits
	.p2align	6, 0x0
	.amdhsa_kernel _ZL22dequantize_block_iq1_mIN3c108BFloat16EEvPKvPT_
		.amdhsa_group_segment_fixed_size 0
		.amdhsa_private_segment_fixed_size 0
		.amdhsa_kernarg_size 16
		.amdhsa_user_sgpr_count 15
		.amdhsa_user_sgpr_dispatch_ptr 0
		.amdhsa_user_sgpr_queue_ptr 0
		.amdhsa_user_sgpr_kernarg_segment_ptr 1
		.amdhsa_user_sgpr_dispatch_id 0
		.amdhsa_user_sgpr_private_segment_size 0
		.amdhsa_wavefront_size32 1
		.amdhsa_uses_dynamic_stack 0
		.amdhsa_enable_private_segment 0
		.amdhsa_system_sgpr_workgroup_id_x 1
		.amdhsa_system_sgpr_workgroup_id_y 0
		.amdhsa_system_sgpr_workgroup_id_z 0
		.amdhsa_system_sgpr_workgroup_info 0
		.amdhsa_system_vgpr_workitem_id 0
		.amdhsa_next_free_vgpr 19
		.amdhsa_next_free_sgpr 16
		.amdhsa_reserve_vcc 1
		.amdhsa_float_round_mode_32 0
		.amdhsa_float_round_mode_16_64 0
		.amdhsa_float_denorm_mode_32 3
		.amdhsa_float_denorm_mode_16_64 3
		.amdhsa_dx10_clamp 1
		.amdhsa_ieee_mode 1
		.amdhsa_fp16_overflow 0
		.amdhsa_workgroup_processor_mode 1
		.amdhsa_memory_ordered 1
		.amdhsa_forward_progress 0
		.amdhsa_shared_vgpr_count 0
		.amdhsa_exception_fp_ieee_invalid_op 0
		.amdhsa_exception_fp_denorm_src 0
		.amdhsa_exception_fp_ieee_div_zero 0
		.amdhsa_exception_fp_ieee_overflow 0
		.amdhsa_exception_fp_ieee_underflow 0
		.amdhsa_exception_fp_ieee_inexact 0
		.amdhsa_exception_int_div_zero 0
	.end_amdhsa_kernel
	.section	.text._ZL22dequantize_block_iq1_mIN3c108BFloat16EEvPKvPT_,"axG",@progbits,_ZL22dequantize_block_iq1_mIN3c108BFloat16EEvPKvPT_,comdat
.Lfunc_end56:
	.size	_ZL22dequantize_block_iq1_mIN3c108BFloat16EEvPKvPT_, .Lfunc_end56-_ZL22dequantize_block_iq1_mIN3c108BFloat16EEvPKvPT_
                                        ; -- End function
	.section	.AMDGPU.csdata,"",@progbits
; Kernel info:
; codeLenInByte = 984
; NumSgprs: 18
; NumVgprs: 19
; ScratchSize: 0
; MemoryBound: 0
; FloatMode: 240
; IeeeMode: 1
; LDSByteSize: 0 bytes/workgroup (compile time only)
; SGPRBlocks: 2
; VGPRBlocks: 2
; NumSGPRsForWavesPerEU: 18
; NumVGPRsForWavesPerEU: 19
; Occupancy: 16
; WaveLimiterHint : 0
; COMPUTE_PGM_RSRC2:SCRATCH_EN: 0
; COMPUTE_PGM_RSRC2:USER_SGPR: 15
; COMPUTE_PGM_RSRC2:TRAP_HANDLER: 0
; COMPUTE_PGM_RSRC2:TGID_X_EN: 1
; COMPUTE_PGM_RSRC2:TGID_Y_EN: 0
; COMPUTE_PGM_RSRC2:TGID_Z_EN: 0
; COMPUTE_PGM_RSRC2:TIDIG_COMP_CNT: 0
	.section	.text._ZL13quantize_q8_1IfEvPKT_Pvii,"axG",@progbits,_ZL13quantize_q8_1IfEvPKT_Pvii,comdat
	.globl	_ZL13quantize_q8_1IfEvPKT_Pvii  ; -- Begin function _ZL13quantize_q8_1IfEvPKT_Pvii
	.p2align	8
	.type	_ZL13quantize_q8_1IfEvPKT_Pvii,@function
_ZL13quantize_q8_1IfEvPKT_Pvii:         ; @_ZL13quantize_q8_1IfEvPKT_Pvii
; %bb.0:
	s_clause 0x1
	s_load_b32 s6, s[0:1], 0x24
	s_load_b64 s[2:3], s[0:1], 0x10
	v_and_b32_e32 v3, 0x3ff, v0
	s_add_u32 s4, s0, 24
	s_addc_u32 s5, s1, 0
	s_waitcnt lgkmcnt(0)
	s_and_b32 s6, s6, 0xffff
	s_delay_alu instid0(SALU_CYCLE_1) | instskip(SKIP_1) | instid1(VALU_DEP_1)
	v_mad_u64_u32 v[1:2], null, s14, s6, v[3:4]
	s_mov_b32 s6, exec_lo
	v_cmpx_gt_u32_e64 s3, v1
	s_cbranch_execz .LBB57_7
; %bb.1:
	s_load_b32 s4, s[4:5], 0xc
	v_bfe_u32 v0, v0, 10, 10
	s_waitcnt lgkmcnt(0)
	s_lshr_b32 s4, s4, 16
	s_delay_alu instid0(VALU_DEP_1) | instid1(SALU_CYCLE_1)
	v_mad_u64_u32 v[2:3], null, s15, s4, v[0:1]
	v_dual_mov_b32 v3, 0 :: v_dual_mov_b32 v0, 0
	s_mov_b32 s4, exec_lo
	v_cmpx_gt_u32_e64 s2, v1
	s_cbranch_execz .LBB57_3
; %bb.2:
	s_load_b64 s[6:7], s[0:1], 0x0
	s_delay_alu instid0(VALU_DEP_3) | instskip(SKIP_1) | instid1(VALU_DEP_1)
	v_mad_u64_u32 v[4:5], null, v2, s2, v[1:2]
	v_mov_b32_e32 v5, 0
	v_lshlrev_b64 v[4:5], 2, v[4:5]
	s_waitcnt lgkmcnt(0)
	s_delay_alu instid0(VALU_DEP_1) | instskip(NEXT) | instid1(VALU_DEP_2)
	v_add_co_u32 v4, vcc_lo, s6, v4
	v_add_co_ci_u32_e32 v5, vcc_lo, s7, v5, vcc_lo
	global_load_b32 v0, v[4:5], off
.LBB57_3:
	s_or_b32 exec_lo, exec_lo, s4
	v_mbcnt_lo_u32_b32 v4, -1, 0
	s_waitcnt vmcnt(0)
	v_max_f32_e64 v8, |v0|, |v0|
	s_load_b64 s[0:1], s[0:1], 0x8
	s_mov_b32 s2, exec_lo
	v_and_b32_e32 v6, 0x7fffffff, v0
	v_xor_b32_e32 v5, 16, v4
	v_xor_b32_e32 v7, 8, v4
	;; [unrolled: 1-line block ×5, first 2 shown]
	v_cmp_gt_i32_e32 vcc_lo, 32, v5
	v_cndmask_b32_e32 v5, v4, v5, vcc_lo
	v_cmp_gt_i32_e32 vcc_lo, 32, v7
	s_delay_alu instid0(VALU_DEP_2)
	v_lshlrev_b32_e32 v5, 2, v5
	ds_bpermute_b32 v6, v5, v6
	s_waitcnt lgkmcnt(0)
	v_max_f32_e32 v6, v6, v6
	ds_bpermute_b32 v5, v5, v0
	v_max_f32_e32 v6, v8, v6
	v_cndmask_b32_e32 v7, v4, v7, vcc_lo
	v_cmp_gt_i32_e32 vcc_lo, 32, v9
	s_delay_alu instid0(VALU_DEP_2)
	v_lshlrev_b32_e32 v7, 2, v7
	v_cndmask_b32_e32 v9, v4, v9, vcc_lo
	v_cmp_gt_i32_e32 vcc_lo, 32, v10
	v_cndmask_b32_e32 v10, v4, v10, vcc_lo
	v_cmp_gt_i32_e32 vcc_lo, 32, v11
	s_waitcnt lgkmcnt(0)
	v_add_f32_e32 v5, v0, v5
	v_cndmask_b32_e32 v4, v4, v11, vcc_lo
	s_delay_alu instid0(VALU_DEP_1)
	v_lshlrev_b32_e32 v11, 2, v4
	v_lshlrev_b32_e32 v10, 2, v10
	;; [unrolled: 1-line block ×3, first 2 shown]
	ds_bpermute_b32 v8, v7, v6
	s_waitcnt lgkmcnt(0)
	v_max_f32_e32 v8, v8, v8
	ds_bpermute_b32 v7, v7, v5
	v_max_f32_e32 v6, v6, v8
	ds_bpermute_b32 v8, v9, v6
	s_waitcnt lgkmcnt(1)
	v_add_f32_e32 v5, v5, v7
	ds_bpermute_b32 v7, v9, v5
	s_waitcnt lgkmcnt(1)
	v_max_f32_e32 v8, v8, v8
	s_delay_alu instid0(VALU_DEP_1) | instskip(SKIP_3) | instid1(VALU_DEP_1)
	v_max_f32_e32 v6, v6, v8
	ds_bpermute_b32 v8, v10, v6
	s_waitcnt lgkmcnt(0)
	v_max_f32_e32 v8, v8, v8
	v_max_f32_e32 v4, v6, v8
	ds_bpermute_b32 v6, v11, v4
	s_waitcnt lgkmcnt(0)
	v_max_f32_e32 v6, v6, v6
	s_delay_alu instid0(VALU_DEP_1) | instskip(SKIP_1) | instid1(VALU_DEP_2)
	v_max_f32_e32 v8, v4, v6
	v_add_f32_e32 v4, v5, v7
	v_div_scale_f32 v6, null, 0x42fe0000, 0x42fe0000, v8
	ds_bpermute_b32 v5, v10, v4
	v_div_scale_f32 v10, vcc_lo, v8, 0x42fe0000, v8
	v_rcp_f32_e32 v9, v6
	s_waitcnt_depctr 0xfff
	v_fma_f32 v7, -v6, v9, 1.0
	s_delay_alu instid0(VALU_DEP_1) | instskip(SKIP_2) | instid1(VALU_DEP_2)
	v_fmac_f32_e32 v9, v7, v9
	s_waitcnt lgkmcnt(0)
	v_add_f32_e32 v4, v4, v5
	v_mul_f32_e32 v7, v10, v9
	ds_bpermute_b32 v5, v11, v4
	v_fma_f32 v12, -v6, v7, v10
	s_delay_alu instid0(VALU_DEP_1) | instskip(NEXT) | instid1(VALU_DEP_1)
	v_fmac_f32_e32 v7, v12, v9
	v_fma_f32 v6, -v6, v7, v10
	s_delay_alu instid0(VALU_DEP_1) | instskip(NEXT) | instid1(VALU_DEP_1)
	v_div_fmas_f32 v6, v6, v9, v7
	v_div_fixup_f32 v6, v6, 0x42fe0000, v8
	v_cmpx_neq_f32_e32 0, v8
	s_cbranch_execz .LBB57_5
; %bb.4:
	s_delay_alu instid0(VALU_DEP_2) | instskip(SKIP_1) | instid1(VALU_DEP_2)
	v_div_scale_f32 v3, null, v6, v6, v0
	v_div_scale_f32 v9, vcc_lo, v0, v6, v0
	v_rcp_f32_e32 v7, v3
	s_waitcnt_depctr 0xfff
	v_fma_f32 v8, -v3, v7, 1.0
	s_delay_alu instid0(VALU_DEP_1) | instskip(NEXT) | instid1(VALU_DEP_1)
	v_fmac_f32_e32 v7, v8, v7
	v_mul_f32_e32 v8, v9, v7
	s_delay_alu instid0(VALU_DEP_1) | instskip(NEXT) | instid1(VALU_DEP_1)
	v_fma_f32 v10, -v3, v8, v9
	v_fmac_f32_e32 v8, v10, v7
	s_delay_alu instid0(VALU_DEP_1) | instskip(NEXT) | instid1(VALU_DEP_1)
	v_fma_f32 v3, -v3, v8, v9
	v_div_fmas_f32 v3, v3, v7, v8
	s_delay_alu instid0(VALU_DEP_1) | instskip(NEXT) | instid1(VALU_DEP_1)
	v_div_fixup_f32 v0, v3, v6, v0
	v_trunc_f32_e32 v3, v0
	s_delay_alu instid0(VALU_DEP_1) | instskip(NEXT) | instid1(VALU_DEP_1)
	v_sub_f32_e32 v7, v0, v3
	v_cmp_ge_f32_e64 s4, |v7|, 0.5
	s_delay_alu instid0(VALU_DEP_1) | instskip(NEXT) | instid1(VALU_DEP_1)
	v_cndmask_b32_e64 v7, 0, 1.0, s4
	v_bfi_b32 v0, 0x7fffffff, v7, v0
	s_delay_alu instid0(VALU_DEP_1) | instskip(NEXT) | instid1(VALU_DEP_1)
	v_add_f32_e32 v0, v3, v0
	v_cvt_i32_f32_e32 v3, v0
.LBB57_5:
	s_or_b32 exec_lo, exec_lo, s2
	v_mad_u64_u32 v[7:8], null, v2, s3, v[1:2]
	s_delay_alu instid0(VALU_DEP_1) | instskip(NEXT) | instid1(VALU_DEP_1)
	v_ashrrev_i32_e32 v0, 31, v7
	v_lshrrev_b32_e32 v0, 27, v0
	s_delay_alu instid0(VALU_DEP_1) | instskip(NEXT) | instid1(VALU_DEP_1)
	v_add_nc_u32_e32 v0, v7, v0
	v_and_b32_e32 v1, 0xffffffe0, v0
	v_ashrrev_i32_e32 v2, 5, v0
	s_delay_alu instid0(VALU_DEP_2) | instskip(NEXT) | instid1(VALU_DEP_2)
	v_sub_nc_u32_e32 v9, v7, v1
	v_mad_i64_i32 v[0:1], null, v2, 36, s[0:1]
	s_delay_alu instid0(VALU_DEP_2) | instskip(NEXT) | instid1(VALU_DEP_2)
	v_ashrrev_i32_e32 v2, 31, v9
	v_add_co_u32 v7, vcc_lo, v0, v9
	s_delay_alu instid0(VALU_DEP_2)
	v_add_co_ci_u32_e32 v8, vcc_lo, v1, v2, vcc_lo
	v_cmp_gt_i32_e32 vcc_lo, 1, v9
	global_store_b8 v[7:8], v3, off offset:4
	s_and_b32 exec_lo, exec_lo, vcc_lo
	s_cbranch_execz .LBB57_7
; %bb.6:
	s_waitcnt lgkmcnt(0)
	v_add_f32_e32 v2, v4, v5
	v_cvt_f16_f32_e32 v3, v6
	s_delay_alu instid0(VALU_DEP_2) | instskip(NEXT) | instid1(VALU_DEP_1)
	v_cvt_f16_f32_e32 v2, v2
	v_pack_b32_f16 v2, v3, v2
	global_store_b32 v[0:1], v2, off
.LBB57_7:
	s_nop 0
	s_sendmsg sendmsg(MSG_DEALLOC_VGPRS)
	s_endpgm
	.section	.rodata,"a",@progbits
	.p2align	6, 0x0
	.amdhsa_kernel _ZL13quantize_q8_1IfEvPKT_Pvii
		.amdhsa_group_segment_fixed_size 0
		.amdhsa_private_segment_fixed_size 0
		.amdhsa_kernarg_size 280
		.amdhsa_user_sgpr_count 14
		.amdhsa_user_sgpr_dispatch_ptr 0
		.amdhsa_user_sgpr_queue_ptr 0
		.amdhsa_user_sgpr_kernarg_segment_ptr 1
		.amdhsa_user_sgpr_dispatch_id 0
		.amdhsa_user_sgpr_private_segment_size 0
		.amdhsa_wavefront_size32 1
		.amdhsa_uses_dynamic_stack 0
		.amdhsa_enable_private_segment 0
		.amdhsa_system_sgpr_workgroup_id_x 1
		.amdhsa_system_sgpr_workgroup_id_y 1
		.amdhsa_system_sgpr_workgroup_id_z 0
		.amdhsa_system_sgpr_workgroup_info 0
		.amdhsa_system_vgpr_workitem_id 1
		.amdhsa_next_free_vgpr 13
		.amdhsa_next_free_sgpr 16
		.amdhsa_reserve_vcc 1
		.amdhsa_float_round_mode_32 0
		.amdhsa_float_round_mode_16_64 0
		.amdhsa_float_denorm_mode_32 3
		.amdhsa_float_denorm_mode_16_64 3
		.amdhsa_dx10_clamp 1
		.amdhsa_ieee_mode 1
		.amdhsa_fp16_overflow 0
		.amdhsa_workgroup_processor_mode 1
		.amdhsa_memory_ordered 1
		.amdhsa_forward_progress 0
		.amdhsa_shared_vgpr_count 0
		.amdhsa_exception_fp_ieee_invalid_op 0
		.amdhsa_exception_fp_denorm_src 0
		.amdhsa_exception_fp_ieee_div_zero 0
		.amdhsa_exception_fp_ieee_overflow 0
		.amdhsa_exception_fp_ieee_underflow 0
		.amdhsa_exception_fp_ieee_inexact 0
		.amdhsa_exception_int_div_zero 0
	.end_amdhsa_kernel
	.section	.text._ZL13quantize_q8_1IfEvPKT_Pvii,"axG",@progbits,_ZL13quantize_q8_1IfEvPKT_Pvii,comdat
.Lfunc_end57:
	.size	_ZL13quantize_q8_1IfEvPKT_Pvii, .Lfunc_end57-_ZL13quantize_q8_1IfEvPKT_Pvii
                                        ; -- End function
	.section	.AMDGPU.csdata,"",@progbits
; Kernel info:
; codeLenInByte = 920
; NumSgprs: 18
; NumVgprs: 13
; ScratchSize: 0
; MemoryBound: 0
; FloatMode: 240
; IeeeMode: 1
; LDSByteSize: 0 bytes/workgroup (compile time only)
; SGPRBlocks: 2
; VGPRBlocks: 1
; NumSGPRsForWavesPerEU: 18
; NumVGPRsForWavesPerEU: 13
; Occupancy: 16
; WaveLimiterHint : 0
; COMPUTE_PGM_RSRC2:SCRATCH_EN: 0
; COMPUTE_PGM_RSRC2:USER_SGPR: 14
; COMPUTE_PGM_RSRC2:TRAP_HANDLER: 0
; COMPUTE_PGM_RSRC2:TGID_X_EN: 1
; COMPUTE_PGM_RSRC2:TGID_Y_EN: 1
; COMPUTE_PGM_RSRC2:TGID_Z_EN: 0
; COMPUTE_PGM_RSRC2:TIDIG_COMP_CNT: 1
	.section	.text._ZL13mul_mat_vec_qIfLi32ELi4E10block_q4_0Li2EXadL_ZL17vec_dot_q4_0_q8_1PKvPK10block_q8_1RKiEEEvS2_S2_PT_iii,"axG",@progbits,_ZL13mul_mat_vec_qIfLi32ELi4E10block_q4_0Li2EXadL_ZL17vec_dot_q4_0_q8_1PKvPK10block_q8_1RKiEEEvS2_S2_PT_iii,comdat
	.globl	_ZL13mul_mat_vec_qIfLi32ELi4E10block_q4_0Li2EXadL_ZL17vec_dot_q4_0_q8_1PKvPK10block_q8_1RKiEEEvS2_S2_PT_iii ; -- Begin function _ZL13mul_mat_vec_qIfLi32ELi4E10block_q4_0Li2EXadL_ZL17vec_dot_q4_0_q8_1PKvPK10block_q8_1RKiEEEvS2_S2_PT_iii
	.p2align	8
	.type	_ZL13mul_mat_vec_qIfLi32ELi4E10block_q4_0Li2EXadL_ZL17vec_dot_q4_0_q8_1PKvPK10block_q8_1RKiEEEvS2_S2_PT_iii,@function
_ZL13mul_mat_vec_qIfLi32ELi4E10block_q4_0Li2EXadL_ZL17vec_dot_q4_0_q8_1PKvPK10block_q8_1RKiEEEvS2_S2_PT_iii: ; @_ZL13mul_mat_vec_qIfLi32ELi4E10block_q4_0Li2EXadL_ZL17vec_dot_q4_0_q8_1PKvPK10block_q8_1RKiEEEvS2_S2_PT_iii
; %bb.0:
	s_clause 0x1
	s_load_b32 s2, s[0:1], 0x34
	s_load_b128 s[4:7], s[0:1], 0x18
	v_bfe_u32 v3, v0, 10, 10
	s_waitcnt lgkmcnt(0)
	s_lshr_b32 s2, s2, 16
	s_cmp_lt_u32 s15, s6
	s_delay_alu instid0(VALU_DEP_1) | instskip(SKIP_1) | instid1(VALU_DEP_1)
	v_mad_u64_u32 v[1:2], null, s14, s2, v[3:4]
	s_cselect_b32 s2, -1, 0
	v_cmp_gt_u32_e32 vcc_lo, s5, v1
	s_and_b32 s2, s2, vcc_lo
	s_delay_alu instid0(SALU_CYCLE_1)
	s_and_saveexec_b32 s3, s2
	s_cbranch_execz .LBB58_7
; %bb.1:
	s_load_b64 s[6:7], s[0:1], 0x10
	v_and_b32_e32 v0, 0x3ff, v0
	s_ashr_i32 s2, s4, 31
	v_mov_b32_e32 v2, 0
	s_lshr_b32 s2, s2, 27
	s_mov_b32 s8, exec_lo
	v_lshrrev_b32_e32 v3, 1, v0
	s_add_i32 s2, s4, s2
	s_delay_alu instid0(SALU_CYCLE_1)
	s_ashr_i32 s9, s2, 5
	s_delay_alu instid0(VALU_DEP_1) | instid1(SALU_CYCLE_1)
	v_cmpx_gt_u32_e64 s9, v3
	s_cbranch_execz .LBB58_5
; %bb.2:
	s_load_b128 s[0:3], s[0:1], 0x0
	s_addk_i32 s4, 0x1ff
	v_lshlrev_b32_e32 v2, 3, v0
	s_ashr_i32 s10, s4, 31
	v_mul_lo_u32 v4, v1, s9
	s_lshr_b32 s10, s10, 23
	s_delay_alu instid0(SALU_CYCLE_1) | instskip(SKIP_4) | instid1(SALU_CYCLE_1)
	s_add_i32 s4, s4, s10
	v_dual_mov_b32 v2, 0 :: v_dual_and_b32 v5, 8, v2
	s_ashr_i32 s4, s4, 9
	s_mov_b32 s10, 0
	s_mul_i32 s4, s15, s4
	s_lshl_b32 s4, s4, 4
.LBB58_3:                               ; =>This Inner Loop Header: Depth=1
	v_add_nc_u32_e32 v8, v4, v3
	v_add_nc_u32_e32 v10, s4, v3
	;; [unrolled: 1-line block ×3, first 2 shown]
	s_waitcnt lgkmcnt(0)
	s_delay_alu instid0(VALU_DEP_3) | instskip(NEXT) | instid1(VALU_DEP_3)
	v_mad_i64_i32 v[6:7], null, v8, 18, s[0:1]
	v_mad_i64_i32 v[8:9], null, v10, 36, s[2:3]
	s_delay_alu instid0(VALU_DEP_2) | instskip(NEXT) | instid1(VALU_DEP_3)
	v_add_co_u32 v10, vcc_lo, v6, v5
	v_add_co_ci_u32_e32 v11, vcc_lo, 0, v7, vcc_lo
	s_delay_alu instid0(VALU_DEP_3) | instskip(NEXT) | instid1(VALU_DEP_4)
	v_add_co_u32 v12, vcc_lo, v8, v5
	v_add_co_ci_u32_e32 v13, vcc_lo, 0, v9, vcc_lo
	v_cmp_le_u32_e32 vcc_lo, s9, v3
	global_load_b64 v[10:11], v[10:11], off offset:2
	s_clause 0x2
	global_load_b64 v[14:15], v[12:13], off offset:4
	global_load_b64 v[12:13], v[12:13], off offset:20
	global_load_b32 v8, v[8:9], off
	global_load_u16 v6, v[6:7], off
	s_or_b32 s10, vcc_lo, s10
	s_waitcnt vmcnt(4)
	v_and_b32_e32 v9, 15, v10
	s_waitcnt vmcnt(3)
	v_bfe_i32 v16, v14, 0, 8
	v_bfe_u32 v17, v10, 8, 4
	v_bfe_i32 v18, v14, 8, 8
	v_bfe_u32 v22, v10, 4, 4
	s_waitcnt vmcnt(2)
	v_bfe_i32 v23, v12, 0, 8
	v_and_b32_e32 v28, 15, v11
	v_bfe_i32 v29, v15, 0, 8
	v_mul_i32_i24_e32 v9, v16, v9
	v_bfe_u32 v19, v10, 16, 4
	v_bfe_i32 v20, v14, 16, 8
	v_bfe_u32 v21, v10, 24, 4
	v_ashrrev_i32_e32 v14, 24, v14
	v_mul_i32_i24_e32 v17, v17, v18
	v_mul_i32_i24_e32 v18, v29, v28
	v_mad_i32_i24 v9, v22, v23, v9
	v_bfe_u32 v7, v10, 20, 4
	v_bfe_u32 v24, v10, 12, 4
	v_bfe_i32 v25, v12, 8, 8
	v_bfe_i32 v26, v12, 16, 8
	v_mul_i32_i24_e32 v19, v19, v20
	v_mul_i32_i24_e32 v14, v21, v14
	v_add3_u32 v9, v9, v18, v17
	v_lshrrev_b32_e32 v10, 28, v10
	v_ashrrev_i32_e32 v12, 24, v12
	v_bfe_u32 v17, v11, 4, 4
	v_bfe_i32 v18, v13, 0, 8
	v_mul_i32_i24_e32 v20, v24, v25
	v_mul_i32_i24_e32 v7, v7, v26
	v_add3_u32 v9, v9, v19, v14
	v_bfe_u32 v30, v11, 8, 4
	v_bfe_i32 v16, v15, 8, 8
	v_bfe_u32 v31, v11, 16, 4
	v_bfe_i32 v22, v15, 16, 8
	v_mul_i32_i24_e32 v10, v10, v12
	v_mul_i32_i24_e32 v12, v17, v18
	v_add3_u32 v7, v9, v20, v7
	v_bfe_u32 v23, v11, 24, 4
	v_ashrrev_i32_e32 v14, 24, v15
	v_bfe_u32 v15, v11, 12, 4
	v_bfe_i32 v9, v13, 8, 8
	v_mul_i32_i24_e32 v16, v30, v16
	v_mul_i32_i24_e32 v18, v31, v22
	v_add3_u32 v7, v7, v10, v12
	v_bfe_u32 v27, v11, 20, 4
	v_bfe_i32 v17, v13, 16, 8
	v_lshrrev_b32_e32 v10, 28, v11
	v_ashrrev_i32_e32 v11, 24, v13
	v_mul_i32_i24_e32 v12, v23, v14
	v_mul_i32_i24_e32 v9, v15, v9
	v_add3_u32 v7, v7, v16, v18
	s_waitcnt vmcnt(1)
	v_lshrrev_b32_e32 v13, 16, v8
	v_mul_i32_i24_e32 v14, v27, v17
	v_mul_i32_i24_e32 v10, v10, v11
	v_add3_u32 v7, v7, v12, v9
	s_delay_alu instid0(VALU_DEP_4) | instskip(NEXT) | instid1(VALU_DEP_2)
	v_cvt_f32_f16_e32 v9, v13
	v_add3_u32 v7, v7, v14, v10
	s_delay_alu instid0(VALU_DEP_2) | instskip(NEXT) | instid1(VALU_DEP_2)
	v_mul_f32_e32 v9, -4.0, v9
	v_cvt_f32_i32_e32 v7, v7
	s_delay_alu instid0(VALU_DEP_1) | instskip(SKIP_1) | instid1(VALU_DEP_1)
	v_fma_mix_f32 v7, v8, v7, v9 op_sel_hi:[1,0,0]
	s_waitcnt vmcnt(0)
	v_fma_mix_f32 v2, v7, v6, v2 op_sel_hi:[0,1,0]
	s_and_not1_b32 exec_lo, exec_lo, s10
	s_cbranch_execnz .LBB58_3
; %bb.4:
	s_or_b32 exec_lo, exec_lo, s10
.LBB58_5:
	s_delay_alu instid0(SALU_CYCLE_1) | instskip(SKIP_1) | instid1(VALU_DEP_1)
	s_or_b32 exec_lo, exec_lo, s8
	v_mbcnt_lo_u32_b32 v3, -1, 0
	v_xor_b32_e32 v4, 16, v3
	v_xor_b32_e32 v5, 8, v3
	s_delay_alu instid0(VALU_DEP_2) | instskip(SKIP_1) | instid1(VALU_DEP_3)
	v_cmp_gt_i32_e32 vcc_lo, 32, v4
	v_cndmask_b32_e32 v4, v3, v4, vcc_lo
	v_cmp_gt_i32_e32 vcc_lo, 32, v5
	v_cndmask_b32_e32 v5, v3, v5, vcc_lo
	s_delay_alu instid0(VALU_DEP_1) | instskip(NEXT) | instid1(VALU_DEP_4)
	v_lshlrev_b32_e32 v5, 2, v5
	v_lshlrev_b32_e32 v4, 2, v4
	ds_bpermute_b32 v4, v4, v2
	s_waitcnt lgkmcnt(0)
	v_add_f32_e32 v2, v2, v4
	ds_bpermute_b32 v4, v5, v2
	v_xor_b32_e32 v5, 4, v3
	s_delay_alu instid0(VALU_DEP_1) | instskip(SKIP_2) | instid1(VALU_DEP_1)
	v_cmp_gt_i32_e32 vcc_lo, 32, v5
	v_cndmask_b32_e32 v5, v3, v5, vcc_lo
	s_waitcnt lgkmcnt(0)
	v_dual_add_f32 v2, v2, v4 :: v_dual_lshlrev_b32 v5, 2, v5
	ds_bpermute_b32 v4, v5, v2
	v_xor_b32_e32 v5, 2, v3
	s_delay_alu instid0(VALU_DEP_1) | instskip(SKIP_2) | instid1(VALU_DEP_1)
	v_cmp_gt_i32_e32 vcc_lo, 32, v5
	s_waitcnt lgkmcnt(0)
	v_dual_cndmask_b32 v5, v3, v5 :: v_dual_add_f32 v2, v2, v4
	v_lshlrev_b32_e32 v5, 2, v5
	ds_bpermute_b32 v4, v5, v2
	v_xor_b32_e32 v5, 1, v3
	s_delay_alu instid0(VALU_DEP_1) | instskip(SKIP_3) | instid1(VALU_DEP_2)
	v_cmp_gt_i32_e32 vcc_lo, 32, v5
	v_cndmask_b32_e32 v3, v3, v5, vcc_lo
	v_cmp_eq_u32_e32 vcc_lo, 0, v0
	s_waitcnt lgkmcnt(0)
	v_dual_add_f32 v2, v2, v4 :: v_dual_lshlrev_b32 v3, 2, v3
	ds_bpermute_b32 v3, v3, v2
	s_and_b32 exec_lo, exec_lo, vcc_lo
	s_cbranch_execz .LBB58_7
; %bb.6:
	v_mad_u64_u32 v[4:5], null, s15, s5, v[1:2]
	s_waitcnt lgkmcnt(0)
	v_dual_mov_b32 v5, 0 :: v_dual_add_f32 v2, v2, v3
	s_delay_alu instid0(VALU_DEP_1) | instskip(NEXT) | instid1(VALU_DEP_1)
	v_lshlrev_b64 v[0:1], 2, v[4:5]
	v_add_co_u32 v0, vcc_lo, s6, v0
	s_delay_alu instid0(VALU_DEP_2)
	v_add_co_ci_u32_e32 v1, vcc_lo, s7, v1, vcc_lo
	global_store_b32 v[0:1], v2, off
.LBB58_7:
	s_nop 0
	s_sendmsg sendmsg(MSG_DEALLOC_VGPRS)
	s_endpgm
	.section	.rodata,"a",@progbits
	.p2align	6, 0x0
	.amdhsa_kernel _ZL13mul_mat_vec_qIfLi32ELi4E10block_q4_0Li2EXadL_ZL17vec_dot_q4_0_q8_1PKvPK10block_q8_1RKiEEEvS2_S2_PT_iii
		.amdhsa_group_segment_fixed_size 0
		.amdhsa_private_segment_fixed_size 0
		.amdhsa_kernarg_size 296
		.amdhsa_user_sgpr_count 14
		.amdhsa_user_sgpr_dispatch_ptr 0
		.amdhsa_user_sgpr_queue_ptr 0
		.amdhsa_user_sgpr_kernarg_segment_ptr 1
		.amdhsa_user_sgpr_dispatch_id 0
		.amdhsa_user_sgpr_private_segment_size 0
		.amdhsa_wavefront_size32 1
		.amdhsa_uses_dynamic_stack 0
		.amdhsa_enable_private_segment 0
		.amdhsa_system_sgpr_workgroup_id_x 1
		.amdhsa_system_sgpr_workgroup_id_y 1
		.amdhsa_system_sgpr_workgroup_id_z 0
		.amdhsa_system_sgpr_workgroup_info 0
		.amdhsa_system_vgpr_workitem_id 1
		.amdhsa_next_free_vgpr 32
		.amdhsa_next_free_sgpr 16
		.amdhsa_reserve_vcc 1
		.amdhsa_float_round_mode_32 0
		.amdhsa_float_round_mode_16_64 0
		.amdhsa_float_denorm_mode_32 3
		.amdhsa_float_denorm_mode_16_64 3
		.amdhsa_dx10_clamp 1
		.amdhsa_ieee_mode 1
		.amdhsa_fp16_overflow 0
		.amdhsa_workgroup_processor_mode 1
		.amdhsa_memory_ordered 1
		.amdhsa_forward_progress 0
		.amdhsa_shared_vgpr_count 0
		.amdhsa_exception_fp_ieee_invalid_op 0
		.amdhsa_exception_fp_denorm_src 0
		.amdhsa_exception_fp_ieee_div_zero 0
		.amdhsa_exception_fp_ieee_overflow 0
		.amdhsa_exception_fp_ieee_underflow 0
		.amdhsa_exception_fp_ieee_inexact 0
		.amdhsa_exception_int_div_zero 0
	.end_amdhsa_kernel
	.section	.text._ZL13mul_mat_vec_qIfLi32ELi4E10block_q4_0Li2EXadL_ZL17vec_dot_q4_0_q8_1PKvPK10block_q8_1RKiEEEvS2_S2_PT_iii,"axG",@progbits,_ZL13mul_mat_vec_qIfLi32ELi4E10block_q4_0Li2EXadL_ZL17vec_dot_q4_0_q8_1PKvPK10block_q8_1RKiEEEvS2_S2_PT_iii,comdat
.Lfunc_end58:
	.size	_ZL13mul_mat_vec_qIfLi32ELi4E10block_q4_0Li2EXadL_ZL17vec_dot_q4_0_q8_1PKvPK10block_q8_1RKiEEEvS2_S2_PT_iii, .Lfunc_end58-_ZL13mul_mat_vec_qIfLi32ELi4E10block_q4_0Li2EXadL_ZL17vec_dot_q4_0_q8_1PKvPK10block_q8_1RKiEEEvS2_S2_PT_iii
                                        ; -- End function
	.section	.AMDGPU.csdata,"",@progbits
; Kernel info:
; codeLenInByte = 1016
; NumSgprs: 18
; NumVgprs: 32
; ScratchSize: 0
; MemoryBound: 0
; FloatMode: 240
; IeeeMode: 1
; LDSByteSize: 0 bytes/workgroup (compile time only)
; SGPRBlocks: 2
; VGPRBlocks: 3
; NumSGPRsForWavesPerEU: 18
; NumVGPRsForWavesPerEU: 32
; Occupancy: 16
; WaveLimiterHint : 0
; COMPUTE_PGM_RSRC2:SCRATCH_EN: 0
; COMPUTE_PGM_RSRC2:USER_SGPR: 14
; COMPUTE_PGM_RSRC2:TRAP_HANDLER: 0
; COMPUTE_PGM_RSRC2:TGID_X_EN: 1
; COMPUTE_PGM_RSRC2:TGID_Y_EN: 1
; COMPUTE_PGM_RSRC2:TGID_Z_EN: 0
; COMPUTE_PGM_RSRC2:TIDIG_COMP_CNT: 1
	.section	.text._ZL13mul_mat_vec_qIfLi32ELi4E10block_q4_1Li2EXadL_ZL17vec_dot_q4_1_q8_1PKvPK10block_q8_1RKiEEEvS2_S2_PT_iii,"axG",@progbits,_ZL13mul_mat_vec_qIfLi32ELi4E10block_q4_1Li2EXadL_ZL17vec_dot_q4_1_q8_1PKvPK10block_q8_1RKiEEEvS2_S2_PT_iii,comdat
	.globl	_ZL13mul_mat_vec_qIfLi32ELi4E10block_q4_1Li2EXadL_ZL17vec_dot_q4_1_q8_1PKvPK10block_q8_1RKiEEEvS2_S2_PT_iii ; -- Begin function _ZL13mul_mat_vec_qIfLi32ELi4E10block_q4_1Li2EXadL_ZL17vec_dot_q4_1_q8_1PKvPK10block_q8_1RKiEEEvS2_S2_PT_iii
	.p2align	8
	.type	_ZL13mul_mat_vec_qIfLi32ELi4E10block_q4_1Li2EXadL_ZL17vec_dot_q4_1_q8_1PKvPK10block_q8_1RKiEEEvS2_S2_PT_iii,@function
_ZL13mul_mat_vec_qIfLi32ELi4E10block_q4_1Li2EXadL_ZL17vec_dot_q4_1_q8_1PKvPK10block_q8_1RKiEEEvS2_S2_PT_iii: ; @_ZL13mul_mat_vec_qIfLi32ELi4E10block_q4_1Li2EXadL_ZL17vec_dot_q4_1_q8_1PKvPK10block_q8_1RKiEEEvS2_S2_PT_iii
; %bb.0:
	s_clause 0x1
	s_load_b32 s2, s[0:1], 0x34
	s_load_b128 s[4:7], s[0:1], 0x18
	v_bfe_u32 v3, v0, 10, 10
	s_waitcnt lgkmcnt(0)
	s_lshr_b32 s2, s2, 16
	s_cmp_lt_u32 s15, s6
	s_delay_alu instid0(VALU_DEP_1) | instskip(SKIP_1) | instid1(VALU_DEP_1)
	v_mad_u64_u32 v[1:2], null, s14, s2, v[3:4]
	s_cselect_b32 s2, -1, 0
	v_cmp_gt_u32_e32 vcc_lo, s5, v1
	s_and_b32 s2, s2, vcc_lo
	s_delay_alu instid0(SALU_CYCLE_1)
	s_and_saveexec_b32 s3, s2
	s_cbranch_execz .LBB59_7
; %bb.1:
	s_load_b64 s[6:7], s[0:1], 0x10
	v_and_b32_e32 v0, 0x3ff, v0
	s_ashr_i32 s2, s4, 31
	v_mov_b32_e32 v2, 0
	s_lshr_b32 s2, s2, 27
	s_mov_b32 s8, exec_lo
	v_lshrrev_b32_e32 v3, 1, v0
	s_add_i32 s2, s4, s2
	s_delay_alu instid0(SALU_CYCLE_1)
	s_ashr_i32 s9, s2, 5
	s_delay_alu instid0(VALU_DEP_1) | instid1(SALU_CYCLE_1)
	v_cmpx_gt_u32_e64 s9, v3
	s_cbranch_execz .LBB59_5
; %bb.2:
	s_load_b128 s[0:3], s[0:1], 0x0
	s_addk_i32 s4, 0x1ff
	v_lshlrev_b32_e32 v2, 3, v0
	s_ashr_i32 s10, s4, 31
	v_mul_lo_u32 v4, v1, s9
	s_lshr_b32 s10, s10, 23
	s_mov_b32 s11, 0.5
	s_add_i32 s4, s4, s10
	v_dual_mov_b32 v2, 0 :: v_dual_and_b32 v5, 8, v2
	s_ashr_i32 s4, s4, 9
	s_mov_b32 s10, 0
	s_mul_i32 s4, s15, s4
	s_delay_alu instid0(SALU_CYCLE_1)
	s_lshl_b32 s4, s4, 4
.LBB59_3:                               ; =>This Inner Loop Header: Depth=1
	v_add_nc_u32_e32 v8, v4, v3
	v_add_nc_u32_e32 v10, s4, v3
	;; [unrolled: 1-line block ×3, first 2 shown]
	s_waitcnt lgkmcnt(0)
	s_delay_alu instid0(VALU_DEP_3) | instskip(NEXT) | instid1(VALU_DEP_3)
	v_mad_i64_i32 v[6:7], null, v8, 20, s[0:1]
	v_mad_i64_i32 v[8:9], null, v10, 36, s[2:3]
	s_delay_alu instid0(VALU_DEP_2) | instskip(NEXT) | instid1(VALU_DEP_3)
	v_add_co_u32 v10, vcc_lo, v6, v5
	v_add_co_ci_u32_e32 v11, vcc_lo, 0, v7, vcc_lo
	s_delay_alu instid0(VALU_DEP_3) | instskip(NEXT) | instid1(VALU_DEP_4)
	v_add_co_u32 v12, vcc_lo, v8, v5
	v_add_co_ci_u32_e32 v13, vcc_lo, 0, v9, vcc_lo
	v_cmp_le_u32_e32 vcc_lo, s9, v3
	global_load_b64 v[10:11], v[10:11], off offset:4
	s_clause 0x1
	global_load_b64 v[14:15], v[12:13], off offset:4
	global_load_b64 v[12:13], v[12:13], off offset:20
	global_load_b32 v6, v[6:7], off
	global_load_b32 v7, v[8:9], off
	s_or_b32 s10, vcc_lo, s10
	s_waitcnt vmcnt(4)
	v_and_b32_e32 v9, 15, v10
	s_waitcnt vmcnt(3)
	v_bfe_i32 v16, v14, 0, 8
	v_bfe_u32 v17, v10, 8, 4
	v_bfe_i32 v18, v14, 8, 8
	v_bfe_u32 v19, v10, 16, 4
	;; [unrolled: 2-line block ×3, first 2 shown]
	s_waitcnt vmcnt(2)
	v_bfe_i32 v23, v12, 0, 8
	v_mul_i32_i24_e32 v9, v16, v9
	v_bfe_u32 v21, v10, 24, 4
	v_ashrrev_i32_e32 v14, 24, v14
	v_bfe_u32 v24, v10, 12, 4
	v_bfe_i32 v25, v12, 8, 8
	v_mul_i32_i24_e32 v17, v18, v17
	v_mul_i32_i24_e32 v18, v20, v19
	v_mad_i32_i24 v9, v23, v22, v9
	v_bfe_u32 v8, v10, 20, 4
	v_bfe_i32 v26, v12, 16, 8
	v_lshrrev_b32_e32 v10, 28, v10
	v_ashrrev_i32_e32 v12, 24, v12
	v_mul_i32_i24_e32 v14, v14, v21
	v_mul_i32_i24_e32 v21, v24, v25
	v_add3_u32 v9, v9, v17, v18
	v_and_b32_e32 v28, 15, v11
	v_bfe_i32 v29, v15, 0, 8
	v_bfe_u32 v17, v11, 4, 4
	v_bfe_i32 v18, v13, 0, 8
	v_mul_i32_i24_e32 v8, v8, v26
	v_mul_i32_i24_e32 v10, v10, v12
	v_add3_u32 v9, v9, v14, v21
	v_bfe_u32 v30, v11, 8, 4
	v_bfe_i32 v16, v15, 8, 8
	v_bfe_u32 v31, v11, 16, 4
	v_bfe_i32 v19, v15, 16, 8
	v_ashrrev_i32_e32 v12, 24, v15
	v_mul_i32_i24_e32 v15, v29, v28
	v_mul_i32_i24_e32 v17, v18, v17
	v_add3_u32 v8, v9, v8, v10
	v_bfe_u32 v20, v11, 24, 4
	v_bfe_u32 v14, v11, 12, 4
	v_bfe_i32 v9, v13, 8, 8
	v_mul_i32_i24_e32 v16, v16, v30
	v_mul_i32_i24_e32 v18, v19, v31
	v_add3_u32 v8, v8, v15, v17
	v_bfe_u32 v27, v11, 20, 4
	v_bfe_i32 v10, v13, 16, 8
	v_lshrrev_b32_e32 v11, 28, v11
	v_ashrrev_i32_e32 v13, 24, v13
	v_mul_i32_i24_e32 v12, v12, v20
	v_mul_i32_i24_e32 v9, v14, v9
	v_add3_u32 v8, v8, v16, v18
	v_mul_i32_i24_e32 v10, v27, v10
	v_mul_i32_i24_e32 v11, v11, v13
	s_waitcnt vmcnt(0)
	v_pk_mul_f16 v6, v6, v7
	v_add3_u32 v8, v8, v12, v9
	s_delay_alu instid0(VALU_DEP_1) | instskip(NEXT) | instid1(VALU_DEP_3)
	v_add3_u32 v7, v8, v10, v11
	v_cvt_f32_f16_e32 v8, v6
	s_delay_alu instid0(VALU_DEP_2) | instskip(NEXT) | instid1(VALU_DEP_1)
	v_cvt_f32_i32_e32 v7, v7
	v_mul_f32_e32 v7, v8, v7
	s_delay_alu instid0(VALU_DEP_1) | instskip(NEXT) | instid1(VALU_DEP_1)
	v_fma_mix_f32 v6, v6, s11, v7 op_sel:[1,0,0] op_sel_hi:[1,0,0]
	v_add_f32_e32 v2, v2, v6
	s_and_not1_b32 exec_lo, exec_lo, s10
	s_cbranch_execnz .LBB59_3
; %bb.4:
	s_or_b32 exec_lo, exec_lo, s10
.LBB59_5:
	s_delay_alu instid0(SALU_CYCLE_1) | instskip(SKIP_1) | instid1(VALU_DEP_1)
	s_or_b32 exec_lo, exec_lo, s8
	v_mbcnt_lo_u32_b32 v3, -1, 0
	v_xor_b32_e32 v4, 16, v3
	v_xor_b32_e32 v5, 8, v3
	s_delay_alu instid0(VALU_DEP_2) | instskip(SKIP_1) | instid1(VALU_DEP_3)
	v_cmp_gt_i32_e32 vcc_lo, 32, v4
	v_cndmask_b32_e32 v4, v3, v4, vcc_lo
	v_cmp_gt_i32_e32 vcc_lo, 32, v5
	v_cndmask_b32_e32 v5, v3, v5, vcc_lo
	s_delay_alu instid0(VALU_DEP_1) | instskip(NEXT) | instid1(VALU_DEP_4)
	v_lshlrev_b32_e32 v5, 2, v5
	v_lshlrev_b32_e32 v4, 2, v4
	ds_bpermute_b32 v4, v4, v2
	s_waitcnt lgkmcnt(0)
	v_add_f32_e32 v2, v2, v4
	ds_bpermute_b32 v4, v5, v2
	v_xor_b32_e32 v5, 4, v3
	s_delay_alu instid0(VALU_DEP_1) | instskip(SKIP_2) | instid1(VALU_DEP_1)
	v_cmp_gt_i32_e32 vcc_lo, 32, v5
	v_cndmask_b32_e32 v5, v3, v5, vcc_lo
	s_waitcnt lgkmcnt(0)
	v_dual_add_f32 v2, v2, v4 :: v_dual_lshlrev_b32 v5, 2, v5
	ds_bpermute_b32 v4, v5, v2
	v_xor_b32_e32 v5, 2, v3
	s_delay_alu instid0(VALU_DEP_1) | instskip(SKIP_2) | instid1(VALU_DEP_1)
	v_cmp_gt_i32_e32 vcc_lo, 32, v5
	s_waitcnt lgkmcnt(0)
	v_dual_cndmask_b32 v5, v3, v5 :: v_dual_add_f32 v2, v2, v4
	v_lshlrev_b32_e32 v5, 2, v5
	ds_bpermute_b32 v4, v5, v2
	v_xor_b32_e32 v5, 1, v3
	s_delay_alu instid0(VALU_DEP_1) | instskip(SKIP_3) | instid1(VALU_DEP_2)
	v_cmp_gt_i32_e32 vcc_lo, 32, v5
	v_cndmask_b32_e32 v3, v3, v5, vcc_lo
	v_cmp_eq_u32_e32 vcc_lo, 0, v0
	s_waitcnt lgkmcnt(0)
	v_dual_add_f32 v2, v2, v4 :: v_dual_lshlrev_b32 v3, 2, v3
	ds_bpermute_b32 v3, v3, v2
	s_and_b32 exec_lo, exec_lo, vcc_lo
	s_cbranch_execz .LBB59_7
; %bb.6:
	v_mad_u64_u32 v[4:5], null, s15, s5, v[1:2]
	s_waitcnt lgkmcnt(0)
	v_dual_mov_b32 v5, 0 :: v_dual_add_f32 v2, v2, v3
	s_delay_alu instid0(VALU_DEP_1) | instskip(NEXT) | instid1(VALU_DEP_1)
	v_lshlrev_b64 v[0:1], 2, v[4:5]
	v_add_co_u32 v0, vcc_lo, s6, v0
	s_delay_alu instid0(VALU_DEP_2)
	v_add_co_ci_u32_e32 v1, vcc_lo, s7, v1, vcc_lo
	global_store_b32 v[0:1], v2, off
.LBB59_7:
	s_nop 0
	s_sendmsg sendmsg(MSG_DEALLOC_VGPRS)
	s_endpgm
	.section	.rodata,"a",@progbits
	.p2align	6, 0x0
	.amdhsa_kernel _ZL13mul_mat_vec_qIfLi32ELi4E10block_q4_1Li2EXadL_ZL17vec_dot_q4_1_q8_1PKvPK10block_q8_1RKiEEEvS2_S2_PT_iii
		.amdhsa_group_segment_fixed_size 0
		.amdhsa_private_segment_fixed_size 0
		.amdhsa_kernarg_size 296
		.amdhsa_user_sgpr_count 14
		.amdhsa_user_sgpr_dispatch_ptr 0
		.amdhsa_user_sgpr_queue_ptr 0
		.amdhsa_user_sgpr_kernarg_segment_ptr 1
		.amdhsa_user_sgpr_dispatch_id 0
		.amdhsa_user_sgpr_private_segment_size 0
		.amdhsa_wavefront_size32 1
		.amdhsa_uses_dynamic_stack 0
		.amdhsa_enable_private_segment 0
		.amdhsa_system_sgpr_workgroup_id_x 1
		.amdhsa_system_sgpr_workgroup_id_y 1
		.amdhsa_system_sgpr_workgroup_id_z 0
		.amdhsa_system_sgpr_workgroup_info 0
		.amdhsa_system_vgpr_workitem_id 1
		.amdhsa_next_free_vgpr 32
		.amdhsa_next_free_sgpr 16
		.amdhsa_reserve_vcc 1
		.amdhsa_float_round_mode_32 0
		.amdhsa_float_round_mode_16_64 0
		.amdhsa_float_denorm_mode_32 3
		.amdhsa_float_denorm_mode_16_64 3
		.amdhsa_dx10_clamp 1
		.amdhsa_ieee_mode 1
		.amdhsa_fp16_overflow 0
		.amdhsa_workgroup_processor_mode 1
		.amdhsa_memory_ordered 1
		.amdhsa_forward_progress 0
		.amdhsa_shared_vgpr_count 0
		.amdhsa_exception_fp_ieee_invalid_op 0
		.amdhsa_exception_fp_denorm_src 0
		.amdhsa_exception_fp_ieee_div_zero 0
		.amdhsa_exception_fp_ieee_overflow 0
		.amdhsa_exception_fp_ieee_underflow 0
		.amdhsa_exception_fp_ieee_inexact 0
		.amdhsa_exception_int_div_zero 0
	.end_amdhsa_kernel
	.section	.text._ZL13mul_mat_vec_qIfLi32ELi4E10block_q4_1Li2EXadL_ZL17vec_dot_q4_1_q8_1PKvPK10block_q8_1RKiEEEvS2_S2_PT_iii,"axG",@progbits,_ZL13mul_mat_vec_qIfLi32ELi4E10block_q4_1Li2EXadL_ZL17vec_dot_q4_1_q8_1PKvPK10block_q8_1RKiEEEvS2_S2_PT_iii,comdat
.Lfunc_end59:
	.size	_ZL13mul_mat_vec_qIfLi32ELi4E10block_q4_1Li2EXadL_ZL17vec_dot_q4_1_q8_1PKvPK10block_q8_1RKiEEEvS2_S2_PT_iii, .Lfunc_end59-_ZL13mul_mat_vec_qIfLi32ELi4E10block_q4_1Li2EXadL_ZL17vec_dot_q4_1_q8_1PKvPK10block_q8_1RKiEEEvS2_S2_PT_iii
                                        ; -- End function
	.section	.AMDGPU.csdata,"",@progbits
; Kernel info:
; codeLenInByte = 1016
; NumSgprs: 18
; NumVgprs: 32
; ScratchSize: 0
; MemoryBound: 0
; FloatMode: 240
; IeeeMode: 1
; LDSByteSize: 0 bytes/workgroup (compile time only)
; SGPRBlocks: 2
; VGPRBlocks: 3
; NumSGPRsForWavesPerEU: 18
; NumVGPRsForWavesPerEU: 32
; Occupancy: 16
; WaveLimiterHint : 0
; COMPUTE_PGM_RSRC2:SCRATCH_EN: 0
; COMPUTE_PGM_RSRC2:USER_SGPR: 14
; COMPUTE_PGM_RSRC2:TRAP_HANDLER: 0
; COMPUTE_PGM_RSRC2:TGID_X_EN: 1
; COMPUTE_PGM_RSRC2:TGID_Y_EN: 1
; COMPUTE_PGM_RSRC2:TGID_Z_EN: 0
; COMPUTE_PGM_RSRC2:TIDIG_COMP_CNT: 1
	.section	.text._ZL13mul_mat_vec_qIfLi32ELi4E10block_q5_0Li2EXadL_ZL17vec_dot_q5_0_q8_1PKvPK10block_q8_1RKiEEEvS2_S2_PT_iii,"axG",@progbits,_ZL13mul_mat_vec_qIfLi32ELi4E10block_q5_0Li2EXadL_ZL17vec_dot_q5_0_q8_1PKvPK10block_q8_1RKiEEEvS2_S2_PT_iii,comdat
	.globl	_ZL13mul_mat_vec_qIfLi32ELi4E10block_q5_0Li2EXadL_ZL17vec_dot_q5_0_q8_1PKvPK10block_q8_1RKiEEEvS2_S2_PT_iii ; -- Begin function _ZL13mul_mat_vec_qIfLi32ELi4E10block_q5_0Li2EXadL_ZL17vec_dot_q5_0_q8_1PKvPK10block_q8_1RKiEEEvS2_S2_PT_iii
	.p2align	8
	.type	_ZL13mul_mat_vec_qIfLi32ELi4E10block_q5_0Li2EXadL_ZL17vec_dot_q5_0_q8_1PKvPK10block_q8_1RKiEEEvS2_S2_PT_iii,@function
_ZL13mul_mat_vec_qIfLi32ELi4E10block_q5_0Li2EXadL_ZL17vec_dot_q5_0_q8_1PKvPK10block_q8_1RKiEEEvS2_S2_PT_iii: ; @_ZL13mul_mat_vec_qIfLi32ELi4E10block_q5_0Li2EXadL_ZL17vec_dot_q5_0_q8_1PKvPK10block_q8_1RKiEEEvS2_S2_PT_iii
; %bb.0:
	s_clause 0x1
	s_load_b32 s2, s[0:1], 0x34
	s_load_b128 s[4:7], s[0:1], 0x18
	v_bfe_u32 v3, v0, 10, 10
	s_waitcnt lgkmcnt(0)
	s_lshr_b32 s2, s2, 16
	s_cmp_lt_u32 s15, s6
	s_delay_alu instid0(VALU_DEP_1) | instskip(SKIP_1) | instid1(VALU_DEP_1)
	v_mad_u64_u32 v[1:2], null, s14, s2, v[3:4]
	s_cselect_b32 s2, -1, 0
	v_cmp_gt_u32_e32 vcc_lo, s5, v1
	s_and_b32 s2, s2, vcc_lo
	s_delay_alu instid0(SALU_CYCLE_1)
	s_and_saveexec_b32 s3, s2
	s_cbranch_execz .LBB60_7
; %bb.1:
	s_load_b64 s[6:7], s[0:1], 0x10
	v_dual_mov_b32 v3, 0 :: v_dual_and_b32 v0, 0x3ff, v0
	s_ashr_i32 s2, s4, 31
	s_mov_b32 s8, exec_lo
	s_lshr_b32 s2, s2, 27
	s_delay_alu instid0(VALU_DEP_1) | instskip(SKIP_1) | instid1(SALU_CYCLE_1)
	v_lshrrev_b32_e32 v2, 1, v0
	s_add_i32 s2, s4, s2
	s_ashr_i32 s9, s2, 5
	s_delay_alu instid0(VALU_DEP_1) | instid1(SALU_CYCLE_1)
	v_cmpx_gt_u32_e64 s9, v2
	s_cbranch_execz .LBB60_5
; %bb.2:
	s_load_b128 s[0:3], s[0:1], 0x0
	v_lshlrev_b32_e32 v3, 3, v0
	s_addk_i32 s4, 0x1ff
	v_mul_lo_u32 v5, v1, s9
	s_ashr_i32 s10, s4, 31
	s_delay_alu instid0(SALU_CYCLE_1) | instskip(SKIP_2) | instid1(SALU_CYCLE_1)
	s_lshr_b32 s10, s10, 23
	v_dual_mov_b32 v3, 0 :: v_dual_and_b32 v4, 8, v3
	s_add_i32 s4, s4, s10
	s_ashr_i32 s4, s4, 9
	s_delay_alu instid0(VALU_DEP_1) | instskip(SKIP_1) | instid1(SALU_CYCLE_1)
	v_or_b32_e32 v6, 4, v4
	s_mul_i32 s4, s15, s4
	s_lshl_b32 s10, s4, 4
	s_mov_b32 s4, 0
.LBB60_3:                               ; =>This Inner Loop Header: Depth=1
	v_add_nc_u32_e32 v9, v5, v2
	v_add_nc_u32_e32 v11, s10, v2
	;; [unrolled: 1-line block ×3, first 2 shown]
	s_waitcnt lgkmcnt(0)
	s_delay_alu instid0(VALU_DEP_3) | instskip(NEXT) | instid1(VALU_DEP_3)
	v_mad_i64_i32 v[7:8], null, v9, 22, s[0:1]
	v_mad_i64_i32 v[9:10], null, v11, 36, s[2:3]
	s_clause 0x1
	global_load_b32 v15, v[7:8], off
	global_load_u16 v16, v[7:8], off offset:4
	v_add_co_u32 v7, vcc_lo, v7, v4
	v_add_co_ci_u32_e32 v8, vcc_lo, 0, v8, vcc_lo
	v_add_co_u32 v11, vcc_lo, v9, v4
	v_add_co_ci_u32_e32 v12, vcc_lo, 0, v10, vcc_lo
	global_load_b32 v17, v[7:8], off offset:6
	global_load_b64 v[13:14], v[11:12], off offset:4
	global_load_b32 v18, v[7:8], off offset:10
	s_clause 0x1
	global_load_b64 v[7:8], v[11:12], off offset:20
	global_load_b32 v9, v[9:10], off
	v_cmp_le_u32_e32 vcc_lo, s9, v2
	s_or_b32 s4, vcc_lo, s4
	s_waitcnt vmcnt(5)
	v_perm_b32 v10, v15, v16, 0x1000706
	s_delay_alu instid0(VALU_DEP_1)
	v_ashrrev_i32_e32 v11, v4, v10
	v_ashrrev_i32_e32 v10, v6, v10
	s_waitcnt vmcnt(4)
	v_and_b32_e32 v12, 0xf0f0f0f, v17
	v_lshrrev_b32_e32 v17, 4, v17
	s_waitcnt vmcnt(2)
	v_and_b32_e32 v24, 0xf0f0f0f, v18
	v_lshlrev_b32_e32 v34, 25, v11
	v_lshlrev_b32_e32 v32, 11, v11
	v_lshl_or_b32 v31, v11, 4, v12
	v_lshlrev_b32_e32 v33, 18, v11
	v_lshrrev_b32_e32 v35, 12, v11
	v_lshrrev_b32_e32 v36, 5, v11
	v_lshlrev_b32_e32 v37, 2, v11
	v_lshlrev_b32_e32 v11, 9, v11
	v_and_b32_e32 v34, 0x10000000, v34
	v_and_b32_e32 v17, 0xf0f0f0f, v17
	;; [unrolled: 1-line block ×3, first 2 shown]
	v_bfe_i32 v16, v13, 0, 8
	v_and_b32_e32 v11, 0x10000000, v11
	v_and_or_b32 v33, 0x100000, v33, v34
	v_lshl_or_b32 v38, v10, 4, v24
	v_and_b32_e32 v31, 31, v31
	v_and_or_b32 v35, v35, 16, v17
	v_and_b32_e32 v36, 0x1000, v36
	v_and_or_b32 v11, 0x100000, v37, v11
	v_or3_b32 v12, v33, v32, v12
	v_bfe_i32 v19, v13, 8, 8
	s_waitcnt vmcnt(1)
	v_bfe_i32 v21, v7, 0, 8
	v_bfe_i32 v25, v14, 0, 8
	v_lshrrev_b32_e32 v18, 4, v18
	v_lshlrev_b32_e32 v41, 25, v10
	v_and_b32_e32 v38, 31, v38
	v_mul_i32_i24_e32 v16, v31, v16
	v_and_b32_e32 v31, 31, v35
	v_or3_b32 v11, v11, v36, v17
	v_bfe_u32 v17, v12, 8, 5
	v_bfe_i32 v20, v13, 16, 8
	v_ashrrev_i32_e32 v13, 24, v13
	v_lshlrev_b32_e32 v39, 11, v10
	v_lshlrev_b32_e32 v40, 18, v10
	v_and_b32_e32 v18, 0xf0f0f0f, v18
	v_lshrrev_b32_e32 v42, 12, v10
	v_lshrrev_b32_e32 v43, 5, v10
	v_lshlrev_b32_e32 v44, 2, v10
	v_lshlrev_b32_e32 v10, 9, v10
	v_and_b32_e32 v41, 0x10000000, v41
	v_mul_i32_i24_e32 v25, v38, v25
	v_mad_i32_i24 v16, v31, v21, v16
	v_bfe_u32 v21, v12, 16, 5
	v_lshrrev_b32_e32 v12, 24, v12
	v_mul_i32_i24_e32 v17, v17, v19
	v_bfe_i32 v22, v7, 8, 8
	v_bfe_i32 v23, v7, 16, 8
	v_and_b32_e32 v39, 0x1000, v39
	v_and_or_b32 v42, v42, 16, v18
	v_and_b32_e32 v10, 0x10000000, v10
	v_and_or_b32 v34, 0x100000, v40, v41
	v_bfe_u32 v19, v11, 8, 5
	v_bfe_u32 v31, v11, 16, 5
	v_mul_i32_i24_e32 v20, v21, v20
	v_mul_i32_i24_e32 v12, v12, v13
	v_add3_u32 v13, v16, v25, v17
	v_ashrrev_i32_e32 v7, 24, v7
	v_bfe_i32 v28, v8, 0, 8
	v_and_b32_e32 v43, 0x1000, v43
	v_and_or_b32 v10, 0x100000, v44, v10
	v_and_b32_e32 v32, 31, v42
	v_or3_b32 v24, v34, v39, v24
	v_lshrrev_b32_e32 v11, 24, v11
	v_mul_i32_i24_e32 v16, v19, v22
	v_mul_i32_i24_e32 v17, v31, v23
	v_add3_u32 v12, v13, v20, v12
	v_bfe_i32 v26, v14, 8, 8
	v_bfe_i32 v27, v14, 16, 8
	v_or3_b32 v10, v10, v43, v18
	v_mul_i32_i24_e32 v13, v32, v28
	v_bfe_u32 v18, v24, 8, 5
	v_bfe_u32 v19, v24, 16, 5
	v_mul_i32_i24_e32 v7, v11, v7
	v_add3_u32 v11, v12, v16, v17
	v_ashrrev_i32_e32 v14, 24, v14
	v_bfe_i32 v29, v8, 8, 8
	v_lshrrev_b32_e32 v12, 24, v24
	v_bfe_u32 v16, v10, 8, 5
	v_mul_i32_i24_e32 v17, v18, v26
	v_mul_i32_i24_e32 v18, v19, v27
	v_add3_u32 v7, v11, v7, v13
	v_bfe_i32 v30, v8, 16, 8
	v_ashrrev_i32_e32 v8, 24, v8
	v_bfe_u32 v11, v10, 16, 5
	v_lshrrev_b32_e32 v10, 24, v10
	v_mul_i32_i24_e32 v12, v12, v14
	v_mul_i32_i24_e32 v13, v16, v29
	v_add3_u32 v7, v7, v17, v18
	s_waitcnt vmcnt(0)
	v_lshrrev_b32_e32 v14, 16, v9
	v_mul_i32_i24_e32 v11, v11, v30
	v_mul_i32_i24_e32 v8, v10, v8
	v_add3_u32 v7, v7, v12, v13
	s_delay_alu instid0(VALU_DEP_4) | instskip(NEXT) | instid1(VALU_DEP_2)
	v_cvt_f32_f16_e32 v10, v14
	v_add3_u32 v7, v7, v11, v8
	s_delay_alu instid0(VALU_DEP_2) | instskip(NEXT) | instid1(VALU_DEP_2)
	v_mul_f32_e32 v8, 0xc1000000, v10
	v_cvt_f32_i32_e32 v7, v7
	s_delay_alu instid0(VALU_DEP_1) | instskip(NEXT) | instid1(VALU_DEP_1)
	v_fma_mix_f32 v7, v9, v7, v8 op_sel_hi:[1,0,0]
	v_fma_mix_f32 v3, v7, v15, v3 op_sel_hi:[0,1,0]
	s_and_not1_b32 exec_lo, exec_lo, s4
	s_cbranch_execnz .LBB60_3
; %bb.4:
	s_or_b32 exec_lo, exec_lo, s4
.LBB60_5:
	s_delay_alu instid0(SALU_CYCLE_1) | instskip(SKIP_1) | instid1(VALU_DEP_1)
	s_or_b32 exec_lo, exec_lo, s8
	v_mbcnt_lo_u32_b32 v2, -1, 0
	v_xor_b32_e32 v4, 16, v2
	v_xor_b32_e32 v5, 8, v2
	s_delay_alu instid0(VALU_DEP_2) | instskip(SKIP_1) | instid1(VALU_DEP_3)
	v_cmp_gt_i32_e32 vcc_lo, 32, v4
	v_cndmask_b32_e32 v4, v2, v4, vcc_lo
	v_cmp_gt_i32_e32 vcc_lo, 32, v5
	v_cndmask_b32_e32 v5, v2, v5, vcc_lo
	s_delay_alu instid0(VALU_DEP_1) | instskip(NEXT) | instid1(VALU_DEP_4)
	v_lshlrev_b32_e32 v5, 2, v5
	v_lshlrev_b32_e32 v4, 2, v4
	ds_bpermute_b32 v4, v4, v3
	s_waitcnt lgkmcnt(0)
	v_add_f32_e32 v3, v3, v4
	ds_bpermute_b32 v4, v5, v3
	v_xor_b32_e32 v5, 4, v2
	s_delay_alu instid0(VALU_DEP_1) | instskip(SKIP_1) | instid1(VALU_DEP_1)
	v_cmp_gt_i32_e32 vcc_lo, 32, v5
	v_cndmask_b32_e32 v5, v2, v5, vcc_lo
	v_lshlrev_b32_e32 v5, 2, v5
	s_waitcnt lgkmcnt(0)
	v_add_f32_e32 v3, v3, v4
	ds_bpermute_b32 v4, v5, v3
	v_xor_b32_e32 v5, 2, v2
	s_delay_alu instid0(VALU_DEP_1) | instskip(SKIP_1) | instid1(VALU_DEP_1)
	v_cmp_gt_i32_e32 vcc_lo, 32, v5
	v_cndmask_b32_e32 v5, v2, v5, vcc_lo
	v_lshlrev_b32_e32 v5, 2, v5
	s_waitcnt lgkmcnt(0)
	v_add_f32_e32 v3, v3, v4
	ds_bpermute_b32 v4, v5, v3
	v_xor_b32_e32 v5, 1, v2
	s_delay_alu instid0(VALU_DEP_1) | instskip(SKIP_3) | instid1(VALU_DEP_2)
	v_cmp_gt_i32_e32 vcc_lo, 32, v5
	v_cndmask_b32_e32 v5, v2, v5, vcc_lo
	v_cmp_eq_u32_e32 vcc_lo, 0, v0
	s_waitcnt lgkmcnt(0)
	v_dual_add_f32 v2, v3, v4 :: v_dual_lshlrev_b32 v3, 2, v5
	ds_bpermute_b32 v3, v3, v2
	s_and_b32 exec_lo, exec_lo, vcc_lo
	s_cbranch_execz .LBB60_7
; %bb.6:
	v_mad_u64_u32 v[4:5], null, s15, s5, v[1:2]
	s_waitcnt lgkmcnt(0)
	v_dual_mov_b32 v5, 0 :: v_dual_add_f32 v2, v2, v3
	s_delay_alu instid0(VALU_DEP_1) | instskip(NEXT) | instid1(VALU_DEP_1)
	v_lshlrev_b64 v[0:1], 2, v[4:5]
	v_add_co_u32 v0, vcc_lo, s6, v0
	s_delay_alu instid0(VALU_DEP_2)
	v_add_co_ci_u32_e32 v1, vcc_lo, s7, v1, vcc_lo
	global_store_b32 v[0:1], v2, off
.LBB60_7:
	s_nop 0
	s_sendmsg sendmsg(MSG_DEALLOC_VGPRS)
	s_endpgm
	.section	.rodata,"a",@progbits
	.p2align	6, 0x0
	.amdhsa_kernel _ZL13mul_mat_vec_qIfLi32ELi4E10block_q5_0Li2EXadL_ZL17vec_dot_q5_0_q8_1PKvPK10block_q8_1RKiEEEvS2_S2_PT_iii
		.amdhsa_group_segment_fixed_size 0
		.amdhsa_private_segment_fixed_size 0
		.amdhsa_kernarg_size 296
		.amdhsa_user_sgpr_count 14
		.amdhsa_user_sgpr_dispatch_ptr 0
		.amdhsa_user_sgpr_queue_ptr 0
		.amdhsa_user_sgpr_kernarg_segment_ptr 1
		.amdhsa_user_sgpr_dispatch_id 0
		.amdhsa_user_sgpr_private_segment_size 0
		.amdhsa_wavefront_size32 1
		.amdhsa_uses_dynamic_stack 0
		.amdhsa_enable_private_segment 0
		.amdhsa_system_sgpr_workgroup_id_x 1
		.amdhsa_system_sgpr_workgroup_id_y 1
		.amdhsa_system_sgpr_workgroup_id_z 0
		.amdhsa_system_sgpr_workgroup_info 0
		.amdhsa_system_vgpr_workitem_id 1
		.amdhsa_next_free_vgpr 45
		.amdhsa_next_free_sgpr 16
		.amdhsa_reserve_vcc 1
		.amdhsa_float_round_mode_32 0
		.amdhsa_float_round_mode_16_64 0
		.amdhsa_float_denorm_mode_32 3
		.amdhsa_float_denorm_mode_16_64 3
		.amdhsa_dx10_clamp 1
		.amdhsa_ieee_mode 1
		.amdhsa_fp16_overflow 0
		.amdhsa_workgroup_processor_mode 1
		.amdhsa_memory_ordered 1
		.amdhsa_forward_progress 0
		.amdhsa_shared_vgpr_count 0
		.amdhsa_exception_fp_ieee_invalid_op 0
		.amdhsa_exception_fp_denorm_src 0
		.amdhsa_exception_fp_ieee_div_zero 0
		.amdhsa_exception_fp_ieee_overflow 0
		.amdhsa_exception_fp_ieee_underflow 0
		.amdhsa_exception_fp_ieee_inexact 0
		.amdhsa_exception_int_div_zero 0
	.end_amdhsa_kernel
	.section	.text._ZL13mul_mat_vec_qIfLi32ELi4E10block_q5_0Li2EXadL_ZL17vec_dot_q5_0_q8_1PKvPK10block_q8_1RKiEEEvS2_S2_PT_iii,"axG",@progbits,_ZL13mul_mat_vec_qIfLi32ELi4E10block_q5_0Li2EXadL_ZL17vec_dot_q5_0_q8_1PKvPK10block_q8_1RKiEEEvS2_S2_PT_iii,comdat
.Lfunc_end60:
	.size	_ZL13mul_mat_vec_qIfLi32ELi4E10block_q5_0Li2EXadL_ZL17vec_dot_q5_0_q8_1PKvPK10block_q8_1RKiEEEvS2_S2_PT_iii, .Lfunc_end60-_ZL13mul_mat_vec_qIfLi32ELi4E10block_q5_0Li2EXadL_ZL17vec_dot_q5_0_q8_1PKvPK10block_q8_1RKiEEEvS2_S2_PT_iii
                                        ; -- End function
	.section	.AMDGPU.csdata,"",@progbits
; Kernel info:
; codeLenInByte = 1320
; NumSgprs: 18
; NumVgprs: 45
; ScratchSize: 0
; MemoryBound: 0
; FloatMode: 240
; IeeeMode: 1
; LDSByteSize: 0 bytes/workgroup (compile time only)
; SGPRBlocks: 2
; VGPRBlocks: 5
; NumSGPRsForWavesPerEU: 18
; NumVGPRsForWavesPerEU: 45
; Occupancy: 16
; WaveLimiterHint : 0
; COMPUTE_PGM_RSRC2:SCRATCH_EN: 0
; COMPUTE_PGM_RSRC2:USER_SGPR: 14
; COMPUTE_PGM_RSRC2:TRAP_HANDLER: 0
; COMPUTE_PGM_RSRC2:TGID_X_EN: 1
; COMPUTE_PGM_RSRC2:TGID_Y_EN: 1
; COMPUTE_PGM_RSRC2:TGID_Z_EN: 0
; COMPUTE_PGM_RSRC2:TIDIG_COMP_CNT: 1
	.section	.text._ZL13mul_mat_vec_qIfLi32ELi4E10block_q5_1Li2EXadL_ZL17vec_dot_q5_1_q8_1PKvPK10block_q8_1RKiEEEvS2_S2_PT_iii,"axG",@progbits,_ZL13mul_mat_vec_qIfLi32ELi4E10block_q5_1Li2EXadL_ZL17vec_dot_q5_1_q8_1PKvPK10block_q8_1RKiEEEvS2_S2_PT_iii,comdat
	.globl	_ZL13mul_mat_vec_qIfLi32ELi4E10block_q5_1Li2EXadL_ZL17vec_dot_q5_1_q8_1PKvPK10block_q8_1RKiEEEvS2_S2_PT_iii ; -- Begin function _ZL13mul_mat_vec_qIfLi32ELi4E10block_q5_1Li2EXadL_ZL17vec_dot_q5_1_q8_1PKvPK10block_q8_1RKiEEEvS2_S2_PT_iii
	.p2align	8
	.type	_ZL13mul_mat_vec_qIfLi32ELi4E10block_q5_1Li2EXadL_ZL17vec_dot_q5_1_q8_1PKvPK10block_q8_1RKiEEEvS2_S2_PT_iii,@function
_ZL13mul_mat_vec_qIfLi32ELi4E10block_q5_1Li2EXadL_ZL17vec_dot_q5_1_q8_1PKvPK10block_q8_1RKiEEEvS2_S2_PT_iii: ; @_ZL13mul_mat_vec_qIfLi32ELi4E10block_q5_1Li2EXadL_ZL17vec_dot_q5_1_q8_1PKvPK10block_q8_1RKiEEEvS2_S2_PT_iii
; %bb.0:
	s_clause 0x1
	s_load_b32 s2, s[0:1], 0x34
	s_load_b128 s[4:7], s[0:1], 0x18
	v_bfe_u32 v3, v0, 10, 10
	s_waitcnt lgkmcnt(0)
	s_lshr_b32 s2, s2, 16
	s_cmp_lt_u32 s15, s6
	s_delay_alu instid0(VALU_DEP_1) | instskip(SKIP_1) | instid1(VALU_DEP_1)
	v_mad_u64_u32 v[1:2], null, s14, s2, v[3:4]
	s_cselect_b32 s2, -1, 0
	v_cmp_gt_u32_e32 vcc_lo, s5, v1
	s_and_b32 s2, s2, vcc_lo
	s_delay_alu instid0(SALU_CYCLE_1)
	s_and_saveexec_b32 s3, s2
	s_cbranch_execz .LBB61_7
; %bb.1:
	s_load_b64 s[6:7], s[0:1], 0x10
	v_dual_mov_b32 v3, 0 :: v_dual_and_b32 v0, 0x3ff, v0
	s_ashr_i32 s2, s4, 31
	s_mov_b32 s8, exec_lo
	s_lshr_b32 s2, s2, 27
	s_delay_alu instid0(VALU_DEP_1) | instskip(SKIP_1) | instid1(SALU_CYCLE_1)
	v_lshrrev_b32_e32 v2, 1, v0
	s_add_i32 s2, s4, s2
	s_ashr_i32 s9, s2, 5
	s_delay_alu instid0(VALU_DEP_1) | instid1(SALU_CYCLE_1)
	v_cmpx_gt_u32_e64 s9, v2
	s_cbranch_execz .LBB61_5
; %bb.2:
	s_load_b128 s[0:3], s[0:1], 0x0
	v_lshlrev_b32_e32 v3, 3, v0
	s_addk_i32 s4, 0x1ff
	v_mul_lo_u32 v5, v1, s9
	s_ashr_i32 s10, s4, 31
	s_mov_b32 s11, 0.5
	s_lshr_b32 s10, s10, 23
	v_dual_mov_b32 v3, 0 :: v_dual_and_b32 v4, 8, v3
	s_add_i32 s4, s4, s10
	s_delay_alu instid0(SALU_CYCLE_1) | instskip(NEXT) | instid1(VALU_DEP_1)
	s_ashr_i32 s4, s4, 9
	v_or_b32_e32 v6, 4, v4
	s_mul_i32 s4, s15, s4
	s_delay_alu instid0(SALU_CYCLE_1)
	s_lshl_b32 s10, s4, 4
	s_mov_b32 s4, 0
.LBB61_3:                               ; =>This Inner Loop Header: Depth=1
	v_add_nc_u32_e32 v9, v5, v2
	v_add_nc_u32_e32 v11, s10, v2
	;; [unrolled: 1-line block ×3, first 2 shown]
	s_waitcnt lgkmcnt(0)
	s_delay_alu instid0(VALU_DEP_3) | instskip(NEXT) | instid1(VALU_DEP_3)
	v_mad_i64_i32 v[7:8], null, v9, 24, s[0:1]
	v_mad_i64_i32 v[9:10], null, v11, 36, s[2:3]
	global_load_b64 v[11:12], v[7:8], off
	v_add_co_u32 v7, vcc_lo, v7, v4
	v_add_co_ci_u32_e32 v8, vcc_lo, 0, v8, vcc_lo
	v_add_co_u32 v13, vcc_lo, v9, v4
	v_add_co_ci_u32_e32 v14, vcc_lo, 0, v10, vcc_lo
	global_load_b64 v[7:8], v[7:8], off offset:8
	s_clause 0x2
	global_load_b64 v[15:16], v[13:14], off offset:4
	global_load_b64 v[13:14], v[13:14], off offset:20
	global_load_b32 v9, v[9:10], off
	v_cmp_le_u32_e32 vcc_lo, s9, v2
	s_or_b32 s4, vcc_lo, s4
	s_waitcnt vmcnt(4)
	v_ashrrev_i32_e32 v10, v4, v12
	v_ashrrev_i32_e32 v12, v6, v12
	s_delay_alu instid0(VALU_DEP_2)
	v_lshlrev_b32_e32 v20, 25, v10
	v_lshlrev_b32_e32 v27, 9, v10
	;; [unrolled: 1-line block ×3, first 2 shown]
	s_waitcnt vmcnt(3)
	v_and_b32_e32 v17, 0xf0f0f0f, v7
	v_lshrrev_b32_e32 v7, 4, v7
	v_and_b32_e32 v31, 0xf0f0f0f, v8
	v_lshrrev_b32_e32 v8, 4, v8
	v_lshlrev_b32_e32 v19, 18, v10
	v_lshrrev_b32_e32 v24, 12, v10
	v_lshrrev_b32_e32 v25, 5, v10
	v_lshlrev_b32_e32 v26, 2, v10
	v_lshrrev_b32_e32 v38, 12, v12
	v_lshl_or_b32 v10, v10, 4, v17
	v_and_b32_e32 v20, 0x10000000, v20
	v_and_b32_e32 v7, 0xf0f0f0f, v7
	;; [unrolled: 1-line block ×4, first 2 shown]
	s_waitcnt vmcnt(2)
	v_bfe_i32 v21, v15, 0, 8
	v_lshlrev_b32_e32 v32, 11, v12
	v_lshlrev_b32_e32 v33, 18, v12
	;; [unrolled: 1-line block ×3, first 2 shown]
	v_lshrrev_b32_e32 v39, 5, v12
	v_lshlrev_b32_e32 v40, 2, v12
	v_lshlrev_b32_e32 v41, 9, v12
	v_and_b32_e32 v18, 0x1000, v18
	v_lshl_or_b32 v12, v12, 4, v31
	v_and_or_b32 v19, 0x100000, v19, v20
	v_and_b32_e32 v10, 31, v10
	v_and_or_b32 v20, v24, 16, v7
	v_and_or_b32 v24, 0x100000, v26, v27
	;; [unrolled: 1-line block ×3, first 2 shown]
	s_waitcnt vmcnt(1)
	v_bfe_i32 v28, v13, 0, 8
	v_bfe_i32 v35, v16, 0, 8
	;; [unrolled: 1-line block ×3, first 2 shown]
	v_and_b32_e32 v25, 0x1000, v25
	v_and_b32_e32 v12, 31, v12
	v_or3_b32 v17, v19, v18, v17
	v_mul_i32_i24_e32 v10, v10, v21
	v_and_b32_e32 v18, 31, v20
	v_and_b32_e32 v20, 31, v27
	v_bfe_i32 v22, v15, 8, 8
	v_bfe_i32 v23, v15, 16, 8
	v_and_b32_e32 v34, 0x10000000, v34
	v_or3_b32 v7, v24, v25, v7
	v_mul_i32_i24_e32 v12, v12, v35
	v_bfe_u32 v21, v17, 8, 5
	v_bfe_u32 v24, v17, 16, 5
	v_mul_i32_i24_e32 v20, v20, v42
	v_mad_i32_i24 v10, v18, v28, v10
	v_ashrrev_i32_e32 v15, 24, v15
	v_bfe_i32 v29, v13, 8, 8
	v_and_b32_e32 v32, 0x1000, v32
	v_and_b32_e32 v41, 0x10000000, v41
	v_and_or_b32 v26, 0x100000, v33, v34
	v_lshrrev_b32_e32 v17, 24, v17
	v_bfe_u32 v18, v7, 8, 5
	v_mul_i32_i24_e32 v21, v21, v22
	v_mul_i32_i24_e32 v22, v24, v23
	v_add3_u32 v10, v10, v12, v20
	v_bfe_i32 v30, v13, 16, 8
	v_ashrrev_i32_e32 v13, 24, v13
	v_and_b32_e32 v39, 0x1000, v39
	v_and_or_b32 v33, 0x100000, v40, v41
	v_or3_b32 v19, v26, v32, v31
	v_bfe_u32 v12, v7, 16, 5
	v_lshrrev_b32_e32 v7, 24, v7
	v_mul_i32_i24_e32 v15, v17, v15
	v_mul_i32_i24_e32 v17, v18, v29
	v_add3_u32 v10, v10, v21, v22
	v_bfe_i32 v36, v16, 8, 8
	v_bfe_i32 v37, v16, 16, 8
	v_or3_b32 v8, v33, v39, v8
	v_bfe_u32 v18, v19, 8, 5
	v_bfe_u32 v20, v19, 16, 5
	v_mul_i32_i24_e32 v12, v12, v30
	v_mul_i32_i24_e32 v7, v7, v13
	v_add3_u32 v10, v10, v15, v17
	v_ashrrev_i32_e32 v16, 24, v16
	v_bfe_i32 v43, v14, 8, 8
	v_lshrrev_b32_e32 v13, 24, v19
	v_bfe_u32 v15, v8, 8, 5
	v_mul_i32_i24_e32 v17, v18, v36
	v_mul_i32_i24_e32 v18, v20, v37
	v_add3_u32 v7, v10, v12, v7
	v_bfe_i32 v44, v14, 16, 8
	v_ashrrev_i32_e32 v14, 24, v14
	v_bfe_u32 v10, v8, 16, 5
	v_lshrrev_b32_e32 v8, 24, v8
	v_mul_i32_i24_e32 v12, v13, v16
	v_mul_i32_i24_e32 v13, v15, v43
	v_add3_u32 v7, v7, v17, v18
	v_mul_i32_i24_e32 v10, v10, v44
	v_mul_i32_i24_e32 v8, v8, v14
	s_waitcnt vmcnt(0)
	v_pk_mul_f16 v9, v11, v9
	v_add3_u32 v7, v7, v12, v13
	s_delay_alu instid0(VALU_DEP_1) | instskip(NEXT) | instid1(VALU_DEP_3)
	v_add3_u32 v7, v7, v10, v8
	v_cvt_f32_f16_e32 v8, v9
	s_delay_alu instid0(VALU_DEP_2) | instskip(NEXT) | instid1(VALU_DEP_1)
	v_cvt_f32_i32_e32 v7, v7
	v_mul_f32_e32 v7, v8, v7
	s_delay_alu instid0(VALU_DEP_1) | instskip(NEXT) | instid1(VALU_DEP_1)
	v_fma_mix_f32 v7, v9, s11, v7 op_sel:[1,0,0] op_sel_hi:[1,0,0]
	v_add_f32_e32 v3, v3, v7
	s_and_not1_b32 exec_lo, exec_lo, s4
	s_cbranch_execnz .LBB61_3
; %bb.4:
	s_or_b32 exec_lo, exec_lo, s4
.LBB61_5:
	s_delay_alu instid0(SALU_CYCLE_1) | instskip(SKIP_1) | instid1(VALU_DEP_1)
	s_or_b32 exec_lo, exec_lo, s8
	v_mbcnt_lo_u32_b32 v2, -1, 0
	v_xor_b32_e32 v4, 16, v2
	v_xor_b32_e32 v5, 8, v2
	s_delay_alu instid0(VALU_DEP_2) | instskip(SKIP_1) | instid1(VALU_DEP_3)
	v_cmp_gt_i32_e32 vcc_lo, 32, v4
	v_cndmask_b32_e32 v4, v2, v4, vcc_lo
	v_cmp_gt_i32_e32 vcc_lo, 32, v5
	v_cndmask_b32_e32 v5, v2, v5, vcc_lo
	s_delay_alu instid0(VALU_DEP_1) | instskip(NEXT) | instid1(VALU_DEP_4)
	v_lshlrev_b32_e32 v5, 2, v5
	v_lshlrev_b32_e32 v4, 2, v4
	ds_bpermute_b32 v4, v4, v3
	s_waitcnt lgkmcnt(0)
	v_add_f32_e32 v3, v3, v4
	ds_bpermute_b32 v4, v5, v3
	v_xor_b32_e32 v5, 4, v2
	s_delay_alu instid0(VALU_DEP_1) | instskip(SKIP_1) | instid1(VALU_DEP_1)
	v_cmp_gt_i32_e32 vcc_lo, 32, v5
	v_cndmask_b32_e32 v5, v2, v5, vcc_lo
	v_lshlrev_b32_e32 v5, 2, v5
	s_waitcnt lgkmcnt(0)
	v_add_f32_e32 v3, v3, v4
	ds_bpermute_b32 v4, v5, v3
	v_xor_b32_e32 v5, 2, v2
	s_delay_alu instid0(VALU_DEP_1) | instskip(SKIP_1) | instid1(VALU_DEP_1)
	v_cmp_gt_i32_e32 vcc_lo, 32, v5
	v_cndmask_b32_e32 v5, v2, v5, vcc_lo
	v_lshlrev_b32_e32 v5, 2, v5
	s_waitcnt lgkmcnt(0)
	v_add_f32_e32 v3, v3, v4
	ds_bpermute_b32 v4, v5, v3
	v_xor_b32_e32 v5, 1, v2
	s_delay_alu instid0(VALU_DEP_1) | instskip(SKIP_3) | instid1(VALU_DEP_2)
	v_cmp_gt_i32_e32 vcc_lo, 32, v5
	v_cndmask_b32_e32 v5, v2, v5, vcc_lo
	v_cmp_eq_u32_e32 vcc_lo, 0, v0
	s_waitcnt lgkmcnt(0)
	v_dual_add_f32 v2, v3, v4 :: v_dual_lshlrev_b32 v3, 2, v5
	ds_bpermute_b32 v3, v3, v2
	s_and_b32 exec_lo, exec_lo, vcc_lo
	s_cbranch_execz .LBB61_7
; %bb.6:
	v_mad_u64_u32 v[4:5], null, s15, s5, v[1:2]
	s_waitcnt lgkmcnt(0)
	v_dual_mov_b32 v5, 0 :: v_dual_add_f32 v2, v2, v3
	s_delay_alu instid0(VALU_DEP_1) | instskip(NEXT) | instid1(VALU_DEP_1)
	v_lshlrev_b64 v[0:1], 2, v[4:5]
	v_add_co_u32 v0, vcc_lo, s6, v0
	s_delay_alu instid0(VALU_DEP_2)
	v_add_co_ci_u32_e32 v1, vcc_lo, s7, v1, vcc_lo
	global_store_b32 v[0:1], v2, off
.LBB61_7:
	s_nop 0
	s_sendmsg sendmsg(MSG_DEALLOC_VGPRS)
	s_endpgm
	.section	.rodata,"a",@progbits
	.p2align	6, 0x0
	.amdhsa_kernel _ZL13mul_mat_vec_qIfLi32ELi4E10block_q5_1Li2EXadL_ZL17vec_dot_q5_1_q8_1PKvPK10block_q8_1RKiEEEvS2_S2_PT_iii
		.amdhsa_group_segment_fixed_size 0
		.amdhsa_private_segment_fixed_size 0
		.amdhsa_kernarg_size 296
		.amdhsa_user_sgpr_count 14
		.amdhsa_user_sgpr_dispatch_ptr 0
		.amdhsa_user_sgpr_queue_ptr 0
		.amdhsa_user_sgpr_kernarg_segment_ptr 1
		.amdhsa_user_sgpr_dispatch_id 0
		.amdhsa_user_sgpr_private_segment_size 0
		.amdhsa_wavefront_size32 1
		.amdhsa_uses_dynamic_stack 0
		.amdhsa_enable_private_segment 0
		.amdhsa_system_sgpr_workgroup_id_x 1
		.amdhsa_system_sgpr_workgroup_id_y 1
		.amdhsa_system_sgpr_workgroup_id_z 0
		.amdhsa_system_sgpr_workgroup_info 0
		.amdhsa_system_vgpr_workitem_id 1
		.amdhsa_next_free_vgpr 45
		.amdhsa_next_free_sgpr 16
		.amdhsa_reserve_vcc 1
		.amdhsa_float_round_mode_32 0
		.amdhsa_float_round_mode_16_64 0
		.amdhsa_float_denorm_mode_32 3
		.amdhsa_float_denorm_mode_16_64 3
		.amdhsa_dx10_clamp 1
		.amdhsa_ieee_mode 1
		.amdhsa_fp16_overflow 0
		.amdhsa_workgroup_processor_mode 1
		.amdhsa_memory_ordered 1
		.amdhsa_forward_progress 0
		.amdhsa_shared_vgpr_count 0
		.amdhsa_exception_fp_ieee_invalid_op 0
		.amdhsa_exception_fp_denorm_src 0
		.amdhsa_exception_fp_ieee_div_zero 0
		.amdhsa_exception_fp_ieee_overflow 0
		.amdhsa_exception_fp_ieee_underflow 0
		.amdhsa_exception_fp_ieee_inexact 0
		.amdhsa_exception_int_div_zero 0
	.end_amdhsa_kernel
	.section	.text._ZL13mul_mat_vec_qIfLi32ELi4E10block_q5_1Li2EXadL_ZL17vec_dot_q5_1_q8_1PKvPK10block_q8_1RKiEEEvS2_S2_PT_iii,"axG",@progbits,_ZL13mul_mat_vec_qIfLi32ELi4E10block_q5_1Li2EXadL_ZL17vec_dot_q5_1_q8_1PKvPK10block_q8_1RKiEEEvS2_S2_PT_iii,comdat
.Lfunc_end61:
	.size	_ZL13mul_mat_vec_qIfLi32ELi4E10block_q5_1Li2EXadL_ZL17vec_dot_q5_1_q8_1PKvPK10block_q8_1RKiEEEvS2_S2_PT_iii, .Lfunc_end61-_ZL13mul_mat_vec_qIfLi32ELi4E10block_q5_1Li2EXadL_ZL17vec_dot_q5_1_q8_1PKvPK10block_q8_1RKiEEEvS2_S2_PT_iii
                                        ; -- End function
	.section	.AMDGPU.csdata,"",@progbits
; Kernel info:
; codeLenInByte = 1288
; NumSgprs: 18
; NumVgprs: 45
; ScratchSize: 0
; MemoryBound: 0
; FloatMode: 240
; IeeeMode: 1
; LDSByteSize: 0 bytes/workgroup (compile time only)
; SGPRBlocks: 2
; VGPRBlocks: 5
; NumSGPRsForWavesPerEU: 18
; NumVGPRsForWavesPerEU: 45
; Occupancy: 16
; WaveLimiterHint : 0
; COMPUTE_PGM_RSRC2:SCRATCH_EN: 0
; COMPUTE_PGM_RSRC2:USER_SGPR: 14
; COMPUTE_PGM_RSRC2:TRAP_HANDLER: 0
; COMPUTE_PGM_RSRC2:TGID_X_EN: 1
; COMPUTE_PGM_RSRC2:TGID_Y_EN: 1
; COMPUTE_PGM_RSRC2:TGID_Z_EN: 0
; COMPUTE_PGM_RSRC2:TIDIG_COMP_CNT: 1
	.section	.text._ZL13mul_mat_vec_qIfLi32ELi8E10block_q8_0Li2EXadL_ZL17vec_dot_q8_0_q8_1PKvPK10block_q8_1RKiEEEvS2_S2_PT_iii,"axG",@progbits,_ZL13mul_mat_vec_qIfLi32ELi8E10block_q8_0Li2EXadL_ZL17vec_dot_q8_0_q8_1PKvPK10block_q8_1RKiEEEvS2_S2_PT_iii,comdat
	.globl	_ZL13mul_mat_vec_qIfLi32ELi8E10block_q8_0Li2EXadL_ZL17vec_dot_q8_0_q8_1PKvPK10block_q8_1RKiEEEvS2_S2_PT_iii ; -- Begin function _ZL13mul_mat_vec_qIfLi32ELi8E10block_q8_0Li2EXadL_ZL17vec_dot_q8_0_q8_1PKvPK10block_q8_1RKiEEEvS2_S2_PT_iii
	.p2align	8
	.type	_ZL13mul_mat_vec_qIfLi32ELi8E10block_q8_0Li2EXadL_ZL17vec_dot_q8_0_q8_1PKvPK10block_q8_1RKiEEEvS2_S2_PT_iii,@function
_ZL13mul_mat_vec_qIfLi32ELi8E10block_q8_0Li2EXadL_ZL17vec_dot_q8_0_q8_1PKvPK10block_q8_1RKiEEEvS2_S2_PT_iii: ; @_ZL13mul_mat_vec_qIfLi32ELi8E10block_q8_0Li2EXadL_ZL17vec_dot_q8_0_q8_1PKvPK10block_q8_1RKiEEEvS2_S2_PT_iii
; %bb.0:
	s_clause 0x1
	s_load_b32 s2, s[0:1], 0x34
	s_load_b128 s[4:7], s[0:1], 0x18
	v_bfe_u32 v3, v0, 10, 10
	s_waitcnt lgkmcnt(0)
	s_lshr_b32 s2, s2, 16
	s_cmp_lt_u32 s15, s6
	s_delay_alu instid0(VALU_DEP_1) | instskip(SKIP_1) | instid1(VALU_DEP_1)
	v_mad_u64_u32 v[1:2], null, s14, s2, v[3:4]
	s_cselect_b32 s2, -1, 0
	v_cmp_gt_u32_e32 vcc_lo, s5, v1
	s_and_b32 s2, s2, vcc_lo
	s_delay_alu instid0(SALU_CYCLE_1)
	s_and_saveexec_b32 s3, s2
	s_cbranch_execz .LBB62_7
; %bb.1:
	s_load_b64 s[6:7], s[0:1], 0x10
	v_and_b32_e32 v0, 0x3ff, v0
	s_ashr_i32 s2, s4, 31
	v_mov_b32_e32 v2, 0
	s_lshr_b32 s2, s2, 27
	s_mov_b32 s8, exec_lo
	v_lshrrev_b32_e32 v3, 2, v0
	s_add_i32 s2, s4, s2
	s_delay_alu instid0(SALU_CYCLE_1)
	s_ashr_i32 s9, s2, 5
	s_delay_alu instid0(VALU_DEP_1) | instid1(SALU_CYCLE_1)
	v_cmpx_gt_u32_e64 s9, v3
	s_cbranch_execz .LBB62_5
; %bb.2:
	s_load_b128 s[0:3], s[0:1], 0x0
	s_addk_i32 s4, 0x1ff
	v_lshlrev_b32_e32 v2, 3, v0
	s_ashr_i32 s10, s4, 31
	v_mul_lo_u32 v4, v1, s9
	s_lshr_b32 s10, s10, 23
	s_delay_alu instid0(SALU_CYCLE_1) | instskip(SKIP_4) | instid1(SALU_CYCLE_1)
	s_add_i32 s4, s4, s10
	v_dual_mov_b32 v2, 0 :: v_dual_and_b32 v5, 24, v2
	s_ashr_i32 s4, s4, 9
	s_mov_b32 s10, 0
	s_mul_i32 s4, s15, s4
	s_lshl_b32 s4, s4, 4
	s_set_inst_prefetch_distance 0x1
	.p2align	6
.LBB62_3:                               ; =>This Inner Loop Header: Depth=1
	v_add_nc_u32_e32 v8, v4, v3
	v_add_nc_u32_e32 v10, s4, v3
	;; [unrolled: 1-line block ×3, first 2 shown]
	s_waitcnt lgkmcnt(0)
	s_delay_alu instid0(VALU_DEP_3) | instskip(NEXT) | instid1(VALU_DEP_3)
	v_mad_i64_i32 v[6:7], null, v8, 34, s[0:1]
	v_mad_i64_i32 v[8:9], null, v10, 36, s[2:3]
	s_delay_alu instid0(VALU_DEP_2) | instskip(NEXT) | instid1(VALU_DEP_3)
	v_add_co_u32 v10, vcc_lo, v6, v5
	v_add_co_ci_u32_e32 v11, vcc_lo, 0, v7, vcc_lo
	s_delay_alu instid0(VALU_DEP_3) | instskip(NEXT) | instid1(VALU_DEP_4)
	v_add_co_u32 v12, vcc_lo, v8, v5
	v_add_co_ci_u32_e32 v13, vcc_lo, 0, v9, vcc_lo
	v_cmp_le_u32_e32 vcc_lo, s9, v3
	global_load_b64 v[10:11], v[10:11], off offset:2
	global_load_b64 v[12:13], v[12:13], off offset:4
	global_load_u16 v6, v[6:7], off
	global_load_b32 v7, v[8:9], off
	s_or_b32 s10, vcc_lo, s10
	s_waitcnt vmcnt(2)
	v_perm_b32 v8, v12, v11, 0x6050004
	v_perm_b32 v9, v10, v13, 0x6050004
	;; [unrolled: 1-line block ×4, first 2 shown]
	s_waitcnt vmcnt(1)
	v_cvt_f32_f16_e32 v6, v6
	s_waitcnt vmcnt(0)
	v_cvt_f32_f16_e32 v7, v7
	v_dot4_i32_iu8 v8, v9, v8, 0 neg_lo:[1,1,0]
	s_delay_alu instid0(VALU_DEP_2) | instskip(NEXT) | instid1(VALU_DEP_2)
	v_mul_f32_e32 v6, v6, v7
	v_dot4_i32_iu8 v8, v10, v12, v8 neg_lo:[1,1,0]
	s_delay_alu instid0(VALU_DEP_1) | instskip(NEXT) | instid1(VALU_DEP_1)
	v_cvt_f32_i32_e32 v7, v8
	v_fmac_f32_e32 v2, v6, v7
	s_and_not1_b32 exec_lo, exec_lo, s10
	s_cbranch_execnz .LBB62_3
; %bb.4:
	s_set_inst_prefetch_distance 0x2
	s_or_b32 exec_lo, exec_lo, s10
.LBB62_5:
	s_delay_alu instid0(SALU_CYCLE_1) | instskip(SKIP_1) | instid1(VALU_DEP_1)
	s_or_b32 exec_lo, exec_lo, s8
	v_mbcnt_lo_u32_b32 v3, -1, 0
	v_xor_b32_e32 v4, 16, v3
	v_xor_b32_e32 v5, 8, v3
	s_delay_alu instid0(VALU_DEP_2) | instskip(SKIP_1) | instid1(VALU_DEP_3)
	v_cmp_gt_i32_e32 vcc_lo, 32, v4
	v_cndmask_b32_e32 v4, v3, v4, vcc_lo
	v_cmp_gt_i32_e32 vcc_lo, 32, v5
	v_cndmask_b32_e32 v5, v3, v5, vcc_lo
	s_delay_alu instid0(VALU_DEP_1) | instskip(NEXT) | instid1(VALU_DEP_4)
	v_lshlrev_b32_e32 v5, 2, v5
	v_lshlrev_b32_e32 v4, 2, v4
	ds_bpermute_b32 v4, v4, v2
	s_waitcnt lgkmcnt(0)
	v_add_f32_e32 v2, v2, v4
	ds_bpermute_b32 v4, v5, v2
	v_xor_b32_e32 v5, 4, v3
	s_delay_alu instid0(VALU_DEP_1) | instskip(SKIP_2) | instid1(VALU_DEP_1)
	v_cmp_gt_i32_e32 vcc_lo, 32, v5
	v_cndmask_b32_e32 v5, v3, v5, vcc_lo
	s_waitcnt lgkmcnt(0)
	v_dual_add_f32 v2, v2, v4 :: v_dual_lshlrev_b32 v5, 2, v5
	ds_bpermute_b32 v4, v5, v2
	v_xor_b32_e32 v5, 2, v3
	s_delay_alu instid0(VALU_DEP_1) | instskip(SKIP_2) | instid1(VALU_DEP_1)
	v_cmp_gt_i32_e32 vcc_lo, 32, v5
	s_waitcnt lgkmcnt(0)
	v_dual_cndmask_b32 v5, v3, v5 :: v_dual_add_f32 v2, v2, v4
	v_lshlrev_b32_e32 v5, 2, v5
	ds_bpermute_b32 v4, v5, v2
	v_xor_b32_e32 v5, 1, v3
	s_delay_alu instid0(VALU_DEP_1) | instskip(SKIP_3) | instid1(VALU_DEP_2)
	v_cmp_gt_i32_e32 vcc_lo, 32, v5
	v_cndmask_b32_e32 v3, v3, v5, vcc_lo
	v_cmp_eq_u32_e32 vcc_lo, 0, v0
	s_waitcnt lgkmcnt(0)
	v_dual_add_f32 v2, v2, v4 :: v_dual_lshlrev_b32 v3, 2, v3
	ds_bpermute_b32 v3, v3, v2
	s_and_b32 exec_lo, exec_lo, vcc_lo
	s_cbranch_execz .LBB62_7
; %bb.6:
	v_mad_u64_u32 v[4:5], null, s15, s5, v[1:2]
	s_waitcnt lgkmcnt(0)
	v_dual_mov_b32 v5, 0 :: v_dual_add_f32 v2, v2, v3
	s_delay_alu instid0(VALU_DEP_1) | instskip(NEXT) | instid1(VALU_DEP_1)
	v_lshlrev_b64 v[0:1], 2, v[4:5]
	v_add_co_u32 v0, vcc_lo, s6, v0
	s_delay_alu instid0(VALU_DEP_2)
	v_add_co_ci_u32_e32 v1, vcc_lo, s7, v1, vcc_lo
	global_store_b32 v[0:1], v2, off
.LBB62_7:
	s_nop 0
	s_sendmsg sendmsg(MSG_DEALLOC_VGPRS)
	s_endpgm
	.section	.rodata,"a",@progbits
	.p2align	6, 0x0
	.amdhsa_kernel _ZL13mul_mat_vec_qIfLi32ELi8E10block_q8_0Li2EXadL_ZL17vec_dot_q8_0_q8_1PKvPK10block_q8_1RKiEEEvS2_S2_PT_iii
		.amdhsa_group_segment_fixed_size 0
		.amdhsa_private_segment_fixed_size 0
		.amdhsa_kernarg_size 296
		.amdhsa_user_sgpr_count 14
		.amdhsa_user_sgpr_dispatch_ptr 0
		.amdhsa_user_sgpr_queue_ptr 0
		.amdhsa_user_sgpr_kernarg_segment_ptr 1
		.amdhsa_user_sgpr_dispatch_id 0
		.amdhsa_user_sgpr_private_segment_size 0
		.amdhsa_wavefront_size32 1
		.amdhsa_uses_dynamic_stack 0
		.amdhsa_enable_private_segment 0
		.amdhsa_system_sgpr_workgroup_id_x 1
		.amdhsa_system_sgpr_workgroup_id_y 1
		.amdhsa_system_sgpr_workgroup_id_z 0
		.amdhsa_system_sgpr_workgroup_info 0
		.amdhsa_system_vgpr_workitem_id 1
		.amdhsa_next_free_vgpr 14
		.amdhsa_next_free_sgpr 16
		.amdhsa_reserve_vcc 1
		.amdhsa_float_round_mode_32 0
		.amdhsa_float_round_mode_16_64 0
		.amdhsa_float_denorm_mode_32 3
		.amdhsa_float_denorm_mode_16_64 3
		.amdhsa_dx10_clamp 1
		.amdhsa_ieee_mode 1
		.amdhsa_fp16_overflow 0
		.amdhsa_workgroup_processor_mode 1
		.amdhsa_memory_ordered 1
		.amdhsa_forward_progress 0
		.amdhsa_shared_vgpr_count 0
		.amdhsa_exception_fp_ieee_invalid_op 0
		.amdhsa_exception_fp_denorm_src 0
		.amdhsa_exception_fp_ieee_div_zero 0
		.amdhsa_exception_fp_ieee_overflow 0
		.amdhsa_exception_fp_ieee_underflow 0
		.amdhsa_exception_fp_ieee_inexact 0
		.amdhsa_exception_int_div_zero 0
	.end_amdhsa_kernel
	.section	.text._ZL13mul_mat_vec_qIfLi32ELi8E10block_q8_0Li2EXadL_ZL17vec_dot_q8_0_q8_1PKvPK10block_q8_1RKiEEEvS2_S2_PT_iii,"axG",@progbits,_ZL13mul_mat_vec_qIfLi32ELi8E10block_q8_0Li2EXadL_ZL17vec_dot_q8_0_q8_1PKvPK10block_q8_1RKiEEEvS2_S2_PT_iii,comdat
.Lfunc_end62:
	.size	_ZL13mul_mat_vec_qIfLi32ELi8E10block_q8_0Li2EXadL_ZL17vec_dot_q8_0_q8_1PKvPK10block_q8_1RKiEEEvS2_S2_PT_iii, .Lfunc_end62-_ZL13mul_mat_vec_qIfLi32ELi8E10block_q8_0Li2EXadL_ZL17vec_dot_q8_0_q8_1PKvPK10block_q8_1RKiEEEvS2_S2_PT_iii
                                        ; -- End function
	.section	.AMDGPU.csdata,"",@progbits
; Kernel info:
; codeLenInByte = 704
; NumSgprs: 18
; NumVgprs: 14
; ScratchSize: 0
; MemoryBound: 0
; FloatMode: 240
; IeeeMode: 1
; LDSByteSize: 0 bytes/workgroup (compile time only)
; SGPRBlocks: 2
; VGPRBlocks: 1
; NumSGPRsForWavesPerEU: 18
; NumVGPRsForWavesPerEU: 14
; Occupancy: 16
; WaveLimiterHint : 0
; COMPUTE_PGM_RSRC2:SCRATCH_EN: 0
; COMPUTE_PGM_RSRC2:USER_SGPR: 14
; COMPUTE_PGM_RSRC2:TRAP_HANDLER: 0
; COMPUTE_PGM_RSRC2:TGID_X_EN: 1
; COMPUTE_PGM_RSRC2:TGID_Y_EN: 1
; COMPUTE_PGM_RSRC2:TGID_Z_EN: 0
; COMPUTE_PGM_RSRC2:TIDIG_COMP_CNT: 1
	.section	.text._ZL13mul_mat_vec_qIfLi256ELi16E10block_q2_KLi1EXadL_ZL17vec_dot_q2_K_q8_1PKvPK10block_q8_1RKiEEEvS2_S2_PT_iii,"axG",@progbits,_ZL13mul_mat_vec_qIfLi256ELi16E10block_q2_KLi1EXadL_ZL17vec_dot_q2_K_q8_1PKvPK10block_q8_1RKiEEEvS2_S2_PT_iii,comdat
	.globl	_ZL13mul_mat_vec_qIfLi256ELi16E10block_q2_KLi1EXadL_ZL17vec_dot_q2_K_q8_1PKvPK10block_q8_1RKiEEEvS2_S2_PT_iii ; -- Begin function _ZL13mul_mat_vec_qIfLi256ELi16E10block_q2_KLi1EXadL_ZL17vec_dot_q2_K_q8_1PKvPK10block_q8_1RKiEEEvS2_S2_PT_iii
	.p2align	8
	.type	_ZL13mul_mat_vec_qIfLi256ELi16E10block_q2_KLi1EXadL_ZL17vec_dot_q2_K_q8_1PKvPK10block_q8_1RKiEEEvS2_S2_PT_iii,@function
_ZL13mul_mat_vec_qIfLi256ELi16E10block_q2_KLi1EXadL_ZL17vec_dot_q2_K_q8_1PKvPK10block_q8_1RKiEEEvS2_S2_PT_iii: ; @_ZL13mul_mat_vec_qIfLi256ELi16E10block_q2_KLi1EXadL_ZL17vec_dot_q2_K_q8_1PKvPK10block_q8_1RKiEEEvS2_S2_PT_iii
; %bb.0:
	s_clause 0x1
	s_load_b32 s2, s[0:1], 0x34
	s_load_b128 s[4:7], s[0:1], 0x18
	v_bfe_u32 v3, v0, 10, 10
	s_waitcnt lgkmcnt(0)
	s_lshr_b32 s2, s2, 16
	s_cmp_lt_u32 s15, s6
	s_delay_alu instid0(VALU_DEP_1) | instskip(SKIP_1) | instid1(VALU_DEP_1)
	v_mad_u64_u32 v[1:2], null, s14, s2, v[3:4]
	s_cselect_b32 s2, -1, 0
	v_cmp_gt_u32_e32 vcc_lo, s5, v1
	s_and_b32 s2, s2, vcc_lo
	s_delay_alu instid0(SALU_CYCLE_1)
	s_and_saveexec_b32 s3, s2
	s_cbranch_execz .LBB63_7
; %bb.1:
	s_load_b64 s[6:7], s[0:1], 0x10
	v_dual_mov_b32 v3, 0 :: v_dual_and_b32 v0, 0x3ff, v0
	s_ashr_i32 s2, s4, 31
	s_mov_b32 s8, exec_lo
	s_lshr_b32 s2, s2, 24
	s_delay_alu instid0(VALU_DEP_1) | instskip(SKIP_1) | instid1(SALU_CYCLE_1)
	v_lshrrev_b32_e32 v8, 4, v0
	s_add_i32 s2, s4, s2
	s_ashr_i32 s9, s2, 8
	s_delay_alu instid0(VALU_DEP_1) | instid1(SALU_CYCLE_1)
	v_cmpx_gt_u32_e64 s9, v8
	s_cbranch_execz .LBB63_5
; %bb.2:
	v_dual_mov_b32 v3, 0 :: v_dual_and_b32 v4, 15, v0
	s_load_b128 s[0:3], s[0:1], 0x0
	s_addk_i32 s4, 0x1ff
	v_lshlrev_b32_e32 v12, 3, v8
	s_delay_alu instid0(VALU_DEP_2)
	v_add_nc_u32_e32 v2, -8, v4
	v_cmp_gt_u32_e32 vcc_lo, 8, v4
	s_ashr_i32 s10, s4, 31
	v_lshlrev_b32_e32 v10, 2, v4
	s_lshr_b32 s10, s10, 23
	v_mul_lo_u32 v9, v1, s9
	v_cndmask_b32_e32 v2, v2, v4, vcc_lo
	v_cmp_lt_u32_e32 vcc_lo, 7, v4
	s_add_i32 s4, s4, s10
	s_delay_alu instid0(SALU_CYCLE_1) | instskip(NEXT) | instid1(VALU_DEP_2)
	s_ashr_i32 s4, s4, 9
	v_sub_nc_u32_e32 v4, v4, v2
	v_cndmask_b32_e64 v5, 0, 1, vcc_lo
	v_cmp_lt_u32_e32 vcc_lo, 3, v2
	s_mul_i32 s4, s15, s4
	s_delay_alu instid0(SALU_CYCLE_1) | instskip(NEXT) | instid1(VALU_DEP_3)
	v_lshl_add_u32 v12, s4, 4, v12
	v_lshlrev_b32_e32 v6, 2, v5
	v_add_co_ci_u32_e32 v11, vcc_lo, 0, v4, vcc_lo
	s_waitcnt lgkmcnt(0)
	s_delay_alu instid0(VALU_DEP_2) | instskip(SKIP_1) | instid1(VALU_DEP_3)
	v_mad_u64_u32 v[4:5], null, v6, 36, s[2:3]
	v_lshlrev_b64 v[6:7], 2, v[2:3]
	v_ashrrev_i32_e32 v2, 31, v11
	s_mov_b32 s2, 0
.LBB63_3:                               ; =>This Inner Loop Header: Depth=1
	s_delay_alu instid0(VALU_DEP_3)
	v_mad_i64_i32 v[13:14], null, v12, 36, v[4:5]
	v_add_nc_u32_e32 v17, v9, v8
	v_add_nc_u32_e32 v8, 2, v8
	;; [unrolled: 1-line block ×3, first 2 shown]
	s_clause 0x2
	global_load_b32 v27, v[13:14], off
	global_load_b32 v28, v[13:14], off offset:36
	global_load_b32 v29, v[13:14], off offset:72
	v_mad_i64_i32 v[15:16], null, 0x54, v17, s[0:1]
	v_add_co_u32 v17, vcc_lo, v13, v6
	v_add_co_ci_u32_e32 v18, vcc_lo, v14, v7, vcc_lo
	v_add_co_u32 v21, vcc_lo, v13, 36
	v_add_co_ci_u32_e32 v22, vcc_lo, 0, v14, vcc_lo
	;; [unrolled: 2-line block ×5, first 2 shown]
	global_load_b32 v30, v[17:18], off offset:4
	v_add_co_u32 v17, vcc_lo, v21, v6
	v_add_co_ci_u32_e32 v18, vcc_lo, v22, v7, vcc_lo
	v_add_co_u32 v21, vcc_lo, v23, v6
	v_add_co_ci_u32_e32 v22, vcc_lo, v24, v7, vcc_lo
	;; [unrolled: 2-line block ×4, first 2 shown]
	s_clause 0x1
	global_load_b32 v19, v[19:20], off offset:16
	global_load_u8 v20, v[25:26], off
	global_load_b32 v17, v[17:18], off offset:4
	global_load_u8 v18, v[25:26], off offset:2
	global_load_b32 v21, v[21:22], off offset:4
	global_load_u8 v22, v[25:26], off offset:4
	global_load_b32 v23, v[23:24], off offset:4
	s_clause 0x1
	global_load_u8 v24, v[25:26], off offset:6
	global_load_b32 v15, v[15:16], off offset:80
	global_load_b32 v13, v[13:14], off offset:108
	v_cmp_le_u32_e32 vcc_lo, s9, v8
	s_or_b32 s2, vcc_lo, s2
	s_waitcnt vmcnt(10)
	v_bfe_i32 v25, v30, 16, 8
	v_ashrrev_i32_e32 v26, 24, v30
	v_bfe_i32 v14, v30, 0, 8
	v_bfe_i32 v16, v30, 8, 8
	v_perm_b32 v30, v30, v30, 0xc0c0201
	s_waitcnt vmcnt(9)
	v_bfe_u32 v33, v19, 16, 2
	v_bfe_u32 v34, v19, 24, 2
	s_waitcnt vmcnt(8)
	v_and_b32_e32 v35, 15, v20
	v_lshrrev_b32_e32 v20, 4, v20
	v_and_b32_e32 v31, 3, v19
	v_ashrrev_i32_e32 v36, 2, v19
	v_ashrrev_i32_e32 v42, 4, v19
	s_waitcnt vmcnt(6)
	v_and_b32_e32 v41, 15, v18
	v_lshrrev_b32_e32 v18, 4, v18
	v_mul_i32_i24_e32 v25, v25, v33
	v_mul_i32_i24_e32 v33, v26, v34
	v_mul_lo_u32 v34, 0x1010101, v20
	v_bfe_u32 v32, v19, 8, 2
	v_bfe_i32 v37, v17, 0, 8
	s_waitcnt vmcnt(5)
	v_bfe_i32 v45, v21, 16, 8
	v_ashrrev_i32_e32 v19, 6, v19
	v_mul_i32_i24_e32 v31, v14, v31
	v_mul_i32_i24_e32 v14, v20, v14
	v_and_b32_e32 v20, 3, v36
	v_bfe_u32 v59, v42, 16, 2
	s_waitcnt vmcnt(4)
	v_and_b32_e32 v47, 15, v22
	v_lshrrev_b32_e32 v22, 4, v22
	v_mul_lo_u32 v56, 0x1010101, v18
	v_ashrrev_i32_e32 v40, 24, v17
	v_bfe_i32 v43, v21, 0, 8
	s_waitcnt vmcnt(3)
	v_bfe_i32 v50, v23, 16, 8
	v_bfe_u32 v54, v36, 8, 2
	v_bfe_u32 v55, v36, 16, 2
	;; [unrolled: 1-line block ×3, first 2 shown]
	v_mul_i32_i24_e32 v18, v18, v37
	v_and_b32_e32 v57, 3, v42
	v_bfe_u32 v63, v19, 16, 2
	v_mul_i32_i24_e32 v20, v37, v20
	v_mul_i32_i24_e32 v37, v45, v59
	v_lshrrev_b32_e32 v45, 24, v34
	v_perm_b32 v34, v34, v34, 0xc0c0201
	v_bfe_i32 v38, v17, 8, 8
	v_bfe_i32 v39, v17, 16, 8
	s_waitcnt vmcnt(2)
	v_and_b32_e32 v52, 15, v24
	v_lshrrev_b32_e32 v24, 4, v24
	v_mul_lo_u32 v60, 0x1010101, v22
	v_mad_i32_i24 v16, v16, v32, v31
	v_perm_b32 v17, v17, v17, 0xc0c0201
	v_ashrrev_i32_e32 v46, 24, v21
	v_bfe_i32 v48, v23, 0, 8
	v_bfe_u32 v58, v42, 8, 2
	v_bfe_u32 v42, v42, 24, 2
	v_mul_i32_i24_e32 v22, v22, v43
	v_and_b32_e32 v61, 3, v19
	v_mul_i32_i24_e32 v32, v40, v36
	v_mul_i32_i24_e32 v36, v43, v57
	;; [unrolled: 1-line block ×3, first 2 shown]
	v_perm_b32 v50, v56, v56, 0xc0c0201
	v_dot4_i32_iu8 v14, v34, v30, v14 neg_lo:[1,1,0]
	v_bfe_i32 v44, v21, 8, 8
	v_mul_lo_u32 v64, 0x1010101, v24
	v_mul_i32_i24_e32 v31, v39, v55
	v_add3_u32 v16, v16, v25, v33
	v_mad_i32_i24 v20, v38, v54, v20
	v_perm_b32 v21, v21, v21, 0xc0c0201
	v_mul_i32_i24_e32 v24, v24, v48
	v_mul_i32_i24_e32 v39, v46, v42
	v_mul_i32_i24_e32 v42, v48, v61
	v_lshrrev_b32_e32 v48, 24, v56
	v_perm_b32 v56, v60, v60, 0xc0c0201
	v_dot4_i32_iu8 v17, v50, v17, v18 neg_lo:[1,1,0]
	v_mad_i32_i24 v14, v45, v26, v14
	v_bfe_i32 v49, v23, 8, 8
	v_ashrrev_i32_e32 v51, 24, v23
	v_bfe_u32 v62, v19, 8, 2
	v_bfe_u32 v19, v19, 24, 2
	v_mad_i32_i24 v25, v44, v58, v36
	v_mul_lo_u32 v16, v35, v16
	v_add3_u32 v20, v20, v31, v32
	v_perm_b32 v23, v23, v23, 0xc0c0201
	v_lshrrev_b32_e32 v55, 24, v60
	v_perm_b32 v59, v64, v64, 0xc0c0201
	v_dot4_i32_iu8 v18, v56, v21, v22 neg_lo:[1,1,0]
	v_mad_i32_i24 v17, v48, v40, v17
	v_cvt_f32_i32_e32 v14, v14
	v_mul_i32_i24_e32 v19, v51, v19
	v_mad_i32_i24 v33, v49, v62, v42
	v_add3_u32 v22, v25, v37, v39
	v_mul_lo_u32 v20, v41, v20
	v_lshrrev_b32_e32 v57, 24, v64
	v_dot4_i32_iu8 v21, v59, v23, v24 neg_lo:[1,1,0]
	v_mad_i32_i24 v18, v55, v46, v18
	v_cvt_f32_i32_e32 v16, v16
	v_cvt_f32_i32_e32 v17, v17
	v_fma_mix_f32 v14, v27, v14, 0 op_sel_hi:[1,0,0]
	v_add3_u32 v19, v33, v43, v19
	v_mul_lo_u32 v22, v47, v22
	v_mad_i32_i24 v21, v57, v51, v21
	v_cvt_f32_i32_e32 v18, v18
	v_fma_mix_f32 v16, v27, v16, 0 op_sel_hi:[1,0,0]
	v_cvt_f32_i32_e32 v20, v20
	v_fma_mix_f32 v14, v28, v17, v14 op_sel_hi:[1,0,0]
	v_mul_lo_u32 v17, v52, v19
	s_waitcnt vmcnt(1)
	v_lshrrev_b32_e32 v53, 16, v15
	v_cvt_f32_i32_e32 v19, v21
	v_cvt_f32_i32_e32 v21, v22
	v_fma_mix_f32 v16, v28, v20, v16 op_sel_hi:[1,0,0]
	v_fma_mix_f32 v14, v29, v18, v14 op_sel_hi:[1,0,0]
	v_cvt_f32_f16_e32 v18, v53
	v_cvt_f32_i32_e32 v17, v17
	s_delay_alu instid0(VALU_DEP_4) | instskip(SKIP_2) | instid1(VALU_DEP_2)
	v_fma_mix_f32 v16, v29, v21, v16 op_sel_hi:[1,0,0]
	s_waitcnt vmcnt(0)
	v_fma_mix_f32 v14, v13, v19, v14 op_sel_hi:[1,0,0]
	v_fma_mix_f32 v13, v13, v17, v16 op_sel_hi:[1,0,0]
	s_delay_alu instid0(VALU_DEP_2) | instskip(NEXT) | instid1(VALU_DEP_1)
	v_mul_f32_e32 v14, v14, v18
	v_fma_mix_f32 v13, v13, v15, -v14 op_sel_hi:[0,1,0]
	s_delay_alu instid0(VALU_DEP_1)
	v_add_f32_e32 v3, v3, v13
	s_and_not1_b32 exec_lo, exec_lo, s2
	s_cbranch_execnz .LBB63_3
; %bb.4:
	s_or_b32 exec_lo, exec_lo, s2
.LBB63_5:
	s_delay_alu instid0(SALU_CYCLE_1) | instskip(SKIP_1) | instid1(VALU_DEP_1)
	s_or_b32 exec_lo, exec_lo, s8
	v_mbcnt_lo_u32_b32 v2, -1, 0
	v_xor_b32_e32 v4, 16, v2
	v_xor_b32_e32 v5, 8, v2
	s_delay_alu instid0(VALU_DEP_2) | instskip(SKIP_1) | instid1(VALU_DEP_3)
	v_cmp_gt_i32_e32 vcc_lo, 32, v4
	v_cndmask_b32_e32 v4, v2, v4, vcc_lo
	v_cmp_gt_i32_e32 vcc_lo, 32, v5
	v_cndmask_b32_e32 v5, v2, v5, vcc_lo
	s_delay_alu instid0(VALU_DEP_1) | instskip(NEXT) | instid1(VALU_DEP_4)
	v_lshlrev_b32_e32 v5, 2, v5
	v_lshlrev_b32_e32 v4, 2, v4
	ds_bpermute_b32 v4, v4, v3
	s_waitcnt lgkmcnt(0)
	v_add_f32_e32 v3, v3, v4
	ds_bpermute_b32 v4, v5, v3
	v_xor_b32_e32 v5, 4, v2
	s_delay_alu instid0(VALU_DEP_1) | instskip(SKIP_1) | instid1(VALU_DEP_1)
	v_cmp_gt_i32_e32 vcc_lo, 32, v5
	v_cndmask_b32_e32 v5, v2, v5, vcc_lo
	v_lshlrev_b32_e32 v5, 2, v5
	s_waitcnt lgkmcnt(0)
	v_add_f32_e32 v3, v3, v4
	ds_bpermute_b32 v4, v5, v3
	v_xor_b32_e32 v5, 2, v2
	s_delay_alu instid0(VALU_DEP_1) | instskip(SKIP_1) | instid1(VALU_DEP_1)
	v_cmp_gt_i32_e32 vcc_lo, 32, v5
	v_cndmask_b32_e32 v5, v2, v5, vcc_lo
	v_lshlrev_b32_e32 v5, 2, v5
	s_waitcnt lgkmcnt(0)
	v_add_f32_e32 v3, v3, v4
	ds_bpermute_b32 v4, v5, v3
	v_xor_b32_e32 v5, 1, v2
	s_delay_alu instid0(VALU_DEP_1) | instskip(SKIP_3) | instid1(VALU_DEP_2)
	v_cmp_gt_i32_e32 vcc_lo, 32, v5
	v_cndmask_b32_e32 v5, v2, v5, vcc_lo
	v_cmp_eq_u32_e32 vcc_lo, 0, v0
	s_waitcnt lgkmcnt(0)
	v_dual_add_f32 v2, v3, v4 :: v_dual_lshlrev_b32 v3, 2, v5
	ds_bpermute_b32 v3, v3, v2
	s_and_b32 exec_lo, exec_lo, vcc_lo
	s_cbranch_execz .LBB63_7
; %bb.6:
	v_mad_u64_u32 v[4:5], null, s15, s5, v[1:2]
	s_waitcnt lgkmcnt(0)
	v_dual_mov_b32 v5, 0 :: v_dual_add_f32 v2, v2, v3
	s_delay_alu instid0(VALU_DEP_1) | instskip(NEXT) | instid1(VALU_DEP_1)
	v_lshlrev_b64 v[0:1], 2, v[4:5]
	v_add_co_u32 v0, vcc_lo, s6, v0
	s_delay_alu instid0(VALU_DEP_2)
	v_add_co_ci_u32_e32 v1, vcc_lo, s7, v1, vcc_lo
	global_store_b32 v[0:1], v2, off
.LBB63_7:
	s_nop 0
	s_sendmsg sendmsg(MSG_DEALLOC_VGPRS)
	s_endpgm
	.section	.rodata,"a",@progbits
	.p2align	6, 0x0
	.amdhsa_kernel _ZL13mul_mat_vec_qIfLi256ELi16E10block_q2_KLi1EXadL_ZL17vec_dot_q2_K_q8_1PKvPK10block_q8_1RKiEEEvS2_S2_PT_iii
		.amdhsa_group_segment_fixed_size 0
		.amdhsa_private_segment_fixed_size 0
		.amdhsa_kernarg_size 296
		.amdhsa_user_sgpr_count 14
		.amdhsa_user_sgpr_dispatch_ptr 0
		.amdhsa_user_sgpr_queue_ptr 0
		.amdhsa_user_sgpr_kernarg_segment_ptr 1
		.amdhsa_user_sgpr_dispatch_id 0
		.amdhsa_user_sgpr_private_segment_size 0
		.amdhsa_wavefront_size32 1
		.amdhsa_uses_dynamic_stack 0
		.amdhsa_enable_private_segment 0
		.amdhsa_system_sgpr_workgroup_id_x 1
		.amdhsa_system_sgpr_workgroup_id_y 1
		.amdhsa_system_sgpr_workgroup_id_z 0
		.amdhsa_system_sgpr_workgroup_info 0
		.amdhsa_system_vgpr_workitem_id 1
		.amdhsa_next_free_vgpr 65
		.amdhsa_next_free_sgpr 16
		.amdhsa_reserve_vcc 1
		.amdhsa_float_round_mode_32 0
		.amdhsa_float_round_mode_16_64 0
		.amdhsa_float_denorm_mode_32 3
		.amdhsa_float_denorm_mode_16_64 3
		.amdhsa_dx10_clamp 1
		.amdhsa_ieee_mode 1
		.amdhsa_fp16_overflow 0
		.amdhsa_workgroup_processor_mode 1
		.amdhsa_memory_ordered 1
		.amdhsa_forward_progress 0
		.amdhsa_shared_vgpr_count 0
		.amdhsa_exception_fp_ieee_invalid_op 0
		.amdhsa_exception_fp_denorm_src 0
		.amdhsa_exception_fp_ieee_div_zero 0
		.amdhsa_exception_fp_ieee_overflow 0
		.amdhsa_exception_fp_ieee_underflow 0
		.amdhsa_exception_fp_ieee_inexact 0
		.amdhsa_exception_int_div_zero 0
	.end_amdhsa_kernel
	.section	.text._ZL13mul_mat_vec_qIfLi256ELi16E10block_q2_KLi1EXadL_ZL17vec_dot_q2_K_q8_1PKvPK10block_q8_1RKiEEEvS2_S2_PT_iii,"axG",@progbits,_ZL13mul_mat_vec_qIfLi256ELi16E10block_q2_KLi1EXadL_ZL17vec_dot_q2_K_q8_1PKvPK10block_q8_1RKiEEEvS2_S2_PT_iii,comdat
.Lfunc_end63:
	.size	_ZL13mul_mat_vec_qIfLi256ELi16E10block_q2_KLi1EXadL_ZL17vec_dot_q2_K_q8_1PKvPK10block_q8_1RKiEEEvS2_S2_PT_iii, .Lfunc_end63-_ZL13mul_mat_vec_qIfLi256ELi16E10block_q2_KLi1EXadL_ZL17vec_dot_q2_K_q8_1PKvPK10block_q8_1RKiEEEvS2_S2_PT_iii
                                        ; -- End function
	.section	.AMDGPU.csdata,"",@progbits
; Kernel info:
; codeLenInByte = 1676
; NumSgprs: 18
; NumVgprs: 65
; ScratchSize: 0
; MemoryBound: 0
; FloatMode: 240
; IeeeMode: 1
; LDSByteSize: 0 bytes/workgroup (compile time only)
; SGPRBlocks: 2
; VGPRBlocks: 8
; NumSGPRsForWavesPerEU: 18
; NumVGPRsForWavesPerEU: 65
; Occupancy: 16
; WaveLimiterHint : 0
; COMPUTE_PGM_RSRC2:SCRATCH_EN: 0
; COMPUTE_PGM_RSRC2:USER_SGPR: 14
; COMPUTE_PGM_RSRC2:TRAP_HANDLER: 0
; COMPUTE_PGM_RSRC2:TGID_X_EN: 1
; COMPUTE_PGM_RSRC2:TGID_Y_EN: 1
; COMPUTE_PGM_RSRC2:TGID_Z_EN: 0
; COMPUTE_PGM_RSRC2:TIDIG_COMP_CNT: 1
	.section	.text._ZL13mul_mat_vec_qIfLi256ELi16E10block_q3_KLi1EXadL_ZL17vec_dot_q3_K_q8_1PKvPK10block_q8_1RKiEEEvS2_S2_PT_iii,"axG",@progbits,_ZL13mul_mat_vec_qIfLi256ELi16E10block_q3_KLi1EXadL_ZL17vec_dot_q3_K_q8_1PKvPK10block_q8_1RKiEEEvS2_S2_PT_iii,comdat
	.globl	_ZL13mul_mat_vec_qIfLi256ELi16E10block_q3_KLi1EXadL_ZL17vec_dot_q3_K_q8_1PKvPK10block_q8_1RKiEEEvS2_S2_PT_iii ; -- Begin function _ZL13mul_mat_vec_qIfLi256ELi16E10block_q3_KLi1EXadL_ZL17vec_dot_q3_K_q8_1PKvPK10block_q8_1RKiEEEvS2_S2_PT_iii
	.p2align	8
	.type	_ZL13mul_mat_vec_qIfLi256ELi16E10block_q3_KLi1EXadL_ZL17vec_dot_q3_K_q8_1PKvPK10block_q8_1RKiEEEvS2_S2_PT_iii,@function
_ZL13mul_mat_vec_qIfLi256ELi16E10block_q3_KLi1EXadL_ZL17vec_dot_q3_K_q8_1PKvPK10block_q8_1RKiEEEvS2_S2_PT_iii: ; @_ZL13mul_mat_vec_qIfLi256ELi16E10block_q3_KLi1EXadL_ZL17vec_dot_q3_K_q8_1PKvPK10block_q8_1RKiEEEvS2_S2_PT_iii
; %bb.0:
	s_clause 0x1
	s_load_b32 s2, s[0:1], 0x34
	s_load_b128 s[4:7], s[0:1], 0x18
	v_bfe_u32 v3, v0, 10, 10
	s_waitcnt lgkmcnt(0)
	s_lshr_b32 s2, s2, 16
	s_cmp_lt_u32 s15, s6
	s_delay_alu instid0(VALU_DEP_1) | instskip(SKIP_1) | instid1(VALU_DEP_1)
	v_mad_u64_u32 v[1:2], null, s14, s2, v[3:4]
	s_cselect_b32 s2, -1, 0
	v_cmp_gt_u32_e32 vcc_lo, s5, v1
	s_and_b32 s2, s2, vcc_lo
	s_delay_alu instid0(SALU_CYCLE_1)
	s_and_saveexec_b32 s3, s2
	s_cbranch_execz .LBB64_7
; %bb.1:
	s_load_b64 s[6:7], s[0:1], 0x10
	v_dual_mov_b32 v3, 0 :: v_dual_and_b32 v0, 0x3ff, v0
	s_ashr_i32 s2, s4, 31
	s_mov_b32 s8, exec_lo
	s_lshr_b32 s2, s2, 24
	s_delay_alu instid0(VALU_DEP_1) | instskip(SKIP_1) | instid1(SALU_CYCLE_1)
	v_lshrrev_b32_e32 v8, 4, v0
	s_add_i32 s2, s4, s2
	s_ashr_i32 s9, s2, 8
	s_delay_alu instid0(VALU_DEP_1) | instid1(SALU_CYCLE_1)
	v_cmpx_gt_u32_e64 s9, v8
	s_cbranch_execz .LBB64_5
; %bb.2:
	v_and_b32_e32 v4, 15, v0
	s_load_b128 s[0:3], s[0:1], 0x0
	s_addk_i32 s4, 0x1ff
	v_lshlrev_b32_e32 v35, 3, v8
	s_ashr_i32 s10, s4, 31
	v_add_nc_u32_e32 v2, -8, v4
	v_cmp_gt_u32_e32 vcc_lo, 8, v4
	s_lshr_b32 s10, s10, 23
	v_mul_lo_u32 v9, v1, s9
	s_add_i32 s4, s4, s10
	v_cndmask_b32_e32 v2, v2, v4, vcc_lo
	s_ashr_i32 s4, s4, 9
	s_delay_alu instid0(SALU_CYCLE_1) | instskip(NEXT) | instid1(VALU_DEP_1)
	s_mul_i32 s4, s15, s4
	v_sub_nc_u32_e32 v3, v4, v2
	v_cmp_lt_u32_e32 vcc_lo, 3, v2
	v_lshl_add_u32 v35, s4, 4, v35
	s_delay_alu instid0(VALU_DEP_3) | instskip(SKIP_3) | instid1(VALU_DEP_4)
	v_add_co_ci_u32_e32 v6, vcc_lo, 0, v3, vcc_lo
	v_mov_b32_e32 v3, 0
	v_cmp_lt_u32_e32 vcc_lo, 7, v4
	v_lshlrev_b32_e32 v10, 2, v4
	v_bfe_i32 v7, v6, 0, 8
	v_add_nc_u16 v20, v6, 2
	v_add_nc_u16 v26, v6, 4
	v_cndmask_b32_e64 v5, 0, 1, vcc_lo
	v_add_nc_u16 v29, v6, 6
	v_lshrrev_b16 v4, 7, v7
	v_bfe_i32 v7, v20, 0, 8
	v_bfe_i32 v12, v26, 0, 8
	v_lshlrev_b32_e32 v11, 2, v5
	v_bfe_i32 v23, v29, 0, 8
	v_and_b32_e32 v13, 0xff, v4
	v_lshrrev_b16 v7, 7, v7
	v_lshlrev_b64 v[4:5], 2, v[2:3]
	v_lshrrev_b16 v2, 7, v12
	v_lshrrev_b16 v23, 7, v23
	;; [unrolled: 1-line block ×4, first 2 shown]
	v_and_b32_e32 v7, 0xff, v7
	v_and_b32_e32 v21, 0xff, v2
	;; [unrolled: 1-line block ×3, first 2 shown]
	v_add_nc_u16 v2, v6, v12
	v_add_nc_u16 v12, v6, v13
	v_lshrrev_b16 v13, 5, v7
	v_lshrrev_b16 v7, 6, v7
	;; [unrolled: 1-line block ×3, first 2 shown]
	v_bfe_i32 v15, v2, 0, 8
	v_and_b32_e32 v2, 0xf8, v2
	v_bfe_i32 v16, v12, 0, 8
	v_and_b32_e32 v12, 0xfc, v12
	v_add_nc_u16 v13, v20, v13
	v_add_nc_u16 v7, v20, v7
	;; [unrolled: 1-line block ×3, first 2 shown]
	v_lshrrev_b16 v14, 3, v15
	v_sub_nc_u16 v2, v6, v2
	v_ashrrev_i16 v15, 2, v16
	v_sub_nc_u16 v6, v6, v12
	v_bfe_i32 v12, v13, 0, 8
	v_bfe_i32 v16, v7, 0, 8
	v_and_b32_e32 v13, 0xf8, v13
	v_bfe_i32 v17, v15, 0, 16
	v_and_b32_e32 v7, 0xfc, v7
	v_lshrrev_b16 v15, 3, v12
	v_bfe_i32 v12, v6, 0, 8
	v_ashrrev_i16 v6, 2, v16
	v_bfe_i32 v24, v22, 0, 8
	v_lshrrev_b16 v21, 6, v21
	v_sub_nc_u16 v18, v20, v13
	v_sub_nc_u16 v7, v20, v7
	v_bfe_i32 v6, v6, 0, 16
	v_lshrrev_b16 v25, 5, v28
	v_add_nc_u16 v27, v26, v21
	v_lshrrev_b16 v28, 6, v28
	v_bfe_i32 v21, v7, 0, 8
	v_lshlrev_b32_e32 v20, 1, v6
	v_lshrrev_b16 v6, 3, v24
	v_bfe_i32 v7, v27, 0, 8
	v_and_b32_e32 v22, 0xf8, v22
	v_and_b32_e32 v27, 0xfc, v27
	v_add_nc_u16 v28, v29, v28
	v_and_b32_e32 v6, 0xff, v6
	v_and_b32_e32 v14, 0xff, v14
	v_sub_nc_u16 v22, v26, v22
	v_sub_nc_u16 v27, v26, v27
	v_and_b32_e32 v31, 0xfc, v28
	v_lshlrev_b32_e32 v24, 2, v6
	v_lshrrev_b16 v6, 2, v7
	v_add_nc_u16 v7, v29, v25
	v_bfe_i32 v2, v2, 0, 8
	v_sub_nc_u16 v32, v29, v31
	v_lshlrev_b32_e32 v13, 2, v14
	v_and_b32_e32 v6, 0xff, v6
	v_bfe_i32 v30, v7, 0, 8
	v_and_b32_e32 v7, 0xf8, v7
	v_and_b32_e32 v19, 0xff, v15
	v_bfe_i32 v14, v18, 0, 8
	v_lshlrev_b32_e32 v26, 1, v6
	v_lshrrev_b16 v6, 3, v30
	v_sub_nc_u16 v7, v29, v7
	v_bfe_i32 v30, v28, 0, 8
	v_bfe_i32 v22, v22, 0, 8
	;; [unrolled: 1-line block ×3, first 2 shown]
	v_and_b32_e32 v6, 0xff, v6
	v_bfe_i32 v28, v7, 0, 8
	v_lshrrev_b16 v7, 2, v30
	v_bfe_i32 v32, v32, 0, 8
	v_ashrrev_i32_e32 v15, 31, v2
	v_lshlrev_b32_e32 v30, 2, v6
	v_lshlrev_b32_e32 v16, 1, v17
	v_and_b32_e32 v33, 0xff, v7
	s_waitcnt lgkmcnt(0)
	v_mad_u64_u32 v[6:7], null, v11, 36, s[2:3]
	v_ashrrev_i32_e32 v17, 31, v12
	v_lshlrev_b32_e32 v18, 2, v19
	v_ashrrev_i32_e32 v19, 31, v14
	v_ashrrev_i32_e32 v23, 31, v21
	v_ashrrev_i32_e32 v25, 31, v22
	v_ashrrev_i32_e32 v29, 31, v27
	v_ashrrev_i32_e32 v31, 31, v28
	v_lshlrev_b32_e32 v33, 1, v33
	v_ashrrev_i32_e32 v34, 31, v32
	s_mov_b32 s2, 0
.LBB64_3:                               ; =>This Inner Loop Header: Depth=1
	v_mad_i64_i32 v[36:37], null, v35, 36, v[6:7]
	v_add_nc_u32_e32 v40, v9, v8
	v_add_nc_u32_e32 v8, 2, v8
	;; [unrolled: 1-line block ×3, first 2 shown]
	s_delay_alu instid0(VALU_DEP_3)
	v_mad_i64_i32 v[38:39], null, 0x6e, v40, s[0:1]
	v_add_co_u32 v40, vcc_lo, v36, v4
	v_add_co_ci_u32_e32 v41, vcc_lo, v37, v5, vcc_lo
	v_add_co_u32 v46, vcc_lo, v36, 36
	v_add_co_ci_u32_e32 v47, vcc_lo, 0, v37, vcc_lo
	;; [unrolled: 2-line block ×6, first 2 shown]
	global_load_b32 v65, v[40:41], off offset:4
	v_add_co_u32 v40, vcc_lo, v46, v4
	v_add_co_ci_u32_e32 v41, vcc_lo, v47, v5, vcc_lo
	v_add_co_u32 v46, vcc_lo, v48, v4
	v_add_co_ci_u32_e32 v47, vcc_lo, v49, v5, vcc_lo
	;; [unrolled: 2-line block ×9, first 2 shown]
	global_load_u16 v64, v[38:39], off offset:108
	v_add_co_u32 v38, vcc_lo, v38, v32
	v_add_co_ci_u32_e32 v39, vcc_lo, v39, v34, vcc_lo
	s_clause 0x5
	global_load_b32 v44, v[44:45], off
	global_load_u8 v45, v[48:49], off offset:96
	global_load_u8 v48, v[50:51], off offset:104
	global_load_b32 v42, v[42:43], off offset:32
	global_load_u8 v43, v[52:53], off offset:96
	global_load_u8 v49, v[54:55], off offset:104
	global_load_b32 v40, v[40:41], off offset:4
	s_clause 0x3
	global_load_u8 v41, v[56:57], off offset:96
	global_load_u8 v50, v[58:59], off offset:104
	;; [unrolled: 1-line block ×4, first 2 shown]
	global_load_b32 v46, v[46:47], off offset:4
	v_add_co_u32 v38, vcc_lo, v62, v4
	v_add_co_ci_u32_e32 v39, vcc_lo, v63, v5, vcc_lo
	s_clause 0x4
	global_load_b32 v38, v[38:39], off offset:4
	global_load_b32 v39, v[36:37], off
	global_load_b32 v47, v[36:37], off offset:36
	global_load_b32 v53, v[36:37], off offset:72
	global_load_b32 v36, v[36:37], off offset:108
	v_cmp_le_u32_e32 vcc_lo, s9, v8
	s_or_b32 s2, vcc_lo, s2
	s_waitcnt vmcnt(18)
	v_perm_b32 v37, v65, v65, 0x30201
	s_waitcnt vmcnt(16)
	v_ashrrev_i32_e32 v44, v11, v44
	s_waitcnt vmcnt(15)
	v_bfe_u32 v45, v45, v13, 4
	s_waitcnt vmcnt(14)
	v_lshrrev_b32_e32 v48, v16, v48
	s_waitcnt vmcnt(13)
	v_lshrrev_b32_e32 v57, 4, v42
	v_and_b32_e32 v54, 0x3030303, v42
	v_not_b32_e32 v44, v44
	s_waitcnt vmcnt(11)
	v_lshrrev_b32_e32 v49, v20, v49
	v_lshlrev_b32_e32 v48, 4, v48
	s_waitcnt vmcnt(8)
	v_lshrrev_b32_e32 v50, v26, v50
	v_lshrrev_b32_e32 v56, 2, v42
	v_bfe_u32 v41, v41, v24, 4
	s_waitcnt vmcnt(6)
	v_lshrrev_b32_e32 v52, v33, v52
	v_and_or_b32 v45, v48, 48, v45
	v_lshlrev_b32_e32 v48, 2, v44
	v_lshrrev_b32_e32 v58, 6, v42
	v_lshlrev_b32_e32 v50, 4, v50
	v_and_b32_e32 v62, 0x3030303, v57
	v_lshlrev_b32_e32 v65, 1, v44
	v_and_b32_e32 v67, 0x4040404, v44
	v_lshrrev_b32_e32 v44, 1, v44
	v_and_b32_e32 v48, 0x4040404, v48
	v_bfe_u32 v55, v42, 24, 2
	v_bfe_u32 v43, v43, v18, 4
	;; [unrolled: 1-line block ×3, first 2 shown]
	v_lshrrev_b16 v59, 8, v54
	v_lshrrev_b32_e32 v60, 16, v54
	v_lshlrev_b32_e32 v49, 4, v49
	v_and_b32_e32 v61, 0x3030303, v56
	v_bfe_u32 v57, v57, 24, 2
	v_lshlrev_b32_e32 v52, 4, v52
	v_and_b32_e32 v58, 0x3030303, v58
	v_and_or_b32 v41, v50, 48, v41
	v_lshrrev_b16 v50, 8, v62
	v_lshrrev_b32_e32 v66, 16, v62
	v_and_b32_e32 v65, 0x4040404, v65
	v_lshrrev_b16 v69, 8, v67
	v_lshrrev_b32_e32 v70, 16, v67
	v_lshrrev_b32_e32 v71, 24, v67
	v_sub_nc_u16 v62, v62, v67
	v_and_b32_e32 v44, 0x4040404, v44
	v_lshrrev_b16 v67, 8, v48
	v_lshrrev_b32_e32 v72, 16, v48
	v_lshrrev_b32_e32 v73, 24, v48
	v_bfe_u32 v56, v56, 24, 2
	v_and_or_b32 v43, v49, 48, v43
	v_lshrrev_b16 v49, 8, v61
	v_lshrrev_b32_e32 v63, 16, v61
	v_and_or_b32 v51, v52, 48, v51
	v_lshrrev_b16 v52, 8, v58
	v_lshrrev_b32_e32 v68, 16, v58
	v_sub_nc_u16 v48, v54, v48
	v_lshrrev_b16 v54, 8, v65
	v_lshrrev_b32_e32 v74, 16, v65
	v_lshrrev_b32_e32 v75, 24, v65
	v_sub_nc_u16 v61, v61, v65
	v_sub_nc_u16 v57, v57, v71
	;; [unrolled: 1-line block ×4, first 2 shown]
	v_lshrrev_b16 v69, 8, v44
	v_lshrrev_b32_e32 v70, 16, v44
	v_lshrrev_b32_e32 v71, 24, v44
	v_sub_nc_u16 v44, v58, v44
	v_sub_nc_u16 v55, v55, v73
	;; [unrolled: 1-line block ×4, first 2 shown]
	v_lshrrev_b32_e32 v42, 30, v42
	v_and_b32_e32 v60, 0xff, v48
	v_sub_nc_u16 v56, v56, v75
	v_sub_nc_u16 v63, v63, v74
	;; [unrolled: 1-line block ×3, first 2 shown]
	v_lshlrev_b16 v54, 8, v57
	v_and_b32_e32 v57, 0xff, v65
	v_sub_nc_u16 v52, v52, v69
	v_lshlrev_b16 v55, 8, v55
	v_and_b32_e32 v69, 0xff, v58
	v_lshlrev_b16 v59, 8, v59
	v_and_b32_e32 v67, 0xff, v61
	v_sub_nc_u16 v42, v42, v71
	v_lshlrev_b16 v56, 8, v56
	v_and_b32_e32 v71, 0xff, v63
	v_lshlrev_b16 v49, 8, v49
	v_or_b32_e32 v54, v57, v54
	v_or_b32_e32 v57, v60, v59
	;; [unrolled: 1-line block ×3, first 2 shown]
	v_and_b32_e32 v66, 0xff, v62
	v_lshlrev_b16 v50, 8, v50
	v_sub_nc_u16 v68, v68, v70
	v_or_b32_e32 v56, v71, v56
	v_or_b32_e32 v49, v67, v49
	v_perm_b32 v57, v58, v57, 0xc0c0401
	v_perm_b32 v48, v48, v55, 0x4010c0c
	v_and_b32_e32 v70, 0xff, v44
	v_or_b32_e32 v50, v66, v50
	v_lshlrev_b16 v42, 8, v42
	v_and_b32_e32 v59, 0xff, v68
	v_lshlrev_b16 v52, 8, v52
	v_perm_b32 v49, v63, v49, 0xc0c0401
	v_perm_b32 v55, v61, v56, 0x4010c0c
	v_or_b32_e32 v48, v48, v57
	v_perm_b32 v40, v40, v40, 0x30201
	v_subrev_nc_u32_e32 v45, 32, v45
	v_perm_b32 v50, v65, v50, 0xc0c0401
	v_perm_b32 v54, v62, v54, 0x4010c0c
	v_or_b32_e32 v52, v70, v52
	v_or_b32_e32 v42, v59, v42
	;; [unrolled: 1-line block ×3, first 2 shown]
	v_dot4_i32_iu8 v37, v48, v37, 0 neg_lo:[1,1,0]
	s_waitcnt vmcnt(5)
	v_perm_b32 v46, v46, v46, 0x30201
	v_subrev_nc_u32_e32 v43, 32, v43
	v_or_b32_e32 v48, v54, v50
	v_perm_b32 v44, v52, v44, 0xc0c0500
	v_perm_b32 v42, v42, v68, 0x5000c0c
	v_dot4_i32_iu8 v40, v49, v40, 0 neg_lo:[1,1,0]
	v_mul_lo_u32 v37, v45, v37
	v_subrev_nc_u32_e32 v41, 32, v41
	v_dot4_i32_iu8 v45, v48, v46, 0 neg_lo:[1,1,0]
	v_or_b32_e32 v42, v42, v44
	v_mul_lo_u32 v40, v43, v40
	v_subrev_nc_u32_e32 v43, 32, v51
	s_delay_alu instid0(VALU_DEP_4)
	v_mul_lo_u32 v41, v41, v45
	v_cvt_f32_i32_e32 v37, v37
	s_waitcnt vmcnt(4)
	v_dot4_i32_iu8 v38, v38, v42, 0 neg_lo:[1,1,0]
	v_cvt_f32_i32_e32 v40, v40
	s_waitcnt vmcnt(3)
	v_fma_mix_f32 v37, v39, v37, 0 op_sel_hi:[1,0,0]
	s_delay_alu instid0(VALU_DEP_3) | instskip(SKIP_2) | instid1(VALU_DEP_3)
	v_mul_lo_u32 v38, v43, v38
	v_cvt_f32_i32_e32 v39, v41
	s_waitcnt vmcnt(2)
	v_fma_mix_f32 v37, v47, v40, v37 op_sel_hi:[1,0,0]
	s_delay_alu instid0(VALU_DEP_3) | instskip(SKIP_1) | instid1(VALU_DEP_2)
	v_cvt_f32_i32_e32 v38, v38
	s_waitcnt vmcnt(1)
	v_fma_mix_f32 v37, v53, v39, v37 op_sel_hi:[1,0,0]
	s_waitcnt vmcnt(0)
	s_delay_alu instid0(VALU_DEP_1) | instskip(NEXT) | instid1(VALU_DEP_1)
	v_fma_mix_f32 v36, v36, v38, v37 op_sel_hi:[1,0,0]
	v_fma_mix_f32 v3, v36, v64, v3 op_sel_hi:[0,1,0]
	s_and_not1_b32 exec_lo, exec_lo, s2
	s_cbranch_execnz .LBB64_3
; %bb.4:
	s_or_b32 exec_lo, exec_lo, s2
.LBB64_5:
	s_delay_alu instid0(SALU_CYCLE_1) | instskip(SKIP_1) | instid1(VALU_DEP_1)
	s_or_b32 exec_lo, exec_lo, s8
	v_mbcnt_lo_u32_b32 v2, -1, 0
	v_xor_b32_e32 v4, 16, v2
	v_xor_b32_e32 v5, 8, v2
	s_delay_alu instid0(VALU_DEP_2) | instskip(SKIP_1) | instid1(VALU_DEP_3)
	v_cmp_gt_i32_e32 vcc_lo, 32, v4
	v_cndmask_b32_e32 v4, v2, v4, vcc_lo
	v_cmp_gt_i32_e32 vcc_lo, 32, v5
	v_cndmask_b32_e32 v5, v2, v5, vcc_lo
	s_delay_alu instid0(VALU_DEP_1) | instskip(NEXT) | instid1(VALU_DEP_4)
	v_lshlrev_b32_e32 v5, 2, v5
	v_lshlrev_b32_e32 v4, 2, v4
	ds_bpermute_b32 v4, v4, v3
	s_waitcnt lgkmcnt(0)
	v_add_f32_e32 v3, v3, v4
	ds_bpermute_b32 v4, v5, v3
	v_xor_b32_e32 v5, 4, v2
	s_delay_alu instid0(VALU_DEP_1) | instskip(SKIP_1) | instid1(VALU_DEP_1)
	v_cmp_gt_i32_e32 vcc_lo, 32, v5
	v_cndmask_b32_e32 v5, v2, v5, vcc_lo
	v_lshlrev_b32_e32 v5, 2, v5
	s_waitcnt lgkmcnt(0)
	v_add_f32_e32 v3, v3, v4
	ds_bpermute_b32 v4, v5, v3
	v_xor_b32_e32 v5, 2, v2
	s_delay_alu instid0(VALU_DEP_1) | instskip(SKIP_1) | instid1(VALU_DEP_1)
	v_cmp_gt_i32_e32 vcc_lo, 32, v5
	v_cndmask_b32_e32 v5, v2, v5, vcc_lo
	v_lshlrev_b32_e32 v5, 2, v5
	s_waitcnt lgkmcnt(0)
	v_add_f32_e32 v3, v3, v4
	ds_bpermute_b32 v4, v5, v3
	v_xor_b32_e32 v5, 1, v2
	s_delay_alu instid0(VALU_DEP_1) | instskip(SKIP_3) | instid1(VALU_DEP_2)
	v_cmp_gt_i32_e32 vcc_lo, 32, v5
	v_cndmask_b32_e32 v5, v2, v5, vcc_lo
	v_cmp_eq_u32_e32 vcc_lo, 0, v0
	s_waitcnt lgkmcnt(0)
	v_dual_add_f32 v2, v3, v4 :: v_dual_lshlrev_b32 v3, 2, v5
	ds_bpermute_b32 v3, v3, v2
	s_and_b32 exec_lo, exec_lo, vcc_lo
	s_cbranch_execz .LBB64_7
; %bb.6:
	v_mad_u64_u32 v[4:5], null, s15, s5, v[1:2]
	s_waitcnt lgkmcnt(0)
	v_dual_mov_b32 v5, 0 :: v_dual_add_f32 v2, v2, v3
	s_delay_alu instid0(VALU_DEP_1) | instskip(NEXT) | instid1(VALU_DEP_1)
	v_lshlrev_b64 v[0:1], 2, v[4:5]
	v_add_co_u32 v0, vcc_lo, s6, v0
	s_delay_alu instid0(VALU_DEP_2)
	v_add_co_ci_u32_e32 v1, vcc_lo, s7, v1, vcc_lo
	global_store_b32 v[0:1], v2, off
.LBB64_7:
	s_nop 0
	s_sendmsg sendmsg(MSG_DEALLOC_VGPRS)
	s_endpgm
	.section	.rodata,"a",@progbits
	.p2align	6, 0x0
	.amdhsa_kernel _ZL13mul_mat_vec_qIfLi256ELi16E10block_q3_KLi1EXadL_ZL17vec_dot_q3_K_q8_1PKvPK10block_q8_1RKiEEEvS2_S2_PT_iii
		.amdhsa_group_segment_fixed_size 0
		.amdhsa_private_segment_fixed_size 0
		.amdhsa_kernarg_size 296
		.amdhsa_user_sgpr_count 14
		.amdhsa_user_sgpr_dispatch_ptr 0
		.amdhsa_user_sgpr_queue_ptr 0
		.amdhsa_user_sgpr_kernarg_segment_ptr 1
		.amdhsa_user_sgpr_dispatch_id 0
		.amdhsa_user_sgpr_private_segment_size 0
		.amdhsa_wavefront_size32 1
		.amdhsa_uses_dynamic_stack 0
		.amdhsa_enable_private_segment 0
		.amdhsa_system_sgpr_workgroup_id_x 1
		.amdhsa_system_sgpr_workgroup_id_y 1
		.amdhsa_system_sgpr_workgroup_id_z 0
		.amdhsa_system_sgpr_workgroup_info 0
		.amdhsa_system_vgpr_workitem_id 1
		.amdhsa_next_free_vgpr 76
		.amdhsa_next_free_sgpr 16
		.amdhsa_reserve_vcc 1
		.amdhsa_float_round_mode_32 0
		.amdhsa_float_round_mode_16_64 0
		.amdhsa_float_denorm_mode_32 3
		.amdhsa_float_denorm_mode_16_64 3
		.amdhsa_dx10_clamp 1
		.amdhsa_ieee_mode 1
		.amdhsa_fp16_overflow 0
		.amdhsa_workgroup_processor_mode 1
		.amdhsa_memory_ordered 1
		.amdhsa_forward_progress 0
		.amdhsa_shared_vgpr_count 0
		.amdhsa_exception_fp_ieee_invalid_op 0
		.amdhsa_exception_fp_denorm_src 0
		.amdhsa_exception_fp_ieee_div_zero 0
		.amdhsa_exception_fp_ieee_overflow 0
		.amdhsa_exception_fp_ieee_underflow 0
		.amdhsa_exception_fp_ieee_inexact 0
		.amdhsa_exception_int_div_zero 0
	.end_amdhsa_kernel
	.section	.text._ZL13mul_mat_vec_qIfLi256ELi16E10block_q3_KLi1EXadL_ZL17vec_dot_q3_K_q8_1PKvPK10block_q8_1RKiEEEvS2_S2_PT_iii,"axG",@progbits,_ZL13mul_mat_vec_qIfLi256ELi16E10block_q3_KLi1EXadL_ZL17vec_dot_q3_K_q8_1PKvPK10block_q8_1RKiEEEvS2_S2_PT_iii,comdat
.Lfunc_end64:
	.size	_ZL13mul_mat_vec_qIfLi256ELi16E10block_q3_KLi1EXadL_ZL17vec_dot_q3_K_q8_1PKvPK10block_q8_1RKiEEEvS2_S2_PT_iii, .Lfunc_end64-_ZL13mul_mat_vec_qIfLi256ELi16E10block_q3_KLi1EXadL_ZL17vec_dot_q3_K_q8_1PKvPK10block_q8_1RKiEEEvS2_S2_PT_iii
                                        ; -- End function
	.section	.AMDGPU.csdata,"",@progbits
; Kernel info:
; codeLenInByte = 2648
; NumSgprs: 18
; NumVgprs: 76
; ScratchSize: 0
; MemoryBound: 0
; FloatMode: 240
; IeeeMode: 1
; LDSByteSize: 0 bytes/workgroup (compile time only)
; SGPRBlocks: 2
; VGPRBlocks: 9
; NumSGPRsForWavesPerEU: 18
; NumVGPRsForWavesPerEU: 76
; Occupancy: 16
; WaveLimiterHint : 0
; COMPUTE_PGM_RSRC2:SCRATCH_EN: 0
; COMPUTE_PGM_RSRC2:USER_SGPR: 14
; COMPUTE_PGM_RSRC2:TRAP_HANDLER: 0
; COMPUTE_PGM_RSRC2:TGID_X_EN: 1
; COMPUTE_PGM_RSRC2:TGID_Y_EN: 1
; COMPUTE_PGM_RSRC2:TGID_Z_EN: 0
; COMPUTE_PGM_RSRC2:TIDIG_COMP_CNT: 1
	.section	.text._ZL13mul_mat_vec_qIfLi256ELi32E10block_q4_KLi2EXadL_ZL17vec_dot_q4_K_q8_1PKvPK10block_q8_1RKiEEEvS2_S2_PT_iii,"axG",@progbits,_ZL13mul_mat_vec_qIfLi256ELi32E10block_q4_KLi2EXadL_ZL17vec_dot_q4_K_q8_1PKvPK10block_q8_1RKiEEEvS2_S2_PT_iii,comdat
	.globl	_ZL13mul_mat_vec_qIfLi256ELi32E10block_q4_KLi2EXadL_ZL17vec_dot_q4_K_q8_1PKvPK10block_q8_1RKiEEEvS2_S2_PT_iii ; -- Begin function _ZL13mul_mat_vec_qIfLi256ELi32E10block_q4_KLi2EXadL_ZL17vec_dot_q4_K_q8_1PKvPK10block_q8_1RKiEEEvS2_S2_PT_iii
	.p2align	8
	.type	_ZL13mul_mat_vec_qIfLi256ELi32E10block_q4_KLi2EXadL_ZL17vec_dot_q4_K_q8_1PKvPK10block_q8_1RKiEEEvS2_S2_PT_iii,@function
_ZL13mul_mat_vec_qIfLi256ELi32E10block_q4_KLi2EXadL_ZL17vec_dot_q4_K_q8_1PKvPK10block_q8_1RKiEEEvS2_S2_PT_iii: ; @_ZL13mul_mat_vec_qIfLi256ELi32E10block_q4_KLi2EXadL_ZL17vec_dot_q4_K_q8_1PKvPK10block_q8_1RKiEEEvS2_S2_PT_iii
; %bb.0:
	s_clause 0x1
	s_load_b32 s2, s[0:1], 0x34
	s_load_b128 s[4:7], s[0:1], 0x18
	v_bfe_u32 v3, v0, 10, 10
	s_waitcnt lgkmcnt(0)
	s_lshr_b32 s2, s2, 16
	s_cmp_lt_u32 s15, s6
	s_delay_alu instid0(VALU_DEP_1) | instskip(SKIP_1) | instid1(VALU_DEP_1)
	v_mad_u64_u32 v[1:2], null, s14, s2, v[3:4]
	s_cselect_b32 s2, -1, 0
	v_cmp_gt_u32_e32 vcc_lo, s5, v1
	s_and_b32 s2, s2, vcc_lo
	s_delay_alu instid0(SALU_CYCLE_1)
	s_and_saveexec_b32 s3, s2
	s_cbranch_execz .LBB65_11
; %bb.1:
	s_load_b64 s[2:3], s[0:1], 0x10
	v_dual_mov_b32 v9, 0 :: v_dual_and_b32 v0, 0x3ff, v0
	s_ashr_i32 s6, s4, 31
	s_delay_alu instid0(SALU_CYCLE_1) | instskip(NEXT) | instid1(VALU_DEP_1)
	s_lshr_b32 s6, s6, 24
	v_lshrrev_b32_e32 v8, 4, v0
	s_add_i32 s6, s4, s6
	s_delay_alu instid0(SALU_CYCLE_1) | instskip(SKIP_1) | instid1(VALU_DEP_1)
	s_ashr_i32 s7, s6, 8
	s_mov_b32 s6, exec_lo
	v_cmpx_gt_u32_e64 s7, v8
	s_cbranch_execz .LBB65_9
; %bb.2:
	s_load_b128 s[8:11], s[0:1], 0x0
	v_dual_mov_b32 v9, 0 :: v_dual_lshlrev_b32 v2, 1, v0
	s_addk_i32 s4, 0x1ff
	v_and_b32_e32 v5, 3, v0
	s_ashr_i32 s0, s4, 31
	s_delay_alu instid0(VALU_DEP_2)
	v_bfe_u32 v4, v2, 3, 2
	s_lshr_b32 s0, s0, 23
	v_and_b32_e32 v2, 30, v2
	s_add_i32 s4, s4, s0
	v_lshlrev_b32_e32 v7, 3, v8
	v_lshlrev_b32_e32 v6, 1, v4
	s_ashr_i32 s0, s4, 9
	v_mul_lo_u32 v10, v1, s7
	v_cmp_lt_u32_e32 vcc_lo, 15, v2
	s_mul_i32 s0, s15, s0
	v_lshlrev_b32_e32 v11, 5, v4
	v_lshlrev_b32_e32 v12, 2, v5
	v_lshl_add_u32 v13, s0, 4, v7
	v_lshlrev_b32_e32 v14, 1, v4
	s_waitcnt lgkmcnt(0)
	v_mad_u64_u32 v[2:3], null, v6, 36, s[10:11]
	v_lshlrev_b32_e32 v15, 2, v5
	s_mov_b32 s1, 0
	s_branch .LBB65_4
.LBB65_3:                               ;   in Loop: Header=BB65_4 Depth=1
	s_or_b32 exec_lo, exec_lo, s0
	v_mad_i64_i32 v[6:7], null, v13, 36, v[2:3]
	s_waitcnt vmcnt(1)
	v_and_b32_e32 v25, 15, v16
	v_bfe_u32 v26, v16, 8, 4
	v_bfe_u32 v27, v16, 16, 4
	;; [unrolled: 1-line block ×3, first 2 shown]
	v_ashrrev_i32_e32 v16, 4, v16
	s_waitcnt vmcnt(0)
	v_and_b32_e32 v29, 15, v17
	v_add_co_u32 v20, s0, v6, v15
	s_delay_alu instid0(VALU_DEP_1)
	v_add_co_ci_u32_e64 v21, s0, 0, v7, s0
	v_bfe_u32 v30, v17, 8, 4
	v_bfe_u32 v31, v17, 16, 4
	;; [unrolled: 1-line block ×3, first 2 shown]
	s_clause 0x3
	global_load_b32 v22, v[20:21], off offset:4
	global_load_b32 v23, v[20:21], off offset:20
	global_load_b32 v24, v[20:21], off offset:40
	global_load_b32 v20, v[20:21], off offset:56
	global_load_b32 v4, v[4:5], off
	s_clause 0x1
	global_load_b32 v5, v[6:7], off
	global_load_b32 v6, v[6:7], off offset:36
	v_ashrrev_i32_e32 v17, 4, v17
	v_and_b32_e32 v33, 15, v16
	v_bfe_u32 v34, v16, 8, 4
	v_bfe_u32 v35, v16, 16, 4
	v_lshrrev_b16 v7, 8, v18
	v_and_b32_e32 v36, 15, v17
	v_and_b32_e32 v18, 0xff, v18
	v_bfe_u32 v16, v16, 24, 4
	v_bfe_u32 v37, v17, 8, 4
	v_lshrrev_b16 v21, 8, v19
	v_and_b32_e32 v19, 0xff, v19
	v_and_b32_e32 v18, 0xffff, v18
	v_bfe_u32 v38, v17, 16, 4
	v_bfe_u32 v17, v17, 24, 4
	v_and_b32_e32 v7, 0xffff, v7
	v_and_b32_e32 v19, 0xffff, v19
	;; [unrolled: 1-line block ×3, first 2 shown]
	v_add_nc_u32_e32 v8, 2, v8
	v_add_nc_u32_e32 v13, 16, v13
	s_delay_alu instid0(VALU_DEP_2) | instskip(NEXT) | instid1(VALU_DEP_1)
	v_cmp_le_u32_e64 s0, s7, v8
	s_or_b32 s1, s0, s1
	s_waitcnt vmcnt(6)
	v_bfe_i32 v39, v22, 0, 8
	s_waitcnt vmcnt(5)
	v_bfe_i32 v42, v23, 0, 8
	v_bfe_i32 v40, v22, 8, 8
	v_bfe_i32 v41, v22, 16, 8
	s_waitcnt vmcnt(4)
	v_bfe_i32 v45, v24, 0, 8
	s_waitcnt vmcnt(3)
	v_bfe_i32 v48, v20, 0, 8
	v_mul_i32_i24_e32 v25, v39, v25
	v_add_nc_u32_e32 v39, v42, v39
	v_ashrrev_i32_e32 v22, 24, v22
	v_bfe_i32 v43, v23, 8, 8
	v_bfe_i32 v46, v24, 8, 8
	;; [unrolled: 1-line block ×3, first 2 shown]
	v_mul_i32_i24_e32 v26, v40, v26
	v_mul_i32_i24_e32 v27, v41, v27
	;; [unrolled: 1-line block ×3, first 2 shown]
	v_add_nc_u32_e32 v45, v48, v45
	v_mad_i32_i24 v25, v42, v29, v25
	v_add3_u32 v29, v39, v40, v41
	v_bfe_i32 v44, v23, 16, 8
	v_ashrrev_i32_e32 v23, 24, v23
	v_ashrrev_i32_e32 v24, 24, v24
	v_bfe_i32 v49, v20, 8, 8
	v_mul_i32_i24_e32 v28, v22, v28
	v_mul_i32_i24_e32 v30, v43, v30
	;; [unrolled: 1-line block ×4, first 2 shown]
	v_mad_i32_i24 v33, v48, v36, v33
	v_add3_u32 v36, v45, v46, v47
	v_add3_u32 v25, v25, v26, v27
	;; [unrolled: 1-line block ×3, first 2 shown]
	v_bfe_i32 v50, v20, 16, 8
	v_ashrrev_i32_e32 v20, 24, v20
	v_mul_i32_i24_e32 v31, v44, v31
	v_mul_i32_i24_e32 v32, v23, v32
	;; [unrolled: 1-line block ×4, first 2 shown]
	v_add3_u32 v27, v33, v34, v35
	v_add3_u32 v24, v36, v24, v49
	;; [unrolled: 1-line block ×4, first 2 shown]
	v_mul_i32_i24_e32 v26, v50, v38
	v_mul_i32_i24_e32 v17, v20, v17
	v_add3_u32 v16, v27, v16, v37
	v_add3_u32 v20, v24, v50, v20
	;; [unrolled: 1-line block ×3, first 2 shown]
	v_mul_lo_u32 v18, v22, v18
	s_delay_alu instid0(VALU_DEP_4) | instskip(NEXT) | instid1(VALU_DEP_4)
	v_add3_u32 v16, v16, v26, v17
	v_mul_lo_u32 v7, v20, v7
	s_delay_alu instid0(VALU_DEP_4) | instskip(SKIP_4) | instid1(VALU_DEP_3)
	v_mul_lo_u32 v17, v23, v19
	s_waitcnt vmcnt(2)
	v_lshrrev_b32_e32 v19, 16, v4
	v_mul_lo_u32 v16, v16, v21
	v_cvt_f32_i32_e32 v18, v18
	v_cvt_f32_f16_e32 v19, v19
	v_cvt_f32_i32_e32 v7, v7
	v_cvt_f32_i32_e32 v17, v17
	s_waitcnt vmcnt(1)
	v_fma_mix_f32 v18, v5, v18, 0 op_sel_hi:[1,0,0]
	v_cvt_f32_i32_e32 v16, v16
	s_delay_alu instid0(VALU_DEP_3) | instskip(SKIP_1) | instid1(VALU_DEP_3)
	v_fma_mix_f32 v5, v5, v17, 0 op_sel_hi:[1,0,0]
	s_waitcnt vmcnt(0)
	v_fma_mix_f32 v7, v6, v7, v18 op_sel_hi:[1,0,0]
	s_delay_alu instid0(VALU_DEP_2) | instskip(NEXT) | instid1(VALU_DEP_2)
	v_fma_mix_f32 v5, v6, v16, v5 op_sel_hi:[1,0,0]
	v_mul_f32_e32 v6, v7, v19
	s_delay_alu instid0(VALU_DEP_1) | instskip(NEXT) | instid1(VALU_DEP_1)
	v_fma_mix_f32 v4, v5, v4, -v6 op_sel_hi:[0,1,0]
	v_add_f32_e32 v9, v9, v4
	s_and_not1_b32 exec_lo, exec_lo, s1
	s_cbranch_execz .LBB65_8
.LBB65_4:                               ; =>This Inner Loop Header: Depth=1
	v_add_nc_u32_e32 v6, v10, v8
                                        ; implicit-def: $vgpr19
                                        ; implicit-def: $vgpr18
	s_delay_alu instid0(VALU_DEP_1) | instskip(NEXT) | instid1(VALU_DEP_1)
	v_mad_i64_i32 v[4:5], null, 0x90, v6, s[8:9]
	v_add_co_u32 v6, s0, v4, v11
	s_delay_alu instid0(VALU_DEP_1) | instskip(NEXT) | instid1(VALU_DEP_2)
	v_add_co_ci_u32_e64 v7, s0, 0, v5, s0
	v_add_co_u32 v6, s0, v6, v12
	s_delay_alu instid0(VALU_DEP_1) | instskip(SKIP_4) | instid1(VALU_DEP_1)
	v_add_co_ci_u32_e64 v7, s0, 0, v7, s0
	s_clause 0x1
	global_load_b32 v16, v[6:7], off offset:16
	global_load_b32 v17, v[6:7], off offset:32
	v_add_co_u32 v6, s0, v4, v14
	v_add_co_ci_u32_e64 v7, s0, 0, v5, s0
	s_and_saveexec_b32 s0, vcc_lo
	s_delay_alu instid0(SALU_CYCLE_1)
	s_xor_b32 s0, exec_lo, s0
	s_cbranch_execz .LBB65_6
; %bb.5:                                ;   in Loop: Header=BB65_4 Depth=1
	s_clause 0x2
	global_load_u16 v18, v[6:7], off
	global_load_u16 v19, v[6:7], off offset:8
	global_load_u16 v6, v[6:7], off offset:4
	s_waitcnt vmcnt(2)
	v_lshrrev_b16 v7, 2, v18
	s_waitcnt vmcnt(1)
	v_lshrrev_b16 v18, 4, v19
	;; [unrolled: 2-line block ×3, first 2 shown]
	v_and_b32_e32 v19, 0xf0f, v19
	v_and_b32_e32 v7, 0x3030, v7
	;; [unrolled: 1-line block ×3, first 2 shown]
	s_delay_alu instid0(VALU_DEP_4) | instskip(NEXT) | instid1(VALU_DEP_3)
	v_and_b32_e32 v6, 0x3030, v6
	v_or_b32_e32 v19, v7, v19
	s_delay_alu instid0(VALU_DEP_2)
	v_or_b32_e32 v18, v6, v18
                                        ; implicit-def: $vgpr6_vgpr7
.LBB65_6:                               ;   in Loop: Header=BB65_4 Depth=1
	s_and_not1_saveexec_b32 s0, s0
	s_cbranch_execz .LBB65_3
; %bb.7:                                ;   in Loop: Header=BB65_4 Depth=1
	s_clause 0x1
	global_load_u16 v18, v[6:7], off offset:4
	global_load_u16 v6, v[6:7], off offset:8
	s_waitcnt vmcnt(1)
	v_and_b32_e32 v19, 0x3f3f, v18
	s_waitcnt vmcnt(0)
	v_and_b32_e32 v18, 0x3f3f, v6
	s_branch .LBB65_3
.LBB65_8:
	s_or_b32 exec_lo, exec_lo, s1
.LBB65_9:
	s_delay_alu instid0(SALU_CYCLE_1) | instskip(SKIP_1) | instid1(VALU_DEP_1)
	s_or_b32 exec_lo, exec_lo, s6
	v_mbcnt_lo_u32_b32 v2, -1, 0
	v_xor_b32_e32 v3, 16, v2
	v_xor_b32_e32 v4, 8, v2
	;; [unrolled: 1-line block ×3, first 2 shown]
	s_delay_alu instid0(VALU_DEP_3) | instskip(SKIP_1) | instid1(VALU_DEP_4)
	v_cmp_gt_i32_e32 vcc_lo, 32, v3
	v_cndmask_b32_e32 v3, v2, v3, vcc_lo
	v_cmp_gt_i32_e32 vcc_lo, 32, v4
	v_cndmask_b32_e32 v4, v2, v4, vcc_lo
	v_cmp_gt_i32_e32 vcc_lo, 32, v5
	s_delay_alu instid0(VALU_DEP_2)
	v_lshlrev_b32_e32 v4, 2, v4
	v_lshlrev_b32_e32 v3, 2, v3
	v_cndmask_b32_e32 v5, v2, v5, vcc_lo
	ds_bpermute_b32 v3, v3, v9
	v_lshlrev_b32_e32 v5, 2, v5
	s_waitcnt lgkmcnt(0)
	v_add_f32_e32 v3, v9, v3
	ds_bpermute_b32 v4, v4, v3
	s_waitcnt lgkmcnt(0)
	v_add_f32_e32 v3, v3, v4
	ds_bpermute_b32 v4, v5, v3
	v_xor_b32_e32 v5, 2, v2
	s_delay_alu instid0(VALU_DEP_1) | instskip(SKIP_1) | instid1(VALU_DEP_1)
	v_cmp_gt_i32_e32 vcc_lo, 32, v5
	v_cndmask_b32_e32 v5, v2, v5, vcc_lo
	v_lshlrev_b32_e32 v5, 2, v5
	s_waitcnt lgkmcnt(0)
	v_add_f32_e32 v3, v3, v4
	ds_bpermute_b32 v4, v5, v3
	v_xor_b32_e32 v5, 1, v2
	s_delay_alu instid0(VALU_DEP_1) | instskip(SKIP_3) | instid1(VALU_DEP_2)
	v_cmp_gt_i32_e32 vcc_lo, 32, v5
	v_cndmask_b32_e32 v5, v2, v5, vcc_lo
	v_cmp_eq_u32_e32 vcc_lo, 0, v0
	s_waitcnt lgkmcnt(0)
	v_dual_add_f32 v2, v3, v4 :: v_dual_lshlrev_b32 v3, 2, v5
	ds_bpermute_b32 v3, v3, v2
	s_and_b32 exec_lo, exec_lo, vcc_lo
	s_cbranch_execz .LBB65_11
; %bb.10:
	v_mad_u64_u32 v[4:5], null, s15, s5, v[1:2]
	s_waitcnt lgkmcnt(0)
	v_dual_mov_b32 v5, 0 :: v_dual_add_f32 v2, v2, v3
	s_delay_alu instid0(VALU_DEP_1) | instskip(NEXT) | instid1(VALU_DEP_1)
	v_lshlrev_b64 v[0:1], 2, v[4:5]
	v_add_co_u32 v0, vcc_lo, s2, v0
	s_delay_alu instid0(VALU_DEP_2)
	v_add_co_ci_u32_e32 v1, vcc_lo, s3, v1, vcc_lo
	global_store_b32 v[0:1], v2, off
.LBB65_11:
	s_nop 0
	s_sendmsg sendmsg(MSG_DEALLOC_VGPRS)
	s_endpgm
	.section	.rodata,"a",@progbits
	.p2align	6, 0x0
	.amdhsa_kernel _ZL13mul_mat_vec_qIfLi256ELi32E10block_q4_KLi2EXadL_ZL17vec_dot_q4_K_q8_1PKvPK10block_q8_1RKiEEEvS2_S2_PT_iii
		.amdhsa_group_segment_fixed_size 0
		.amdhsa_private_segment_fixed_size 0
		.amdhsa_kernarg_size 296
		.amdhsa_user_sgpr_count 14
		.amdhsa_user_sgpr_dispatch_ptr 0
		.amdhsa_user_sgpr_queue_ptr 0
		.amdhsa_user_sgpr_kernarg_segment_ptr 1
		.amdhsa_user_sgpr_dispatch_id 0
		.amdhsa_user_sgpr_private_segment_size 0
		.amdhsa_wavefront_size32 1
		.amdhsa_uses_dynamic_stack 0
		.amdhsa_enable_private_segment 0
		.amdhsa_system_sgpr_workgroup_id_x 1
		.amdhsa_system_sgpr_workgroup_id_y 1
		.amdhsa_system_sgpr_workgroup_id_z 0
		.amdhsa_system_sgpr_workgroup_info 0
		.amdhsa_system_vgpr_workitem_id 1
		.amdhsa_next_free_vgpr 51
		.amdhsa_next_free_sgpr 16
		.amdhsa_reserve_vcc 1
		.amdhsa_float_round_mode_32 0
		.amdhsa_float_round_mode_16_64 0
		.amdhsa_float_denorm_mode_32 3
		.amdhsa_float_denorm_mode_16_64 3
		.amdhsa_dx10_clamp 1
		.amdhsa_ieee_mode 1
		.amdhsa_fp16_overflow 0
		.amdhsa_workgroup_processor_mode 1
		.amdhsa_memory_ordered 1
		.amdhsa_forward_progress 0
		.amdhsa_shared_vgpr_count 0
		.amdhsa_exception_fp_ieee_invalid_op 0
		.amdhsa_exception_fp_denorm_src 0
		.amdhsa_exception_fp_ieee_div_zero 0
		.amdhsa_exception_fp_ieee_overflow 0
		.amdhsa_exception_fp_ieee_underflow 0
		.amdhsa_exception_fp_ieee_inexact 0
		.amdhsa_exception_int_div_zero 0
	.end_amdhsa_kernel
	.section	.text._ZL13mul_mat_vec_qIfLi256ELi32E10block_q4_KLi2EXadL_ZL17vec_dot_q4_K_q8_1PKvPK10block_q8_1RKiEEEvS2_S2_PT_iii,"axG",@progbits,_ZL13mul_mat_vec_qIfLi256ELi32E10block_q4_KLi2EXadL_ZL17vec_dot_q4_K_q8_1PKvPK10block_q8_1RKiEEEvS2_S2_PT_iii,comdat
.Lfunc_end65:
	.size	_ZL13mul_mat_vec_qIfLi256ELi32E10block_q4_KLi2EXadL_ZL17vec_dot_q4_K_q8_1PKvPK10block_q8_1RKiEEEvS2_S2_PT_iii, .Lfunc_end65-_ZL13mul_mat_vec_qIfLi256ELi32E10block_q4_KLi2EXadL_ZL17vec_dot_q4_K_q8_1PKvPK10block_q8_1RKiEEEvS2_S2_PT_iii
                                        ; -- End function
	.section	.AMDGPU.csdata,"",@progbits
; Kernel info:
; codeLenInByte = 1572
; NumSgprs: 18
; NumVgprs: 51
; ScratchSize: 0
; MemoryBound: 0
; FloatMode: 240
; IeeeMode: 1
; LDSByteSize: 0 bytes/workgroup (compile time only)
; SGPRBlocks: 2
; VGPRBlocks: 6
; NumSGPRsForWavesPerEU: 18
; NumVGPRsForWavesPerEU: 51
; Occupancy: 16
; WaveLimiterHint : 0
; COMPUTE_PGM_RSRC2:SCRATCH_EN: 0
; COMPUTE_PGM_RSRC2:USER_SGPR: 14
; COMPUTE_PGM_RSRC2:TRAP_HANDLER: 0
; COMPUTE_PGM_RSRC2:TGID_X_EN: 1
; COMPUTE_PGM_RSRC2:TGID_Y_EN: 1
; COMPUTE_PGM_RSRC2:TGID_Z_EN: 0
; COMPUTE_PGM_RSRC2:TIDIG_COMP_CNT: 1
	.section	.text._ZL13mul_mat_vec_qIfLi256ELi32E10block_q5_KLi2EXadL_ZL17vec_dot_q5_K_q8_1PKvPK10block_q8_1RKiEEEvS2_S2_PT_iii,"axG",@progbits,_ZL13mul_mat_vec_qIfLi256ELi32E10block_q5_KLi2EXadL_ZL17vec_dot_q5_K_q8_1PKvPK10block_q8_1RKiEEEvS2_S2_PT_iii,comdat
	.globl	_ZL13mul_mat_vec_qIfLi256ELi32E10block_q5_KLi2EXadL_ZL17vec_dot_q5_K_q8_1PKvPK10block_q8_1RKiEEEvS2_S2_PT_iii ; -- Begin function _ZL13mul_mat_vec_qIfLi256ELi32E10block_q5_KLi2EXadL_ZL17vec_dot_q5_K_q8_1PKvPK10block_q8_1RKiEEEvS2_S2_PT_iii
	.p2align	8
	.type	_ZL13mul_mat_vec_qIfLi256ELi32E10block_q5_KLi2EXadL_ZL17vec_dot_q5_K_q8_1PKvPK10block_q8_1RKiEEEvS2_S2_PT_iii,@function
_ZL13mul_mat_vec_qIfLi256ELi32E10block_q5_KLi2EXadL_ZL17vec_dot_q5_K_q8_1PKvPK10block_q8_1RKiEEEvS2_S2_PT_iii: ; @_ZL13mul_mat_vec_qIfLi256ELi32E10block_q5_KLi2EXadL_ZL17vec_dot_q5_K_q8_1PKvPK10block_q8_1RKiEEEvS2_S2_PT_iii
; %bb.0:
	s_clause 0x1
	s_load_b32 s2, s[0:1], 0x34
	s_load_b128 s[4:7], s[0:1], 0x18
	v_bfe_u32 v3, v0, 10, 10
	s_waitcnt lgkmcnt(0)
	s_lshr_b32 s2, s2, 16
	s_cmp_lt_u32 s15, s6
	s_delay_alu instid0(VALU_DEP_1) | instskip(SKIP_1) | instid1(VALU_DEP_1)
	v_mad_u64_u32 v[1:2], null, s14, s2, v[3:4]
	s_cselect_b32 s2, -1, 0
	v_cmp_gt_u32_e32 vcc_lo, s5, v1
	s_and_b32 s2, s2, vcc_lo
	s_delay_alu instid0(SALU_CYCLE_1)
	s_and_saveexec_b32 s3, s2
	s_cbranch_execz .LBB66_11
; %bb.1:
	s_load_b64 s[2:3], s[0:1], 0x10
	v_dual_mov_b32 v9, 0 :: v_dual_and_b32 v0, 0x3ff, v0
	s_ashr_i32 s6, s4, 31
	s_delay_alu instid0(SALU_CYCLE_1) | instskip(NEXT) | instid1(VALU_DEP_1)
	s_lshr_b32 s6, s6, 24
	v_lshrrev_b32_e32 v8, 4, v0
	s_add_i32 s6, s4, s6
	s_delay_alu instid0(SALU_CYCLE_1) | instskip(SKIP_1) | instid1(VALU_DEP_1)
	s_ashr_i32 s7, s6, 8
	s_mov_b32 s6, exec_lo
	v_cmpx_gt_u32_e64 s7, v8
	s_cbranch_execz .LBB66_9
; %bb.2:
	s_load_b128 s[8:11], s[0:1], 0x0
	v_dual_mov_b32 v9, 0 :: v_dual_lshlrev_b32 v2, 1, v0
	s_addk_i32 s4, 0x1ff
	v_and_b32_e32 v5, 3, v0
	s_ashr_i32 s0, s4, 31
	s_delay_alu instid0(VALU_DEP_2)
	v_bfe_u32 v4, v2, 3, 2
	s_lshr_b32 s0, s0, 23
	v_and_b32_e32 v2, 30, v2
	s_add_i32 s4, s4, s0
	v_lshlrev_b32_e32 v6, 3, v8
	v_lshlrev_b32_e32 v12, 1, v4
	s_ashr_i32 s0, s4, 9
	v_mul_lo_u32 v10, v1, s7
	v_cmp_lt_u32_e32 vcc_lo, 15, v2
	s_mul_i32 s0, s15, s0
	v_lshlrev_b32_e32 v11, 5, v4
	v_lshlrev_b32_e32 v13, 2, v5
	v_lshl_add_u32 v14, s0, 4, v6
	v_lshlrev_b32_e32 v15, 1, v4
	s_waitcnt lgkmcnt(0)
	v_mad_u64_u32 v[2:3], null, v12, 36, s[10:11]
	v_lshlrev_b32_e32 v16, 2, v5
	s_mov_b32 s1, 0
	s_branch .LBB66_4
.LBB66_3:                               ;   in Loop: Header=BB66_4 Depth=1
	s_or_b32 exec_lo, exec_lo, s0
	v_mad_i64_i32 v[6:7], null, v14, 36, v[2:3]
	s_waitcnt vmcnt(3)
	v_ashrrev_i32_e32 v21, v12, v21
	s_waitcnt vmcnt(0)
	v_ashrrev_i32_e32 v22, v12, v22
	v_and_b32_e32 v28, 0xf0f0f0f, v18
	v_lshrrev_b32_e32 v18, 4, v18
	v_and_b32_e32 v29, 0xf0f0f0f, v17
	v_lshlrev_b32_e32 v30, 4, v21
	v_add_co_u32 v23, s0, v6, v16
	s_delay_alu instid0(VALU_DEP_1)
	v_add_co_ci_u32_e64 v24, s0, 0, v7, s0
	v_lshrrev_b32_e32 v17, 4, v17
	v_lshlrev_b32_e32 v31, 4, v22
	v_and_b32_e32 v18, 0xf0f0f0f, v18
	s_clause 0x3
	global_load_b32 v25, v[23:24], off offset:20
	global_load_b32 v26, v[23:24], off offset:4
	;; [unrolled: 1-line block ×4, first 2 shown]
	global_load_b32 v4, v[4:5], off
	s_clause 0x1
	global_load_b32 v5, v[6:7], off
	global_load_b32 v6, v[6:7], off offset:36
	v_lshlrev_b32_e32 v21, 3, v21
	v_and_or_b32 v28, 0x10101010, v30, v28
	v_and_b32_e32 v17, 0xf0f0f0f, v17
	v_lshlrev_b32_e32 v22, 3, v22
	v_and_or_b32 v29, 0x10101010, v31, v29
	v_and_or_b32 v18, 0x10101010, v21, v18
	v_and_b32_e32 v31, 31, v28
	v_bfe_u32 v32, v28, 8, 5
	v_and_or_b32 v17, 0x10101010, v22, v17
	v_and_b32_e32 v21, 31, v29
	v_bfe_u32 v33, v28, 16, 5
	v_and_b32_e32 v37, 31, v18
	v_bfe_u32 v22, v29, 8, 5
	v_lshrrev_b32_e32 v28, 24, v28
	v_and_b32_e32 v34, 31, v17
	v_bfe_u32 v38, v18, 8, 5
	v_bfe_u32 v39, v18, 16, 5
	v_lshrrev_b16 v7, 8, v19
	v_and_b32_e32 v19, 0xff, v19
	v_bfe_u32 v30, v29, 16, 5
	v_lshrrev_b32_e32 v29, 24, v29
	v_bfe_u32 v35, v17, 8, 5
	v_lshrrev_b32_e32 v18, 24, v18
	v_lshrrev_b16 v24, 8, v20
	v_and_b32_e32 v20, 0xff, v20
	v_and_b32_e32 v19, 0xffff, v19
	v_bfe_u32 v36, v17, 16, 5
	v_lshrrev_b32_e32 v17, 24, v17
	v_and_b32_e32 v7, 0xffff, v7
	v_and_b32_e32 v20, 0xffff, v20
	v_add_nc_u32_e32 v8, 2, v8
	v_add_nc_u32_e32 v14, 16, v14
	s_delay_alu instid0(VALU_DEP_2) | instskip(NEXT) | instid1(VALU_DEP_1)
	v_cmp_le_u32_e64 s0, s7, v8
	s_or_b32 s1, s0, s1
	s_waitcnt vmcnt(6)
	v_bfe_i32 v40, v25, 0, 8
	s_waitcnt vmcnt(5)
	v_bfe_i32 v43, v26, 0, 8
	v_bfe_i32 v44, v26, 8, 8
	;; [unrolled: 1-line block ×3, first 2 shown]
	s_waitcnt vmcnt(4)
	v_bfe_i32 v46, v27, 0, 8
	s_waitcnt vmcnt(3)
	v_bfe_i32 v49, v23, 0, 8
	v_mul_i32_i24_e32 v31, v43, v31
	v_add_nc_u32_e32 v43, v40, v43
	v_bfe_i32 v41, v25, 8, 8
	v_ashrrev_i32_e32 v26, 24, v26
	v_bfe_i32 v50, v23, 8, 8
	v_bfe_i32 v51, v23, 16, 8
	v_mul_i32_i24_e32 v32, v44, v32
	v_mul_i32_i24_e32 v33, v45, v33
	;; [unrolled: 1-line block ×3, first 2 shown]
	v_add_nc_u32_e32 v49, v46, v49
	v_mad_i32_i24 v21, v40, v21, v31
	v_add3_u32 v31, v43, v44, v45
	v_bfe_i32 v42, v25, 16, 8
	v_ashrrev_i32_e32 v25, 24, v25
	v_bfe_i32 v47, v27, 8, 8
	v_ashrrev_i32_e32 v23, 24, v23
	v_mul_i32_i24_e32 v22, v41, v22
	v_mul_i32_i24_e32 v28, v26, v28
	;; [unrolled: 1-line block ×4, first 2 shown]
	v_mad_i32_i24 v34, v46, v34, v37
	v_add3_u32 v37, v49, v50, v51
	v_add3_u32 v21, v21, v32, v33
	;; [unrolled: 1-line block ×3, first 2 shown]
	v_bfe_i32 v48, v27, 16, 8
	v_ashrrev_i32_e32 v27, 24, v27
	v_mul_i32_i24_e32 v30, v42, v30
	v_mul_i32_i24_e32 v29, v25, v29
	;; [unrolled: 1-line block ×4, first 2 shown]
	v_add3_u32 v31, v34, v38, v39
	v_add3_u32 v23, v37, v23, v47
	;; [unrolled: 1-line block ×4, first 2 shown]
	v_mul_i32_i24_e32 v36, v48, v36
	v_mul_i32_i24_e32 v17, v27, v17
	v_add3_u32 v18, v31, v18, v35
	v_add3_u32 v23, v23, v48, v27
	;; [unrolled: 1-line block ×3, first 2 shown]
	v_mul_lo_u32 v19, v22, v19
	v_and_b32_e32 v22, 0xffff, v24
	v_add3_u32 v17, v18, v36, v17
	v_mul_lo_u32 v7, v23, v7
	v_mul_lo_u32 v18, v21, v20
	s_waitcnt vmcnt(2)
	v_lshrrev_b32_e32 v20, 16, v4
	v_mul_lo_u32 v17, v17, v22
	v_cvt_f32_i32_e32 v19, v19
	s_delay_alu instid0(VALU_DEP_3)
	v_cvt_f32_f16_e32 v20, v20
	v_cvt_f32_i32_e32 v7, v7
	v_cvt_f32_i32_e32 v18, v18
	s_waitcnt vmcnt(1)
	v_fma_mix_f32 v19, v5, v19, 0 op_sel_hi:[1,0,0]
	v_cvt_f32_i32_e32 v17, v17
	s_delay_alu instid0(VALU_DEP_3) | instskip(SKIP_1) | instid1(VALU_DEP_3)
	v_fma_mix_f32 v5, v5, v18, 0 op_sel_hi:[1,0,0]
	s_waitcnt vmcnt(0)
	v_fma_mix_f32 v7, v6, v7, v19 op_sel_hi:[1,0,0]
	s_delay_alu instid0(VALU_DEP_2) | instskip(NEXT) | instid1(VALU_DEP_2)
	v_fma_mix_f32 v5, v6, v17, v5 op_sel_hi:[1,0,0]
	v_mul_f32_e32 v6, v7, v20
	s_delay_alu instid0(VALU_DEP_1) | instskip(NEXT) | instid1(VALU_DEP_1)
	v_fma_mix_f32 v4, v5, v4, -v6 op_sel_hi:[0,1,0]
	v_add_f32_e32 v9, v9, v4
	s_and_not1_b32 exec_lo, exec_lo, s1
	s_cbranch_execz .LBB66_8
.LBB66_4:                               ; =>This Inner Loop Header: Depth=1
	v_add_nc_u32_e32 v6, v10, v8
                                        ; implicit-def: $vgpr20
	s_delay_alu instid0(VALU_DEP_1) | instskip(NEXT) | instid1(VALU_DEP_1)
	v_mad_i64_i32 v[4:5], null, 0xb0, v6, s[8:9]
	v_add_co_u32 v6, s0, v4, v13
	s_delay_alu instid0(VALU_DEP_1) | instskip(NEXT) | instid1(VALU_DEP_2)
	v_add_co_ci_u32_e64 v7, s0, 0, v5, s0
	v_add_co_u32 v18, s0, v6, v11
	s_delay_alu instid0(VALU_DEP_1)
	v_add_co_ci_u32_e64 v19, s0, 0, v7, s0
	s_clause 0x3
	global_load_b32 v21, v[6:7], off offset:16
	global_load_b32 v17, v[18:19], off offset:64
	;; [unrolled: 1-line block ×4, first 2 shown]
	v_add_co_u32 v6, s0, v4, v15
	s_delay_alu instid0(VALU_DEP_1) | instskip(SKIP_1) | instid1(SALU_CYCLE_1)
	v_add_co_ci_u32_e64 v7, s0, 0, v5, s0
                                        ; implicit-def: $vgpr19
	s_and_saveexec_b32 s0, vcc_lo
	s_xor_b32 s0, exec_lo, s0
	s_cbranch_execz .LBB66_6
; %bb.5:                                ;   in Loop: Header=BB66_4 Depth=1
	s_clause 0x2
	global_load_u16 v19, v[6:7], off
	global_load_u16 v20, v[6:7], off offset:8
	global_load_u16 v6, v[6:7], off offset:4
	s_waitcnt vmcnt(2)
	v_lshrrev_b16 v7, 2, v19
	s_waitcnt vmcnt(1)
	v_lshrrev_b16 v19, 4, v20
	;; [unrolled: 2-line block ×3, first 2 shown]
	v_and_b32_e32 v20, 0xf0f, v20
	v_and_b32_e32 v7, 0x3030, v7
	;; [unrolled: 1-line block ×3, first 2 shown]
	s_delay_alu instid0(VALU_DEP_4) | instskip(NEXT) | instid1(VALU_DEP_3)
	v_and_b32_e32 v6, 0x3030, v6
	v_or_b32_e32 v20, v7, v20
	s_delay_alu instid0(VALU_DEP_2)
	v_or_b32_e32 v19, v6, v19
                                        ; implicit-def: $vgpr6_vgpr7
.LBB66_6:                               ;   in Loop: Header=BB66_4 Depth=1
	s_and_not1_saveexec_b32 s0, s0
	s_cbranch_execz .LBB66_3
; %bb.7:                                ;   in Loop: Header=BB66_4 Depth=1
	s_clause 0x1
	global_load_u16 v19, v[6:7], off offset:4
	global_load_u16 v6, v[6:7], off offset:8
	s_waitcnt vmcnt(1)
	v_and_b32_e32 v20, 0x3f3f, v19
	s_waitcnt vmcnt(0)
	v_and_b32_e32 v19, 0x3f3f, v6
	s_branch .LBB66_3
.LBB66_8:
	s_or_b32 exec_lo, exec_lo, s1
.LBB66_9:
	s_delay_alu instid0(SALU_CYCLE_1) | instskip(SKIP_1) | instid1(VALU_DEP_1)
	s_or_b32 exec_lo, exec_lo, s6
	v_mbcnt_lo_u32_b32 v2, -1, 0
	v_xor_b32_e32 v3, 16, v2
	v_xor_b32_e32 v4, 8, v2
	;; [unrolled: 1-line block ×3, first 2 shown]
	s_delay_alu instid0(VALU_DEP_3) | instskip(SKIP_1) | instid1(VALU_DEP_4)
	v_cmp_gt_i32_e32 vcc_lo, 32, v3
	v_cndmask_b32_e32 v3, v2, v3, vcc_lo
	v_cmp_gt_i32_e32 vcc_lo, 32, v4
	v_cndmask_b32_e32 v4, v2, v4, vcc_lo
	v_cmp_gt_i32_e32 vcc_lo, 32, v5
	s_delay_alu instid0(VALU_DEP_2)
	v_lshlrev_b32_e32 v4, 2, v4
	v_lshlrev_b32_e32 v3, 2, v3
	v_cndmask_b32_e32 v5, v2, v5, vcc_lo
	ds_bpermute_b32 v3, v3, v9
	v_lshlrev_b32_e32 v5, 2, v5
	s_waitcnt lgkmcnt(0)
	v_add_f32_e32 v3, v9, v3
	ds_bpermute_b32 v4, v4, v3
	s_waitcnt lgkmcnt(0)
	v_add_f32_e32 v3, v3, v4
	ds_bpermute_b32 v4, v5, v3
	v_xor_b32_e32 v5, 2, v2
	s_delay_alu instid0(VALU_DEP_1) | instskip(SKIP_1) | instid1(VALU_DEP_1)
	v_cmp_gt_i32_e32 vcc_lo, 32, v5
	v_cndmask_b32_e32 v5, v2, v5, vcc_lo
	v_lshlrev_b32_e32 v5, 2, v5
	s_waitcnt lgkmcnt(0)
	v_add_f32_e32 v3, v3, v4
	ds_bpermute_b32 v4, v5, v3
	v_xor_b32_e32 v5, 1, v2
	s_delay_alu instid0(VALU_DEP_1) | instskip(SKIP_3) | instid1(VALU_DEP_2)
	v_cmp_gt_i32_e32 vcc_lo, 32, v5
	v_cndmask_b32_e32 v5, v2, v5, vcc_lo
	v_cmp_eq_u32_e32 vcc_lo, 0, v0
	s_waitcnt lgkmcnt(0)
	v_dual_add_f32 v2, v3, v4 :: v_dual_lshlrev_b32 v3, 2, v5
	ds_bpermute_b32 v3, v3, v2
	s_and_b32 exec_lo, exec_lo, vcc_lo
	s_cbranch_execz .LBB66_11
; %bb.10:
	v_mad_u64_u32 v[4:5], null, s15, s5, v[1:2]
	s_waitcnt lgkmcnt(0)
	v_dual_mov_b32 v5, 0 :: v_dual_add_f32 v2, v2, v3
	s_delay_alu instid0(VALU_DEP_1) | instskip(NEXT) | instid1(VALU_DEP_1)
	v_lshlrev_b64 v[0:1], 2, v[4:5]
	v_add_co_u32 v0, vcc_lo, s2, v0
	s_delay_alu instid0(VALU_DEP_2)
	v_add_co_ci_u32_e32 v1, vcc_lo, s3, v1, vcc_lo
	global_store_b32 v[0:1], v2, off
.LBB66_11:
	s_nop 0
	s_sendmsg sendmsg(MSG_DEALLOC_VGPRS)
	s_endpgm
	.section	.rodata,"a",@progbits
	.p2align	6, 0x0
	.amdhsa_kernel _ZL13mul_mat_vec_qIfLi256ELi32E10block_q5_KLi2EXadL_ZL17vec_dot_q5_K_q8_1PKvPK10block_q8_1RKiEEEvS2_S2_PT_iii
		.amdhsa_group_segment_fixed_size 0
		.amdhsa_private_segment_fixed_size 0
		.amdhsa_kernarg_size 296
		.amdhsa_user_sgpr_count 14
		.amdhsa_user_sgpr_dispatch_ptr 0
		.amdhsa_user_sgpr_queue_ptr 0
		.amdhsa_user_sgpr_kernarg_segment_ptr 1
		.amdhsa_user_sgpr_dispatch_id 0
		.amdhsa_user_sgpr_private_segment_size 0
		.amdhsa_wavefront_size32 1
		.amdhsa_uses_dynamic_stack 0
		.amdhsa_enable_private_segment 0
		.amdhsa_system_sgpr_workgroup_id_x 1
		.amdhsa_system_sgpr_workgroup_id_y 1
		.amdhsa_system_sgpr_workgroup_id_z 0
		.amdhsa_system_sgpr_workgroup_info 0
		.amdhsa_system_vgpr_workitem_id 1
		.amdhsa_next_free_vgpr 52
		.amdhsa_next_free_sgpr 16
		.amdhsa_reserve_vcc 1
		.amdhsa_float_round_mode_32 0
		.amdhsa_float_round_mode_16_64 0
		.amdhsa_float_denorm_mode_32 3
		.amdhsa_float_denorm_mode_16_64 3
		.amdhsa_dx10_clamp 1
		.amdhsa_ieee_mode 1
		.amdhsa_fp16_overflow 0
		.amdhsa_workgroup_processor_mode 1
		.amdhsa_memory_ordered 1
		.amdhsa_forward_progress 0
		.amdhsa_shared_vgpr_count 0
		.amdhsa_exception_fp_ieee_invalid_op 0
		.amdhsa_exception_fp_denorm_src 0
		.amdhsa_exception_fp_ieee_div_zero 0
		.amdhsa_exception_fp_ieee_overflow 0
		.amdhsa_exception_fp_ieee_underflow 0
		.amdhsa_exception_fp_ieee_inexact 0
		.amdhsa_exception_int_div_zero 0
	.end_amdhsa_kernel
	.section	.text._ZL13mul_mat_vec_qIfLi256ELi32E10block_q5_KLi2EXadL_ZL17vec_dot_q5_K_q8_1PKvPK10block_q8_1RKiEEEvS2_S2_PT_iii,"axG",@progbits,_ZL13mul_mat_vec_qIfLi256ELi32E10block_q5_KLi2EXadL_ZL17vec_dot_q5_K_q8_1PKvPK10block_q8_1RKiEEEvS2_S2_PT_iii,comdat
.Lfunc_end66:
	.size	_ZL13mul_mat_vec_qIfLi256ELi32E10block_q5_KLi2EXadL_ZL17vec_dot_q5_K_q8_1PKvPK10block_q8_1RKiEEEvS2_S2_PT_iii, .Lfunc_end66-_ZL13mul_mat_vec_qIfLi256ELi32E10block_q5_KLi2EXadL_ZL17vec_dot_q5_K_q8_1PKvPK10block_q8_1RKiEEEvS2_S2_PT_iii
                                        ; -- End function
	.section	.AMDGPU.csdata,"",@progbits
; Kernel info:
; codeLenInByte = 1672
; NumSgprs: 18
; NumVgprs: 52
; ScratchSize: 0
; MemoryBound: 0
; FloatMode: 240
; IeeeMode: 1
; LDSByteSize: 0 bytes/workgroup (compile time only)
; SGPRBlocks: 2
; VGPRBlocks: 6
; NumSGPRsForWavesPerEU: 18
; NumVGPRsForWavesPerEU: 52
; Occupancy: 16
; WaveLimiterHint : 0
; COMPUTE_PGM_RSRC2:SCRATCH_EN: 0
; COMPUTE_PGM_RSRC2:USER_SGPR: 14
; COMPUTE_PGM_RSRC2:TRAP_HANDLER: 0
; COMPUTE_PGM_RSRC2:TGID_X_EN: 1
; COMPUTE_PGM_RSRC2:TGID_Y_EN: 1
; COMPUTE_PGM_RSRC2:TGID_Z_EN: 0
; COMPUTE_PGM_RSRC2:TIDIG_COMP_CNT: 1
	.section	.text._ZL13mul_mat_vec_qIfLi256ELi32E10block_q6_KLi1EXadL_ZL17vec_dot_q6_K_q8_1PKvPK10block_q8_1RKiEEEvS2_S2_PT_iii,"axG",@progbits,_ZL13mul_mat_vec_qIfLi256ELi32E10block_q6_KLi1EXadL_ZL17vec_dot_q6_K_q8_1PKvPK10block_q8_1RKiEEEvS2_S2_PT_iii,comdat
	.globl	_ZL13mul_mat_vec_qIfLi256ELi32E10block_q6_KLi1EXadL_ZL17vec_dot_q6_K_q8_1PKvPK10block_q8_1RKiEEEvS2_S2_PT_iii ; -- Begin function _ZL13mul_mat_vec_qIfLi256ELi32E10block_q6_KLi1EXadL_ZL17vec_dot_q6_K_q8_1PKvPK10block_q8_1RKiEEEvS2_S2_PT_iii
	.p2align	8
	.type	_ZL13mul_mat_vec_qIfLi256ELi32E10block_q6_KLi1EXadL_ZL17vec_dot_q6_K_q8_1PKvPK10block_q8_1RKiEEEvS2_S2_PT_iii,@function
_ZL13mul_mat_vec_qIfLi256ELi32E10block_q6_KLi1EXadL_ZL17vec_dot_q6_K_q8_1PKvPK10block_q8_1RKiEEEvS2_S2_PT_iii: ; @_ZL13mul_mat_vec_qIfLi256ELi32E10block_q6_KLi1EXadL_ZL17vec_dot_q6_K_q8_1PKvPK10block_q8_1RKiEEEvS2_S2_PT_iii
; %bb.0:
	s_clause 0x1
	s_load_b32 s2, s[0:1], 0x34
	s_load_b128 s[4:7], s[0:1], 0x18
	v_bfe_u32 v3, v0, 10, 10
	s_waitcnt lgkmcnt(0)
	s_lshr_b32 s2, s2, 16
	s_cmp_lt_u32 s15, s6
	s_delay_alu instid0(VALU_DEP_1) | instskip(SKIP_1) | instid1(VALU_DEP_1)
	v_mad_u64_u32 v[1:2], null, s14, s2, v[3:4]
	s_cselect_b32 s2, -1, 0
	v_cmp_gt_u32_e32 vcc_lo, s5, v1
	s_and_b32 s2, s2, vcc_lo
	s_delay_alu instid0(SALU_CYCLE_1)
	s_and_saveexec_b32 s3, s2
	s_cbranch_execz .LBB67_7
; %bb.1:
	s_load_b64 s[6:7], s[0:1], 0x10
	v_dual_mov_b32 v5, 0 :: v_dual_and_b32 v0, 0x3ff, v0
	s_ashr_i32 s2, s4, 31
	s_mov_b32 s8, exec_lo
	s_lshr_b32 s2, s2, 24
	s_delay_alu instid0(VALU_DEP_1) | instskip(SKIP_1) | instid1(SALU_CYCLE_1)
	v_lshrrev_b32_e32 v4, 5, v0
	s_add_i32 s2, s4, s2
	s_ashr_i32 s9, s2, 8
	s_delay_alu instid0(VALU_DEP_1) | instid1(SALU_CYCLE_1)
	v_cmpx_gt_u32_e64 s9, v4
	s_cbranch_execz .LBB67_5
; %bb.2:
	v_dual_mov_b32 v5, 0 :: v_dual_and_b32 v2, 31, v0
	s_load_b128 s[0:3], s[0:1], 0x0
	v_and_b32_e32 v9, 7, v0
	s_addk_i32 s4, 0x1ff
	s_delay_alu instid0(VALU_DEP_2)
	v_add_nc_u32_e32 v3, 0xf0, v2
	v_cmp_gt_u32_e32 vcc_lo, 16, v2
	s_ashr_i32 s10, s4, 31
	v_lshlrev_b32_e32 v14, 3, v4
	s_lshr_b32 s10, s10, 23
	v_mul_lo_u32 v6, v1, s9
	v_cndmask_b32_e32 v3, v3, v2, vcc_lo
	v_cmp_lt_u32_e32 vcc_lo, 15, v2
	s_add_i32 s4, s4, s10
	s_delay_alu instid0(SALU_CYCLE_1) | instskip(NEXT) | instid1(VALU_DEP_2)
	s_ashr_i32 s4, s4, 9
	v_and_b32_e32 v7, 0xf8, v3
	v_cndmask_b32_e64 v8, 0, 1, vcc_lo
	s_mul_i32 s4, s15, s4
	s_delay_alu instid0(VALU_DEP_2) | instskip(NEXT) | instid1(VALU_DEP_2)
	v_cmp_ne_u32_e32 vcc_lo, 0, v7
	v_lshlrev_b32_e32 v11, 3, v8
	v_lshlrev_b32_e32 v7, 2, v2
	v_cndmask_b32_e64 v10, 0, 1, vcc_lo
	s_delay_alu instid0(VALU_DEP_3) | instskip(SKIP_1) | instid1(VALU_DEP_3)
	v_or_b32_e32 v12, v11, v9
	v_lshlrev_b32_e32 v9, 2, v9
	v_lshl_or_b32 v13, v8, 2, v10
	s_delay_alu instid0(VALU_DEP_3) | instskip(SKIP_4) | instid1(VALU_DEP_3)
	v_lshlrev_b32_e32 v8, 2, v12
	v_bfe_u32 v12, v3, 2, 6
	v_lshlrev_b32_e32 v10, 1, v10
	s_waitcnt lgkmcnt(0)
	v_mad_u64_u32 v[2:3], null, v13, 36, s[2:3]
	v_add_nc_u32_e32 v11, v12, v11
	v_lshl_add_u32 v12, s4, 4, v14
	s_mov_b32 s2, 0
.LBB67_3:                               ; =>This Inner Loop Header: Depth=1
	v_add_nc_u32_e32 v17, v6, v4
	s_delay_alu instid0(VALU_DEP_2) | instskip(SKIP_2) | instid1(VALU_DEP_4)
	v_mad_i64_i32 v[13:14], null, v12, 36, v[2:3]
	v_add_nc_u32_e32 v4, 1, v4
	v_add_nc_u32_e32 v12, 8, v12
	v_mad_i64_i32 v[15:16], null, 0xd2, v17, s[0:1]
	s_delay_alu instid0(VALU_DEP_4) | instskip(SKIP_1) | instid1(VALU_DEP_3)
	v_add_co_u32 v17, vcc_lo, v13, v9
	v_add_co_ci_u32_e32 v18, vcc_lo, 0, v14, vcc_lo
	v_add_co_u32 v19, vcc_lo, v15, v8
	s_delay_alu instid0(VALU_DEP_4)
	v_add_co_ci_u32_e32 v20, vcc_lo, 0, v16, vcc_lo
	v_add_co_u32 v21, vcc_lo, v15, v7
	v_add_co_ci_u32_e32 v22, vcc_lo, 0, v16, vcc_lo
	global_load_b32 v23, v[17:18], off offset:4
	s_clause 0x1
	global_load_b32 v19, v[19:20], off offset:128
	global_load_b32 v20, v[21:22], off
	global_load_b32 v21, v[17:18], off offset:76
	v_add_co_u32 v17, vcc_lo, v15, v11
	v_add_co_ci_u32_e32 v18, vcc_lo, 0, v16, vcc_lo
	v_cmp_le_u32_e32 vcc_lo, s9, v4
	s_clause 0x1
	global_load_i8 v22, v[17:18], off offset:192
	global_load_i8 v17, v[17:18], off offset:196
	s_clause 0x1
	global_load_b32 v18, v[13:14], off
	global_load_b32 v13, v[13:14], off offset:72
	global_load_u16 v14, v[15:16], off offset:208
	s_or_b32 s2, vcc_lo, s2
	s_waitcnt vmcnt(8)
	v_bfe_i32 v16, v23, 8, 8
	s_waitcnt vmcnt(7)
	v_ashrrev_i32_e32 v19, v10, v19
	s_waitcnt vmcnt(6)
	v_and_b32_e32 v28, 0xf0f0f0f, v20
	v_lshrrev_b32_e32 v20, 4, v20
	v_bfe_i32 v15, v23, 0, 8
	v_bfe_i32 v24, v23, 16, 8
	v_lshlrev_b32_e32 v29, 4, v19
	v_and_b32_e32 v19, 0x30303030, v19
	v_ashrrev_i32_e32 v23, 24, v23
	s_waitcnt vmcnt(5)
	v_bfe_i32 v26, v21, 8, 8
	v_bfe_i32 v25, v21, 0, 8
	v_and_or_b32 v28, 0x30303030, v29, v28
	v_and_or_b32 v19, 0xf0f0f0f, v20, v19
	v_bfe_i32 v27, v21, 16, 8
	v_ashrrev_i32_e32 v21, 24, v21
	s_delay_alu instid0(VALU_DEP_4)
	v_lshrrev_b32_e32 v20, 16, v28
	v_and_b32_e32 v29, 0x3f00, v28
	v_lshlrev_b16 v28, 8, v28
	v_lshrrev_b32_e32 v30, 16, v19
	v_and_b32_e32 v31, 0x3f00, v19
	v_lshlrev_b16 v19, 8, v19
	v_and_b32_e32 v32, 0x3f00, v20
	v_add_nc_u16 v28, v28, 0xe000
	v_lshlrev_b16 v20, 8, v20
	v_and_b32_e32 v33, 0x3f00, v30
	v_add_nc_u16 v19, v19, 0xe000
	v_lshlrev_b16 v30, 8, v30
	v_lshrrev_b16 v28, 8, v28
	v_add_nc_u16 v20, v20, 0xe000
	s_delay_alu instid0(VALU_DEP_4) | instskip(NEXT) | instid1(VALU_DEP_4)
	v_lshrrev_b16 v19, 8, v19
	v_add_nc_u16 v30, v30, 0xe000
	s_delay_alu instid0(VALU_DEP_4) | instskip(NEXT) | instid1(VALU_DEP_4)
	v_or_b32_e32 v28, v29, v28
	v_lshrrev_b16 v20, 8, v20
	s_delay_alu instid0(VALU_DEP_4) | instskip(NEXT) | instid1(VALU_DEP_4)
	v_or_b32_e32 v19, v31, v19
	v_lshrrev_b16 v29, 8, v30
	s_delay_alu instid0(VALU_DEP_4) | instskip(NEXT) | instid1(VALU_DEP_4)
	v_add_nc_u16 v28, v28, 0xe000
	v_or_b32_e32 v20, v32, v20
	s_delay_alu instid0(VALU_DEP_4) | instskip(NEXT) | instid1(VALU_DEP_4)
	v_add_nc_u16 v19, v19, 0xe000
	v_or_b32_e32 v29, v33, v29
	s_delay_alu instid0(VALU_DEP_4) | instskip(NEXT) | instid1(VALU_DEP_4)
	v_and_b32_e32 v28, 0xffff, v28
	v_add_nc_u16 v20, v20, 0xe000
	s_delay_alu instid0(VALU_DEP_4) | instskip(NEXT) | instid1(VALU_DEP_4)
	v_and_b32_e32 v19, 0xffff, v19
	v_add_nc_u16 v29, v29, 0xe000
	s_delay_alu instid0(VALU_DEP_4)
	v_bfe_i32 v30, v28, 0, 8
	v_bfe_i32 v28, v28, 8, 8
	;; [unrolled: 1-line block ×6, first 2 shown]
	v_mul_i32_i24_e32 v16, v28, v16
	v_bfe_i32 v33, v29, 0, 8
	v_bfe_i32 v28, v29, 8, 8
	v_mul_i32_i24_e32 v15, v30, v15
	v_mul_i32_i24_e32 v20, v20, v23
	v_mul_i32_i24_e32 v19, v19, v26
	v_mad_i32_i24 v16, v31, v24, v16
	v_mul_i32_i24_e32 v23, v32, v25
	v_mul_i32_i24_e32 v21, v28, v21
	s_delay_alu instid0(VALU_DEP_4) | instskip(NEXT) | instid1(VALU_DEP_4)
	v_mad_i32_i24 v19, v33, v27, v19
	v_add3_u32 v15, v16, v20, v15
	s_delay_alu instid0(VALU_DEP_2) | instskip(SKIP_1) | instid1(VALU_DEP_2)
	v_add3_u32 v16, v19, v21, v23
	s_waitcnt vmcnt(4)
	v_mul_lo_u32 v15, v15, v22
	s_waitcnt vmcnt(3)
	s_delay_alu instid0(VALU_DEP_2) | instskip(NEXT) | instid1(VALU_DEP_2)
	v_mul_lo_u32 v16, v16, v17
	v_cvt_f32_i32_e32 v15, v15
	s_delay_alu instid0(VALU_DEP_2) | instskip(SKIP_1) | instid1(VALU_DEP_2)
	v_cvt_f32_i32_e32 v16, v16
	s_waitcnt vmcnt(2)
	v_fma_mix_f32 v15, v18, v15, 0 op_sel_hi:[1,0,0]
	s_waitcnt vmcnt(1)
	s_delay_alu instid0(VALU_DEP_1) | instskip(SKIP_1) | instid1(VALU_DEP_1)
	v_fma_mix_f32 v13, v13, v16, v15 op_sel_hi:[1,0,0]
	s_waitcnt vmcnt(0)
	v_fma_mix_f32 v5, v13, v14, v5 op_sel_hi:[0,1,0]
	s_and_not1_b32 exec_lo, exec_lo, s2
	s_cbranch_execnz .LBB67_3
; %bb.4:
	s_or_b32 exec_lo, exec_lo, s2
.LBB67_5:
	s_delay_alu instid0(SALU_CYCLE_1) | instskip(SKIP_1) | instid1(VALU_DEP_1)
	s_or_b32 exec_lo, exec_lo, s8
	v_mbcnt_lo_u32_b32 v2, -1, 0
	v_xor_b32_e32 v3, 16, v2
	v_xor_b32_e32 v4, 8, v2
	s_delay_alu instid0(VALU_DEP_2) | instskip(SKIP_1) | instid1(VALU_DEP_3)
	v_cmp_gt_i32_e32 vcc_lo, 32, v3
	v_cndmask_b32_e32 v3, v2, v3, vcc_lo
	v_cmp_gt_i32_e32 vcc_lo, 32, v4
	v_cndmask_b32_e32 v4, v2, v4, vcc_lo
	s_delay_alu instid0(VALU_DEP_1) | instskip(NEXT) | instid1(VALU_DEP_4)
	v_lshlrev_b32_e32 v4, 2, v4
	v_lshlrev_b32_e32 v3, 2, v3
	ds_bpermute_b32 v3, v3, v5
	s_waitcnt lgkmcnt(0)
	v_add_f32_e32 v3, v5, v3
	v_xor_b32_e32 v5, 4, v2
	ds_bpermute_b32 v4, v4, v3
	v_cmp_gt_i32_e32 vcc_lo, 32, v5
	v_cndmask_b32_e32 v5, v2, v5, vcc_lo
	s_delay_alu instid0(VALU_DEP_1) | instskip(SKIP_4) | instid1(VALU_DEP_1)
	v_lshlrev_b32_e32 v5, 2, v5
	s_waitcnt lgkmcnt(0)
	v_add_f32_e32 v3, v3, v4
	ds_bpermute_b32 v4, v5, v3
	v_xor_b32_e32 v5, 2, v2
	v_cmp_gt_i32_e32 vcc_lo, 32, v5
	v_cndmask_b32_e32 v5, v2, v5, vcc_lo
	s_delay_alu instid0(VALU_DEP_1) | instskip(SKIP_4) | instid1(VALU_DEP_1)
	v_lshlrev_b32_e32 v5, 2, v5
	s_waitcnt lgkmcnt(0)
	v_add_f32_e32 v3, v3, v4
	ds_bpermute_b32 v4, v5, v3
	v_xor_b32_e32 v5, 1, v2
	v_cmp_gt_i32_e32 vcc_lo, 32, v5
	v_cndmask_b32_e32 v5, v2, v5, vcc_lo
	v_cmp_eq_u32_e32 vcc_lo, 0, v0
	s_waitcnt lgkmcnt(0)
	s_delay_alu instid0(VALU_DEP_2)
	v_dual_add_f32 v2, v3, v4 :: v_dual_lshlrev_b32 v3, 2, v5
	ds_bpermute_b32 v3, v3, v2
	s_and_b32 exec_lo, exec_lo, vcc_lo
	s_cbranch_execz .LBB67_7
; %bb.6:
	v_mad_u64_u32 v[4:5], null, s15, s5, v[1:2]
	s_waitcnt lgkmcnt(0)
	v_dual_mov_b32 v5, 0 :: v_dual_add_f32 v2, v2, v3
	s_delay_alu instid0(VALU_DEP_1) | instskip(NEXT) | instid1(VALU_DEP_1)
	v_lshlrev_b64 v[0:1], 2, v[4:5]
	v_add_co_u32 v0, vcc_lo, s6, v0
	s_delay_alu instid0(VALU_DEP_2)
	v_add_co_ci_u32_e32 v1, vcc_lo, s7, v1, vcc_lo
	global_store_b32 v[0:1], v2, off
.LBB67_7:
	s_nop 0
	s_sendmsg sendmsg(MSG_DEALLOC_VGPRS)
	s_endpgm
	.section	.rodata,"a",@progbits
	.p2align	6, 0x0
	.amdhsa_kernel _ZL13mul_mat_vec_qIfLi256ELi32E10block_q6_KLi1EXadL_ZL17vec_dot_q6_K_q8_1PKvPK10block_q8_1RKiEEEvS2_S2_PT_iii
		.amdhsa_group_segment_fixed_size 0
		.amdhsa_private_segment_fixed_size 0
		.amdhsa_kernarg_size 296
		.amdhsa_user_sgpr_count 14
		.amdhsa_user_sgpr_dispatch_ptr 0
		.amdhsa_user_sgpr_queue_ptr 0
		.amdhsa_user_sgpr_kernarg_segment_ptr 1
		.amdhsa_user_sgpr_dispatch_id 0
		.amdhsa_user_sgpr_private_segment_size 0
		.amdhsa_wavefront_size32 1
		.amdhsa_uses_dynamic_stack 0
		.amdhsa_enable_private_segment 0
		.amdhsa_system_sgpr_workgroup_id_x 1
		.amdhsa_system_sgpr_workgroup_id_y 1
		.amdhsa_system_sgpr_workgroup_id_z 0
		.amdhsa_system_sgpr_workgroup_info 0
		.amdhsa_system_vgpr_workitem_id 1
		.amdhsa_next_free_vgpr 34
		.amdhsa_next_free_sgpr 16
		.amdhsa_reserve_vcc 1
		.amdhsa_float_round_mode_32 0
		.amdhsa_float_round_mode_16_64 0
		.amdhsa_float_denorm_mode_32 3
		.amdhsa_float_denorm_mode_16_64 3
		.amdhsa_dx10_clamp 1
		.amdhsa_ieee_mode 1
		.amdhsa_fp16_overflow 0
		.amdhsa_workgroup_processor_mode 1
		.amdhsa_memory_ordered 1
		.amdhsa_forward_progress 0
		.amdhsa_shared_vgpr_count 0
		.amdhsa_exception_fp_ieee_invalid_op 0
		.amdhsa_exception_fp_denorm_src 0
		.amdhsa_exception_fp_ieee_div_zero 0
		.amdhsa_exception_fp_ieee_overflow 0
		.amdhsa_exception_fp_ieee_underflow 0
		.amdhsa_exception_fp_ieee_inexact 0
		.amdhsa_exception_int_div_zero 0
	.end_amdhsa_kernel
	.section	.text._ZL13mul_mat_vec_qIfLi256ELi32E10block_q6_KLi1EXadL_ZL17vec_dot_q6_K_q8_1PKvPK10block_q8_1RKiEEEvS2_S2_PT_iii,"axG",@progbits,_ZL13mul_mat_vec_qIfLi256ELi32E10block_q6_KLi1EXadL_ZL17vec_dot_q6_K_q8_1PKvPK10block_q8_1RKiEEEvS2_S2_PT_iii,comdat
.Lfunc_end67:
	.size	_ZL13mul_mat_vec_qIfLi256ELi32E10block_q6_KLi1EXadL_ZL17vec_dot_q6_K_q8_1PKvPK10block_q8_1RKiEEEvS2_S2_PT_iii, .Lfunc_end67-_ZL13mul_mat_vec_qIfLi256ELi32E10block_q6_KLi1EXadL_ZL17vec_dot_q6_K_q8_1PKvPK10block_q8_1RKiEEEvS2_S2_PT_iii
                                        ; -- End function
	.section	.AMDGPU.csdata,"",@progbits
; Kernel info:
; codeLenInByte = 1396
; NumSgprs: 18
; NumVgprs: 34
; ScratchSize: 0
; MemoryBound: 0
; FloatMode: 240
; IeeeMode: 1
; LDSByteSize: 0 bytes/workgroup (compile time only)
; SGPRBlocks: 2
; VGPRBlocks: 4
; NumSGPRsForWavesPerEU: 18
; NumVGPRsForWavesPerEU: 34
; Occupancy: 16
; WaveLimiterHint : 0
; COMPUTE_PGM_RSRC2:SCRATCH_EN: 0
; COMPUTE_PGM_RSRC2:USER_SGPR: 14
; COMPUTE_PGM_RSRC2:TRAP_HANDLER: 0
; COMPUTE_PGM_RSRC2:TGID_X_EN: 1
; COMPUTE_PGM_RSRC2:TGID_Y_EN: 1
; COMPUTE_PGM_RSRC2:TGID_Z_EN: 0
; COMPUTE_PGM_RSRC2:TIDIG_COMP_CNT: 1
	.section	.text._ZL13mul_mat_vec_qIfLi256ELi8E13block_iq2_xxsLi1EXadL_ZL20vec_dot_iq2_xxs_q8_1PKvPK10block_q8_1RKiEEEvS2_S2_PT_iii,"axG",@progbits,_ZL13mul_mat_vec_qIfLi256ELi8E13block_iq2_xxsLi1EXadL_ZL20vec_dot_iq2_xxs_q8_1PKvPK10block_q8_1RKiEEEvS2_S2_PT_iii,comdat
	.globl	_ZL13mul_mat_vec_qIfLi256ELi8E13block_iq2_xxsLi1EXadL_ZL20vec_dot_iq2_xxs_q8_1PKvPK10block_q8_1RKiEEEvS2_S2_PT_iii ; -- Begin function _ZL13mul_mat_vec_qIfLi256ELi8E13block_iq2_xxsLi1EXadL_ZL20vec_dot_iq2_xxs_q8_1PKvPK10block_q8_1RKiEEEvS2_S2_PT_iii
	.p2align	8
	.type	_ZL13mul_mat_vec_qIfLi256ELi8E13block_iq2_xxsLi1EXadL_ZL20vec_dot_iq2_xxs_q8_1PKvPK10block_q8_1RKiEEEvS2_S2_PT_iii,@function
_ZL13mul_mat_vec_qIfLi256ELi8E13block_iq2_xxsLi1EXadL_ZL20vec_dot_iq2_xxs_q8_1PKvPK10block_q8_1RKiEEEvS2_S2_PT_iii: ; @_ZL13mul_mat_vec_qIfLi256ELi8E13block_iq2_xxsLi1EXadL_ZL20vec_dot_iq2_xxs_q8_1PKvPK10block_q8_1RKiEEEvS2_S2_PT_iii
; %bb.0:
	s_clause 0x1
	s_load_b32 s2, s[0:1], 0x34
	s_load_b128 s[16:19], s[0:1], 0x18
	v_bfe_u32 v3, v0, 10, 10
	s_waitcnt lgkmcnt(0)
	s_lshr_b32 s2, s2, 16
	s_cmp_lt_u32 s15, s18
	s_delay_alu instid0(VALU_DEP_1) | instskip(SKIP_1) | instid1(VALU_DEP_1)
	v_mad_u64_u32 v[1:2], null, s14, s2, v[3:4]
	s_cselect_b32 s2, -1, 0
	v_cmp_gt_u32_e32 vcc_lo, s17, v1
	s_and_b32 s2, s2, vcc_lo
	s_delay_alu instid0(SALU_CYCLE_1)
	s_and_saveexec_b32 s3, s2
	s_cbranch_execz .LBB68_7
; %bb.1:
	s_load_b64 s[12:13], s[0:1], 0x10
	v_dual_mov_b32 v5, 0 :: v_dual_and_b32 v0, 0x3ff, v0
	s_ashr_i32 s2, s16, 31
	s_mov_b32 s11, exec_lo
	s_lshr_b32 s2, s2, 24
	s_delay_alu instid0(VALU_DEP_1) | instskip(SKIP_1) | instid1(SALU_CYCLE_1)
	v_lshrrev_b32_e32 v4, 3, v0
	s_add_i32 s2, s16, s2
	s_ashr_i32 s14, s2, 8
	s_delay_alu instid0(VALU_DEP_1) | instid1(SALU_CYCLE_1)
	v_cmpx_gt_u32_e64 s14, v4
	s_cbranch_execz .LBB68_5
; %bb.2:
	s_load_b128 s[20:23], s[0:1], 0x0
	s_add_i32 s0, s16, 0x1ff
	v_and_b32_e32 v5, 7, v0
	s_ashr_i32 s1, s0, 31
	v_lshlrev_b32_e32 v7, 3, v4
	s_lshr_b32 s1, s1, 23
	v_mul_lo_u32 v6, v1, s14
	s_add_i32 s0, s0, s1
	v_lshlrev_b32_e32 v8, 2, v5
	s_ashr_i32 s0, s0, 9
	s_mov_b32 s16, 0
	s_mul_i32 s0, s15, s0
	s_delay_alu instid0(SALU_CYCLE_1)
	v_lshl_add_u32 v7, s0, 4, v7
	s_waitcnt lgkmcnt(0)
	v_mad_u64_u32 v[2:3], null, v5, 36, s[22:23]
	v_dual_mov_b32 v5, 0 :: v_dual_lshlrev_b32 v8, 1, v8
.LBB68_3:                               ; =>This Inner Loop Header: Depth=1
	v_add_nc_u32_e32 v9, v6, v4
	s_delay_alu instid0(VALU_DEP_3)
	v_mad_i64_i32 v[19:20], null, v7, 36, v[2:3]
	s_getpc_b64 s[0:1]
	s_add_u32 s0, s0, _ZL11iq2xxs_grid@rel32@lo+4
	s_addc_u32 s1, s1, _ZL11iq2xxs_grid@rel32@hi+12
	s_getpc_b64 s[2:3]
	s_add_u32 s2, s2, _ZL12ksigns_iq2xs@rel32@lo+4
	s_addc_u32 s3, s3, _ZL12ksigns_iq2xs@rel32@hi+12
	v_mad_i64_i32 v[17:18], null, 0x42, v9, s[20:21]
	v_add_nc_u32_e32 v4, 4, v4
	v_add_nc_u32_e32 v7, 32, v7
	s_delay_alu instid0(VALU_DEP_3) | instskip(NEXT) | instid1(VALU_DEP_4)
	v_add_co_u32 v9, vcc_lo, v17, v8
	v_add_co_ci_u32_e32 v10, vcc_lo, 0, v18, vcc_lo
	s_clause 0x1
	global_load_b32 v27, v[9:10], off offset:6
	global_load_b32 v21, v[9:10], off offset:2
	s_clause 0x1
	global_load_b128 v[9:12], v[19:20], off offset:4
	global_load_b128 v[13:16], v[19:20], off offset:20
	global_load_u16 v28, v[17:18], off
	s_waitcnt vmcnt(2)
	v_bfe_i32 v37, v9, 8, 8
	v_and_b32_e32 v29, 0x7f, v27
	v_bfe_u32 v30, v27, 7, 7
	v_bfe_u32 v31, v27, 21, 7
	v_lshrrev_b32_e32 v22, 5, v21
	v_lshrrev_b32_e32 v23, 13, v21
	s_clause 0x2
	global_load_i8 v32, v29, s[2:3]
	global_load_i8 v33, v30, s[2:3]
	;; [unrolled: 1-line block ×3, first 2 shown]
	s_waitcnt vmcnt(3)
	v_cvt_f32_f16_e32 v28, v28
	v_and_b32_e32 v22, 0x7f8, v22
	v_and_b32_e32 v23, 0x7f8, v23
	v_bfe_i32 v39, v10, 0, 8
	v_bfe_i32 v38, v9, 16, 8
	;; [unrolled: 1-line block ×12, first 2 shown]
	v_ashrrev_i32_e32 v14, 24, v14
	v_bfe_i32 v41, v10, 16, 8
	v_ashrrev_i32_e32 v10, 24, v10
	v_bfe_i32 v42, v11, 0, 8
	v_bfe_i32 v43, v11, 8, 8
	v_bfe_i32 v44, v11, 16, 8
	v_ashrrev_i32_e32 v11, 24, v11
	v_bfe_i32 v45, v12, 0, 8
	v_bfe_i32 v46, v12, 8, 8
	;; [unrolled: 4-line block ×3, first 2 shown]
	v_bfe_i32 v50, v13, 16, 8
	v_ashrrev_i32_e32 v13, 24, v13
	v_ashrrev_i32_e32 v15, 24, v15
	;; [unrolled: 1-line block ×3, first 2 shown]
	s_waitcnt vmcnt(2)
	v_and_b32_e32 v60, 2, v32
	v_and_b32_e32 v62, 8, v32
	;; [unrolled: 1-line block ×5, first 2 shown]
	v_cmp_eq_u16_e32 vcc_lo, 0, v60
	v_and_b32_e32 v17, 0xffff0000, v27
	s_waitcnt vmcnt(1)
	v_and_b32_e32 v65, 1, v33
	v_and_b32_e32 v66, 2, v33
	;; [unrolled: 1-line block ×4, first 2 shown]
	v_and_or_b32 v17, 0xffff, v27, v17
	v_lshrrev_b32_e32 v27, 28, v27
	v_and_b32_e32 v93, 16, v33
	v_cmp_gt_i16_e64 s6, 0, v33
	v_cmp_eq_u16_e64 s4, 0, v68
	v_bfe_u32 v35, v17, 14, 7
	v_cvt_f32_ubyte0_e32 v27, v27
	v_and_b32_e32 v18, 0xff, v21
	v_lshrrev_b32_e32 v21, 21, v21
	s_delay_alu instid0(VALU_DEP_2) | instskip(NEXT) | instid1(VALU_DEP_1)
	v_dual_add_f32 v27, 0.5, v27 :: v_dual_lshlrev_b32 v18, 3, v18
	v_mul_f32_e32 v27, v27, v28
	s_delay_alu instid0(VALU_DEP_3)
	v_and_b32_e32 v25, 0x7f8, v21
	s_clause 0x3
	global_load_b64 v[17:18], v18, s[0:1]
	global_load_b64 v[21:22], v22, s[0:1]
	;; [unrolled: 1-line block ×4, first 2 shown]
	global_load_i8 v36, v35, s[2:3]
	global_load_u16 v19, v[19:20], off
	v_bfe_i32 v20, v9, 0, 8
	v_ashrrev_i32_e32 v9, 24, v9
	v_cmp_eq_u16_e64 s0, 0, v62
	v_cmp_eq_u16_e64 s1, 0, v64
	v_cmp_gt_i16_e64 s2, 0, v32
	v_cmp_eq_u16_e64 s3, 0, v66
	s_waitcnt vmcnt(5)
	v_bfe_u32 v72, v17, 8, 8
	v_and_b32_e32 v73, 0xff, v18
	v_lshrrev_b32_e32 v69, 24, v17
	v_and_b32_e32 v71, 0xff, v17
	v_bfe_u32 v17, v17, 16, 8
	s_waitcnt vmcnt(2)
	v_lshrrev_b32_e32 v87, 24, v25
	v_and_b32_e32 v89, 0xff, v25
	v_bfe_u32 v90, v25, 8, 8
	v_bfe_u32 v25, v25, 16, 8
	;; [unrolled: 1-line block ×3, first 2 shown]
	v_mul_i32_i24_e32 v37, v72, v37
	v_mul_i32_i24_e32 v39, v73, v39
	v_lshrrev_b32_e32 v82, 24, v24
	v_and_b32_e32 v85, 0xff, v24
	v_bfe_u32 v86, v24, 8, 8
	v_bfe_u32 v24, v24, 16, 8
	v_lshrrev_b32_e32 v88, 24, v26
	v_and_b32_e32 v91, 0xff, v26
	v_bfe_u32 v26, v26, 16, 8
	v_mul_i32_i24_e32 v20, v71, v20
	v_mul_i32_i24_e32 v17, v17, v38
	;; [unrolled: 1-line block ×4, first 2 shown]
	v_sub_nc_u32_e32 v58, 0, v37
	v_sub_nc_u32_e32 v62, 0, v39
	v_and_b32_e32 v28, 1, v32
	v_bfe_u32 v74, v18, 8, 8
	v_mul_i32_i24_e32 v9, v69, v9
	v_mul_i32_i24_e32 v24, v24, v53
	;; [unrolled: 1-line block ×6, first 2 shown]
	v_sub_nc_u32_e32 v57, 0, v20
	v_sub_nc_u32_e32 v59, 0, v17
	v_cmp_eq_u16_e64 s10, 0, v28
	v_cndmask_b32_e32 v28, v58, v37, vcc_lo
	v_cmp_eq_u16_e32 vcc_lo, 0, v61
	v_lshrrev_b32_e32 v70, 24, v18
	v_bfe_u32 v18, v18, 16, 8
	v_and_b32_e32 v77, 0xff, v21
	v_mul_i32_i24_e32 v40, v74, v40
	v_mul_i32_i24_e32 v14, v82, v14
	v_sub_nc_u32_e32 v60, 0, v9
	v_cndmask_b32_e64 v20, v57, v20, s10
	v_cndmask_b32_e32 v17, v59, v17, vcc_lo
	v_cmp_eq_u16_e32 vcc_lo, 0, v63
	v_bfe_u32 v78, v21, 8, 8
	v_mul_i32_i24_e32 v18, v18, v41
	v_mul_i32_i24_e32 v10, v70, v10
	;; [unrolled: 1-line block ×3, first 2 shown]
	v_cndmask_b32_e32 v39, v62, v39, vcc_lo
	v_sub_nc_u32_e32 v77, 0, v40
	v_cndmask_b32_e64 v9, v60, v9, s0
	v_add_nc_u32_e32 v20, v28, v20
	v_sub_nc_u32_e32 v28, 0, v14
	s_waitcnt vmcnt(1)
	v_cmp_gt_i16_e32 vcc_lo, 0, v36
	v_lshrrev_b32_e32 v75, 24, v21
	v_bfe_u32 v21, v21, 16, 8
	v_and_b32_e32 v79, 0xff, v22
	v_mul_i32_i24_e32 v43, v78, v43
	v_sub_nc_u32_e32 v64, 0, v18
	v_sub_nc_u32_e32 v78, 0, v10
	v_cndmask_b32_e64 v40, v77, v40, s1
	v_add3_u32 v9, v20, v17, v9
	v_cndmask_b32_e32 v14, v14, v28, vcc_lo
	v_cmp_gt_u32_e64 s0, 64, v29
	v_bfe_u32 v80, v22, 8, 8
	v_mul_i32_i24_e32 v21, v21, v44
	v_mul_i32_i24_e32 v11, v75, v11
	;; [unrolled: 1-line block ×3, first 2 shown]
	v_sub_nc_u32_e32 v32, 0, v42
	v_sub_nc_u32_e32 v79, 0, v43
	v_cndmask_b32_e64 v17, v64, v18, s0
	v_cndmask_b32_e64 v10, v10, v78, s2
	v_add3_u32 v9, v9, v39, v40
	v_cmp_eq_u16_e64 s0, 0, v65
	v_lshrrev_b32_e32 v76, 24, v22
	v_bfe_u32 v22, v22, 16, 8
	v_lshrrev_b32_e32 v81, 24, v23
	v_and_b32_e32 v71, 32, v33
	v_mul_i32_i24_e32 v45, v80, v46
	v_sub_nc_u32_e32 v66, 0, v21
	v_sub_nc_u32_e32 v80, 0, v11
	v_cndmask_b32_e64 v20, v32, v42, s0
	v_cndmask_b32_e64 v29, v79, v43, s3
	v_add3_u32 v9, v9, v17, v10
	v_cmp_eq_u16_e64 s0, 0, v67
	v_and_b32_e32 v83, 0xff, v23
	v_bfe_u32 v84, v23, 8, 8
	v_mul_i32_i24_e32 v22, v22, v47
	v_mul_i32_i24_e32 v12, v76, v12
	;; [unrolled: 1-line block ×3, first 2 shown]
	v_sub_nc_u32_e32 v68, 0, v44
	v_sub_nc_u32_e32 v81, 0, v45
	v_cmp_eq_u16_e64 s5, 0, v71
	v_cndmask_b32_e64 v17, v66, v21, s0
	v_cndmask_b32_e64 v11, v80, v11, s4
	v_add3_u32 v9, v9, v20, v29
	v_cmp_eq_u16_e64 s1, 0, v93
	v_bfe_u32 v23, v23, 16, 8
	v_mul_i32_i24_e32 v46, v83, v48
	v_and_b32_e32 v47, 1, v36
	v_mul_i32_i24_e32 v48, v84, v49
	v_and_b32_e32 v49, 2, v36
	v_sub_nc_u32_e32 v71, 0, v22
	v_sub_nc_u32_e32 v82, 0, v12
	v_cndmask_b32_e64 v20, v68, v44, s1
	v_cndmask_b32_e64 v21, v81, v45, s5
	v_add3_u32 v9, v9, v17, v11
	v_cmp_gt_u32_e64 s1, 64, v30
	v_mul_i32_i24_e32 v23, v23, v50
	v_and_b32_e32 v50, 4, v36
	v_and_b32_e32 v70, 8, v36
	v_sub_nc_u32_e32 v33, 0, v46
	v_sub_nc_u32_e32 v83, 0, v48
	v_cmp_eq_u16_e64 s7, 0, v49
	v_cndmask_b32_e64 v17, v71, v22, s1
	v_cndmask_b32_e64 v12, v12, v82, s6
	v_add3_u32 v9, v9, v20, v21
	v_cmp_eq_u16_e64 s1, 0, v47
	v_mul_i32_i24_e32 v51, v85, v51
	v_and_b32_e32 v75, 16, v36
	v_mul_i32_i24_e32 v52, v86, v52
	v_and_b32_e32 v76, 32, v36
	v_sub_nc_u32_e32 v49, 0, v23
	v_sub_nc_u32_e32 v84, 0, v13
	v_cmp_eq_u16_e64 s8, 0, v70
	v_cndmask_b32_e64 v21, v33, v46, s1
	v_cndmask_b32_e64 v22, v83, v48, s7
	v_add3_u32 v9, v9, v17, v12
	v_cmp_eq_u16_e64 s2, 0, v50
	v_sub_nc_u32_e32 v70, 0, v51
	v_sub_nc_u32_e32 v85, 0, v52
	v_cmp_eq_u16_e64 s9, 0, v76
	v_cndmask_b32_e64 v13, v84, v13, s8
	v_cndmask_b32_e64 v12, v49, v23, s2
	v_add3_u32 v9, v9, v21, v22
	v_cmp_eq_u16_e64 s2, 0, v75
	v_and_b32_e32 v72, 1, v34
	v_and_b32_e32 v38, 2, v34
	v_sub_nc_u32_e32 v37, 0, v24
	v_cndmask_b32_e64 v22, v85, v52, s9
	v_cndmask_b32_e64 v21, v70, v51, s2
	v_add3_u32 v9, v9, v12, v13
	v_cmp_gt_u32_e64 s2, 64, v35
	v_and_b32_e32 v69, 4, v34
	v_and_b32_e32 v73, 8, v34
	v_mul_i32_i24_e32 v15, v87, v15
	v_sub_nc_u32_e32 v18, 0, v53
	v_sub_nc_u32_e32 v10, 0, v54
	v_cmp_eq_u16_e64 s0, 0, v38
	v_cndmask_b32_e64 v13, v37, v24, s2
	v_add3_u32 v9, v9, v21, v22
	v_cmp_eq_u16_e64 s2, 0, v72
	v_and_b32_e32 v74, 16, v34
	v_and_b32_e32 v41, 32, v34
	v_sub_nc_u32_e32 v11, 0, v25
	v_sub_nc_u32_e32 v20, 0, v15
	v_cmp_eq_u16_e64 s1, 0, v73
	v_cndmask_b32_e64 v18, v18, v53, s2
	v_cndmask_b32_e64 v10, v10, v54, s0
	v_add3_u32 v9, v9, v13, v14
	v_cmp_eq_u16_e64 s0, 0, v69
	v_mul_i32_i24_e32 v16, v88, v16
	v_sub_nc_u32_e32 v17, 0, v55
	v_sub_nc_u32_e32 v12, 0, v56
	v_cmp_eq_u16_e32 vcc_lo, 0, v41
	v_cndmask_b32_e64 v11, v11, v25, s0
	v_cndmask_b32_e64 v14, v20, v15, s1
	v_add3_u32 v9, v9, v18, v10
	v_cmp_eq_u16_e64 s0, 0, v74
	v_sub_nc_u32_e32 v13, 0, v26
	v_sub_nc_u32_e32 v10, 0, v16
	v_cndmask_b32_e32 v12, v12, v56, vcc_lo
	v_add3_u32 v9, v9, v11, v14
	v_cndmask_b32_e64 v15, v17, v55, s0
	v_cmp_gt_i16_e32 vcc_lo, 0, v34
	v_cmp_gt_u32_e64 s0, 64, v31
	s_waitcnt vmcnt(0)
	v_cvt_f32_f16_e32 v19, v19
	v_add3_u32 v9, v9, v15, v12
	v_cndmask_b32_e32 v10, v16, v10, vcc_lo
	v_cndmask_b32_e64 v11, v13, v26, s0
	s_delay_alu instid0(VALU_DEP_4) | instskip(SKIP_1) | instid1(VALU_DEP_3)
	v_mul_f32_e32 v12, v27, v19
	v_cmp_le_u32_e32 vcc_lo, s14, v4
	v_add3_u32 v9, v9, v11, v10
	s_delay_alu instid0(VALU_DEP_3) | instskip(SKIP_1) | instid1(VALU_DEP_2)
	v_mul_f32_e32 v10, 0x3e800000, v12
	s_or_b32 s16, vcc_lo, s16
	v_cvt_f32_i32_e32 v9, v9
	s_delay_alu instid0(VALU_DEP_1)
	v_fmac_f32_e32 v5, v10, v9
	s_and_not1_b32 exec_lo, exec_lo, s16
	s_cbranch_execnz .LBB68_3
; %bb.4:
	s_or_b32 exec_lo, exec_lo, s16
.LBB68_5:
	s_delay_alu instid0(SALU_CYCLE_1) | instskip(SKIP_1) | instid1(VALU_DEP_1)
	s_or_b32 exec_lo, exec_lo, s11
	v_mbcnt_lo_u32_b32 v2, -1, 0
	v_xor_b32_e32 v3, 16, v2
	v_xor_b32_e32 v4, 8, v2
	s_delay_alu instid0(VALU_DEP_2) | instskip(SKIP_1) | instid1(VALU_DEP_3)
	v_cmp_gt_i32_e32 vcc_lo, 32, v3
	v_cndmask_b32_e32 v3, v2, v3, vcc_lo
	v_cmp_gt_i32_e32 vcc_lo, 32, v4
	v_cndmask_b32_e32 v4, v2, v4, vcc_lo
	s_delay_alu instid0(VALU_DEP_1) | instskip(NEXT) | instid1(VALU_DEP_4)
	v_lshlrev_b32_e32 v4, 2, v4
	v_lshlrev_b32_e32 v3, 2, v3
	ds_bpermute_b32 v3, v3, v5
	s_waitcnt lgkmcnt(0)
	v_add_f32_e32 v3, v5, v3
	v_xor_b32_e32 v5, 4, v2
	ds_bpermute_b32 v4, v4, v3
	v_cmp_gt_i32_e32 vcc_lo, 32, v5
	v_cndmask_b32_e32 v5, v2, v5, vcc_lo
	s_delay_alu instid0(VALU_DEP_1) | instskip(SKIP_4) | instid1(VALU_DEP_1)
	v_lshlrev_b32_e32 v5, 2, v5
	s_waitcnt lgkmcnt(0)
	v_add_f32_e32 v3, v3, v4
	ds_bpermute_b32 v4, v5, v3
	v_xor_b32_e32 v5, 2, v2
	v_cmp_gt_i32_e32 vcc_lo, 32, v5
	v_cndmask_b32_e32 v5, v2, v5, vcc_lo
	s_delay_alu instid0(VALU_DEP_1) | instskip(SKIP_4) | instid1(VALU_DEP_1)
	v_lshlrev_b32_e32 v5, 2, v5
	s_waitcnt lgkmcnt(0)
	v_add_f32_e32 v3, v3, v4
	ds_bpermute_b32 v4, v5, v3
	v_xor_b32_e32 v5, 1, v2
	v_cmp_gt_i32_e32 vcc_lo, 32, v5
	v_cndmask_b32_e32 v5, v2, v5, vcc_lo
	v_cmp_eq_u32_e32 vcc_lo, 0, v0
	s_waitcnt lgkmcnt(0)
	s_delay_alu instid0(VALU_DEP_2)
	v_dual_add_f32 v2, v3, v4 :: v_dual_lshlrev_b32 v3, 2, v5
	ds_bpermute_b32 v3, v3, v2
	s_and_b32 exec_lo, exec_lo, vcc_lo
	s_cbranch_execz .LBB68_7
; %bb.6:
	v_mad_u64_u32 v[4:5], null, s15, s17, v[1:2]
	s_waitcnt lgkmcnt(0)
	v_dual_mov_b32 v5, 0 :: v_dual_add_f32 v2, v2, v3
	s_delay_alu instid0(VALU_DEP_1) | instskip(NEXT) | instid1(VALU_DEP_1)
	v_lshlrev_b64 v[0:1], 2, v[4:5]
	v_add_co_u32 v0, vcc_lo, s12, v0
	s_delay_alu instid0(VALU_DEP_2)
	v_add_co_ci_u32_e32 v1, vcc_lo, s13, v1, vcc_lo
	global_store_b32 v[0:1], v2, off
.LBB68_7:
	s_nop 0
	s_sendmsg sendmsg(MSG_DEALLOC_VGPRS)
	s_endpgm
	.section	.rodata,"a",@progbits
	.p2align	6, 0x0
	.amdhsa_kernel _ZL13mul_mat_vec_qIfLi256ELi8E13block_iq2_xxsLi1EXadL_ZL20vec_dot_iq2_xxs_q8_1PKvPK10block_q8_1RKiEEEvS2_S2_PT_iii
		.amdhsa_group_segment_fixed_size 0
		.amdhsa_private_segment_fixed_size 0
		.amdhsa_kernarg_size 296
		.amdhsa_user_sgpr_count 14
		.amdhsa_user_sgpr_dispatch_ptr 0
		.amdhsa_user_sgpr_queue_ptr 0
		.amdhsa_user_sgpr_kernarg_segment_ptr 1
		.amdhsa_user_sgpr_dispatch_id 0
		.amdhsa_user_sgpr_private_segment_size 0
		.amdhsa_wavefront_size32 1
		.amdhsa_uses_dynamic_stack 0
		.amdhsa_enable_private_segment 0
		.amdhsa_system_sgpr_workgroup_id_x 1
		.amdhsa_system_sgpr_workgroup_id_y 1
		.amdhsa_system_sgpr_workgroup_id_z 0
		.amdhsa_system_sgpr_workgroup_info 0
		.amdhsa_system_vgpr_workitem_id 1
		.amdhsa_next_free_vgpr 94
		.amdhsa_next_free_sgpr 24
		.amdhsa_reserve_vcc 1
		.amdhsa_float_round_mode_32 0
		.amdhsa_float_round_mode_16_64 0
		.amdhsa_float_denorm_mode_32 3
		.amdhsa_float_denorm_mode_16_64 3
		.amdhsa_dx10_clamp 1
		.amdhsa_ieee_mode 1
		.amdhsa_fp16_overflow 0
		.amdhsa_workgroup_processor_mode 1
		.amdhsa_memory_ordered 1
		.amdhsa_forward_progress 0
		.amdhsa_shared_vgpr_count 0
		.amdhsa_exception_fp_ieee_invalid_op 0
		.amdhsa_exception_fp_denorm_src 0
		.amdhsa_exception_fp_ieee_div_zero 0
		.amdhsa_exception_fp_ieee_overflow 0
		.amdhsa_exception_fp_ieee_underflow 0
		.amdhsa_exception_fp_ieee_inexact 0
		.amdhsa_exception_int_div_zero 0
	.end_amdhsa_kernel
	.section	.text._ZL13mul_mat_vec_qIfLi256ELi8E13block_iq2_xxsLi1EXadL_ZL20vec_dot_iq2_xxs_q8_1PKvPK10block_q8_1RKiEEEvS2_S2_PT_iii,"axG",@progbits,_ZL13mul_mat_vec_qIfLi256ELi8E13block_iq2_xxsLi1EXadL_ZL20vec_dot_iq2_xxs_q8_1PKvPK10block_q8_1RKiEEEvS2_S2_PT_iii,comdat
.Lfunc_end68:
	.size	_ZL13mul_mat_vec_qIfLi256ELi8E13block_iq2_xxsLi1EXadL_ZL20vec_dot_iq2_xxs_q8_1PKvPK10block_q8_1RKiEEEvS2_S2_PT_iii, .Lfunc_end68-_ZL13mul_mat_vec_qIfLi256ELi8E13block_iq2_xxsLi1EXadL_ZL20vec_dot_iq2_xxs_q8_1PKvPK10block_q8_1RKiEEEvS2_S2_PT_iii
                                        ; -- End function
	.section	.AMDGPU.csdata,"",@progbits
; Kernel info:
; codeLenInByte = 2324
; NumSgprs: 26
; NumVgprs: 94
; ScratchSize: 0
; MemoryBound: 0
; FloatMode: 240
; IeeeMode: 1
; LDSByteSize: 0 bytes/workgroup (compile time only)
; SGPRBlocks: 3
; VGPRBlocks: 11
; NumSGPRsForWavesPerEU: 26
; NumVGPRsForWavesPerEU: 94
; Occupancy: 16
; WaveLimiterHint : 0
; COMPUTE_PGM_RSRC2:SCRATCH_EN: 0
; COMPUTE_PGM_RSRC2:USER_SGPR: 14
; COMPUTE_PGM_RSRC2:TRAP_HANDLER: 0
; COMPUTE_PGM_RSRC2:TGID_X_EN: 1
; COMPUTE_PGM_RSRC2:TGID_Y_EN: 1
; COMPUTE_PGM_RSRC2:TGID_Z_EN: 0
; COMPUTE_PGM_RSRC2:TIDIG_COMP_CNT: 1
	.section	.text._ZL13mul_mat_vec_qIfLi256ELi8E12block_iq2_xsLi1EXadL_ZL19vec_dot_iq2_xs_q8_1PKvPK10block_q8_1RKiEEEvS2_S2_PT_iii,"axG",@progbits,_ZL13mul_mat_vec_qIfLi256ELi8E12block_iq2_xsLi1EXadL_ZL19vec_dot_iq2_xs_q8_1PKvPK10block_q8_1RKiEEEvS2_S2_PT_iii,comdat
	.globl	_ZL13mul_mat_vec_qIfLi256ELi8E12block_iq2_xsLi1EXadL_ZL19vec_dot_iq2_xs_q8_1PKvPK10block_q8_1RKiEEEvS2_S2_PT_iii ; -- Begin function _ZL13mul_mat_vec_qIfLi256ELi8E12block_iq2_xsLi1EXadL_ZL19vec_dot_iq2_xs_q8_1PKvPK10block_q8_1RKiEEEvS2_S2_PT_iii
	.p2align	8
	.type	_ZL13mul_mat_vec_qIfLi256ELi8E12block_iq2_xsLi1EXadL_ZL19vec_dot_iq2_xs_q8_1PKvPK10block_q8_1RKiEEEvS2_S2_PT_iii,@function
_ZL13mul_mat_vec_qIfLi256ELi8E12block_iq2_xsLi1EXadL_ZL19vec_dot_iq2_xs_q8_1PKvPK10block_q8_1RKiEEEvS2_S2_PT_iii: ; @_ZL13mul_mat_vec_qIfLi256ELi8E12block_iq2_xsLi1EXadL_ZL19vec_dot_iq2_xs_q8_1PKvPK10block_q8_1RKiEEEvS2_S2_PT_iii
; %bb.0:
	s_clause 0x1
	s_load_b32 s2, s[0:1], 0x34
	s_load_b128 s[36:39], s[0:1], 0x18
	v_bfe_u32 v3, v0, 10, 10
	s_waitcnt lgkmcnt(0)
	s_lshr_b32 s2, s2, 16
	s_cmp_lt_u32 s15, s38
	s_delay_alu instid0(VALU_DEP_1) | instskip(SKIP_1) | instid1(VALU_DEP_1)
	v_mad_u64_u32 v[1:2], null, s14, s2, v[3:4]
	s_cselect_b32 s2, -1, 0
	v_cmp_gt_u32_e32 vcc_lo, s37, v1
	s_and_b32 s2, s2, vcc_lo
	s_delay_alu instid0(SALU_CYCLE_1)
	s_and_saveexec_b32 s3, s2
	s_cbranch_execz .LBB69_7
; %bb.1:
	s_load_b64 s[34:35], s[0:1], 0x10
	v_dual_mov_b32 v7, 0 :: v_dual_and_b32 v0, 0x3ff, v0
	s_ashr_i32 s2, s36, 31
	s_mov_b32 s31, exec_lo
	s_lshr_b32 s2, s2, 24
	s_delay_alu instid0(VALU_DEP_1) | instskip(SKIP_1) | instid1(SALU_CYCLE_1)
	v_lshrrev_b32_e32 v6, 3, v0
	s_add_i32 s2, s36, s2
	s_ashr_i32 s33, s2, 8
	s_delay_alu instid0(VALU_DEP_1) | instid1(SALU_CYCLE_1)
	v_cmpx_gt_u32_e64 s33, v6
	s_cbranch_execz .LBB69_5
; %bb.2:
	s_load_b128 s[40:43], s[0:1], 0x0
	s_add_i32 s0, s36, 0x1ff
	v_dual_mov_b32 v7, 0 :: v_dual_and_b32 v8, 7, v0
	s_ashr_i32 s1, s0, 31
	v_lshlrev_b32_e32 v4, 3, v6
	s_lshr_b32 s1, s1, 23
	s_delay_alu instid0(VALU_DEP_2)
	v_lshlrev_b32_e32 v5, 2, v8
	s_add_i32 s0, s0, s1
	v_mul_lo_u32 v9, v1, s33
	s_ashr_i32 s0, s0, 9
	s_mov_b32 s36, 0
	s_mul_i32 s0, s15, s0
	v_lshlrev_b32_e32 v11, 1, v5
	v_lshl_add_u32 v10, s0, 4, v4
	s_waitcnt lgkmcnt(0)
	v_mad_u64_u32 v[2:3], null, v8, 36, s[42:43]
.LBB69_3:                               ; =>This Inner Loop Header: Depth=1
	v_add_nc_u32_e32 v4, v9, v6
	s_delay_alu instid0(VALU_DEP_2)
	v_mad_i64_i32 v[22:23], null, v10, 36, v[2:3]
	s_getpc_b64 s[0:1]
	s_add_u32 s0, s0, _ZL10iq2xs_grid@rel32@lo+4
	s_addc_u32 s1, s1, _ZL10iq2xs_grid@rel32@hi+12
	s_getpc_b64 s[2:3]
	s_add_u32 s2, s2, _ZL12ksigns_iq2xs@rel32@lo+4
	s_addc_u32 s3, s3, _ZL12ksigns_iq2xs@rel32@hi+12
	v_mad_i64_i32 v[20:21], null, 0x4a, v4, s[40:41]
	v_add_nc_u32_e32 v6, 4, v6
	v_add_nc_u32_e32 v10, 32, v10
	s_delay_alu instid0(VALU_DEP_3) | instskip(NEXT) | instid1(VALU_DEP_4)
	v_add_co_u32 v4, vcc_lo, v20, v11
	v_add_co_ci_u32_e32 v5, vcc_lo, 0, v21, vcc_lo
	v_add_co_u32 v24, vcc_lo, v20, v8
	v_add_co_ci_u32_e32 v25, vcc_lo, 0, v21, vcc_lo
	global_load_b64 v[4:5], v[4:5], off offset:2
	s_clause 0x1
	global_load_b128 v[12:15], v[22:23], off offset:4
	global_load_b128 v[16:19], v[22:23], off offset:20
	s_clause 0x1
	global_load_u8 v30, v[24:25], off offset:66
	global_load_u16 v31, v[20:21], off
	s_waitcnt vmcnt(3)
	v_bfe_i32 v36, v12, 8, 8
	v_and_b32_e32 v20, 0x1ff, v4
	v_lshrrev_b32_e32 v24, 13, v4
	v_and_b32_e32 v26, 0x1ff, v5
	v_lshrrev_b32_e32 v28, 13, v5
	v_bfe_u32 v21, v4, 9, 7
	v_lshrrev_b32_e32 v25, 25, v4
	v_bfe_u32 v27, v5, 9, 7
	v_lshrrev_b32_e32 v29, 25, v5
	v_lshlrev_b32_e32 v20, 3, v20
	v_and_b32_e32 v24, 0xff8, v24
	v_lshlrev_b32_e32 v26, 3, v26
	v_and_b32_e32 v28, 0xff8, v28
	s_clause 0x3
	global_load_i8 v32, v21, s[2:3]
	global_load_i8 v33, v25, s[2:3]
	;; [unrolled: 1-line block ×4, first 2 shown]
	s_clause 0x3
	global_load_b64 v[20:21], v20, s[0:1]
	global_load_b64 v[24:25], v24, s[0:1]
	;; [unrolled: 1-line block ×4, first 2 shown]
	global_load_u16 v22, v[22:23], off
	v_bfe_i32 v38, v13, 0, 8
	v_bfe_i32 v39, v13, 8, 8
	s_waitcnt vmcnt(11)
	v_bfe_i32 v47, v16, 0, 8
	v_bfe_i32 v48, v16, 8, 8
	s_waitcnt vmcnt(10)
	v_lshrrev_b16 v59, 4, v30
	v_bfe_i32 v23, v12, 0, 8
	v_bfe_i32 v37, v12, 16, 8
	v_ashrrev_i32_e32 v12, 24, v12
	v_bfe_i32 v40, v13, 16, 8
	v_ashrrev_i32_e32 v13, 24, v13
	;; [unrolled: 2-line block ×3, first 2 shown]
	v_bfe_i32 v50, v17, 0, 8
	v_bfe_i32 v51, v17, 8, 8
	;; [unrolled: 1-line block ×4, first 2 shown]
	v_cvt_f32_ubyte0_e32 v59, v59
	v_bfe_i32 v41, v14, 0, 8
	v_bfe_i32 v42, v14, 8, 8
	;; [unrolled: 1-line block ×3, first 2 shown]
	v_ashrrev_i32_e32 v14, 24, v14
	v_bfe_i32 v44, v15, 0, 8
	v_bfe_i32 v45, v15, 8, 8
	;; [unrolled: 1-line block ×3, first 2 shown]
	v_ashrrev_i32_e32 v15, 24, v15
	v_bfe_i32 v55, v18, 16, 8
	v_bfe_i32 v52, v17, 16, 8
	v_ashrrev_i32_e32 v17, 24, v17
	v_bfe_i32 v54, v18, 8, 8
	v_bfe_i32 v57, v19, 8, 8
	;; [unrolled: 1-line block ×3, first 2 shown]
	v_lshrrev_b32_e32 v60, 16, v4
	v_cmp_gt_i16_e64 s4, 0, v4
	v_ashrrev_i32_e32 v18, 24, v18
	v_lshrrev_b32_e32 v61, 16, v5
	v_cmp_gt_i16_e64 s20, 0, v5
	v_ashrrev_i32_e32 v19, 24, v19
	v_and_b32_e32 v30, 15, v30
	s_delay_alu instid0(VALU_DEP_4)
	v_cmp_gt_i16_e64 s28, 0, v61
	s_waitcnt vmcnt(5)
	v_cmp_gt_i16_e64 s29, 0, v35
	s_waitcnt vmcnt(4)
	v_bfe_u32 v72, v20, 8, 8
	v_and_b32_e32 v73, 0xff, v21
	v_bfe_u32 v74, v21, 8, 8
	s_waitcnt vmcnt(2)
	v_and_b32_e32 v83, 0xff, v26
	v_bfe_u32 v84, v26, 8, 8
	v_and_b32_e32 v63, 2, v32
	v_and_b32_e32 v64, 4, v32
	;; [unrolled: 1-line block ×4, first 2 shown]
	v_lshrrev_b32_e32 v69, 24, v20
	v_lshrrev_b32_e32 v70, 24, v21
	v_and_b32_e32 v71, 0xff, v20
	v_bfe_u32 v20, v20, 16, 8
	v_bfe_u32 v21, v21, 16, 8
	v_lshrrev_b32_e32 v81, 24, v26
	v_bfe_u32 v26, v26, 16, 8
	v_and_b32_e32 v85, 0xff, v27
	v_bfe_u32 v86, v27, 8, 8
	s_waitcnt vmcnt(1)
	v_and_b32_e32 v89, 0xff, v28
	v_and_b32_e32 v91, 0xff, v29
	v_mul_i32_i24_e32 v36, v72, v36
	v_mul_i32_i24_e32 v38, v73, v38
	v_and_b32_e32 v73, 1, v34
	v_mul_i32_i24_e32 v39, v74, v39
	v_and_b32_e32 v74, 2, v34
	v_mul_i32_i24_e32 v47, v83, v47
	v_mul_i32_i24_e32 v48, v84, v48
	v_and_b32_e32 v62, 1, v32
	v_and_b32_e32 v68, 1, v33
	v_lshrrev_b32_e32 v75, 24, v24
	v_lshrrev_b32_e32 v76, 24, v25
	v_and_b32_e32 v77, 0xff, v24
	v_bfe_u32 v78, v24, 8, 8
	v_bfe_u32 v24, v24, 16, 8
	v_and_b32_e32 v79, 0xff, v25
	v_bfe_u32 v80, v25, 8, 8
	v_bfe_u32 v25, v25, 16, 8
	v_lshrrev_b32_e32 v87, 24, v28
	v_bfe_u32 v90, v28, 8, 8
	v_bfe_u32 v28, v28, 16, 8
	v_and_b32_e32 v93, 2, v33
	v_mul_i32_i24_e32 v23, v71, v23
	v_and_b32_e32 v71, 4, v33
	v_and_b32_e32 v72, 8, v33
	v_mul_i32_i24_e32 v20, v20, v37
	v_and_b32_e32 v37, 16, v33
	v_mul_i32_i24_e32 v12, v69, v12
	;; [unrolled: 2-line block ×5, first 2 shown]
	v_mul_i32_i24_e32 v16, v81, v16
	v_mul_i32_i24_e32 v49, v85, v50
	;; [unrolled: 1-line block ×5, first 2 shown]
	v_sub_nc_u32_e32 v56, 0, v36
	v_cmp_eq_u16_e32 vcc_lo, 0, v63
	v_cmp_eq_u16_e64 s0, 0, v64
	v_sub_nc_u32_e32 v63, 0, v38
	v_cmp_eq_u16_e64 s2, 0, v66
	v_sub_nc_u32_e32 v64, 0, v39
	v_cmp_eq_u16_e64 s3, 0, v67
	v_cmp_gt_i16_e64 s12, 0, v33
	v_sub_nc_u32_e32 v33, 0, v47
	v_cmp_eq_u16_e64 s13, 0, v73
	v_sub_nc_u32_e32 v73, 0, v48
	v_cmp_eq_u16_e64 s14, 0, v74
	s_waitcnt vmcnt(0)
	v_cvt_f32_f16_e32 v22, v22
	v_and_b32_e32 v65, 8, v32
	v_lshrrev_b32_e32 v82, 24, v27
	v_bfe_u32 v27, v27, 16, 8
	v_lshrrev_b32_e32 v88, 24, v29
	v_bfe_u32 v92, v29, 8, 8
	v_bfe_u32 v29, v29, 16, 8
	v_mul_i32_i24_e32 v41, v77, v41
	v_and_b32_e32 v77, 16, v34
	v_mul_i32_i24_e32 v42, v78, v42
	v_and_b32_e32 v78, 32, v34
	;; [unrolled: 2-line block ×8, first 2 shown]
	v_mul_i32_i24_e32 v28, v28, v55
	v_sub_nc_u32_e32 v55, 0, v23
	v_sub_nc_u32_e32 v4, 0, v13
	v_cmp_gt_i16_e64 s5, 0, v32
	v_sub_nc_u32_e32 v74, 0, v26
	v_cmp_eq_u16_e64 s16, 0, v40
	v_sub_nc_u32_e32 v40, 0, v16
	v_cmp_eq_u16_e64 s17, 0, v70
	v_cmp_eq_u16_e64 s30, 0, v62
	v_cndmask_b32_e32 v35, v56, v36, vcc_lo
	v_cndmask_b32_e64 v36, v63, v38, s2
	v_cndmask_b32_e64 v38, v64, v39, s3
	;; [unrolled: 1-line block ×4, first 2 shown]
	v_mul_i32_i24_e32 v27, v27, v52
	v_mul_i32_i24_e32 v17, v82, v17
	;; [unrolled: 1-line block ×5, first 2 shown]
	v_sub_nc_u32_e32 v57, 0, v20
	v_sub_nc_u32_e32 v58, 0, v12
	v_cmp_eq_u16_e64 s1, 0, v65
	v_sub_nc_u32_e32 v70, 0, v49
	v_cmp_eq_u16_e64 s18, 0, v77
	;; [unrolled: 2-line block ×3, first 2 shown]
	v_cndmask_b32_e64 v23, v55, v23, s30
	v_cndmask_b32_e64 v4, v13, v4, s5
	;; [unrolled: 1-line block ×4, first 2 shown]
	v_add_nc_u32_e32 v26, v39, v33
	v_sub_nc_u32_e32 v78, 0, v27
	v_sub_nc_u32_e32 v5, 0, v17
	v_cmp_gt_i16_e64 s21, 0, v34
	v_cndmask_b32_e64 v20, v57, v20, s0
	v_cndmask_b32_e64 v12, v58, v12, s1
	;; [unrolled: 1-line block ×4, first 2 shown]
	v_add_nc_u32_e32 v23, v35, v23
	v_add3_u32 v13, v26, v13, v16
	v_mul_i32_i24_e32 v18, v87, v18
	v_sub_nc_u32_e32 v65, 0, v21
	v_sub_nc_u32_e32 v34, 0, v51
	v_cmp_eq_u16_e64 s22, 0, v43
	v_sub_nc_u32_e32 v43, 0, v52
	v_cmp_eq_u16_e64 s23, 0, v75
	v_cndmask_b32_e64 v26, v27, v78, s20
	v_cndmask_b32_e64 v5, v17, v5, s21
	v_add3_u32 v12, v23, v20, v12
	v_add3_u32 v13, v13, v33, v39
	v_sub_nc_u32_e32 v32, 0, v41
	v_cmp_eq_u16_e64 s6, 0, v68
	v_sub_nc_u32_e32 v66, 0, v42
	v_cmp_eq_u16_e64 s7, 0, v93
	;; [unrolled: 2-line block ×5, first 2 shown]
	v_cndmask_b32_e64 v21, v21, v65, s4
	v_cndmask_b32_e64 v20, v34, v51, s22
	;; [unrolled: 1-line block ×3, first 2 shown]
	v_add3_u32 v12, v12, v36, v38
	v_add3_u32 v5, v13, v26, v5
	v_mul_i32_i24_e32 v19, v88, v19
	v_sub_nc_u32_e32 v67, 0, v24
	v_cmp_eq_u16_e64 s8, 0, v71
	v_sub_nc_u32_e32 v80, 0, v53
	v_cmp_eq_u16_e64 s26, 0, v46
	v_sub_nc_u32_e32 v46, 0, v54
	v_cmp_eq_u16_e64 s27, 0, v76
	v_cndmask_b32_e64 v32, v32, v41, s6
	v_cndmask_b32_e64 v16, v66, v42, s7
	;; [unrolled: 1-line block ×5, first 2 shown]
	v_add3_u32 v4, v12, v21, v4
	v_add3_u32 v5, v5, v20, v23
	v_sub_nc_u32_e32 v71, 0, v44
	v_cmp_eq_u16_e64 s10, 0, v37
	v_sub_nc_u32_e32 v37, 0, v45
	v_cmp_eq_u16_e64 s11, 0, v69
	v_sub_nc_u32_e32 v76, 0, v29
	v_sub_nc_u32_e32 v61, 0, v19
	v_cndmask_b32_e64 v17, v67, v24, s8
	v_cndmask_b32_e64 v20, v80, v53, s26
	;; [unrolled: 1-line block ×3, first 2 shown]
	v_add3_u32 v4, v4, v32, v16
	v_add3_u32 v5, v5, v14, v18
	v_sub_nc_u32_e32 v69, 0, v25
	v_sub_nc_u32_e32 v72, 0, v15
	v_cndmask_b32_e64 v12, v71, v44, s10
	v_cndmask_b32_e64 v14, v37, v45, s11
	;; [unrolled: 1-line block ×4, first 2 shown]
	v_add3_u32 v4, v4, v17, v13
	v_add3_u32 v5, v5, v20, v21
	v_cmp_gt_i16_e32 vcc_lo, 0, v60
	v_cndmask_b32_e64 v15, v15, v72, s12
	s_delay_alu instid0(VALU_DEP_4) | instskip(NEXT) | instid1(VALU_DEP_4)
	v_add3_u32 v4, v4, v12, v14
	v_add3_u32 v5, v5, v16, v18
	v_cndmask_b32_e32 v13, v25, v69, vcc_lo
	v_cvt_f32_f16_e32 v12, v31
	v_cvt_f32_ubyte0_e32 v14, v30
	v_add_f32_e32 v16, 0.5, v59
	v_cvt_f32_i32_e32 v5, v5
	v_add3_u32 v4, v4, v13, v15
	v_mul_f32_e32 v12, v12, v22
	v_add_f32_e32 v13, 0.5, v14
	v_cmp_le_u32_e32 vcc_lo, s33, v6
	v_mul_f32_e32 v5, v16, v5
	v_cvt_f32_i32_e32 v4, v4
	v_mul_f32_e32 v12, 0x3e800000, v12
	s_or_b32 s36, vcc_lo, s36
	s_delay_alu instid0(VALU_DEP_2) | instskip(NEXT) | instid1(VALU_DEP_1)
	v_fmac_f32_e32 v5, v13, v4
	v_fmac_f32_e32 v7, v12, v5
	s_and_not1_b32 exec_lo, exec_lo, s36
	s_cbranch_execnz .LBB69_3
; %bb.4:
	s_or_b32 exec_lo, exec_lo, s36
.LBB69_5:
	s_delay_alu instid0(SALU_CYCLE_1) | instskip(SKIP_1) | instid1(VALU_DEP_1)
	s_or_b32 exec_lo, exec_lo, s31
	v_mbcnt_lo_u32_b32 v2, -1, 0
	v_xor_b32_e32 v3, 16, v2
	v_xor_b32_e32 v4, 8, v2
	;; [unrolled: 1-line block ×3, first 2 shown]
	s_delay_alu instid0(VALU_DEP_3) | instskip(SKIP_1) | instid1(VALU_DEP_4)
	v_cmp_gt_i32_e32 vcc_lo, 32, v3
	v_cndmask_b32_e32 v3, v2, v3, vcc_lo
	v_cmp_gt_i32_e32 vcc_lo, 32, v4
	v_cndmask_b32_e32 v4, v2, v4, vcc_lo
	v_cmp_gt_i32_e32 vcc_lo, 32, v5
	s_delay_alu instid0(VALU_DEP_2)
	v_lshlrev_b32_e32 v4, 2, v4
	v_lshlrev_b32_e32 v3, 2, v3
	v_cndmask_b32_e32 v5, v2, v5, vcc_lo
	ds_bpermute_b32 v3, v3, v7
	v_lshlrev_b32_e32 v5, 2, v5
	s_waitcnt lgkmcnt(0)
	v_add_f32_e32 v3, v7, v3
	ds_bpermute_b32 v4, v4, v3
	s_waitcnt lgkmcnt(0)
	v_add_f32_e32 v3, v3, v4
	ds_bpermute_b32 v4, v5, v3
	v_xor_b32_e32 v5, 2, v2
	s_delay_alu instid0(VALU_DEP_1) | instskip(SKIP_1) | instid1(VALU_DEP_1)
	v_cmp_gt_i32_e32 vcc_lo, 32, v5
	v_cndmask_b32_e32 v5, v2, v5, vcc_lo
	v_lshlrev_b32_e32 v5, 2, v5
	s_waitcnt lgkmcnt(0)
	v_add_f32_e32 v3, v3, v4
	ds_bpermute_b32 v4, v5, v3
	v_xor_b32_e32 v5, 1, v2
	s_delay_alu instid0(VALU_DEP_1) | instskip(SKIP_3) | instid1(VALU_DEP_2)
	v_cmp_gt_i32_e32 vcc_lo, 32, v5
	v_cndmask_b32_e32 v5, v2, v5, vcc_lo
	v_cmp_eq_u32_e32 vcc_lo, 0, v0
	s_waitcnt lgkmcnt(0)
	v_dual_add_f32 v2, v3, v4 :: v_dual_lshlrev_b32 v3, 2, v5
	ds_bpermute_b32 v3, v3, v2
	s_and_b32 exec_lo, exec_lo, vcc_lo
	s_cbranch_execz .LBB69_7
; %bb.6:
	v_mad_u64_u32 v[4:5], null, s15, s37, v[1:2]
	s_waitcnt lgkmcnt(0)
	v_dual_mov_b32 v5, 0 :: v_dual_add_f32 v2, v2, v3
	s_delay_alu instid0(VALU_DEP_1) | instskip(NEXT) | instid1(VALU_DEP_1)
	v_lshlrev_b64 v[0:1], 2, v[4:5]
	v_add_co_u32 v0, vcc_lo, s34, v0
	s_delay_alu instid0(VALU_DEP_2)
	v_add_co_ci_u32_e32 v1, vcc_lo, s35, v1, vcc_lo
	global_store_b32 v[0:1], v2, off
.LBB69_7:
	s_nop 0
	s_sendmsg sendmsg(MSG_DEALLOC_VGPRS)
	s_endpgm
	.section	.rodata,"a",@progbits
	.p2align	6, 0x0
	.amdhsa_kernel _ZL13mul_mat_vec_qIfLi256ELi8E12block_iq2_xsLi1EXadL_ZL19vec_dot_iq2_xs_q8_1PKvPK10block_q8_1RKiEEEvS2_S2_PT_iii
		.amdhsa_group_segment_fixed_size 0
		.amdhsa_private_segment_fixed_size 0
		.amdhsa_kernarg_size 296
		.amdhsa_user_sgpr_count 14
		.amdhsa_user_sgpr_dispatch_ptr 0
		.amdhsa_user_sgpr_queue_ptr 0
		.amdhsa_user_sgpr_kernarg_segment_ptr 1
		.amdhsa_user_sgpr_dispatch_id 0
		.amdhsa_user_sgpr_private_segment_size 0
		.amdhsa_wavefront_size32 1
		.amdhsa_uses_dynamic_stack 0
		.amdhsa_enable_private_segment 0
		.amdhsa_system_sgpr_workgroup_id_x 1
		.amdhsa_system_sgpr_workgroup_id_y 1
		.amdhsa_system_sgpr_workgroup_id_z 0
		.amdhsa_system_sgpr_workgroup_info 0
		.amdhsa_system_vgpr_workitem_id 1
		.amdhsa_next_free_vgpr 94
		.amdhsa_next_free_sgpr 44
		.amdhsa_reserve_vcc 1
		.amdhsa_float_round_mode_32 0
		.amdhsa_float_round_mode_16_64 0
		.amdhsa_float_denorm_mode_32 3
		.amdhsa_float_denorm_mode_16_64 3
		.amdhsa_dx10_clamp 1
		.amdhsa_ieee_mode 1
		.amdhsa_fp16_overflow 0
		.amdhsa_workgroup_processor_mode 1
		.amdhsa_memory_ordered 1
		.amdhsa_forward_progress 0
		.amdhsa_shared_vgpr_count 0
		.amdhsa_exception_fp_ieee_invalid_op 0
		.amdhsa_exception_fp_denorm_src 0
		.amdhsa_exception_fp_ieee_div_zero 0
		.amdhsa_exception_fp_ieee_overflow 0
		.amdhsa_exception_fp_ieee_underflow 0
		.amdhsa_exception_fp_ieee_inexact 0
		.amdhsa_exception_int_div_zero 0
	.end_amdhsa_kernel
	.section	.text._ZL13mul_mat_vec_qIfLi256ELi8E12block_iq2_xsLi1EXadL_ZL19vec_dot_iq2_xs_q8_1PKvPK10block_q8_1RKiEEEvS2_S2_PT_iii,"axG",@progbits,_ZL13mul_mat_vec_qIfLi256ELi8E12block_iq2_xsLi1EXadL_ZL19vec_dot_iq2_xs_q8_1PKvPK10block_q8_1RKiEEEvS2_S2_PT_iii,comdat
.Lfunc_end69:
	.size	_ZL13mul_mat_vec_qIfLi256ELi8E12block_iq2_xsLi1EXadL_ZL19vec_dot_iq2_xs_q8_1PKvPK10block_q8_1RKiEEEvS2_S2_PT_iii, .Lfunc_end69-_ZL13mul_mat_vec_qIfLi256ELi8E12block_iq2_xsLi1EXadL_ZL19vec_dot_iq2_xs_q8_1PKvPK10block_q8_1RKiEEEvS2_S2_PT_iii
                                        ; -- End function
	.section	.AMDGPU.csdata,"",@progbits
; Kernel info:
; codeLenInByte = 2356
; NumSgprs: 46
; NumVgprs: 94
; ScratchSize: 0
; MemoryBound: 0
; FloatMode: 240
; IeeeMode: 1
; LDSByteSize: 0 bytes/workgroup (compile time only)
; SGPRBlocks: 5
; VGPRBlocks: 11
; NumSGPRsForWavesPerEU: 46
; NumVGPRsForWavesPerEU: 94
; Occupancy: 16
; WaveLimiterHint : 0
; COMPUTE_PGM_RSRC2:SCRATCH_EN: 0
; COMPUTE_PGM_RSRC2:USER_SGPR: 14
; COMPUTE_PGM_RSRC2:TRAP_HANDLER: 0
; COMPUTE_PGM_RSRC2:TGID_X_EN: 1
; COMPUTE_PGM_RSRC2:TGID_Y_EN: 1
; COMPUTE_PGM_RSRC2:TGID_Z_EN: 0
; COMPUTE_PGM_RSRC2:TIDIG_COMP_CNT: 1
	.section	.text._ZL13mul_mat_vec_qIfLi256ELi8E13block_iq3_xxsLi1EXadL_ZL20vec_dot_iq3_xxs_q8_1PKvPK10block_q8_1RKiEEEvS2_S2_PT_iii,"axG",@progbits,_ZL13mul_mat_vec_qIfLi256ELi8E13block_iq3_xxsLi1EXadL_ZL20vec_dot_iq3_xxs_q8_1PKvPK10block_q8_1RKiEEEvS2_S2_PT_iii,comdat
	.globl	_ZL13mul_mat_vec_qIfLi256ELi8E13block_iq3_xxsLi1EXadL_ZL20vec_dot_iq3_xxs_q8_1PKvPK10block_q8_1RKiEEEvS2_S2_PT_iii ; -- Begin function _ZL13mul_mat_vec_qIfLi256ELi8E13block_iq3_xxsLi1EXadL_ZL20vec_dot_iq3_xxs_q8_1PKvPK10block_q8_1RKiEEEvS2_S2_PT_iii
	.p2align	8
	.type	_ZL13mul_mat_vec_qIfLi256ELi8E13block_iq3_xxsLi1EXadL_ZL20vec_dot_iq3_xxs_q8_1PKvPK10block_q8_1RKiEEEvS2_S2_PT_iii,@function
_ZL13mul_mat_vec_qIfLi256ELi8E13block_iq3_xxsLi1EXadL_ZL20vec_dot_iq3_xxs_q8_1PKvPK10block_q8_1RKiEEEvS2_S2_PT_iii: ; @_ZL13mul_mat_vec_qIfLi256ELi8E13block_iq3_xxsLi1EXadL_ZL20vec_dot_iq3_xxs_q8_1PKvPK10block_q8_1RKiEEEvS2_S2_PT_iii
; %bb.0:
	s_clause 0x1
	s_load_b32 s2, s[0:1], 0x34
	s_load_b128 s[4:7], s[0:1], 0x18
	v_bfe_u32 v3, v0, 10, 10
	s_waitcnt lgkmcnt(0)
	s_lshr_b32 s2, s2, 16
	s_cmp_lt_u32 s15, s6
	s_delay_alu instid0(VALU_DEP_1) | instskip(SKIP_1) | instid1(VALU_DEP_1)
	v_mad_u64_u32 v[1:2], null, s14, s2, v[3:4]
	s_cselect_b32 s2, -1, 0
	v_cmp_gt_u32_e32 vcc_lo, s5, v1
	s_and_b32 s2, s2, vcc_lo
	s_delay_alu instid0(SALU_CYCLE_1)
	s_and_saveexec_b32 s3, s2
	s_cbranch_execz .LBB70_9
; %bb.1:
	s_load_b64 s[6:7], s[0:1], 0x10
	v_dual_mov_b32 v15, 0 :: v_dual_and_b32 v0, 0x3ff, v0
	s_ashr_i32 s2, s4, 31
	s_mov_b32 s8, exec_lo
	s_lshr_b32 s2, s2, 24
	s_delay_alu instid0(VALU_DEP_1) | instskip(SKIP_1) | instid1(SALU_CYCLE_1)
	v_lshrrev_b32_e32 v14, 3, v0
	s_add_i32 s2, s4, s2
	s_ashr_i32 s9, s2, 8
	s_delay_alu instid0(VALU_DEP_1) | instid1(SALU_CYCLE_1)
	v_cmpx_gt_u32_e64 s9, v14
	s_cbranch_execz .LBB70_7
; %bb.2:
	s_load_b128 s[0:3], s[0:1], 0x0
	v_dual_mov_b32 v15, 0 :: v_dual_and_b32 v4, 7, v0
	s_addk_i32 s4, 0x1ff
	v_mul_lo_u32 v16, v1, s9
	s_ashr_i32 s10, s4, 31
	s_delay_alu instid0(VALU_DEP_2)
	v_lshlrev_b32_e32 v5, 3, v4
	s_lshr_b32 s10, s10, 23
	v_lshlrev_b32_e32 v8, 1, v4
	s_add_i32 s4, s4, s10
	s_mov_b32 s10, 0
	s_ashr_i32 s4, s4, 9
	v_add_nc_u32_e32 v17, v14, v16
	s_mul_i32 s4, s15, s4
	v_lshlrev_b32_e32 v19, 1, v8
	s_lshl_b32 s4, s4, 4
	s_getpc_b64 s[12:13]
	s_add_u32 s12, s12, _ZL11iq3xxs_grid@rel32@lo+4
	s_addc_u32 s13, s13, _ZL11iq3xxs_grid@rel32@hi+12
	v_lshl_add_u32 v18, v14, 3, s4
	s_getpc_b64 s[16:17]
	s_add_u32 s16, s16, _ZL8ksigns64@rel32@lo+4
	s_addc_u32 s17, s17, _ZL8ksigns64@rel32@hi+12
	s_waitcnt lgkmcnt(0)
	v_mad_u64_u32 v[2:3], null, v4, 36, s[2:3]
	v_add_co_u32 v4, s2, v5, s0
	s_delay_alu instid0(VALU_DEP_1) | instskip(NEXT) | instid1(VALU_DEP_2)
	v_add_co_ci_u32_e64 v5, null, 0, s1, s2
	v_add_co_u32 v4, vcc_lo, v4, 2
	s_delay_alu instid0(VALU_DEP_2)
	v_add_co_ci_u32_e32 v5, vcc_lo, 0, v5, vcc_lo
	v_add_co_u32 v6, vcc_lo, v2, 4
	v_add_co_ci_u32_e32 v7, vcc_lo, 0, v3, vcc_lo
.LBB70_3:                               ; =>This Loop Header: Depth=1
                                        ;     Child Loop BB70_4 Depth 2
	v_dual_mov_b32 v21, 0 :: v_dual_add_nc_u32 v10, v14, v16
	s_delay_alu instid0(VALU_DEP_4) | instskip(SKIP_1) | instid1(VALU_DEP_2)
	v_mad_i64_i32 v[12:13], null, 0x62, v17, v[4:5]
	s_mov_b64 s[2:3], 0
	v_mad_i64_i32 v[8:9], null, 0x62, v10, s[0:1]
	s_delay_alu instid0(VALU_DEP_1) | instskip(NEXT) | instid1(VALU_DEP_2)
	v_add_co_u32 v10, vcc_lo, v8, v19
	v_add_co_ci_u32_e32 v11, vcc_lo, 0, v9, vcc_lo
	global_load_b32 v20, v[10:11], off offset:66
	v_mad_i64_i32 v[10:11], null, v18, 36, v[6:7]
.LBB70_4:                               ;   Parent Loop BB70_3 Depth=1
                                        ; =>  This Inner Loop Header: Depth=2
	global_load_u16 v26, v[12:13], off
	s_waitcnt vmcnt(1)
	v_and_b32_e32 v24, 0x7f, v20
	v_add_co_u32 v22, vcc_lo, v10, s2
	v_add_co_ci_u32_e32 v23, vcc_lo, s3, v11, vcc_lo
	s_delay_alu instid0(VALU_DEP_3)
	v_lshlrev_b32_e32 v24, 3, v24
	v_add_co_u32 v12, vcc_lo, v12, 2
	v_lshrrev_b32_e32 v20, 7, v20
	v_add_co_ci_u32_e32 v13, vcc_lo, 0, v13, vcc_lo
	global_load_b64 v[24:25], v24, s[16:17]
	s_add_u32 s2, s2, 8
	s_addc_u32 s3, s3, 0
	s_cmp_lg_u32 s2, 32
	s_waitcnt vmcnt(1)
	v_lshrrev_b16 v27, 8, v26
	v_and_b32_e32 v26, 0xff, v26
	s_delay_alu instid0(VALU_DEP_2) | instskip(NEXT) | instid1(VALU_DEP_2)
	v_and_b32_e32 v27, 0xffff, v27
	v_lshlrev_b32_e32 v26, 2, v26
	s_delay_alu instid0(VALU_DEP_2)
	v_lshlrev_b32_e32 v27, 2, v27
	s_clause 0x1
	global_load_b32 v26, v26, s[12:13]
	global_load_b32 v27, v27, s[12:13]
	global_load_b64 v[22:23], v[22:23], off
	s_waitcnt vmcnt(3)
	v_and_b32_e32 v32, 0xff0000, v24
	v_and_b32_e32 v33, 0xff00, v24
	v_and_b32_e32 v31, 0xff000000, v24
	v_and_b32_e32 v34, 0xff000000, v25
	v_and_b32_e32 v35, 0xff0000, v25
	v_and_b32_e32 v36, 0xff00, v25
	s_waitcnt vmcnt(2)
	v_xor_b32_e32 v26, v24, v26
	s_waitcnt vmcnt(1)
	v_xor_b32_e32 v27, v25, v27
	s_waitcnt vmcnt(0)
	v_bfe_i32 v28, v22, 0, 8
	v_bfe_i32 v29, v23, 0, 8
	v_perm_b32 v30, v22, v22, 0xc0c0201
	v_sub_nc_u32_e32 v32, v26, v32
	v_sub_nc_u32_e32 v33, v26, v33
	;; [unrolled: 1-line block ×5, first 2 shown]
	v_perm_b32 v22, v23, v22, 0x7060503
	v_perm_b32 v26, v32, v33, 0xc06010c
	v_sub_nc_u32_e32 v32, v27, v35
	v_sub_nc_u32_e32 v35, v27, v36
	v_bfe_i32 v24, v24, 0, 8
	v_bfe_i32 v25, v25, 0, 8
	v_sub_nc_u32_e32 v27, v27, v34
	v_perm_b32 v26, v26, v33, 0xc0c0601
	v_perm_b32 v32, v32, v35, 0xc06010c
	v_mul_i32_i24_e32 v24, v28, v24
	v_mul_i32_i24_e32 v25, v29, v25
	v_perm_b32 v28, v35, v31, 0xc0c0503
	s_delay_alu instid0(VALU_DEP_4) | instskip(NEXT) | instid1(VALU_DEP_3)
	v_perm_b32 v27, v27, v32, 0x7020c0c
	v_add3_u32 v21, v24, v21, v25
	s_delay_alu instid0(VALU_DEP_2) | instskip(NEXT) | instid1(VALU_DEP_2)
	v_or_b32_e32 v23, v27, v28
	v_dot4_i32_iu8 v21, v26, v30, v21 neg_lo:[1,1,0]
	s_delay_alu instid0(VALU_DEP_1)
	v_dot4_i32_iu8 v21, v23, v22, v21 neg_lo:[1,1,0]
	s_cbranch_scc1 .LBB70_4
; %bb.5:                                ;   in Loop: Header=BB70_3 Depth=1
	v_lshl_add_u32 v12, v14, 3, s4
	v_add_nc_u32_e32 v14, 4, v14
	v_add_nc_u32_e32 v18, 32, v18
	;; [unrolled: 1-line block ×3, first 2 shown]
	s_delay_alu instid0(VALU_DEP_4) | instskip(SKIP_4) | instid1(VALU_DEP_2)
	v_mad_i64_i32 v[10:11], null, v12, 36, v[2:3]
	global_load_u16 v8, v[8:9], off
	global_load_b32 v9, v[10:11], off
	v_cvt_f32_u32_e32 v10, v20
	v_cmp_le_u32_e32 vcc_lo, s9, v14
	v_add_f32_e32 v10, 0.5, v10
	s_or_b32 s10, vcc_lo, s10
	s_waitcnt vmcnt(1)
	v_cvt_f32_f16_e32 v8, v8
	s_waitcnt vmcnt(0)
	v_cvt_f32_f16_e32 v9, v9
	s_delay_alu instid0(VALU_DEP_2) | instskip(NEXT) | instid1(VALU_DEP_1)
	v_mul_f32_e32 v8, v10, v8
	v_mul_f32_e32 v8, v8, v9
	v_cvt_f32_i32_e32 v9, v21
	s_delay_alu instid0(VALU_DEP_2) | instskip(NEXT) | instid1(VALU_DEP_1)
	v_mul_f32_e32 v8, 0.5, v8
	v_fmac_f32_e32 v15, v8, v9
	s_and_not1_b32 exec_lo, exec_lo, s10
	s_cbranch_execnz .LBB70_3
; %bb.6:
	s_or_b32 exec_lo, exec_lo, s10
.LBB70_7:
	s_delay_alu instid0(SALU_CYCLE_1) | instskip(SKIP_1) | instid1(VALU_DEP_1)
	s_or_b32 exec_lo, exec_lo, s8
	v_mbcnt_lo_u32_b32 v2, -1, 0
	v_xor_b32_e32 v3, 16, v2
	v_xor_b32_e32 v4, 8, v2
	;; [unrolled: 1-line block ×3, first 2 shown]
	s_delay_alu instid0(VALU_DEP_3) | instskip(SKIP_1) | instid1(VALU_DEP_4)
	v_cmp_gt_i32_e32 vcc_lo, 32, v3
	v_cndmask_b32_e32 v3, v2, v3, vcc_lo
	v_cmp_gt_i32_e32 vcc_lo, 32, v4
	v_cndmask_b32_e32 v4, v2, v4, vcc_lo
	v_cmp_gt_i32_e32 vcc_lo, 32, v5
	s_delay_alu instid0(VALU_DEP_2)
	v_lshlrev_b32_e32 v4, 2, v4
	v_lshlrev_b32_e32 v3, 2, v3
	v_cndmask_b32_e32 v5, v2, v5, vcc_lo
	ds_bpermute_b32 v3, v3, v15
	v_lshlrev_b32_e32 v5, 2, v5
	s_waitcnt lgkmcnt(0)
	v_add_f32_e32 v3, v15, v3
	ds_bpermute_b32 v4, v4, v3
	s_waitcnt lgkmcnt(0)
	v_add_f32_e32 v3, v3, v4
	ds_bpermute_b32 v4, v5, v3
	v_xor_b32_e32 v5, 2, v2
	s_delay_alu instid0(VALU_DEP_1) | instskip(SKIP_1) | instid1(VALU_DEP_1)
	v_cmp_gt_i32_e32 vcc_lo, 32, v5
	v_cndmask_b32_e32 v5, v2, v5, vcc_lo
	v_lshlrev_b32_e32 v5, 2, v5
	s_waitcnt lgkmcnt(0)
	v_add_f32_e32 v3, v3, v4
	ds_bpermute_b32 v4, v5, v3
	v_xor_b32_e32 v5, 1, v2
	s_delay_alu instid0(VALU_DEP_1) | instskip(SKIP_3) | instid1(VALU_DEP_2)
	v_cmp_gt_i32_e32 vcc_lo, 32, v5
	v_cndmask_b32_e32 v5, v2, v5, vcc_lo
	v_cmp_eq_u32_e32 vcc_lo, 0, v0
	s_waitcnt lgkmcnt(0)
	v_dual_add_f32 v2, v3, v4 :: v_dual_lshlrev_b32 v3, 2, v5
	ds_bpermute_b32 v3, v3, v2
	s_and_b32 exec_lo, exec_lo, vcc_lo
	s_cbranch_execz .LBB70_9
; %bb.8:
	v_mad_u64_u32 v[4:5], null, s15, s5, v[1:2]
	s_waitcnt lgkmcnt(0)
	v_dual_mov_b32 v5, 0 :: v_dual_add_f32 v2, v2, v3
	s_delay_alu instid0(VALU_DEP_1) | instskip(NEXT) | instid1(VALU_DEP_1)
	v_lshlrev_b64 v[0:1], 2, v[4:5]
	v_add_co_u32 v0, vcc_lo, s6, v0
	s_delay_alu instid0(VALU_DEP_2)
	v_add_co_ci_u32_e32 v1, vcc_lo, s7, v1, vcc_lo
	global_store_b32 v[0:1], v2, off
.LBB70_9:
	s_nop 0
	s_sendmsg sendmsg(MSG_DEALLOC_VGPRS)
	s_endpgm
	.section	.rodata,"a",@progbits
	.p2align	6, 0x0
	.amdhsa_kernel _ZL13mul_mat_vec_qIfLi256ELi8E13block_iq3_xxsLi1EXadL_ZL20vec_dot_iq3_xxs_q8_1PKvPK10block_q8_1RKiEEEvS2_S2_PT_iii
		.amdhsa_group_segment_fixed_size 0
		.amdhsa_private_segment_fixed_size 0
		.amdhsa_kernarg_size 296
		.amdhsa_user_sgpr_count 14
		.amdhsa_user_sgpr_dispatch_ptr 0
		.amdhsa_user_sgpr_queue_ptr 0
		.amdhsa_user_sgpr_kernarg_segment_ptr 1
		.amdhsa_user_sgpr_dispatch_id 0
		.amdhsa_user_sgpr_private_segment_size 0
		.amdhsa_wavefront_size32 1
		.amdhsa_uses_dynamic_stack 0
		.amdhsa_enable_private_segment 0
		.amdhsa_system_sgpr_workgroup_id_x 1
		.amdhsa_system_sgpr_workgroup_id_y 1
		.amdhsa_system_sgpr_workgroup_id_z 0
		.amdhsa_system_sgpr_workgroup_info 0
		.amdhsa_system_vgpr_workitem_id 1
		.amdhsa_next_free_vgpr 37
		.amdhsa_next_free_sgpr 18
		.amdhsa_reserve_vcc 1
		.amdhsa_float_round_mode_32 0
		.amdhsa_float_round_mode_16_64 0
		.amdhsa_float_denorm_mode_32 3
		.amdhsa_float_denorm_mode_16_64 3
		.amdhsa_dx10_clamp 1
		.amdhsa_ieee_mode 1
		.amdhsa_fp16_overflow 0
		.amdhsa_workgroup_processor_mode 1
		.amdhsa_memory_ordered 1
		.amdhsa_forward_progress 0
		.amdhsa_shared_vgpr_count 0
		.amdhsa_exception_fp_ieee_invalid_op 0
		.amdhsa_exception_fp_denorm_src 0
		.amdhsa_exception_fp_ieee_div_zero 0
		.amdhsa_exception_fp_ieee_overflow 0
		.amdhsa_exception_fp_ieee_underflow 0
		.amdhsa_exception_fp_ieee_inexact 0
		.amdhsa_exception_int_div_zero 0
	.end_amdhsa_kernel
	.section	.text._ZL13mul_mat_vec_qIfLi256ELi8E13block_iq3_xxsLi1EXadL_ZL20vec_dot_iq3_xxs_q8_1PKvPK10block_q8_1RKiEEEvS2_S2_PT_iii,"axG",@progbits,_ZL13mul_mat_vec_qIfLi256ELi8E13block_iq3_xxsLi1EXadL_ZL20vec_dot_iq3_xxs_q8_1PKvPK10block_q8_1RKiEEEvS2_S2_PT_iii,comdat
.Lfunc_end70:
	.size	_ZL13mul_mat_vec_qIfLi256ELi8E13block_iq3_xxsLi1EXadL_ZL20vec_dot_iq3_xxs_q8_1PKvPK10block_q8_1RKiEEEvS2_S2_PT_iii, .Lfunc_end70-_ZL13mul_mat_vec_qIfLi256ELi8E13block_iq3_xxsLi1EXadL_ZL20vec_dot_iq3_xxs_q8_1PKvPK10block_q8_1RKiEEEvS2_S2_PT_iii
                                        ; -- End function
	.section	.AMDGPU.csdata,"",@progbits
; Kernel info:
; codeLenInByte = 1200
; NumSgprs: 20
; NumVgprs: 37
; ScratchSize: 0
; MemoryBound: 0
; FloatMode: 240
; IeeeMode: 1
; LDSByteSize: 0 bytes/workgroup (compile time only)
; SGPRBlocks: 2
; VGPRBlocks: 4
; NumSGPRsForWavesPerEU: 20
; NumVGPRsForWavesPerEU: 37
; Occupancy: 16
; WaveLimiterHint : 0
; COMPUTE_PGM_RSRC2:SCRATCH_EN: 0
; COMPUTE_PGM_RSRC2:USER_SGPR: 14
; COMPUTE_PGM_RSRC2:TRAP_HANDLER: 0
; COMPUTE_PGM_RSRC2:TGID_X_EN: 1
; COMPUTE_PGM_RSRC2:TGID_Y_EN: 1
; COMPUTE_PGM_RSRC2:TGID_Z_EN: 0
; COMPUTE_PGM_RSRC2:TIDIG_COMP_CNT: 1
	.section	.text._ZL13mul_mat_vec_qIfLi256ELi8E11block_iq1_sLi1EXadL_ZL18vec_dot_iq1_s_q8_1PKvPK10block_q8_1RKiEEEvS2_S2_PT_iii,"axG",@progbits,_ZL13mul_mat_vec_qIfLi256ELi8E11block_iq1_sLi1EXadL_ZL18vec_dot_iq1_s_q8_1PKvPK10block_q8_1RKiEEEvS2_S2_PT_iii,comdat
	.globl	_ZL13mul_mat_vec_qIfLi256ELi8E11block_iq1_sLi1EXadL_ZL18vec_dot_iq1_s_q8_1PKvPK10block_q8_1RKiEEEvS2_S2_PT_iii ; -- Begin function _ZL13mul_mat_vec_qIfLi256ELi8E11block_iq1_sLi1EXadL_ZL18vec_dot_iq1_s_q8_1PKvPK10block_q8_1RKiEEEvS2_S2_PT_iii
	.p2align	8
	.type	_ZL13mul_mat_vec_qIfLi256ELi8E11block_iq1_sLi1EXadL_ZL18vec_dot_iq1_s_q8_1PKvPK10block_q8_1RKiEEEvS2_S2_PT_iii,@function
_ZL13mul_mat_vec_qIfLi256ELi8E11block_iq1_sLi1EXadL_ZL18vec_dot_iq1_s_q8_1PKvPK10block_q8_1RKiEEEvS2_S2_PT_iii: ; @_ZL13mul_mat_vec_qIfLi256ELi8E11block_iq1_sLi1EXadL_ZL18vec_dot_iq1_s_q8_1PKvPK10block_q8_1RKiEEEvS2_S2_PT_iii
; %bb.0:
	s_clause 0x1
	s_load_b32 s2, s[0:1], 0x34
	s_load_b128 s[4:7], s[0:1], 0x18
	v_bfe_u32 v3, v0, 10, 10
	s_waitcnt lgkmcnt(0)
	s_lshr_b32 s2, s2, 16
	s_cmp_lt_u32 s15, s6
	s_delay_alu instid0(VALU_DEP_1) | instskip(SKIP_1) | instid1(VALU_DEP_1)
	v_mad_u64_u32 v[1:2], null, s14, s2, v[3:4]
	s_cselect_b32 s2, -1, 0
	v_cmp_gt_u32_e32 vcc_lo, s5, v1
	s_and_b32 s2, s2, vcc_lo
	s_delay_alu instid0(SALU_CYCLE_1)
	s_and_saveexec_b32 s3, s2
	s_cbranch_execz .LBB71_7
; %bb.1:
	s_load_b64 s[6:7], s[0:1], 0x10
	v_dual_mov_b32 v3, 0 :: v_dual_and_b32 v0, 0x3ff, v0
	s_ashr_i32 s2, s4, 31
	s_mov_b32 s10, exec_lo
	s_lshr_b32 s2, s2, 24
	s_delay_alu instid0(VALU_DEP_1) | instskip(SKIP_1) | instid1(SALU_CYCLE_1)
	v_lshrrev_b32_e32 v2, 3, v0
	s_add_i32 s2, s4, s2
	s_ashr_i32 s11, s2, 8
	s_delay_alu instid0(VALU_DEP_1) | instid1(SALU_CYCLE_1)
	v_cmpx_gt_u32_e64 s11, v2
	s_cbranch_execz .LBB71_5
; %bb.2:
	s_load_b128 s[0:3], s[0:1], 0x0
	s_addk_i32 s4, 0x1ff
	v_dual_mov_b32 v3, 0 :: v_dual_and_b32 v4, 7, v0
	s_ashr_i32 s8, s4, 31
	v_lshlrev_b32_e32 v6, 3, v2
	s_lshr_b32 s8, s8, 23
	s_delay_alu instid0(VALU_DEP_2)
	v_lshlrev_b32_e32 v7, 1, v4
	s_add_i32 s4, s4, s8
	v_mul_lo_u32 v5, v1, s11
	s_ashr_i32 s4, s4, 9
	v_lshlrev_b32_e32 v8, 1, v4
	s_mul_i32 s4, s15, s4
	v_lshlrev_b32_e32 v7, 1, v7
	v_lshl_add_u32 v6, s4, 4, v6
	s_mov_b32 s4, 0
	s_mov_b32 s12, 0xb7000000
	s_getpc_b64 s[8:9]
	s_add_u32 s8, s8, _ZL13iq1s_grid_gpu@rel32@lo+4
	s_addc_u32 s9, s9, _ZL13iq1s_grid_gpu@rel32@hi+12
.LBB71_3:                               ; =>This Inner Loop Header: Depth=1
	v_add_nc_u32_e32 v9, v5, v2
	v_add_nc_u32_e32 v2, 4, v2
	s_waitcnt lgkmcnt(0)
	s_delay_alu instid0(VALU_DEP_2) | instskip(NEXT) | instid1(VALU_DEP_1)
	v_mad_i64_i32 v[17:18], null, v9, 50, s[0:1]
	v_add_co_u32 v9, vcc_lo, v17, v7
	s_delay_alu instid0(VALU_DEP_2)
	v_add_co_ci_u32_e32 v10, vcc_lo, 0, v18, vcc_lo
	v_add_co_u32 v11, vcc_lo, v17, v8
	v_add_co_ci_u32_e32 v12, vcc_lo, 0, v18, vcc_lo
	v_cmp_le_u32_e32 vcc_lo, s11, v2
	s_clause 0x1
	global_load_b32 v21, v[9:10], off offset:2
	global_load_u16 v22, v[11:12], off offset:34
	v_mad_i64_i32 v[9:10], null, v6, 36, s[2:3]
	v_add_nc_u32_e32 v6, 32, v6
	s_or_b32 s4, vcc_lo, s4
	s_delay_alu instid0(VALU_DEP_2)
	v_mad_u64_u32 v[19:20], null, v4, 36, v[9:10]
	s_clause 0x1
	global_load_b128 v[9:12], v[19:20], off
	global_load_b128 v[13:16], v[19:20], off offset:16
	global_load_u16 v17, v[17:18], off
	global_load_b32 v19, v[19:20], off offset:32
	s_waitcnt vmcnt(5)
	v_and_b32_e32 v18, 0xff, v21
	s_waitcnt vmcnt(4)
	v_lshlrev_b32_e32 v23, 8, v22
	v_lshrrev_b16 v24, 8, v21
	v_lshlrev_b32_e32 v25, 5, v22
	v_bfe_u32 v20, v21, 16, 8
	v_lshrrev_b32_e32 v21, 24, v21
	v_and_or_b32 v18, 0x700, v23, v18
	v_and_b32_e32 v23, 0xffff, v24
	v_lshlrev_b32_e32 v24, 2, v22
	s_delay_alu instid0(VALU_DEP_3) | instskip(NEXT) | instid1(VALU_DEP_3)
	v_lshlrev_b32_e32 v18, 3, v18
	v_and_or_b32 v23, 0x700, v25, v23
	s_delay_alu instid0(VALU_DEP_3)
	v_and_or_b32 v20, 0x700, v24, v20
	v_lshrrev_b32_e32 v24, 1, v22
	global_load_b32 v18, v18, s[8:9]
	v_lshlrev_b32_e32 v23, 3, v23
	v_lshlrev_b32_e32 v20, 3, v20
	v_and_or_b32 v21, 0x700, v24, v21
	s_waitcnt vmcnt(4)
	v_bfe_i32 v24, v10, 0, 8
	v_bfe_i32 v25, v10, 8, 8
	s_clause 0x1
	global_load_b32 v23, v23, s[8:9]
	global_load_b32 v20, v20, s[8:9]
	v_lshlrev_b32_e32 v21, 3, v21
	v_bfe_i32 v26, v10, 16, 8
	v_bfe_i32 v27, v11, 0, 8
	v_ashrrev_i32_e32 v10, 24, v10
	v_bfe_i32 v28, v11, 8, 8
	global_load_b32 v21, v21, s[8:9]
	v_bfe_i32 v29, v11, 16, 8
	v_ashrrev_i32_e32 v11, 24, v11
	v_bfe_i32 v30, v12, 0, 8
	s_waitcnt vmcnt(6)
	v_bfe_i32 v33, v13, 0, 8
	v_bfe_i32 v31, v12, 8, 8
	;; [unrolled: 1-line block ×3, first 2 shown]
	v_ashrrev_i32_e32 v12, 24, v12
	v_bfe_i32 v34, v13, 8, 8
	v_bfe_i32 v35, v13, 16, 8
	v_ashrrev_i32_e32 v13, 24, v13
	v_bfe_i32 v36, v14, 0, 8
	v_bfe_i32 v39, v15, 0, 8
	;; [unrolled: 1-line block ×4, first 2 shown]
	v_ashrrev_i32_e32 v14, 24, v14
	v_bfe_i32 v40, v15, 8, 8
	v_bfe_i32 v41, v15, 16, 8
	v_ashrrev_i32_e32 v15, 24, v15
	v_bfe_i32 v42, v16, 0, 8
	s_waitcnt vmcnt(4)
	v_bfe_i32 v45, v19, 0, 8
	v_bfe_i32 v43, v16, 8, 8
	;; [unrolled: 1-line block ×3, first 2 shown]
	v_ashrrev_i32_e32 v16, 24, v16
	v_bfe_i32 v46, v19, 8, 8
	v_bfe_i32 v47, v19, 16, 8
	v_ashrrev_i32_e32 v19, 24, v19
	s_waitcnt vmcnt(3)
	v_and_b32_e32 v48, 15, v18
	v_bfe_u32 v49, v18, 8, 4
	v_bfe_u32 v50, v18, 16, 4
	;; [unrolled: 1-line block ×4, first 2 shown]
	v_mul_i32_i24_e32 v24, v24, v48
	v_bfe_u32 v48, v18, 24, 4
	v_mul_i32_i24_e32 v25, v49, v25
	v_mul_i32_i24_e32 v26, v50, v26
	;; [unrolled: 1-line block ×3, first 2 shown]
	v_mad_i32_i24 v24, v27, v51, v24
	v_bfe_u32 v27, v18, 20, 4
	v_lshrrev_b32_e32 v18, 28, v18
	v_mul_i32_i24_e32 v10, v48, v10
	s_delay_alu instid0(VALU_DEP_4) | instskip(NEXT) | instid1(VALU_DEP_4)
	v_add3_u32 v24, v24, v25, v26
	v_mul_i32_i24_e32 v25, v27, v29
	s_delay_alu instid0(VALU_DEP_4)
	v_mul_i32_i24_e32 v11, v18, v11
	s_waitcnt vmcnt(2)
	v_and_b32_e32 v18, 15, v23
	v_bfe_u32 v26, v23, 4, 4
	v_add3_u32 v10, v24, v10, v28
	v_bfe_u32 v24, v23, 8, 4
	v_bfe_u32 v27, v23, 16, 4
	v_mul_i32_i24_e32 v18, v30, v18
	v_mul_i32_i24_e32 v26, v33, v26
	v_add3_u32 v10, v10, v25, v11
	v_bfe_u32 v11, v23, 24, 4
	v_bfe_u32 v25, v23, 12, 4
	v_mul_i32_i24_e32 v24, v24, v31
	v_mul_i32_i24_e32 v27, v27, v32
	v_add3_u32 v10, v10, v18, v26
	v_bfe_u32 v18, v23, 20, 4
	v_lshrrev_b32_e32 v23, 28, v23
	v_mul_i32_i24_e32 v11, v11, v12
	v_mul_i32_i24_e32 v12, v25, v34
	v_add3_u32 v10, v10, v24, v27
	s_waitcnt vmcnt(1)
	v_and_b32_e32 v24, 15, v20
	v_bfe_u32 v25, v20, 4, 4
	v_mul_i32_i24_e32 v18, v18, v35
	v_mul_i32_i24_e32 v13, v23, v13
	v_add3_u32 v10, v10, v11, v12
	v_bfe_u32 v11, v20, 8, 4
	v_bfe_u32 v12, v20, 16, 4
	v_mul_i32_i24_e32 v23, v36, v24
	v_mul_i32_i24_e32 v24, v39, v25
	v_add3_u32 v10, v10, v18, v13
	v_bfe_u32 v13, v20, 24, 4
	;; [unrolled: 5-line block ×3, first 2 shown]
	v_lshrrev_b32_e32 v20, 28, v20
	v_mul_i32_i24_e32 v13, v13, v14
	v_mul_i32_i24_e32 v14, v18, v40
	v_add3_u32 v10, v10, v11, v12
	s_waitcnt vmcnt(0)
	v_and_b32_e32 v11, 15, v21
	v_bfe_u32 v12, v21, 4, 4
	v_mul_i32_i24_e32 v18, v23, v41
	v_mul_i32_i24_e32 v15, v20, v15
	v_add3_u32 v10, v10, v13, v14
	v_bfe_u32 v13, v21, 8, 4
	v_bfe_u32 v14, v21, 16, 4
	v_mul_i32_i24_e32 v11, v42, v11
	v_mul_i32_i24_e32 v12, v45, v12
	v_add3_u32 v10, v10, v18, v15
	v_bfe_u32 v15, v21, 24, 4
	;; [unrolled: 5-line block ×3, first 2 shown]
	v_lshrrev_b32_e32 v12, 28, v21
	v_mul_i32_i24_e32 v15, v15, v16
	v_mul_i32_i24_e32 v16, v18, v46
	v_add3_u32 v10, v10, v13, v14
	v_mul_i32_i24_e32 v11, v11, v47
	v_mul_i32_i24_e32 v12, v12, v19
	v_lshrrev_b32_e32 v13, 11, v22
	v_and_b32_e32 v14, 0x8000, v22
	v_add3_u32 v10, v10, v15, v16
	s_delay_alu instid0(VALU_DEP_1)
	v_add3_u32 v10, v10, v11, v12
	v_cvt_f32_f16_e32 v11, v9
	v_and_or_b32 v12, v13, 14, 1
	v_cvt_f32_u32_e32 v13, v14
	v_cvt_f32_f16_e32 v14, v17
	v_cvt_f32_i32_e32 v10, v10
	s_delay_alu instid0(VALU_DEP_4) | instskip(NEXT) | instid1(VALU_DEP_2)
	v_cvt_f32_ubyte0_e32 v12, v12
	v_dual_fmaak_f32 v13, s12, v13, 0xbf600000 :: v_dual_mul_f32 v10, v11, v10
	s_delay_alu instid0(VALU_DEP_2) | instskip(NEXT) | instid1(VALU_DEP_2)
	v_mul_f32_e32 v11, v12, v14
	v_fma_mix_f32 v9, v13, v9, v10 op_sel:[0,1,0] op_sel_hi:[0,1,0]
	s_delay_alu instid0(VALU_DEP_1)
	v_fmac_f32_e32 v3, v11, v9
	s_and_not1_b32 exec_lo, exec_lo, s4
	s_cbranch_execnz .LBB71_3
; %bb.4:
	s_or_b32 exec_lo, exec_lo, s4
.LBB71_5:
	s_delay_alu instid0(SALU_CYCLE_1) | instskip(SKIP_1) | instid1(VALU_DEP_1)
	s_or_b32 exec_lo, exec_lo, s10
	v_mbcnt_lo_u32_b32 v2, -1, 0
	v_xor_b32_e32 v4, 16, v2
	v_xor_b32_e32 v5, 8, v2
	s_delay_alu instid0(VALU_DEP_2) | instskip(SKIP_1) | instid1(VALU_DEP_3)
	v_cmp_gt_i32_e32 vcc_lo, 32, v4
	v_cndmask_b32_e32 v4, v2, v4, vcc_lo
	v_cmp_gt_i32_e32 vcc_lo, 32, v5
	v_cndmask_b32_e32 v5, v2, v5, vcc_lo
	s_delay_alu instid0(VALU_DEP_1) | instskip(NEXT) | instid1(VALU_DEP_4)
	v_lshlrev_b32_e32 v5, 2, v5
	v_lshlrev_b32_e32 v4, 2, v4
	ds_bpermute_b32 v4, v4, v3
	s_waitcnt lgkmcnt(0)
	v_add_f32_e32 v3, v3, v4
	ds_bpermute_b32 v4, v5, v3
	v_xor_b32_e32 v5, 4, v2
	s_delay_alu instid0(VALU_DEP_1) | instskip(SKIP_1) | instid1(VALU_DEP_1)
	v_cmp_gt_i32_e32 vcc_lo, 32, v5
	v_cndmask_b32_e32 v5, v2, v5, vcc_lo
	v_lshlrev_b32_e32 v5, 2, v5
	s_waitcnt lgkmcnt(0)
	v_add_f32_e32 v3, v3, v4
	ds_bpermute_b32 v4, v5, v3
	v_xor_b32_e32 v5, 2, v2
	s_delay_alu instid0(VALU_DEP_1) | instskip(SKIP_1) | instid1(VALU_DEP_1)
	v_cmp_gt_i32_e32 vcc_lo, 32, v5
	v_cndmask_b32_e32 v5, v2, v5, vcc_lo
	v_lshlrev_b32_e32 v5, 2, v5
	s_waitcnt lgkmcnt(0)
	v_add_f32_e32 v3, v3, v4
	ds_bpermute_b32 v4, v5, v3
	v_xor_b32_e32 v5, 1, v2
	s_delay_alu instid0(VALU_DEP_1) | instskip(SKIP_3) | instid1(VALU_DEP_2)
	v_cmp_gt_i32_e32 vcc_lo, 32, v5
	v_cndmask_b32_e32 v5, v2, v5, vcc_lo
	v_cmp_eq_u32_e32 vcc_lo, 0, v0
	s_waitcnt lgkmcnt(0)
	v_dual_add_f32 v2, v3, v4 :: v_dual_lshlrev_b32 v3, 2, v5
	ds_bpermute_b32 v3, v3, v2
	s_and_b32 exec_lo, exec_lo, vcc_lo
	s_cbranch_execz .LBB71_7
; %bb.6:
	v_mad_u64_u32 v[4:5], null, s15, s5, v[1:2]
	s_waitcnt lgkmcnt(0)
	v_dual_mov_b32 v5, 0 :: v_dual_add_f32 v2, v2, v3
	s_delay_alu instid0(VALU_DEP_1) | instskip(NEXT) | instid1(VALU_DEP_1)
	v_lshlrev_b64 v[0:1], 2, v[4:5]
	v_add_co_u32 v0, vcc_lo, s6, v0
	s_delay_alu instid0(VALU_DEP_2)
	v_add_co_ci_u32_e32 v1, vcc_lo, s7, v1, vcc_lo
	global_store_b32 v[0:1], v2, off
.LBB71_7:
	s_nop 0
	s_sendmsg sendmsg(MSG_DEALLOC_VGPRS)
	s_endpgm
	.section	.rodata,"a",@progbits
	.p2align	6, 0x0
	.amdhsa_kernel _ZL13mul_mat_vec_qIfLi256ELi8E11block_iq1_sLi1EXadL_ZL18vec_dot_iq1_s_q8_1PKvPK10block_q8_1RKiEEEvS2_S2_PT_iii
		.amdhsa_group_segment_fixed_size 0
		.amdhsa_private_segment_fixed_size 0
		.amdhsa_kernarg_size 296
		.amdhsa_user_sgpr_count 14
		.amdhsa_user_sgpr_dispatch_ptr 0
		.amdhsa_user_sgpr_queue_ptr 0
		.amdhsa_user_sgpr_kernarg_segment_ptr 1
		.amdhsa_user_sgpr_dispatch_id 0
		.amdhsa_user_sgpr_private_segment_size 0
		.amdhsa_wavefront_size32 1
		.amdhsa_uses_dynamic_stack 0
		.amdhsa_enable_private_segment 0
		.amdhsa_system_sgpr_workgroup_id_x 1
		.amdhsa_system_sgpr_workgroup_id_y 1
		.amdhsa_system_sgpr_workgroup_id_z 0
		.amdhsa_system_sgpr_workgroup_info 0
		.amdhsa_system_vgpr_workitem_id 1
		.amdhsa_next_free_vgpr 53
		.amdhsa_next_free_sgpr 16
		.amdhsa_reserve_vcc 1
		.amdhsa_float_round_mode_32 0
		.amdhsa_float_round_mode_16_64 0
		.amdhsa_float_denorm_mode_32 3
		.amdhsa_float_denorm_mode_16_64 3
		.amdhsa_dx10_clamp 1
		.amdhsa_ieee_mode 1
		.amdhsa_fp16_overflow 0
		.amdhsa_workgroup_processor_mode 1
		.amdhsa_memory_ordered 1
		.amdhsa_forward_progress 0
		.amdhsa_shared_vgpr_count 0
		.amdhsa_exception_fp_ieee_invalid_op 0
		.amdhsa_exception_fp_denorm_src 0
		.amdhsa_exception_fp_ieee_div_zero 0
		.amdhsa_exception_fp_ieee_overflow 0
		.amdhsa_exception_fp_ieee_underflow 0
		.amdhsa_exception_fp_ieee_inexact 0
		.amdhsa_exception_int_div_zero 0
	.end_amdhsa_kernel
	.section	.text._ZL13mul_mat_vec_qIfLi256ELi8E11block_iq1_sLi1EXadL_ZL18vec_dot_iq1_s_q8_1PKvPK10block_q8_1RKiEEEvS2_S2_PT_iii,"axG",@progbits,_ZL13mul_mat_vec_qIfLi256ELi8E11block_iq1_sLi1EXadL_ZL18vec_dot_iq1_s_q8_1PKvPK10block_q8_1RKiEEEvS2_S2_PT_iii,comdat
.Lfunc_end71:
	.size	_ZL13mul_mat_vec_qIfLi256ELi8E11block_iq1_sLi1EXadL_ZL18vec_dot_iq1_s_q8_1PKvPK10block_q8_1RKiEEEvS2_S2_PT_iii, .Lfunc_end71-_ZL13mul_mat_vec_qIfLi256ELi8E11block_iq1_sLi1EXadL_ZL18vec_dot_iq1_s_q8_1PKvPK10block_q8_1RKiEEEvS2_S2_PT_iii
                                        ; -- End function
	.section	.AMDGPU.csdata,"",@progbits
; Kernel info:
; codeLenInByte = 1656
; NumSgprs: 18
; NumVgprs: 53
; ScratchSize: 0
; MemoryBound: 0
; FloatMode: 240
; IeeeMode: 1
; LDSByteSize: 0 bytes/workgroup (compile time only)
; SGPRBlocks: 2
; VGPRBlocks: 6
; NumSGPRsForWavesPerEU: 18
; NumVGPRsForWavesPerEU: 53
; Occupancy: 16
; WaveLimiterHint : 0
; COMPUTE_PGM_RSRC2:SCRATCH_EN: 0
; COMPUTE_PGM_RSRC2:USER_SGPR: 14
; COMPUTE_PGM_RSRC2:TRAP_HANDLER: 0
; COMPUTE_PGM_RSRC2:TGID_X_EN: 1
; COMPUTE_PGM_RSRC2:TGID_Y_EN: 1
; COMPUTE_PGM_RSRC2:TGID_Z_EN: 0
; COMPUTE_PGM_RSRC2:TIDIG_COMP_CNT: 1
	.section	.text._ZL13mul_mat_vec_qIfLi32ELi4E12block_iq4_nlLi2EXadL_ZL19vec_dot_iq4_nl_q8_1PKvPK10block_q8_1RKiEEEvS2_S2_PT_iii,"axG",@progbits,_ZL13mul_mat_vec_qIfLi32ELi4E12block_iq4_nlLi2EXadL_ZL19vec_dot_iq4_nl_q8_1PKvPK10block_q8_1RKiEEEvS2_S2_PT_iii,comdat
	.globl	_ZL13mul_mat_vec_qIfLi32ELi4E12block_iq4_nlLi2EXadL_ZL19vec_dot_iq4_nl_q8_1PKvPK10block_q8_1RKiEEEvS2_S2_PT_iii ; -- Begin function _ZL13mul_mat_vec_qIfLi32ELi4E12block_iq4_nlLi2EXadL_ZL19vec_dot_iq4_nl_q8_1PKvPK10block_q8_1RKiEEEvS2_S2_PT_iii
	.p2align	8
	.type	_ZL13mul_mat_vec_qIfLi32ELi4E12block_iq4_nlLi2EXadL_ZL19vec_dot_iq4_nl_q8_1PKvPK10block_q8_1RKiEEEvS2_S2_PT_iii,@function
_ZL13mul_mat_vec_qIfLi32ELi4E12block_iq4_nlLi2EXadL_ZL19vec_dot_iq4_nl_q8_1PKvPK10block_q8_1RKiEEEvS2_S2_PT_iii: ; @_ZL13mul_mat_vec_qIfLi32ELi4E12block_iq4_nlLi2EXadL_ZL19vec_dot_iq4_nl_q8_1PKvPK10block_q8_1RKiEEEvS2_S2_PT_iii
; %bb.0:
	s_clause 0x1
	s_load_b32 s2, s[0:1], 0x34
	s_load_b128 s[4:7], s[0:1], 0x18
	v_bfe_u32 v3, v0, 10, 10
	s_waitcnt lgkmcnt(0)
	s_lshr_b32 s2, s2, 16
	s_cmp_lt_u32 s15, s6
	s_delay_alu instid0(VALU_DEP_1) | instskip(SKIP_1) | instid1(VALU_DEP_1)
	v_mad_u64_u32 v[1:2], null, s14, s2, v[3:4]
	s_cselect_b32 s2, -1, 0
	v_cmp_gt_u32_e32 vcc_lo, s5, v1
	s_and_b32 s2, s2, vcc_lo
	s_delay_alu instid0(SALU_CYCLE_1)
	s_and_saveexec_b32 s3, s2
	s_cbranch_execz .LBB72_7
; %bb.1:
	s_load_b64 s[6:7], s[0:1], 0x10
	v_dual_mov_b32 v3, 0 :: v_dual_and_b32 v0, 0x3ff, v0
	s_ashr_i32 s2, s4, 31
	s_mov_b32 s8, exec_lo
	s_lshr_b32 s2, s2, 27
	s_delay_alu instid0(VALU_DEP_1) | instskip(SKIP_1) | instid1(SALU_CYCLE_1)
	v_lshrrev_b32_e32 v2, 1, v0
	s_add_i32 s2, s4, s2
	s_ashr_i32 s9, s2, 5
	s_delay_alu instid0(VALU_DEP_1) | instid1(SALU_CYCLE_1)
	v_cmpx_gt_u32_e64 s9, v2
	s_cbranch_execz .LBB72_5
; %bb.2:
	v_lshlrev_b32_e32 v3, 1, v0
	s_load_b128 s[0:3], s[0:1], 0x0
	s_addk_i32 s4, 0x1ff
	v_mul_lo_u32 v4, v1, s9
	s_ashr_i32 s10, s4, 31
	v_dual_mov_b32 v3, 0 :: v_dual_and_b32 v6, 2, v3
	s_lshr_b32 s10, s10, 23
	s_delay_alu instid0(SALU_CYCLE_1) | instskip(NEXT) | instid1(VALU_DEP_1)
	s_add_i32 s4, s4, s10
	v_lshlrev_b32_e32 v5, 1, v6
	s_ashr_i32 s4, s4, 9
	v_lshlrev_b32_e32 v6, 2, v6
	s_mul_i32 s4, s15, s4
	s_delay_alu instid0(SALU_CYCLE_1)
	s_lshl_b32 s10, s4, 4
	v_lshlrev_b32_e32 v5, 1, v5
	s_mov_b32 s4, 0
	s_getpc_b64 s[12:13]
	s_add_u32 s12, s12, _ZL13kvalues_iq4nl@rel32@lo+4
	s_addc_u32 s13, s13, _ZL13kvalues_iq4nl@rel32@hi+12
.LBB72_3:                               ; =>This Inner Loop Header: Depth=1
	v_add_nc_u32_e32 v9, v4, v2
	v_add_nc_u32_e32 v13, s10, v2
	s_waitcnt lgkmcnt(0)
	s_delay_alu instid0(VALU_DEP_2) | instskip(NEXT) | instid1(VALU_DEP_2)
	v_mad_i64_i32 v[7:8], null, v9, 18, s[0:1]
	v_mad_i64_i32 v[11:12], null, v13, 36, s[2:3]
	s_delay_alu instid0(VALU_DEP_2) | instskip(NEXT) | instid1(VALU_DEP_3)
	v_add_co_u32 v9, vcc_lo, v7, v5
	v_add_co_ci_u32_e32 v10, vcc_lo, 0, v8, vcc_lo
	s_delay_alu instid0(VALU_DEP_3) | instskip(NEXT) | instid1(VALU_DEP_4)
	v_add_co_u32 v13, vcc_lo, v11, v6
	v_add_co_ci_u32_e32 v14, vcc_lo, 0, v12, vcc_lo
	global_load_b64 v[9:10], v[9:10], off offset:2
	global_load_b64 v[15:16], v[13:14], off offset:4
	s_waitcnt vmcnt(1)
	v_bfe_u32 v19, v9, 8, 4
	v_bfe_u32 v20, v9, 16, 4
	;; [unrolled: 1-line block ×5, first 2 shown]
	v_and_b32_e32 v18, 15, v9
	v_lshrrev_b32_e32 v23, 28, v9
	v_bfe_u32 v9, v9, 4, 4
	s_clause 0x7
	global_load_i8 v19, v19, s[12:13]
	global_load_i8 v20, v20, s[12:13]
	;; [unrolled: 1-line block ×8, first 2 shown]
	v_bfe_u32 v26, v10, 8, 4
	v_bfe_u32 v27, v10, 16, 4
	;; [unrolled: 1-line block ×5, first 2 shown]
	v_and_b32_e32 v25, 15, v10
	v_lshrrev_b32_e32 v30, 28, v10
	v_bfe_u32 v9, v10, 4, 4
	s_clause 0x7
	global_load_i8 v26, v26, s[12:13]
	global_load_i8 v27, v27, s[12:13]
	;; [unrolled: 1-line block ×8, first 2 shown]
	global_load_b64 v[9:10], v[13:14], off offset:20
	global_load_u16 v7, v[7:8], off
	global_load_b32 v8, v[11:12], off
	s_waitcnt vmcnt(14)
	v_perm_b32 v13, v21, v31, 0xc0c0400
	s_waitcnt vmcnt(13)
	v_perm_b32 v14, v23, v22, 0x4000c0c
	;; [unrolled: 2-line block ×4, first 2 shown]
	v_or_b32_e32 v13, v14, v13
	s_delay_alu instid0(VALU_DEP_2)
	v_or_b32_e32 v11, v12, v11
	s_waitcnt vmcnt(5)
	v_perm_b32 v12, v26, v25, 0xc0c0400
	s_waitcnt vmcnt(4)
	v_perm_b32 v17, v24, v27, 0x4000c0c
	;; [unrolled: 2-line block ×3, first 2 shown]
	s_waitcnt vmcnt(1)
	v_cvt_f32_f16_e32 v7, v7
	v_dot4_i32_iu8 v11, v15, v11, 0 neg_lo:[1,1,0]
	v_perm_b32 v15, v30, v29, 0x4000c0c
	v_or_b32_e32 v12, v17, v12
	s_waitcnt vmcnt(0)
	v_cvt_f32_f16_e32 v8, v8
	v_dot4_i32_iu8 v9, v9, v13, v11 neg_lo:[1,1,0]
	v_or_b32_e32 v11, v15, v14
	s_delay_alu instid0(VALU_DEP_3) | instskip(NEXT) | instid1(VALU_DEP_3)
	v_mul_f32_e32 v7, v7, v8
	v_dot4_i32_iu8 v9, v16, v12, v9 neg_lo:[1,1,0]
	s_delay_alu instid0(VALU_DEP_1) | instskip(NEXT) | instid1(VALU_DEP_1)
	v_dot4_i32_iu8 v9, v10, v11, v9 neg_lo:[1,1,0]
	v_cvt_f32_i32_e32 v8, v9
	s_delay_alu instid0(VALU_DEP_1) | instskip(NEXT) | instid1(VALU_DEP_1)
	v_dual_fmac_f32 v3, v7, v8 :: v_dual_add_nc_u32 v2, 16, v2
	v_cmp_le_u32_e32 vcc_lo, s9, v2
	s_or_b32 s4, vcc_lo, s4
	s_delay_alu instid0(SALU_CYCLE_1)
	s_and_not1_b32 exec_lo, exec_lo, s4
	s_cbranch_execnz .LBB72_3
; %bb.4:
	s_or_b32 exec_lo, exec_lo, s4
.LBB72_5:
	s_delay_alu instid0(SALU_CYCLE_1) | instskip(SKIP_1) | instid1(VALU_DEP_1)
	s_or_b32 exec_lo, exec_lo, s8
	v_mbcnt_lo_u32_b32 v2, -1, 0
	v_xor_b32_e32 v4, 16, v2
	v_xor_b32_e32 v5, 8, v2
	s_delay_alu instid0(VALU_DEP_2) | instskip(SKIP_1) | instid1(VALU_DEP_3)
	v_cmp_gt_i32_e32 vcc_lo, 32, v4
	v_cndmask_b32_e32 v4, v2, v4, vcc_lo
	v_cmp_gt_i32_e32 vcc_lo, 32, v5
	v_cndmask_b32_e32 v5, v2, v5, vcc_lo
	s_delay_alu instid0(VALU_DEP_1) | instskip(NEXT) | instid1(VALU_DEP_4)
	v_lshlrev_b32_e32 v5, 2, v5
	v_lshlrev_b32_e32 v4, 2, v4
	ds_bpermute_b32 v4, v4, v3
	s_waitcnt lgkmcnt(0)
	v_add_f32_e32 v3, v3, v4
	ds_bpermute_b32 v4, v5, v3
	v_xor_b32_e32 v5, 4, v2
	s_delay_alu instid0(VALU_DEP_1) | instskip(SKIP_1) | instid1(VALU_DEP_1)
	v_cmp_gt_i32_e32 vcc_lo, 32, v5
	v_cndmask_b32_e32 v5, v2, v5, vcc_lo
	v_lshlrev_b32_e32 v5, 2, v5
	s_waitcnt lgkmcnt(0)
	v_add_f32_e32 v3, v3, v4
	ds_bpermute_b32 v4, v5, v3
	v_xor_b32_e32 v5, 2, v2
	s_delay_alu instid0(VALU_DEP_1) | instskip(SKIP_1) | instid1(VALU_DEP_1)
	v_cmp_gt_i32_e32 vcc_lo, 32, v5
	v_cndmask_b32_e32 v5, v2, v5, vcc_lo
	v_lshlrev_b32_e32 v5, 2, v5
	s_waitcnt lgkmcnt(0)
	v_add_f32_e32 v3, v3, v4
	ds_bpermute_b32 v4, v5, v3
	v_xor_b32_e32 v5, 1, v2
	s_delay_alu instid0(VALU_DEP_1) | instskip(SKIP_3) | instid1(VALU_DEP_2)
	v_cmp_gt_i32_e32 vcc_lo, 32, v5
	v_cndmask_b32_e32 v5, v2, v5, vcc_lo
	v_cmp_eq_u32_e32 vcc_lo, 0, v0
	s_waitcnt lgkmcnt(0)
	v_dual_add_f32 v2, v3, v4 :: v_dual_lshlrev_b32 v3, 2, v5
	ds_bpermute_b32 v3, v3, v2
	s_and_b32 exec_lo, exec_lo, vcc_lo
	s_cbranch_execz .LBB72_7
; %bb.6:
	v_mad_u64_u32 v[4:5], null, s15, s5, v[1:2]
	s_waitcnt lgkmcnt(0)
	v_dual_mov_b32 v5, 0 :: v_dual_add_f32 v2, v2, v3
	s_delay_alu instid0(VALU_DEP_1) | instskip(NEXT) | instid1(VALU_DEP_1)
	v_lshlrev_b64 v[0:1], 2, v[4:5]
	v_add_co_u32 v0, vcc_lo, s6, v0
	s_delay_alu instid0(VALU_DEP_2)
	v_add_co_ci_u32_e32 v1, vcc_lo, s7, v1, vcc_lo
	global_store_b32 v[0:1], v2, off
.LBB72_7:
	s_nop 0
	s_sendmsg sendmsg(MSG_DEALLOC_VGPRS)
	s_endpgm
	.section	.rodata,"a",@progbits
	.p2align	6, 0x0
	.amdhsa_kernel _ZL13mul_mat_vec_qIfLi32ELi4E12block_iq4_nlLi2EXadL_ZL19vec_dot_iq4_nl_q8_1PKvPK10block_q8_1RKiEEEvS2_S2_PT_iii
		.amdhsa_group_segment_fixed_size 0
		.amdhsa_private_segment_fixed_size 0
		.amdhsa_kernarg_size 296
		.amdhsa_user_sgpr_count 14
		.amdhsa_user_sgpr_dispatch_ptr 0
		.amdhsa_user_sgpr_queue_ptr 0
		.amdhsa_user_sgpr_kernarg_segment_ptr 1
		.amdhsa_user_sgpr_dispatch_id 0
		.amdhsa_user_sgpr_private_segment_size 0
		.amdhsa_wavefront_size32 1
		.amdhsa_uses_dynamic_stack 0
		.amdhsa_enable_private_segment 0
		.amdhsa_system_sgpr_workgroup_id_x 1
		.amdhsa_system_sgpr_workgroup_id_y 1
		.amdhsa_system_sgpr_workgroup_id_z 0
		.amdhsa_system_sgpr_workgroup_info 0
		.amdhsa_system_vgpr_workitem_id 1
		.amdhsa_next_free_vgpr 33
		.amdhsa_next_free_sgpr 16
		.amdhsa_reserve_vcc 1
		.amdhsa_float_round_mode_32 0
		.amdhsa_float_round_mode_16_64 0
		.amdhsa_float_denorm_mode_32 3
		.amdhsa_float_denorm_mode_16_64 3
		.amdhsa_dx10_clamp 1
		.amdhsa_ieee_mode 1
		.amdhsa_fp16_overflow 0
		.amdhsa_workgroup_processor_mode 1
		.amdhsa_memory_ordered 1
		.amdhsa_forward_progress 0
		.amdhsa_shared_vgpr_count 0
		.amdhsa_exception_fp_ieee_invalid_op 0
		.amdhsa_exception_fp_denorm_src 0
		.amdhsa_exception_fp_ieee_div_zero 0
		.amdhsa_exception_fp_ieee_overflow 0
		.amdhsa_exception_fp_ieee_underflow 0
		.amdhsa_exception_fp_ieee_inexact 0
		.amdhsa_exception_int_div_zero 0
	.end_amdhsa_kernel
	.section	.text._ZL13mul_mat_vec_qIfLi32ELi4E12block_iq4_nlLi2EXadL_ZL19vec_dot_iq4_nl_q8_1PKvPK10block_q8_1RKiEEEvS2_S2_PT_iii,"axG",@progbits,_ZL13mul_mat_vec_qIfLi32ELi4E12block_iq4_nlLi2EXadL_ZL19vec_dot_iq4_nl_q8_1PKvPK10block_q8_1RKiEEEvS2_S2_PT_iii,comdat
.Lfunc_end72:
	.size	_ZL13mul_mat_vec_qIfLi32ELi4E12block_iq4_nlLi2EXadL_ZL19vec_dot_iq4_nl_q8_1PKvPK10block_q8_1RKiEEEvS2_S2_PT_iii, .Lfunc_end72-_ZL13mul_mat_vec_qIfLi32ELi4E12block_iq4_nlLi2EXadL_ZL19vec_dot_iq4_nl_q8_1PKvPK10block_q8_1RKiEEEvS2_S2_PT_iii
                                        ; -- End function
	.section	.AMDGPU.csdata,"",@progbits
; Kernel info:
; codeLenInByte = 1108
; NumSgprs: 18
; NumVgprs: 33
; ScratchSize: 0
; MemoryBound: 0
; FloatMode: 240
; IeeeMode: 1
; LDSByteSize: 0 bytes/workgroup (compile time only)
; SGPRBlocks: 2
; VGPRBlocks: 4
; NumSGPRsForWavesPerEU: 18
; NumVGPRsForWavesPerEU: 33
; Occupancy: 16
; WaveLimiterHint : 0
; COMPUTE_PGM_RSRC2:SCRATCH_EN: 0
; COMPUTE_PGM_RSRC2:USER_SGPR: 14
; COMPUTE_PGM_RSRC2:TRAP_HANDLER: 0
; COMPUTE_PGM_RSRC2:TGID_X_EN: 1
; COMPUTE_PGM_RSRC2:TGID_Y_EN: 1
; COMPUTE_PGM_RSRC2:TGID_Z_EN: 0
; COMPUTE_PGM_RSRC2:TIDIG_COMP_CNT: 1
	.section	.text._ZL13mul_mat_vec_qIfLi256ELi8E11block_iq3_sLi1EXadL_ZL18vec_dot_iq3_s_q8_1PKvPK10block_q8_1RKiEEEvS2_S2_PT_iii,"axG",@progbits,_ZL13mul_mat_vec_qIfLi256ELi8E11block_iq3_sLi1EXadL_ZL18vec_dot_iq3_s_q8_1PKvPK10block_q8_1RKiEEEvS2_S2_PT_iii,comdat
	.globl	_ZL13mul_mat_vec_qIfLi256ELi8E11block_iq3_sLi1EXadL_ZL18vec_dot_iq3_s_q8_1PKvPK10block_q8_1RKiEEEvS2_S2_PT_iii ; -- Begin function _ZL13mul_mat_vec_qIfLi256ELi8E11block_iq3_sLi1EXadL_ZL18vec_dot_iq3_s_q8_1PKvPK10block_q8_1RKiEEEvS2_S2_PT_iii
	.p2align	8
	.type	_ZL13mul_mat_vec_qIfLi256ELi8E11block_iq3_sLi1EXadL_ZL18vec_dot_iq3_s_q8_1PKvPK10block_q8_1RKiEEEvS2_S2_PT_iii,@function
_ZL13mul_mat_vec_qIfLi256ELi8E11block_iq3_sLi1EXadL_ZL18vec_dot_iq3_s_q8_1PKvPK10block_q8_1RKiEEEvS2_S2_PT_iii: ; @_ZL13mul_mat_vec_qIfLi256ELi8E11block_iq3_sLi1EXadL_ZL18vec_dot_iq3_s_q8_1PKvPK10block_q8_1RKiEEEvS2_S2_PT_iii
; %bb.0:
	s_clause 0x1
	s_load_b32 s2, s[0:1], 0x34
	s_load_b128 s[4:7], s[0:1], 0x18
	v_bfe_u32 v3, v0, 10, 10
	s_waitcnt lgkmcnt(0)
	s_lshr_b32 s2, s2, 16
	s_cmp_lt_u32 s15, s6
	s_delay_alu instid0(VALU_DEP_1) | instskip(SKIP_1) | instid1(VALU_DEP_1)
	v_mad_u64_u32 v[1:2], null, s14, s2, v[3:4]
	s_cselect_b32 s2, -1, 0
	v_cmp_gt_u32_e32 vcc_lo, s5, v1
	s_and_b32 s2, s2, vcc_lo
	s_delay_alu instid0(SALU_CYCLE_1)
	s_and_saveexec_b32 s3, s2
	s_cbranch_execz .LBB73_9
; %bb.1:
	s_load_b64 s[6:7], s[0:1], 0x10
	v_and_b32_e32 v0, 0x3ff, v0
	s_ashr_i32 s2, s4, 31
	v_mov_b32_e32 v18, 0
	s_lshr_b32 s2, s2, 24
	s_mov_b32 s8, exec_lo
	v_lshrrev_b32_e32 v19, 3, v0
	s_add_i32 s2, s4, s2
	s_delay_alu instid0(SALU_CYCLE_1)
	s_ashr_i32 s9, s2, 8
	s_delay_alu instid0(VALU_DEP_1) | instid1(SALU_CYCLE_1)
	v_cmpx_gt_u32_e64 s9, v19
	s_cbranch_execz .LBB73_7
; %bb.2:
	s_load_b128 s[0:3], s[0:1], 0x0
	v_dual_mov_b32 v18, 0 :: v_dual_and_b32 v21, 7, v0
	s_addk_i32 s4, 0x1ff
	v_lshlrev_b32_e32 v2, 2, v0
	s_ashr_i32 s10, s4, 31
	s_delay_alu instid0(VALU_DEP_2)
	v_lshlrev_b32_e32 v3, 2, v21
	s_lshr_b32 s10, s10, 23
	v_lshlrev_b32_e32 v6, 3, v21
	s_add_i32 s4, s4, s10
	v_mul_lo_u32 v20, v1, s9
	v_and_b32_e32 v23, 4, v2
	s_ashr_i32 s4, s4, 9
	v_bfe_u32 v22, v0, 1, 2
	s_mul_i32 s4, s15, s4
	s_delay_alu instid0(VALU_DEP_3) | instskip(SKIP_2) | instid1(VALU_DEP_1)
	v_add_nc_u32_e32 v24, v19, v20
	s_waitcnt lgkmcnt(0)
	v_add_co_u32 v4, s10, v3, s0
	v_add_co_ci_u32_e64 v5, null, 0, s1, s10
	v_mad_u64_u32 v[2:3], null, v21, 36, s[2:3]
	v_add_co_u32 v6, s2, v6, s0
	s_delay_alu instid0(VALU_DEP_4) | instskip(SKIP_2) | instid1(VALU_DEP_4)
	v_add_co_u32 v4, vcc_lo, 0x4a, v4
	v_add_co_ci_u32_e64 v7, null, 0, s1, s2
	v_add_co_ci_u32_e32 v5, vcc_lo, 0, v5, vcc_lo
	v_add_co_u32 v6, vcc_lo, v6, 2
	s_delay_alu instid0(VALU_DEP_3)
	v_add_co_ci_u32_e32 v7, vcc_lo, 0, v7, vcc_lo
	s_lshl_b32 s3, s4, 4
	s_mov_b32 s2, 0
	s_getpc_b64 s[10:11]
	s_add_u32 s10, s10, _ZL10iq3xs_grid@rel32@lo+4
	s_addc_u32 s11, s11, _ZL10iq3xs_grid@rel32@hi+12
.LBB73_3:                               ; =>This Loop Header: Depth=1
                                        ;     Child Loop BB73_4 Depth 2
	v_dual_mov_b32 v25, 0 :: v_dual_add_nc_u32 v10, v19, v20
	v_lshl_add_u32 v12, v19, 3, s3
	v_mad_i64_i32 v[14:15], null, 0x6e, v24, v[6:7]
	s_delay_alu instid0(VALU_DEP_3) | instskip(SKIP_1) | instid1(VALU_DEP_1)
	v_mad_i64_i32 v[8:9], null, 0x6e, v10, s[0:1]
	s_mov_b32 s4, 7
	v_add_co_u32 v10, vcc_lo, v8, v21
	s_delay_alu instid0(VALU_DEP_2) | instskip(SKIP_3) | instid1(VALU_DEP_2)
	v_add_co_ci_u32_e32 v11, vcc_lo, 0, v9, vcc_lo
	global_load_u8 v26, v[10:11], off offset:66
	v_mad_i64_i32 v[10:11], null, v12, 36, v[2:3]
	v_mad_i64_i32 v[12:13], null, 0x6e, v24, v[4:5]
	v_add_co_u32 v16, vcc_lo, v10, 4
	s_delay_alu instid0(VALU_DEP_3)
	v_add_co_ci_u32_e32 v17, vcc_lo, 0, v11, vcc_lo
.LBB73_4:                               ;   Parent Loop BB73_3 Depth=1
                                        ; =>  This Inner Loop Header: Depth=2
	global_load_u16 v27, v[14:15], off
	global_load_u8 v29, v[12:13], off
	s_add_i32 s12, s4, 1
	s_waitcnt vmcnt(2)
	v_lshlrev_b32_e32 v28, s4, v26
	v_lshlrev_b32_e32 v30, s12, v26
	s_add_i32 s4, s4, -2
	s_delay_alu instid0(SALU_CYCLE_1)
	s_cmp_lg_u32 s4, -1
	s_waitcnt vmcnt(1)
	v_lshrrev_b16 v31, 8, v27
	v_and_b32_e32 v27, 0xff, v27
	s_waitcnt vmcnt(0)
	v_and_b32_e32 v32, 15, v29
	v_lshrrev_b16 v29, 4, v29
	v_and_b32_e32 v31, 0xffff, v31
	v_and_or_b32 v27, 0x100, v30, v27
	s_delay_alu instid0(VALU_DEP_4) | instskip(NEXT) | instid1(VALU_DEP_4)
	v_and_b32_e32 v32, 0xffff, v32
	v_and_b32_e32 v29, 0xffff, v29
	s_delay_alu instid0(VALU_DEP_4) | instskip(NEXT) | instid1(VALU_DEP_4)
	v_and_or_b32 v28, 0x100, v28, v31
	v_lshlrev_b32_e32 v27, 2, v27
	s_delay_alu instid0(VALU_DEP_4) | instskip(NEXT) | instid1(VALU_DEP_4)
	v_mul_lo_u32 v32, 0x1010101, v32
	v_mul_lo_u32 v29, 0x1010101, v29
	s_delay_alu instid0(VALU_DEP_4)
	v_lshlrev_b32_e32 v28, 2, v28
	s_clause 0x1
	global_load_b32 v30, v27, s[10:11]
	global_load_b32 v31, v28, s[10:11]
	global_load_b64 v[27:28], v[16:17], off
	v_not_b32_e32 v32, v32
	v_add_co_u32 v16, vcc_lo, v16, 8
	v_add_co_ci_u32_e32 v17, vcc_lo, 0, v17, vcc_lo
	s_delay_alu instid0(VALU_DEP_3)
	v_and_b32_e32 v33, 0x8040201, v32
	v_and_b32_e32 v34, 0x40000, v32
	;; [unrolled: 1-line block ×3, first 2 shown]
	v_not_b32_e32 v29, v29
	v_and_b32_e32 v32, 1, v32
	v_cmp_gt_u32_e32 vcc_lo, 0x1000000, v33
	s_delay_alu instid0(VALU_DEP_3)
	v_and_b32_e32 v36, 0x8040201, v29
	v_and_b32_e32 v38, 0x200, v29
	v_cndmask_b32_e64 v33, 0, -1, vcc_lo
	v_cmp_eq_u32_e32 vcc_lo, 0, v34
	v_and_b32_e32 v37, 0x40000, v29
	v_and_b32_e32 v29, 1, v29
	s_delay_alu instid0(VALU_DEP_4)
	v_lshlrev_b32_e32 v33, 24, v33
	v_cndmask_b32_e64 v34, 0, 0xff0000, vcc_lo
	v_cmp_eq_u32_e32 vcc_lo, 0, v35
	v_cndmask_b32_e64 v35, 0, 0xff00, vcc_lo
	v_cmp_eq_u32_e32 vcc_lo, 0, v32
	v_cndmask_b32_e64 v32, 0, 0xff, vcc_lo
	v_cmp_gt_u32_e32 vcc_lo, 0x1000000, v36
	s_delay_alu instid0(VALU_DEP_2) | instskip(SKIP_2) | instid1(VALU_DEP_3)
	v_or_b32_e32 v39, v35, v32
	v_cndmask_b32_e64 v36, 0, -1, vcc_lo
	v_cmp_eq_u32_e32 vcc_lo, 0, v38
	v_or3_b32 v39, v39, v34, v33
	s_delay_alu instid0(VALU_DEP_3) | instskip(SKIP_4) | instid1(VALU_DEP_2)
	v_lshlrev_b32_e32 v36, 24, v36
	v_cndmask_b32_e64 v38, 0, 0xff00, vcc_lo
	v_cmp_eq_u32_e32 vcc_lo, 0, v29
	v_cndmask_b32_e64 v29, 0, 0xff, vcc_lo
	v_cmp_eq_u32_e32 vcc_lo, 0, v37
	v_or_b32_e32 v40, v38, v29
	v_cndmask_b32_e64 v37, 0, 0xff0000, vcc_lo
	v_add_co_u32 v12, vcc_lo, v12, 1
	v_add_co_ci_u32_e32 v13, vcc_lo, 0, v13, vcc_lo
	s_delay_alu instid0(VALU_DEP_3)
	v_or3_b32 v40, v40, v37, v36
	v_add_co_u32 v14, vcc_lo, v14, 2
	v_add_co_ci_u32_e32 v15, vcc_lo, 0, v15, vcc_lo
	s_waitcnt vmcnt(2)
	v_xor_b32_e32 v30, v39, v30
	s_waitcnt vmcnt(1)
	v_xor_b32_e32 v31, v40, v31
	s_waitcnt vmcnt(0)
	v_bfe_i32 v41, v27, 0, 8
	v_bfe_i32 v39, v28, 0, 8
	v_sub_nc_u32_e32 v32, v30, v32
	v_sub_nc_u32_e32 v29, v31, v29
	;; [unrolled: 1-line block ×7, first 2 shown]
	v_bfe_i32 v32, v32, 0, 8
	v_bfe_i32 v29, v29, 0, 8
	v_perm_b32 v34, v34, v30, 0xc06010c
	v_sub_nc_u32_e32 v31, v31, v36
	v_perm_b32 v35, v35, v37, 0xc06010c
	v_mul_i32_i24_e32 v32, v32, v41
	v_mul_i32_i24_e32 v29, v29, v39
	v_perm_b32 v36, v27, v27, 0xc0c0201
	v_perm_b32 v30, v34, v30, 0xc0c0601
	;; [unrolled: 1-line block ×4, first 2 shown]
	v_add3_u32 v25, v32, v25, v29
	v_perm_b32 v27, v28, v27, 0x7060503
	s_delay_alu instid0(VALU_DEP_3) | instskip(NEXT) | instid1(VALU_DEP_3)
	v_or_b32_e32 v28, v31, v33
	v_dot4_i32_iu8 v25, v30, v36, v25 neg_lo:[1,1,0]
	s_delay_alu instid0(VALU_DEP_1)
	v_dot4_i32_iu8 v25, v28, v27, v25 neg_lo:[1,1,0]
	s_cbranch_scc1 .LBB73_4
; %bb.5:                                ;   in Loop: Header=BB73_3 Depth=1
	v_add_co_u32 v12, vcc_lo, v8, v22
	v_add_co_ci_u32_e32 v13, vcc_lo, 0, v9, vcc_lo
	v_add_nc_u32_e32 v24, 4, v24
	s_clause 0x1
	global_load_u8 v12, v[12:13], off offset:106
	global_load_u16 v8, v[8:9], off
	global_load_b32 v9, v[10:11], off
	v_add_nc_u32_e32 v19, 4, v19
	s_delay_alu instid0(VALU_DEP_1)
	v_cmp_le_u32_e32 vcc_lo, s9, v19
	s_or_b32 s2, vcc_lo, s2
	s_waitcnt vmcnt(2)
	v_bfe_u32 v10, v12, v23, 4
	s_waitcnt vmcnt(1)
	v_cvt_f32_f16_e32 v8, v8
	s_waitcnt vmcnt(0)
	v_cvt_f32_f16_e32 v9, v9
	v_cvt_f32_ubyte0_e32 v10, v10
	s_delay_alu instid0(VALU_DEP_1) | instskip(NEXT) | instid1(VALU_DEP_1)
	v_add_f32_e32 v10, 0.5, v10
	v_mul_f32_e32 v8, v10, v8
	s_delay_alu instid0(VALU_DEP_1) | instskip(SKIP_1) | instid1(VALU_DEP_2)
	v_mul_f32_e32 v8, v8, v9
	v_cvt_f32_i32_e32 v9, v25
	v_mul_f32_e32 v8, 0.5, v8
	s_delay_alu instid0(VALU_DEP_1)
	v_fmac_f32_e32 v18, v8, v9
	s_and_not1_b32 exec_lo, exec_lo, s2
	s_cbranch_execnz .LBB73_3
; %bb.6:
	s_or_b32 exec_lo, exec_lo, s2
.LBB73_7:
	s_delay_alu instid0(SALU_CYCLE_1) | instskip(SKIP_1) | instid1(VALU_DEP_1)
	s_or_b32 exec_lo, exec_lo, s8
	v_mbcnt_lo_u32_b32 v2, -1, 0
	v_xor_b32_e32 v3, 16, v2
	v_xor_b32_e32 v4, 8, v2
	;; [unrolled: 1-line block ×3, first 2 shown]
	s_delay_alu instid0(VALU_DEP_3) | instskip(SKIP_1) | instid1(VALU_DEP_4)
	v_cmp_gt_i32_e32 vcc_lo, 32, v3
	v_cndmask_b32_e32 v3, v2, v3, vcc_lo
	v_cmp_gt_i32_e32 vcc_lo, 32, v4
	v_cndmask_b32_e32 v4, v2, v4, vcc_lo
	;; [unrolled: 2-line block ×3, first 2 shown]
	s_delay_alu instid0(VALU_DEP_1) | instskip(NEXT) | instid1(VALU_DEP_4)
	v_lshlrev_b32_e32 v5, 2, v5
	v_lshlrev_b32_e32 v4, 2, v4
	;; [unrolled: 1-line block ×3, first 2 shown]
	ds_bpermute_b32 v3, v3, v18
	s_waitcnt lgkmcnt(0)
	v_add_f32_e32 v3, v18, v3
	ds_bpermute_b32 v4, v4, v3
	s_waitcnt lgkmcnt(0)
	v_add_f32_e32 v3, v3, v4
	ds_bpermute_b32 v4, v5, v3
	v_xor_b32_e32 v5, 2, v2
	s_delay_alu instid0(VALU_DEP_1) | instskip(SKIP_1) | instid1(VALU_DEP_1)
	v_cmp_gt_i32_e32 vcc_lo, 32, v5
	v_cndmask_b32_e32 v5, v2, v5, vcc_lo
	v_lshlrev_b32_e32 v5, 2, v5
	s_waitcnt lgkmcnt(0)
	v_add_f32_e32 v3, v3, v4
	ds_bpermute_b32 v4, v5, v3
	v_xor_b32_e32 v5, 1, v2
	s_delay_alu instid0(VALU_DEP_1) | instskip(SKIP_3) | instid1(VALU_DEP_2)
	v_cmp_gt_i32_e32 vcc_lo, 32, v5
	v_cndmask_b32_e32 v5, v2, v5, vcc_lo
	v_cmp_eq_u32_e32 vcc_lo, 0, v0
	s_waitcnt lgkmcnt(0)
	v_dual_add_f32 v2, v3, v4 :: v_dual_lshlrev_b32 v3, 2, v5
	ds_bpermute_b32 v3, v3, v2
	s_and_b32 exec_lo, exec_lo, vcc_lo
	s_cbranch_execz .LBB73_9
; %bb.8:
	v_mad_u64_u32 v[4:5], null, s15, s5, v[1:2]
	s_waitcnt lgkmcnt(0)
	v_dual_mov_b32 v5, 0 :: v_dual_add_f32 v2, v2, v3
	s_delay_alu instid0(VALU_DEP_1) | instskip(NEXT) | instid1(VALU_DEP_1)
	v_lshlrev_b64 v[0:1], 2, v[4:5]
	v_add_co_u32 v0, vcc_lo, s6, v0
	s_delay_alu instid0(VALU_DEP_2)
	v_add_co_ci_u32_e32 v1, vcc_lo, s7, v1, vcc_lo
	global_store_b32 v[0:1], v2, off
.LBB73_9:
	s_nop 0
	s_sendmsg sendmsg(MSG_DEALLOC_VGPRS)
	s_endpgm
	.section	.rodata,"a",@progbits
	.p2align	6, 0x0
	.amdhsa_kernel _ZL13mul_mat_vec_qIfLi256ELi8E11block_iq3_sLi1EXadL_ZL18vec_dot_iq3_s_q8_1PKvPK10block_q8_1RKiEEEvS2_S2_PT_iii
		.amdhsa_group_segment_fixed_size 0
		.amdhsa_private_segment_fixed_size 0
		.amdhsa_kernarg_size 296
		.amdhsa_user_sgpr_count 14
		.amdhsa_user_sgpr_dispatch_ptr 0
		.amdhsa_user_sgpr_queue_ptr 0
		.amdhsa_user_sgpr_kernarg_segment_ptr 1
		.amdhsa_user_sgpr_dispatch_id 0
		.amdhsa_user_sgpr_private_segment_size 0
		.amdhsa_wavefront_size32 1
		.amdhsa_uses_dynamic_stack 0
		.amdhsa_enable_private_segment 0
		.amdhsa_system_sgpr_workgroup_id_x 1
		.amdhsa_system_sgpr_workgroup_id_y 1
		.amdhsa_system_sgpr_workgroup_id_z 0
		.amdhsa_system_sgpr_workgroup_info 0
		.amdhsa_system_vgpr_workitem_id 1
		.amdhsa_next_free_vgpr 42
		.amdhsa_next_free_sgpr 16
		.amdhsa_reserve_vcc 1
		.amdhsa_float_round_mode_32 0
		.amdhsa_float_round_mode_16_64 0
		.amdhsa_float_denorm_mode_32 3
		.amdhsa_float_denorm_mode_16_64 3
		.amdhsa_dx10_clamp 1
		.amdhsa_ieee_mode 1
		.amdhsa_fp16_overflow 0
		.amdhsa_workgroup_processor_mode 1
		.amdhsa_memory_ordered 1
		.amdhsa_forward_progress 0
		.amdhsa_shared_vgpr_count 0
		.amdhsa_exception_fp_ieee_invalid_op 0
		.amdhsa_exception_fp_denorm_src 0
		.amdhsa_exception_fp_ieee_div_zero 0
		.amdhsa_exception_fp_ieee_overflow 0
		.amdhsa_exception_fp_ieee_underflow 0
		.amdhsa_exception_fp_ieee_inexact 0
		.amdhsa_exception_int_div_zero 0
	.end_amdhsa_kernel
	.section	.text._ZL13mul_mat_vec_qIfLi256ELi8E11block_iq3_sLi1EXadL_ZL18vec_dot_iq3_s_q8_1PKvPK10block_q8_1RKiEEEvS2_S2_PT_iii,"axG",@progbits,_ZL13mul_mat_vec_qIfLi256ELi8E11block_iq3_sLi1EXadL_ZL18vec_dot_iq3_s_q8_1PKvPK10block_q8_1RKiEEEvS2_S2_PT_iii,comdat
.Lfunc_end73:
	.size	_ZL13mul_mat_vec_qIfLi256ELi8E11block_iq3_sLi1EXadL_ZL18vec_dot_iq3_s_q8_1PKvPK10block_q8_1RKiEEEvS2_S2_PT_iii, .Lfunc_end73-_ZL13mul_mat_vec_qIfLi256ELi8E11block_iq3_sLi1EXadL_ZL18vec_dot_iq3_s_q8_1PKvPK10block_q8_1RKiEEEvS2_S2_PT_iii
                                        ; -- End function
	.section	.AMDGPU.csdata,"",@progbits
; Kernel info:
; codeLenInByte = 1548
; NumSgprs: 18
; NumVgprs: 42
; ScratchSize: 0
; MemoryBound: 0
; FloatMode: 240
; IeeeMode: 1
; LDSByteSize: 0 bytes/workgroup (compile time only)
; SGPRBlocks: 2
; VGPRBlocks: 5
; NumSGPRsForWavesPerEU: 18
; NumVGPRsForWavesPerEU: 42
; Occupancy: 16
; WaveLimiterHint : 0
; COMPUTE_PGM_RSRC2:SCRATCH_EN: 0
; COMPUTE_PGM_RSRC2:USER_SGPR: 14
; COMPUTE_PGM_RSRC2:TRAP_HANDLER: 0
; COMPUTE_PGM_RSRC2:TGID_X_EN: 1
; COMPUTE_PGM_RSRC2:TGID_Y_EN: 1
; COMPUTE_PGM_RSRC2:TGID_Z_EN: 0
; COMPUTE_PGM_RSRC2:TIDIG_COMP_CNT: 1
	.section	.text._ZL13mul_mat_vec_qIfLi256ELi8E11block_iq2_sLi1EXadL_ZL18vec_dot_iq2_s_q8_1PKvPK10block_q8_1RKiEEEvS2_S2_PT_iii,"axG",@progbits,_ZL13mul_mat_vec_qIfLi256ELi8E11block_iq2_sLi1EXadL_ZL18vec_dot_iq2_s_q8_1PKvPK10block_q8_1RKiEEEvS2_S2_PT_iii,comdat
	.globl	_ZL13mul_mat_vec_qIfLi256ELi8E11block_iq2_sLi1EXadL_ZL18vec_dot_iq2_s_q8_1PKvPK10block_q8_1RKiEEEvS2_S2_PT_iii ; -- Begin function _ZL13mul_mat_vec_qIfLi256ELi8E11block_iq2_sLi1EXadL_ZL18vec_dot_iq2_s_q8_1PKvPK10block_q8_1RKiEEEvS2_S2_PT_iii
	.p2align	8
	.type	_ZL13mul_mat_vec_qIfLi256ELi8E11block_iq2_sLi1EXadL_ZL18vec_dot_iq2_s_q8_1PKvPK10block_q8_1RKiEEEvS2_S2_PT_iii,@function
_ZL13mul_mat_vec_qIfLi256ELi8E11block_iq2_sLi1EXadL_ZL18vec_dot_iq2_s_q8_1PKvPK10block_q8_1RKiEEEvS2_S2_PT_iii: ; @_ZL13mul_mat_vec_qIfLi256ELi8E11block_iq2_sLi1EXadL_ZL18vec_dot_iq2_s_q8_1PKvPK10block_q8_1RKiEEEvS2_S2_PT_iii
; %bb.0:
	s_clause 0x1
	s_load_b32 s2, s[0:1], 0x34
	s_load_b128 s[4:7], s[0:1], 0x18
	v_bfe_u32 v3, v0, 10, 10
	s_waitcnt lgkmcnt(0)
	s_lshr_b32 s2, s2, 16
	s_cmp_lt_u32 s15, s6
	s_delay_alu instid0(VALU_DEP_1) | instskip(SKIP_1) | instid1(VALU_DEP_1)
	v_mad_u64_u32 v[1:2], null, s14, s2, v[3:4]
	s_cselect_b32 s2, -1, 0
	v_cmp_gt_u32_e32 vcc_lo, s5, v1
	s_and_b32 s2, s2, vcc_lo
	s_delay_alu instid0(SALU_CYCLE_1)
	s_and_saveexec_b32 s3, s2
	s_cbranch_execz .LBB74_11
; %bb.1:
	s_load_b64 s[2:3], s[0:1], 0x10
	v_dual_mov_b32 v15, 0 :: v_dual_and_b32 v0, 0x3ff, v0
	s_ashr_i32 s6, s4, 31
	s_delay_alu instid0(SALU_CYCLE_1) | instskip(NEXT) | instid1(VALU_DEP_1)
	s_lshr_b32 s6, s6, 24
	v_lshrrev_b32_e32 v14, 3, v0
	s_add_i32 s6, s4, s6
	s_delay_alu instid0(SALU_CYCLE_1) | instskip(SKIP_1) | instid1(VALU_DEP_1)
	s_ashr_i32 s7, s6, 8
	s_mov_b32 s6, exec_lo
	v_cmpx_gt_u32_e64 s7, v14
	s_cbranch_execz .LBB74_9
; %bb.2:
	s_load_b128 s[8:11], s[0:1], 0x0
	v_dual_mov_b32 v15, 0 :: v_dual_and_b32 v16, 7, v0
	s_add_i32 s0, s4, 0x1ff
	v_mul_lo_u32 v17, v1, s7
	s_ashr_i32 s1, s0, 31
	s_delay_alu instid0(VALU_DEP_2) | instskip(SKIP_1) | instid1(SALU_CYCLE_1)
	v_lshlrev_b32_e32 v18, 2, v16
	s_lshr_b32 s1, s1, 23
	s_add_i32 s0, s0, s1
	s_delay_alu instid0(SALU_CYCLE_1) | instskip(NEXT) | instid1(VALU_DEP_2)
	s_ashr_i32 s0, s0, 9
	v_add_nc_u32_e32 v19, v14, v17
	s_mul_i32 s0, s15, s0
	s_delay_alu instid0(SALU_CYCLE_1) | instskip(SKIP_2) | instid1(VALU_DEP_1)
	s_lshl_b32 s4, s0, 4
	s_waitcnt lgkmcnt(0)
	v_add_co_u32 v4, s1, v18, s8
	v_add_co_ci_u32_e64 v5, null, 0, s9, s1
	v_mad_u64_u32 v[2:3], null, v16, 36, s[10:11]
	s_delay_alu instid0(VALU_DEP_3) | instskip(NEXT) | instid1(VALU_DEP_3)
	v_add_co_u32 v4, vcc_lo, v4, 36
	v_add_co_ci_u32_e32 v5, vcc_lo, 0, v5, vcc_lo
	s_mov_b32 s1, 0
.LBB74_3:                               ; =>This Loop Header: Depth=1
                                        ;     Child Loop BB74_4 Depth 2
                                        ;     Child Loop BB74_6 Depth 2
	v_add_nc_u32_e32 v8, v14, v17
	v_lshl_add_u32 v10, v14, 3, s4
	s_mov_b32 s0, -1
	s_mov_b32 s10, 0
	s_delay_alu instid0(VALU_DEP_2) | instskip(NEXT) | instid1(VALU_DEP_1)
	v_mad_i64_i32 v[6:7], null, 0x52, v8, s[8:9]
	v_add_co_u32 v8, vcc_lo, v6, v16
	s_delay_alu instid0(VALU_DEP_2) | instskip(SKIP_4) | instid1(VALU_DEP_1)
	v_add_co_ci_u32_e32 v9, vcc_lo, 0, v7, vcc_lo
	s_clause 0x1
	global_load_u8 v20, v[8:9], off offset:74
	global_load_u8 v21, v[8:9], off offset:66
	v_mad_i64_i32 v[8:9], null, v10, 36, v[2:3]
	v_add_co_u32 v10, vcc_lo, v8, 4
	s_delay_alu instid0(VALU_DEP_2) | instskip(SKIP_4) | instid1(VALU_DEP_4)
	v_add_co_ci_u32_e32 v11, vcc_lo, 0, v9, vcc_lo
	v_add_co_u32 v22, vcc_lo, v6, v18
	v_add_co_ci_u32_e32 v24, vcc_lo, 0, v7, vcc_lo
	v_add_co_u32 v12, vcc_lo, v6, 2
	;; [unrolled: 2-line block ×3, first 2 shown]
	s_delay_alu instid0(VALU_DEP_4)
	v_add_co_ci_u32_e32 v24, vcc_lo, 0, v24, vcc_lo
	v_mov_b32_e32 v22, 0
.LBB74_4:                               ;   Parent Loop BB74_3 Depth=1
                                        ; =>  This Inner Loop Header: Depth=2
	v_or_b32_e32 v25, s10, v18
	s_lshl_b32 s12, s10, 1
	s_delay_alu instid0(VALU_DEP_1)
	v_add_co_u32 v25, vcc_lo, v12, v25
	v_add_co_ci_u32_e32 v26, vcc_lo, 0, v13, vcc_lo
	global_load_u8 v27, v[25:26], off
	v_add_co_u32 v25, vcc_lo, v23, s10
	v_add_co_ci_u32_e32 v26, vcc_lo, 0, v24, vcc_lo
	s_getpc_b64 s[10:11]
	s_add_u32 s10, s10, _ZL9iq2s_grid@rel32@lo+4
	s_addc_u32 s11, s11, _ZL9iq2s_grid@rel32@hi+12
	s_sub_i32 s12, 8, s12
	global_load_u8 v29, v[25:26], off
	s_waitcnt vmcnt(2)
	v_lshlrev_b32_e32 v25, s12, v21
	s_waitcnt vmcnt(1)
	s_delay_alu instid0(VALU_DEP_1) | instskip(NEXT) | instid1(VALU_DEP_1)
	v_and_or_b32 v25, 0x300, v25, v27
	v_lshlrev_b32_e32 v25, 3, v25
	global_load_b64 v[25:26], v25, s[10:11]
	global_load_b64 v[27:28], v[10:11], off
	s_waitcnt vmcnt(2)
	v_and_b32_e32 v30, 15, v29
	v_lshrrev_b16 v29, 4, v29
	s_mov_b32 s10, 1
	s_delay_alu instid0(VALU_DEP_2) | instskip(NEXT) | instid1(VALU_DEP_2)
	v_and_b32_e32 v30, 0xffff, v30
	v_and_b32_e32 v29, 0xffff, v29
	s_delay_alu instid0(VALU_DEP_2) | instskip(NEXT) | instid1(VALU_DEP_2)
	v_mul_lo_u32 v30, 0x1010101, v30
	v_mul_lo_u32 v29, 0x1010101, v29
	s_delay_alu instid0(VALU_DEP_2) | instskip(NEXT) | instid1(VALU_DEP_2)
	v_not_b32_e32 v30, v30
	v_not_b32_e32 v29, v29
	s_delay_alu instid0(VALU_DEP_2)
	v_and_b32_e32 v31, 0x8040201, v30
	v_and_b32_e32 v32, 0x40000, v30
	;; [unrolled: 1-line block ×5, first 2 shown]
	v_cmp_gt_u32_e32 vcc_lo, 0x1000000, v31
	v_and_b32_e32 v35, 0x40000, v29
	v_and_b32_e32 v36, 0x200, v29
	v_and_b32_e32 v29, 1, v29
	v_cndmask_b32_e64 v31, 0, -1, vcc_lo
	v_cmp_eq_u32_e32 vcc_lo, 0, v32
	s_delay_alu instid0(VALU_DEP_2)
	v_lshlrev_b32_e32 v31, 24, v31
	v_cndmask_b32_e64 v32, 0, 0xff0000, vcc_lo
	v_cmp_eq_u32_e32 vcc_lo, 0, v33
	v_cndmask_b32_e64 v33, 0, 0xff00, vcc_lo
	v_cmp_eq_u32_e32 vcc_lo, 0, v30
	v_cndmask_b32_e64 v30, 0, 0xff, vcc_lo
	v_cmp_gt_u32_e32 vcc_lo, 0x1000000, v34
	s_delay_alu instid0(VALU_DEP_2) | instskip(SKIP_2) | instid1(VALU_DEP_3)
	v_or_b32_e32 v37, v33, v30
	v_cndmask_b32_e64 v34, 0, -1, vcc_lo
	v_cmp_eq_u32_e32 vcc_lo, 0, v35
	v_or3_b32 v37, v37, v32, v31
	s_delay_alu instid0(VALU_DEP_3)
	v_lshlrev_b32_e32 v34, 24, v34
	v_cndmask_b32_e64 v35, 0, 0xff0000, vcc_lo
	v_cmp_eq_u32_e32 vcc_lo, 0, v36
	v_cndmask_b32_e64 v36, 0, 0xff00, vcc_lo
	v_cmp_eq_u32_e32 vcc_lo, 0, v29
	v_cndmask_b32_e64 v29, 0, 0xff, vcc_lo
	v_add_co_u32 v10, vcc_lo, v10, 8
	v_add_co_ci_u32_e32 v11, vcc_lo, 0, v11, vcc_lo
	s_delay_alu instid0(VALU_DEP_3) | instskip(SKIP_2) | instid1(VALU_DEP_1)
	v_or_b32_e32 v38, v36, v29
	s_and_b32 vcc_lo, exec_lo, s0
	s_mov_b32 s0, 0
	v_or3_b32 v38, v38, v35, v34
	s_waitcnt vmcnt(1)
	v_xor_b32_e32 v25, v37, v25
	s_delay_alu instid0(VALU_DEP_2)
	v_xor_b32_e32 v26, v38, v26
	s_waitcnt vmcnt(0)
	v_bfe_i32 v39, v27, 0, 8
	v_bfe_i32 v37, v28, 0, 8
	v_sub_nc_u32_e32 v30, v25, v30
	v_sub_nc_u32_e32 v29, v26, v29
	v_sub_nc_u32_e32 v31, v25, v31
	v_sub_nc_u32_e32 v32, v25, v32
	v_sub_nc_u32_e32 v25, v25, v33
	v_sub_nc_u32_e32 v33, v26, v35
	v_sub_nc_u32_e32 v35, v26, v36
	v_bfe_i32 v30, v30, 0, 8
	v_bfe_i32 v29, v29, 0, 8
	v_sub_nc_u32_e32 v26, v26, v34
	v_perm_b32 v32, v32, v25, 0xc06010c
	v_perm_b32 v33, v33, v35, 0xc06010c
	v_mul_i32_i24_e32 v30, v30, v39
	v_mul_i32_i24_e32 v29, v29, v37
	v_perm_b32 v34, v27, v27, 0xc0c0201
	v_perm_b32 v31, v35, v31, 0xc0c0503
	;; [unrolled: 1-line block ×4, first 2 shown]
	v_add3_u32 v22, v30, v22, v29
	v_perm_b32 v27, v28, v27, 0x7060503
	s_delay_alu instid0(VALU_DEP_3) | instskip(NEXT) | instid1(VALU_DEP_3)
	v_or_b32_e32 v26, v26, v31
	v_dot4_i32_iu8 v22, v25, v34, v22 neg_lo:[1,1,0]
	s_delay_alu instid0(VALU_DEP_1)
	v_dot4_i32_iu8 v22, v26, v27, v22 neg_lo:[1,1,0]
	s_cbranch_vccnz .LBB74_4
; %bb.5:                                ;   in Loop: Header=BB74_3 Depth=1
	v_mad_i64_i32 v[12:13], null, 0x52, v19, v[4:5]
	v_mov_b32_e32 v23, 0
	s_mov_b32 s10, 4
.LBB74_6:                               ;   Parent Loop BB74_3 Depth=1
                                        ; =>  This Inner Loop Header: Depth=2
	s_clause 0x1
	global_load_u8 v24, v[12:13], off offset:-32
	global_load_u8 v28, v[12:13], off
	v_lshlrev_b32_e32 v25, s10, v21
	s_getpc_b64 s[12:13]
	s_add_u32 s12, s12, _ZL9iq2s_grid@rel32@lo+4
	s_addc_u32 s13, s13, _ZL9iq2s_grid@rel32@hi+12
	s_add_i32 s10, s10, -2
	s_delay_alu instid0(SALU_CYCLE_1)
	s_cmp_lg_u32 s10, 0
	s_waitcnt vmcnt(1)
	v_and_or_b32 v24, 0x300, v25, v24
	s_waitcnt vmcnt(0)
	v_and_b32_e32 v29, 15, v28
	v_lshrrev_b16 v28, 4, v28
	s_delay_alu instid0(VALU_DEP_3) | instskip(NEXT) | instid1(VALU_DEP_3)
	v_lshlrev_b32_e32 v24, 3, v24
	v_and_b32_e32 v29, 0xffff, v29
	s_delay_alu instid0(VALU_DEP_3)
	v_and_b32_e32 v28, 0xffff, v28
	global_load_b64 v[24:25], v24, s[12:13]
	global_load_b64 v[26:27], v[10:11], off
	v_mul_lo_u32 v29, 0x1010101, v29
	v_mul_lo_u32 v28, 0x1010101, v28
	v_add_co_u32 v10, vcc_lo, v10, 8
	v_add_co_ci_u32_e32 v11, vcc_lo, 0, v11, vcc_lo
	v_add_co_u32 v12, vcc_lo, v12, 1
	v_not_b32_e32 v29, v29
	v_not_b32_e32 v28, v28
	v_add_co_ci_u32_e32 v13, vcc_lo, 0, v13, vcc_lo
	s_delay_alu instid0(VALU_DEP_3)
	v_and_b32_e32 v33, 0x8040201, v29
	v_and_b32_e32 v34, 0x40000, v29
	v_and_b32_e32 v35, 0x200, v29
	v_and_b32_e32 v29, 1, v29
	v_and_b32_e32 v36, 0x8040201, v28
	v_cmp_gt_u32_e64 s0, 0x1000000, v33
	v_and_b32_e32 v37, 0x40000, v28
	v_and_b32_e32 v38, 0x200, v28
	v_and_b32_e32 v28, 1, v28
	s_delay_alu instid0(VALU_DEP_4) | instskip(SKIP_1) | instid1(VALU_DEP_2)
	v_cndmask_b32_e64 v33, 0, -1, s0
	v_cmp_eq_u32_e64 s0, 0, v34
	v_lshlrev_b32_e32 v33, 24, v33
	s_delay_alu instid0(VALU_DEP_2) | instskip(SKIP_1) | instid1(VALU_DEP_1)
	v_cndmask_b32_e64 v34, 0, 0xff0000, s0
	v_cmp_eq_u32_e64 s0, 0, v35
	v_cndmask_b32_e64 v35, 0, 0xff00, s0
	v_cmp_eq_u32_e64 s0, 0, v29
	s_delay_alu instid0(VALU_DEP_1) | instskip(SKIP_1) | instid1(VALU_DEP_2)
	v_cndmask_b32_e64 v29, 0, 0xff, s0
	v_cmp_gt_u32_e64 s0, 0x1000000, v36
	v_or_b32_e32 v39, v35, v29
	s_delay_alu instid0(VALU_DEP_2) | instskip(SKIP_1) | instid1(VALU_DEP_3)
	v_cndmask_b32_e64 v36, 0, -1, s0
	v_cmp_eq_u32_e64 s0, 0, v37
	v_or3_b32 v39, v39, v34, v33
	s_delay_alu instid0(VALU_DEP_3) | instskip(NEXT) | instid1(VALU_DEP_3)
	v_lshlrev_b32_e32 v36, 24, v36
	v_cndmask_b32_e64 v37, 0, 0xff0000, s0
	v_cmp_eq_u32_e64 s0, 0, v38
	s_delay_alu instid0(VALU_DEP_1) | instskip(SKIP_1) | instid1(VALU_DEP_1)
	v_cndmask_b32_e64 v38, 0, 0xff00, s0
	v_cmp_eq_u32_e64 s0, 0, v28
	v_cndmask_b32_e64 v28, 0, 0xff, s0
	s_delay_alu instid0(VALU_DEP_1) | instskip(NEXT) | instid1(VALU_DEP_1)
	v_or_b32_e32 v40, v38, v28
	v_or3_b32 v40, v40, v37, v36
	s_waitcnt vmcnt(1)
	v_xor_b32_e32 v24, v39, v24
	s_delay_alu instid0(VALU_DEP_2)
	v_xor_b32_e32 v25, v40, v25
	s_waitcnt vmcnt(0)
	v_bfe_i32 v30, v26, 0, 8
	v_bfe_i32 v31, v27, 0, 8
	v_perm_b32 v32, v26, v26, 0xc0c0201
	v_sub_nc_u32_e32 v33, v24, v33
	v_sub_nc_u32_e32 v34, v24, v34
	;; [unrolled: 1-line block ×8, first 2 shown]
	v_bfe_i32 v24, v24, 0, 8
	v_bfe_i32 v28, v28, 0, 8
	v_perm_b32 v34, v34, v35, 0xc06010c
	s_delay_alu instid0(VALU_DEP_4) | instskip(NEXT) | instid1(VALU_DEP_4)
	v_perm_b32 v36, v36, v25, 0xc06010c
	v_mul_i32_i24_e32 v24, v24, v30
	s_delay_alu instid0(VALU_DEP_4) | instskip(SKIP_3) | instid1(VALU_DEP_4)
	v_mul_i32_i24_e32 v28, v28, v31
	v_perm_b32 v25, v25, v33, 0xc0c0503
	v_perm_b32 v30, v34, v35, 0xc0c0601
	;; [unrolled: 1-line block ×3, first 2 shown]
	v_add3_u32 v23, v24, v23, v28
	v_perm_b32 v24, v27, v26, 0x7060503
	s_delay_alu instid0(VALU_DEP_3) | instskip(NEXT) | instid1(VALU_DEP_3)
	v_or_b32_e32 v25, v29, v25
	v_dot4_i32_iu8 v23, v30, v32, v23 neg_lo:[1,1,0]
	s_delay_alu instid0(VALU_DEP_1)
	v_dot4_i32_iu8 v23, v25, v24, v23 neg_lo:[1,1,0]
	s_cbranch_scc1 .LBB74_6
; %bb.7:                                ;   in Loop: Header=BB74_3 Depth=1
	global_load_u16 v6, v[6:7], off
	global_load_b32 v7, v[8:9], off
	v_lshrrev_b16 v8, 4, v20
	v_cvt_f32_i32_e32 v10, v23
	v_and_b32_e32 v9, 15, v20
	v_cvt_f32_i32_e32 v11, v22
	v_add_nc_u32_e32 v14, 4, v14
	v_add_nc_u32_e32 v19, 4, v19
	s_delay_alu instid0(VALU_DEP_4) | instskip(SKIP_1) | instid1(VALU_DEP_4)
	v_cvt_f32_ubyte0_e32 v9, v9
	v_and_b32_e32 v8, 15, v8
	v_cmp_le_u32_e32 vcc_lo, s7, v14
	s_delay_alu instid0(VALU_DEP_3) | instskip(NEXT) | instid1(VALU_DEP_3)
	v_add_f32_e32 v9, 0.5, v9
	v_cvt_f32_ubyte0_e32 v8, v8
	s_or_b32 s1, vcc_lo, s1
	s_delay_alu instid0(VALU_DEP_1) | instskip(NEXT) | instid1(VALU_DEP_1)
	v_add_f32_e32 v8, 0.5, v8
	v_mul_f32_e32 v8, v8, v10
	s_delay_alu instid0(VALU_DEP_1) | instskip(SKIP_4) | instid1(VALU_DEP_1)
	v_fmac_f32_e32 v8, v9, v11
	s_waitcnt vmcnt(1)
	v_cvt_f32_f16_e32 v6, v6
	s_waitcnt vmcnt(0)
	v_cvt_f32_f16_e32 v7, v7
	v_mul_f32_e32 v6, v6, v7
	s_delay_alu instid0(VALU_DEP_1) | instskip(NEXT) | instid1(VALU_DEP_1)
	v_mul_f32_e32 v6, 0x3e800000, v6
	v_fmac_f32_e32 v15, v8, v6
	s_and_not1_b32 exec_lo, exec_lo, s1
	s_cbranch_execnz .LBB74_3
; %bb.8:
	s_or_b32 exec_lo, exec_lo, s1
.LBB74_9:
	s_delay_alu instid0(SALU_CYCLE_1) | instskip(SKIP_1) | instid1(VALU_DEP_1)
	s_or_b32 exec_lo, exec_lo, s6
	v_mbcnt_lo_u32_b32 v2, -1, 0
	v_xor_b32_e32 v3, 16, v2
	v_xor_b32_e32 v4, 8, v2
	;; [unrolled: 1-line block ×3, first 2 shown]
	s_delay_alu instid0(VALU_DEP_3) | instskip(SKIP_1) | instid1(VALU_DEP_4)
	v_cmp_gt_i32_e32 vcc_lo, 32, v3
	v_cndmask_b32_e32 v3, v2, v3, vcc_lo
	v_cmp_gt_i32_e32 vcc_lo, 32, v4
	v_cndmask_b32_e32 v4, v2, v4, vcc_lo
	v_cmp_gt_i32_e32 vcc_lo, 32, v5
	s_delay_alu instid0(VALU_DEP_2)
	v_lshlrev_b32_e32 v4, 2, v4
	v_lshlrev_b32_e32 v3, 2, v3
	v_cndmask_b32_e32 v5, v2, v5, vcc_lo
	ds_bpermute_b32 v3, v3, v15
	v_lshlrev_b32_e32 v5, 2, v5
	s_waitcnt lgkmcnt(0)
	v_add_f32_e32 v3, v15, v3
	ds_bpermute_b32 v4, v4, v3
	s_waitcnt lgkmcnt(0)
	v_add_f32_e32 v3, v3, v4
	ds_bpermute_b32 v4, v5, v3
	v_xor_b32_e32 v5, 2, v2
	s_delay_alu instid0(VALU_DEP_1) | instskip(SKIP_1) | instid1(VALU_DEP_1)
	v_cmp_gt_i32_e32 vcc_lo, 32, v5
	v_cndmask_b32_e32 v5, v2, v5, vcc_lo
	v_lshlrev_b32_e32 v5, 2, v5
	s_waitcnt lgkmcnt(0)
	v_add_f32_e32 v3, v3, v4
	ds_bpermute_b32 v4, v5, v3
	v_xor_b32_e32 v5, 1, v2
	s_delay_alu instid0(VALU_DEP_1) | instskip(SKIP_3) | instid1(VALU_DEP_2)
	v_cmp_gt_i32_e32 vcc_lo, 32, v5
	v_cndmask_b32_e32 v5, v2, v5, vcc_lo
	v_cmp_eq_u32_e32 vcc_lo, 0, v0
	s_waitcnt lgkmcnt(0)
	v_dual_add_f32 v2, v3, v4 :: v_dual_lshlrev_b32 v3, 2, v5
	ds_bpermute_b32 v3, v3, v2
	s_and_b32 exec_lo, exec_lo, vcc_lo
	s_cbranch_execz .LBB74_11
; %bb.10:
	v_mad_u64_u32 v[4:5], null, s15, s5, v[1:2]
	s_waitcnt lgkmcnt(0)
	v_dual_mov_b32 v5, 0 :: v_dual_add_f32 v2, v2, v3
	s_delay_alu instid0(VALU_DEP_1) | instskip(NEXT) | instid1(VALU_DEP_1)
	v_lshlrev_b64 v[0:1], 2, v[4:5]
	v_add_co_u32 v0, vcc_lo, s2, v0
	s_delay_alu instid0(VALU_DEP_2)
	v_add_co_ci_u32_e32 v1, vcc_lo, s3, v1, vcc_lo
	global_store_b32 v[0:1], v2, off
.LBB74_11:
	s_nop 0
	s_sendmsg sendmsg(MSG_DEALLOC_VGPRS)
	s_endpgm
	.section	.rodata,"a",@progbits
	.p2align	6, 0x0
	.amdhsa_kernel _ZL13mul_mat_vec_qIfLi256ELi8E11block_iq2_sLi1EXadL_ZL18vec_dot_iq2_s_q8_1PKvPK10block_q8_1RKiEEEvS2_S2_PT_iii
		.amdhsa_group_segment_fixed_size 0
		.amdhsa_private_segment_fixed_size 0
		.amdhsa_kernarg_size 296
		.amdhsa_user_sgpr_count 14
		.amdhsa_user_sgpr_dispatch_ptr 0
		.amdhsa_user_sgpr_queue_ptr 0
		.amdhsa_user_sgpr_kernarg_segment_ptr 1
		.amdhsa_user_sgpr_dispatch_id 0
		.amdhsa_user_sgpr_private_segment_size 0
		.amdhsa_wavefront_size32 1
		.amdhsa_uses_dynamic_stack 0
		.amdhsa_enable_private_segment 0
		.amdhsa_system_sgpr_workgroup_id_x 1
		.amdhsa_system_sgpr_workgroup_id_y 1
		.amdhsa_system_sgpr_workgroup_id_z 0
		.amdhsa_system_sgpr_workgroup_info 0
		.amdhsa_system_vgpr_workitem_id 1
		.amdhsa_next_free_vgpr 41
		.amdhsa_next_free_sgpr 16
		.amdhsa_reserve_vcc 1
		.amdhsa_float_round_mode_32 0
		.amdhsa_float_round_mode_16_64 0
		.amdhsa_float_denorm_mode_32 3
		.amdhsa_float_denorm_mode_16_64 3
		.amdhsa_dx10_clamp 1
		.amdhsa_ieee_mode 1
		.amdhsa_fp16_overflow 0
		.amdhsa_workgroup_processor_mode 1
		.amdhsa_memory_ordered 1
		.amdhsa_forward_progress 0
		.amdhsa_shared_vgpr_count 0
		.amdhsa_exception_fp_ieee_invalid_op 0
		.amdhsa_exception_fp_denorm_src 0
		.amdhsa_exception_fp_ieee_div_zero 0
		.amdhsa_exception_fp_ieee_overflow 0
		.amdhsa_exception_fp_ieee_underflow 0
		.amdhsa_exception_fp_ieee_inexact 0
		.amdhsa_exception_int_div_zero 0
	.end_amdhsa_kernel
	.section	.text._ZL13mul_mat_vec_qIfLi256ELi8E11block_iq2_sLi1EXadL_ZL18vec_dot_iq2_s_q8_1PKvPK10block_q8_1RKiEEEvS2_S2_PT_iii,"axG",@progbits,_ZL13mul_mat_vec_qIfLi256ELi8E11block_iq2_sLi1EXadL_ZL18vec_dot_iq2_s_q8_1PKvPK10block_q8_1RKiEEEvS2_S2_PT_iii,comdat
.Lfunc_end74:
	.size	_ZL13mul_mat_vec_qIfLi256ELi8E11block_iq2_sLi1EXadL_ZL18vec_dot_iq2_s_q8_1PKvPK10block_q8_1RKiEEEvS2_S2_PT_iii, .Lfunc_end74-_ZL13mul_mat_vec_qIfLi256ELi8E11block_iq2_sLi1EXadL_ZL18vec_dot_iq2_s_q8_1PKvPK10block_q8_1RKiEEEvS2_S2_PT_iii
                                        ; -- End function
	.section	.AMDGPU.csdata,"",@progbits
; Kernel info:
; codeLenInByte = 2200
; NumSgprs: 18
; NumVgprs: 41
; ScratchSize: 0
; MemoryBound: 0
; FloatMode: 240
; IeeeMode: 1
; LDSByteSize: 0 bytes/workgroup (compile time only)
; SGPRBlocks: 2
; VGPRBlocks: 5
; NumSGPRsForWavesPerEU: 18
; NumVGPRsForWavesPerEU: 41
; Occupancy: 16
; WaveLimiterHint : 0
; COMPUTE_PGM_RSRC2:SCRATCH_EN: 0
; COMPUTE_PGM_RSRC2:USER_SGPR: 14
; COMPUTE_PGM_RSRC2:TRAP_HANDLER: 0
; COMPUTE_PGM_RSRC2:TGID_X_EN: 1
; COMPUTE_PGM_RSRC2:TGID_Y_EN: 1
; COMPUTE_PGM_RSRC2:TGID_Z_EN: 0
; COMPUTE_PGM_RSRC2:TIDIG_COMP_CNT: 1
	.section	.text._ZL13mul_mat_vec_qIfLi256ELi8E12block_iq4_xsLi1EXadL_ZL19vec_dot_iq4_xs_q8_1PKvPK10block_q8_1RKiEEEvS2_S2_PT_iii,"axG",@progbits,_ZL13mul_mat_vec_qIfLi256ELi8E12block_iq4_xsLi1EXadL_ZL19vec_dot_iq4_xs_q8_1PKvPK10block_q8_1RKiEEEvS2_S2_PT_iii,comdat
	.globl	_ZL13mul_mat_vec_qIfLi256ELi8E12block_iq4_xsLi1EXadL_ZL19vec_dot_iq4_xs_q8_1PKvPK10block_q8_1RKiEEEvS2_S2_PT_iii ; -- Begin function _ZL13mul_mat_vec_qIfLi256ELi8E12block_iq4_xsLi1EXadL_ZL19vec_dot_iq4_xs_q8_1PKvPK10block_q8_1RKiEEEvS2_S2_PT_iii
	.p2align	8
	.type	_ZL13mul_mat_vec_qIfLi256ELi8E12block_iq4_xsLi1EXadL_ZL19vec_dot_iq4_xs_q8_1PKvPK10block_q8_1RKiEEEvS2_S2_PT_iii,@function
_ZL13mul_mat_vec_qIfLi256ELi8E12block_iq4_xsLi1EXadL_ZL19vec_dot_iq4_xs_q8_1PKvPK10block_q8_1RKiEEEvS2_S2_PT_iii: ; @_ZL13mul_mat_vec_qIfLi256ELi8E12block_iq4_xsLi1EXadL_ZL19vec_dot_iq4_xs_q8_1PKvPK10block_q8_1RKiEEEvS2_S2_PT_iii
; %bb.0:
	s_clause 0x1
	s_load_b32 s2, s[0:1], 0x34
	s_load_b128 s[4:7], s[0:1], 0x18
	v_bfe_u32 v3, v0, 10, 10
	s_waitcnt lgkmcnt(0)
	s_lshr_b32 s2, s2, 16
	s_cmp_lt_u32 s15, s6
	s_delay_alu instid0(VALU_DEP_1) | instskip(SKIP_1) | instid1(VALU_DEP_1)
	v_mad_u64_u32 v[1:2], null, s14, s2, v[3:4]
	s_cselect_b32 s2, -1, 0
	v_cmp_gt_u32_e32 vcc_lo, s5, v1
	s_and_b32 s2, s2, vcc_lo
	s_delay_alu instid0(SALU_CYCLE_1)
	s_and_saveexec_b32 s3, s2
	s_cbranch_execz .LBB75_9
; %bb.1:
	s_load_b64 s[6:7], s[0:1], 0x10
	v_dual_mov_b32 v11, 0 :: v_dual_and_b32 v0, 0x3ff, v0
	s_ashr_i32 s2, s4, 31
	s_mov_b32 s8, exec_lo
	s_lshr_b32 s2, s2, 24
	s_delay_alu instid0(VALU_DEP_1) | instskip(SKIP_1) | instid1(SALU_CYCLE_1)
	v_lshrrev_b32_e32 v10, 3, v0
	s_add_i32 s2, s4, s2
	s_ashr_i32 s9, s2, 8
	s_delay_alu instid0(VALU_DEP_1) | instid1(SALU_CYCLE_1)
	v_cmpx_gt_u32_e64 s9, v10
	s_cbranch_execz .LBB75_7
; %bb.2:
	s_load_b128 s[0:3], s[0:1], 0x0
	v_dual_mov_b32 v11, 0 :: v_dual_and_b32 v4, 7, v0
	v_lshlrev_b32_e32 v2, 2, v0
	s_addk_i32 s4, 0x1ff
	v_mul_lo_u32 v12, v1, s9
	s_ashr_i32 s10, s4, 31
	v_lshlrev_b32_e32 v15, 1, v4
	v_and_b32_e32 v14, 4, v2
	v_lshlrev_b32_e32 v2, 4, v4
	s_lshr_b32 s10, s10, 23
	v_bfe_u32 v13, v0, 1, 2
	s_add_i32 s4, s4, s10
	v_add_nc_u32_e32 v17, v10, v12
	s_ashr_i32 s4, s4, 9
	s_delay_alu instid0(SALU_CYCLE_1) | instskip(NEXT) | instid1(SALU_CYCLE_1)
	s_mul_i32 s4, s15, s4
	s_lshl_b32 s4, s4, 4
	s_getpc_b64 s[12:13]
	s_add_u32 s12, s12, _ZL13kvalues_iq4nl@rel32@lo+4
	s_addc_u32 s13, s13, _ZL13kvalues_iq4nl@rel32@hi+12
	s_waitcnt lgkmcnt(0)
	v_add_co_u32 v5, s10, v2, s0
	s_delay_alu instid0(VALU_DEP_1) | instskip(SKIP_1) | instid1(VALU_DEP_3)
	v_add_co_ci_u32_e64 v6, null, 0, s1, s10
	v_mad_u64_u32 v[2:3], null, v4, 36, s[2:3]
	v_add_co_u32 v4, vcc_lo, v5, 8
	v_lshl_add_u32 v16, v10, 3, s4
	s_delay_alu instid0(VALU_DEP_4)
	v_add_co_ci_u32_e32 v5, vcc_lo, 0, v6, vcc_lo
	s_mov_b32 s10, 0
.LBB75_3:                               ; =>This Loop Header: Depth=1
                                        ;     Child Loop BB75_4 Depth 2
	v_dual_mov_b32 v21, 0 :: v_dual_add_nc_u32 v8, v10, v12
	v_lshl_add_u32 v18, v10, 3, s4
	s_mov_b64 s[2:3], 0
	s_delay_alu instid0(VALU_DEP_2) | instskip(NEXT) | instid1(VALU_DEP_2)
	v_mad_i64_i32 v[6:7], null, 0x88, v8, s[0:1]
	v_mad_i64_i32 v[8:9], null, v18, 36, v[2:3]
	s_delay_alu instid0(VALU_DEP_2) | instskip(NEXT) | instid1(VALU_DEP_3)
	v_add_co_u32 v19, vcc_lo, v6, v13
	v_add_co_ci_u32_e32 v20, vcc_lo, 0, v7, vcc_lo
	s_clause 0x1
	global_load_b32 v18, v[6:7], off
	global_load_u8 v22, v[19:20], off offset:4
	global_load_b32 v19, v[8:9], off
	v_mad_i64_i32 v[6:7], null, v16, 36, v[2:3]
	v_mad_i64_i32 v[8:9], null, 0x88, v17, v[4:5]
	v_mov_b32_e32 v20, 0
.LBB75_4:                               ;   Parent Loop BB75_3 Depth=1
                                        ; =>  This Inner Loop Header: Depth=2
	s_delay_alu instid0(VALU_DEP_2) | instskip(NEXT) | instid1(VALU_DEP_3)
	v_add_co_u32 v23, vcc_lo, v8, s2
	v_add_co_ci_u32_e32 v24, vcc_lo, s3, v9, vcc_lo
	global_load_b32 v23, v[23:24], off
	s_waitcnt vmcnt(0)
	v_bfe_u32 v27, v23, 12, 4
	v_bfe_u32 v26, v23, 8, 4
	;; [unrolled: 1-line block ×4, first 2 shown]
	v_and_b32_e32 v25, 15, v23
	v_lshrrev_b32_e32 v30, 28, v23
	v_bfe_u32 v24, v23, 24, 4
	v_bfe_u32 v23, v23, 4, 4
	s_clause 0x7
	global_load_i8 v27, v27, s[12:13]
	global_load_i8 v26, v26, s[12:13]
	;; [unrolled: 1-line block ×8, first 2 shown]
	v_add_co_u32 v23, vcc_lo, v6, s2
	v_add_co_ci_u32_e32 v24, vcc_lo, s3, v7, vcc_lo
	s_clause 0x1
	global_load_b32 v33, v[23:24], off offset:4
	global_load_b32 v23, v[23:24], off offset:20
	s_add_u32 s2, s2, 4
	s_addc_u32 s3, s3, 0
	s_cmp_lg_u32 s2, 16
	s_waitcnt vmcnt(4)
	v_perm_b32 v24, v26, v25, 0xc0c0400
	s_waitcnt vmcnt(3)
	v_perm_b32 v25, v31, v28, 0x4000c0c
	;; [unrolled: 2-line block ×3, first 2 shown]
	v_perm_b32 v27, v30, v29, 0x4000c0c
	s_delay_alu instid0(VALU_DEP_3) | instskip(NEXT) | instid1(VALU_DEP_2)
	v_or_b32_e32 v24, v25, v24
	v_or_b32_e32 v25, v27, v26
	s_waitcnt vmcnt(1)
	s_delay_alu instid0(VALU_DEP_2) | instskip(SKIP_1) | instid1(VALU_DEP_2)
	v_dot4_i32_iu8 v21, v33, v24, v21 neg_lo:[1,1,0]
	s_waitcnt vmcnt(0)
	v_dot4_i32_iu8 v20, v23, v25, v20 neg_lo:[1,1,0]
	s_cbranch_scc1 .LBB75_4
; %bb.5:                                ;   in Loop: Header=BB75_3 Depth=1
	v_lshrrev_b32_e32 v6, 16, v18
	v_cvt_f32_f16_e32 v8, v19
	v_and_b32_e32 v7, 0xff, v22
	v_add_nc_u32_e32 v16, 32, v16
	v_add_nc_u32_e32 v17, 4, v17
	v_lshrrev_b32_e32 v6, v15, v6
	s_delay_alu instid0(VALU_DEP_4) | instskip(NEXT) | instid1(VALU_DEP_2)
	v_bfe_u32 v7, v7, v14, 4
	v_lshlrev_b32_e32 v6, 4, v6
	s_delay_alu instid0(VALU_DEP_1) | instskip(SKIP_1) | instid1(VALU_DEP_2)
	v_and_or_b32 v6, v6, 48, v7
	v_cvt_f32_f16_e32 v7, v18
	v_subrev_nc_u32_e32 v6, 32, v6
	s_delay_alu instid0(VALU_DEP_1) | instskip(NEXT) | instid1(VALU_DEP_1)
	v_cvt_f32_i32_e32 v6, v6
	v_dual_mul_f32 v6, v7, v6 :: v_dual_add_nc_u32 v9, v20, v21
	s_delay_alu instid0(VALU_DEP_1) | instskip(NEXT) | instid1(VALU_DEP_2)
	v_cvt_f32_i32_e32 v7, v9
	v_mul_f32_e32 v6, v6, v8
	s_delay_alu instid0(VALU_DEP_1) | instskip(NEXT) | instid1(VALU_DEP_1)
	v_dual_fmac_f32 v11, v6, v7 :: v_dual_add_nc_u32 v10, 4, v10
	v_cmp_le_u32_e32 vcc_lo, s9, v10
	s_or_b32 s10, vcc_lo, s10
	s_delay_alu instid0(SALU_CYCLE_1)
	s_and_not1_b32 exec_lo, exec_lo, s10
	s_cbranch_execnz .LBB75_3
; %bb.6:
	s_or_b32 exec_lo, exec_lo, s10
.LBB75_7:
	s_delay_alu instid0(SALU_CYCLE_1) | instskip(SKIP_1) | instid1(VALU_DEP_1)
	s_or_b32 exec_lo, exec_lo, s8
	v_mbcnt_lo_u32_b32 v2, -1, 0
	v_xor_b32_e32 v3, 16, v2
	v_xor_b32_e32 v4, 8, v2
	;; [unrolled: 1-line block ×3, first 2 shown]
	s_delay_alu instid0(VALU_DEP_3) | instskip(SKIP_1) | instid1(VALU_DEP_4)
	v_cmp_gt_i32_e32 vcc_lo, 32, v3
	v_cndmask_b32_e32 v3, v2, v3, vcc_lo
	v_cmp_gt_i32_e32 vcc_lo, 32, v4
	v_cndmask_b32_e32 v4, v2, v4, vcc_lo
	v_cmp_gt_i32_e32 vcc_lo, 32, v5
	s_delay_alu instid0(VALU_DEP_2)
	v_lshlrev_b32_e32 v4, 2, v4
	v_lshlrev_b32_e32 v3, 2, v3
	v_cndmask_b32_e32 v5, v2, v5, vcc_lo
	ds_bpermute_b32 v3, v3, v11
	v_lshlrev_b32_e32 v5, 2, v5
	s_waitcnt lgkmcnt(0)
	v_add_f32_e32 v3, v11, v3
	ds_bpermute_b32 v4, v4, v3
	s_waitcnt lgkmcnt(0)
	v_add_f32_e32 v3, v3, v4
	ds_bpermute_b32 v4, v5, v3
	v_xor_b32_e32 v5, 2, v2
	s_delay_alu instid0(VALU_DEP_1) | instskip(SKIP_1) | instid1(VALU_DEP_1)
	v_cmp_gt_i32_e32 vcc_lo, 32, v5
	v_cndmask_b32_e32 v5, v2, v5, vcc_lo
	v_lshlrev_b32_e32 v5, 2, v5
	s_waitcnt lgkmcnt(0)
	v_add_f32_e32 v3, v3, v4
	ds_bpermute_b32 v4, v5, v3
	v_xor_b32_e32 v5, 1, v2
	s_delay_alu instid0(VALU_DEP_1) | instskip(SKIP_3) | instid1(VALU_DEP_2)
	v_cmp_gt_i32_e32 vcc_lo, 32, v5
	v_cndmask_b32_e32 v5, v2, v5, vcc_lo
	v_cmp_eq_u32_e32 vcc_lo, 0, v0
	s_waitcnt lgkmcnt(0)
	v_dual_add_f32 v2, v3, v4 :: v_dual_lshlrev_b32 v3, 2, v5
	ds_bpermute_b32 v3, v3, v2
	s_and_b32 exec_lo, exec_lo, vcc_lo
	s_cbranch_execz .LBB75_9
; %bb.8:
	v_mad_u64_u32 v[4:5], null, s15, s5, v[1:2]
	s_waitcnt lgkmcnt(0)
	v_dual_mov_b32 v5, 0 :: v_dual_add_f32 v2, v2, v3
	s_delay_alu instid0(VALU_DEP_1) | instskip(NEXT) | instid1(VALU_DEP_1)
	v_lshlrev_b64 v[0:1], 2, v[4:5]
	v_add_co_u32 v0, vcc_lo, s6, v0
	s_delay_alu instid0(VALU_DEP_2)
	v_add_co_ci_u32_e32 v1, vcc_lo, s7, v1, vcc_lo
	global_store_b32 v[0:1], v2, off
.LBB75_9:
	s_nop 0
	s_sendmsg sendmsg(MSG_DEALLOC_VGPRS)
	s_endpgm
	.section	.rodata,"a",@progbits
	.p2align	6, 0x0
	.amdhsa_kernel _ZL13mul_mat_vec_qIfLi256ELi8E12block_iq4_xsLi1EXadL_ZL19vec_dot_iq4_xs_q8_1PKvPK10block_q8_1RKiEEEvS2_S2_PT_iii
		.amdhsa_group_segment_fixed_size 0
		.amdhsa_private_segment_fixed_size 0
		.amdhsa_kernarg_size 296
		.amdhsa_user_sgpr_count 14
		.amdhsa_user_sgpr_dispatch_ptr 0
		.amdhsa_user_sgpr_queue_ptr 0
		.amdhsa_user_sgpr_kernarg_segment_ptr 1
		.amdhsa_user_sgpr_dispatch_id 0
		.amdhsa_user_sgpr_private_segment_size 0
		.amdhsa_wavefront_size32 1
		.amdhsa_uses_dynamic_stack 0
		.amdhsa_enable_private_segment 0
		.amdhsa_system_sgpr_workgroup_id_x 1
		.amdhsa_system_sgpr_workgroup_id_y 1
		.amdhsa_system_sgpr_workgroup_id_z 0
		.amdhsa_system_sgpr_workgroup_info 0
		.amdhsa_system_vgpr_workitem_id 1
		.amdhsa_next_free_vgpr 34
		.amdhsa_next_free_sgpr 16
		.amdhsa_reserve_vcc 1
		.amdhsa_float_round_mode_32 0
		.amdhsa_float_round_mode_16_64 0
		.amdhsa_float_denorm_mode_32 3
		.amdhsa_float_denorm_mode_16_64 3
		.amdhsa_dx10_clamp 1
		.amdhsa_ieee_mode 1
		.amdhsa_fp16_overflow 0
		.amdhsa_workgroup_processor_mode 1
		.amdhsa_memory_ordered 1
		.amdhsa_forward_progress 0
		.amdhsa_shared_vgpr_count 0
		.amdhsa_exception_fp_ieee_invalid_op 0
		.amdhsa_exception_fp_denorm_src 0
		.amdhsa_exception_fp_ieee_div_zero 0
		.amdhsa_exception_fp_ieee_overflow 0
		.amdhsa_exception_fp_ieee_underflow 0
		.amdhsa_exception_fp_ieee_inexact 0
		.amdhsa_exception_int_div_zero 0
	.end_amdhsa_kernel
	.section	.text._ZL13mul_mat_vec_qIfLi256ELi8E12block_iq4_xsLi1EXadL_ZL19vec_dot_iq4_xs_q8_1PKvPK10block_q8_1RKiEEEvS2_S2_PT_iii,"axG",@progbits,_ZL13mul_mat_vec_qIfLi256ELi8E12block_iq4_xsLi1EXadL_ZL19vec_dot_iq4_xs_q8_1PKvPK10block_q8_1RKiEEEvS2_S2_PT_iii,comdat
.Lfunc_end75:
	.size	_ZL13mul_mat_vec_qIfLi256ELi8E12block_iq4_xsLi1EXadL_ZL19vec_dot_iq4_xs_q8_1PKvPK10block_q8_1RKiEEEvS2_S2_PT_iii, .Lfunc_end75-_ZL13mul_mat_vec_qIfLi256ELi8E12block_iq4_xsLi1EXadL_ZL19vec_dot_iq4_xs_q8_1PKvPK10block_q8_1RKiEEEvS2_S2_PT_iii
                                        ; -- End function
	.section	.AMDGPU.csdata,"",@progbits
; Kernel info:
; codeLenInByte = 1108
; NumSgprs: 18
; NumVgprs: 34
; ScratchSize: 0
; MemoryBound: 0
; FloatMode: 240
; IeeeMode: 1
; LDSByteSize: 0 bytes/workgroup (compile time only)
; SGPRBlocks: 2
; VGPRBlocks: 4
; NumSGPRsForWavesPerEU: 18
; NumVGPRsForWavesPerEU: 34
; Occupancy: 16
; WaveLimiterHint : 0
; COMPUTE_PGM_RSRC2:SCRATCH_EN: 0
; COMPUTE_PGM_RSRC2:USER_SGPR: 14
; COMPUTE_PGM_RSRC2:TRAP_HANDLER: 0
; COMPUTE_PGM_RSRC2:TGID_X_EN: 1
; COMPUTE_PGM_RSRC2:TGID_Y_EN: 1
; COMPUTE_PGM_RSRC2:TGID_Z_EN: 0
; COMPUTE_PGM_RSRC2:TIDIG_COMP_CNT: 1
	.section	.text._ZL13mul_mat_vec_qIfLi256ELi8E11block_iq1_mLi1EXadL_ZL18vec_dot_iq1_m_q8_1PKvPK10block_q8_1RKiEEEvS2_S2_PT_iii,"axG",@progbits,_ZL13mul_mat_vec_qIfLi256ELi8E11block_iq1_mLi1EXadL_ZL18vec_dot_iq1_m_q8_1PKvPK10block_q8_1RKiEEEvS2_S2_PT_iii,comdat
	.globl	_ZL13mul_mat_vec_qIfLi256ELi8E11block_iq1_mLi1EXadL_ZL18vec_dot_iq1_m_q8_1PKvPK10block_q8_1RKiEEEvS2_S2_PT_iii ; -- Begin function _ZL13mul_mat_vec_qIfLi256ELi8E11block_iq1_mLi1EXadL_ZL18vec_dot_iq1_m_q8_1PKvPK10block_q8_1RKiEEEvS2_S2_PT_iii
	.p2align	8
	.type	_ZL13mul_mat_vec_qIfLi256ELi8E11block_iq1_mLi1EXadL_ZL18vec_dot_iq1_m_q8_1PKvPK10block_q8_1RKiEEEvS2_S2_PT_iii,@function
_ZL13mul_mat_vec_qIfLi256ELi8E11block_iq1_mLi1EXadL_ZL18vec_dot_iq1_m_q8_1PKvPK10block_q8_1RKiEEEvS2_S2_PT_iii: ; @_ZL13mul_mat_vec_qIfLi256ELi8E11block_iq1_mLi1EXadL_ZL18vec_dot_iq1_m_q8_1PKvPK10block_q8_1RKiEEEvS2_S2_PT_iii
; %bb.0:
	s_clause 0x1
	s_load_b32 s2, s[0:1], 0x34
	s_load_b128 s[4:7], s[0:1], 0x18
	v_bfe_u32 v3, v0, 10, 10
	s_waitcnt lgkmcnt(0)
	s_lshr_b32 s2, s2, 16
	s_cmp_lt_u32 s15, s6
	s_delay_alu instid0(VALU_DEP_1) | instskip(SKIP_1) | instid1(VALU_DEP_1)
	v_mad_u64_u32 v[1:2], null, s14, s2, v[3:4]
	s_cselect_b32 s2, -1, 0
	v_cmp_gt_u32_e32 vcc_lo, s5, v1
	s_and_b32 s2, s2, vcc_lo
	s_delay_alu instid0(SALU_CYCLE_1)
	s_and_saveexec_b32 s3, s2
	s_cbranch_execz .LBB76_7
; %bb.1:
	s_load_b64 s[6:7], s[0:1], 0x10
	v_and_b32_e32 v0, 0x3ff, v0
	s_ashr_i32 s2, s4, 31
	v_mov_b32_e32 v2, 0
	s_lshr_b32 s2, s2, 24
	s_mov_b32 s10, exec_lo
	v_lshrrev_b32_e32 v3, 3, v0
	s_add_i32 s2, s4, s2
	s_delay_alu instid0(SALU_CYCLE_1)
	s_ashr_i32 s11, s2, 8
	s_delay_alu instid0(VALU_DEP_1) | instid1(SALU_CYCLE_1)
	v_cmpx_gt_u32_e64 s11, v3
	s_cbranch_execz .LBB76_5
; %bb.2:
	s_load_b128 s[0:3], s[0:1], 0x0
	s_addk_i32 s4, 0x1ff
	v_and_b32_e32 v7, 1, v0
	s_ashr_i32 s8, s4, 31
	v_dual_mov_b32 v2, 0 :: v_dual_and_b32 v5, 7, v0
	s_lshr_b32 s8, s8, 23
	v_lshlrev_b32_e32 v8, 3, v3
	s_add_i32 s4, s4, s8
	v_bfe_u32 v10, v0, 1, 2
	v_cmp_eq_u32_e32 vcc_lo, 1, v7
	s_ashr_i32 s4, s4, 9
	v_mul_lo_u32 v4, v1, s11
	s_mul_i32 s4, s15, s4
	v_lshlrev_b32_e32 v6, 1, v5
	v_cndmask_b32_e64 v7, 0, 6, vcc_lo
	v_lshl_add_u32 v8, s4, 4, v8
	v_lshlrev_b32_e32 v9, 2, v5
	v_lshlrev_b32_e32 v10, 1, v10
	s_mov_b32 s4, 0
	s_mov_b32 s12, 0xbd000000
	s_getpc_b64 s[8:9]
	s_add_u32 s8, s8, _ZL13iq1s_grid_gpu@rel32@lo+4
	s_addc_u32 s9, s9, _ZL13iq1s_grid_gpu@rel32@hi+12
.LBB76_3:                               ; =>This Inner Loop Header: Depth=1
	v_add_nc_u32_e32 v11, v4, v3
	v_add_nc_u32_e32 v3, 4, v3
	s_waitcnt lgkmcnt(0)
	s_delay_alu instid0(VALU_DEP_2) | instskip(NEXT) | instid1(VALU_DEP_1)
	v_mad_i64_i32 v[19:20], null, v11, 56, s[0:1]
	v_add_co_u32 v11, vcc_lo, v19, v9
	s_delay_alu instid0(VALU_DEP_2)
	v_add_co_ci_u32_e32 v12, vcc_lo, 0, v20, vcc_lo
	v_add_co_u32 v13, vcc_lo, v19, v6
	v_add_co_ci_u32_e32 v14, vcc_lo, 0, v20, vcc_lo
	v_add_co_u32 v21, vcc_lo, v19, v10
	s_clause 0x1
	global_load_b32 v23, v[11:12], off
	global_load_u16 v24, v[13:14], off offset:32
	v_mad_i64_i32 v[11:12], null, v8, 36, s[2:3]
	v_add_co_ci_u32_e32 v22, vcc_lo, 0, v20, vcc_lo
	v_cmp_le_u32_e32 vcc_lo, s11, v3
	v_add_nc_u32_e32 v8, 32, v8
	s_delay_alu instid0(VALU_DEP_4)
	v_mad_u64_u32 v[15:16], null, v5, 36, v[11:12]
	s_or_b32 s4, vcc_lo, s4
	s_clause 0x2
	global_load_b128 v[11:14], v[15:16], off
	global_load_b32 v25, v[15:16], off offset:32
	global_load_b128 v[15:18], v[15:16], off offset:16
	global_load_b64 v[19:20], v[19:20], off offset:48
	s_waitcnt vmcnt(5)
	v_and_b32_e32 v28, 0xff, v23
	s_waitcnt vmcnt(4)
	v_lshrrev_b16 v27, 8, v24
	v_lshlrev_b32_e32 v29, 8, v24
	v_bfe_u32 v30, v23, 8, 8
	v_lshlrev_b32_e32 v31, 4, v24
	v_and_b32_e32 v53, 8, v24
	v_and_b32_e32 v27, 0xffff, v27
	v_lshrrev_b32_e32 v26, 24, v23
	v_bfe_u32 v23, v23, 16, 8
	v_and_or_b32 v28, 0x700, v29, v28
	v_and_or_b32 v29, 0x700, v31, v30
	v_cvt_f32_ubyte0_e32 v53, v53
	v_lshlrev_b32_e32 v30, 8, v27
	v_lshlrev_b32_e32 v31, 4, v27
	;; [unrolled: 1-line block ×4, first 2 shown]
	v_fmaak_f32 v53, s12, v53, 0xbf600000
	v_and_or_b32 v23, 0x700, v30, v23
	v_and_or_b32 v26, 0x700, v31, v26
	s_clause 0x1
	global_load_b32 v28, v28, s[8:9]
	global_load_b32 v29, v29, s[8:9]
	s_waitcnt vmcnt(5)
	v_bfe_i32 v30, v12, 8, 8
	v_bfe_i32 v35, v14, 0, 8
	v_lshlrev_b32_e32 v23, 3, v23
	v_lshlrev_b32_e32 v26, 3, v26
	v_bfe_i32 v36, v14, 8, 8
	s_clause 0x1
	global_load_b32 v23, v23, s[8:9]
	global_load_b32 v26, v26, s[8:9]
	global_load_u16 v21, v[21:22], off offset:48
	v_bfe_i32 v22, v12, 0, 8
	s_waitcnt vmcnt(6)
	v_bfe_i32 v41, v16, 0, 8
	v_bfe_i32 v42, v16, 8, 8
	v_bfe_i32 v47, v18, 0, 8
	v_bfe_i32 v48, v18, 8, 8
	v_bfe_i32 v31, v12, 16, 8
	v_ashrrev_i32_e32 v12, 24, v12
	v_bfe_i32 v37, v14, 16, 8
	v_ashrrev_i32_e32 v14, 24, v14
	v_bfe_i32 v43, v16, 16, 8
	;; [unrolled: 2-line block ×3, first 2 shown]
	v_ashrrev_i32_e32 v18, 24, v18
	s_waitcnt vmcnt(5)
	v_lshrrev_b16 v55, 12, v19
	v_lshrrev_b32_e32 v19, 24, v19
	v_add_nc_u32_e32 v56, v22, v30
	v_add_nc_u32_e32 v57, v35, v36
	;; [unrolled: 1-line block ×3, first 2 shown]
	v_cvt_f32_f16_e32 v11, v11
	v_add_nc_u32_e32 v58, v41, v42
	v_bfe_i32 v32, v13, 0, 8
	v_bfe_i32 v33, v13, 8, 8
	;; [unrolled: 1-line block ×8, first 2 shown]
	v_lshrrev_b32_e32 v54, 16, v20
	v_lshrrev_b16 v20, 4, v20
	v_and_b32_e32 v19, 0xf0, v19
	v_add3_u32 v56, v56, v31, v12
	v_add3_u32 v57, v57, v37, v14
	;; [unrolled: 1-line block ×4, first 2 shown]
	v_and_b32_e32 v61, 8, v27
	v_bfe_i32 v34, v13, 16, 8
	v_ashrrev_i32_e32 v13, 24, v13
	v_bfe_i32 v40, v15, 16, 8
	v_ashrrev_i32_e32 v15, 24, v15
	;; [unrolled: 2-line block ×4, first 2 shown]
	v_and_b32_e32 v20, 0xf00, v20
	v_or_b32_e32 v19, v19, v55
	v_add3_u32 v56, v56, v32, v33
	v_add3_u32 v57, v57, v38, v39
	;; [unrolled: 1-line block ×4, first 2 shown]
	v_or_b32_e32 v19, v19, v20
	v_add3_u32 v20, v56, v34, v13
	v_add3_u32 v56, v57, v40, v15
	;; [unrolled: 1-line block ×4, first 2 shown]
	v_lshrrev_b32_e32 v24, 4, v24
	v_cvt_f32_i32_e32 v20, v20
	v_and_b32_e32 v54, 0xfffff000, v54
	v_cvt_f32_i32_e32 v57, v57
	v_cvt_f32_i32_e32 v58, v58
	s_waitcnt vmcnt(4)
	v_bfe_u32 v62, v28, 8, 4
	v_bfe_u32 v63, v28, 16, 4
	;; [unrolled: 1-line block ×5, first 2 shown]
	s_waitcnt vmcnt(3)
	v_and_b32_e32 v68, 15, v29
	v_bfe_u32 v69, v29, 8, 4
	v_bfe_u32 v70, v29, 16, 4
	;; [unrolled: 1-line block ×3, first 2 shown]
	s_waitcnt vmcnt(0)
	v_lshrrev_b32_e32 v21, v7, v21
	v_mul_i32_i24_e32 v31, v63, v31
	v_bfe_u32 v63, v23, 4, 4
	v_mul_i32_i24_e32 v30, v62, v30
	v_mul_i32_i24_e32 v12, v64, v12
	v_lshlrev_b32_e32 v60, 1, v21
	v_bfe_u32 v62, v23, 24, 4
	v_bfe_u32 v64, v23, 12, 4
	v_mul_i32_i24_e32 v33, v66, v33
	v_bfe_u32 v71, v29, 24, 4
	v_and_or_b32 v55, v60, 14, 1
	v_cvt_f32_ubyte0_e32 v60, v61
	v_and_b32_e32 v61, 15, v28
	v_mul_i32_i24_e32 v16, v62, v16
	v_mul_i32_i24_e32 v45, v64, v45
	v_bfe_u32 v73, v29, 12, 4
	v_fmaak_f32 v59, s12, v60, 0xbf600000
	v_bfe_u32 v60, v28, 20, 4
	v_lshrrev_b32_e32 v28, 28, v28
	v_mul_i32_i24_e32 v22, v22, v61
	v_bfe_u32 v61, v23, 16, 4
	v_lshrrev_b32_e32 v21, 2, v21
	v_mul_i32_i24_e32 v34, v60, v34
	v_mul_i32_i24_e32 v13, v28, v13
	;; [unrolled: 1-line block ×6, first 2 shown]
	v_and_b32_e32 v38, 15, v23
	v_bfe_u32 v60, v23, 8, 4
	v_mad_i32_i24 v22, v32, v65, v22
	v_mul_i32_i24_e32 v43, v61, v43
	v_bfe_u32 v32, v23, 20, 4
	v_mul_i32_i24_e32 v38, v41, v38
	v_mul_i32_i24_e32 v42, v60, v42
	v_lshrrev_b32_e32 v23, 28, v23
	v_add3_u32 v22, v22, v30, v31
	v_and_b32_e32 v65, 15, v26
	v_mad_i32_i24 v38, v44, v63, v38
	v_mul_i32_i24_e32 v30, v32, v46
	v_mul_i32_i24_e32 v17, v23, v17
	v_add3_u32 v12, v22, v12, v33
	v_bfe_u32 v44, v26, 8, 4
	v_add3_u32 v38, v38, v42, v43
	v_bfe_u32 v42, v26, 4, 4
	v_bfe_u32 v60, v26, 16, 4
	v_mul_i32_i24_e32 v31, v47, v65
	v_add3_u32 v12, v12, v34, v13
	v_add3_u32 v16, v38, v16, v45
	v_mul_i32_i24_e32 v32, v50, v42
	v_bfe_u32 v23, v26, 24, 4
	v_mul_i32_i24_e32 v22, v44, v48
	v_add3_u32 v12, v12, v28, v37
	v_add3_u32 v16, v16, v30, v17
	v_bfe_u32 v17, v26, 12, 4
	v_mul_i32_i24_e32 v30, v60, v49
	v_bfe_u32 v67, v29, 20, 4
	v_lshrrev_b32_e32 v29, 28, v29
	v_add3_u32 v13, v16, v31, v32
	v_mul_i32_i24_e32 v14, v71, v14
	v_mul_i32_i24_e32 v18, v23, v18
	;; [unrolled: 1-line block ×3, first 2 shown]
	v_add3_u32 v12, v12, v35, v36
	v_add3_u32 v13, v13, v22, v30
	v_mul_i32_i24_e32 v22, v73, v39
	v_and_or_b32 v21, v21, 14, 1
	v_mul_i32_i24_e32 v15, v29, v15
	v_bfe_u32 v41, v26, 20, 4
	v_add3_u32 v13, v13, v18, v17
	v_mul_i32_i24_e32 v18, v67, v40
	v_add3_u32 v12, v12, v14, v22
	v_lshrrev_b32_e32 v16, 28, v26
	v_mul_i32_i24_e32 v23, v41, v52
	v_cvt_f32_i32_e32 v14, v56
	v_fma_f32 v17, v59, v57, 0
	v_add3_u32 v12, v12, v18, v15
	v_cvt_f32_ubyte0_e32 v15, v21
	v_and_b32_e32 v24, 8, v24
	v_mul_i32_i24_e32 v16, v16, v25
	v_or_b32_e32 v18, v19, v54
	v_cvt_f32_i32_e32 v12, v12
	s_delay_alu instid0(VALU_DEP_4) | instskip(NEXT) | instid1(VALU_DEP_4)
	v_cvt_f32_ubyte0_e32 v24, v24
	v_add3_u32 v13, v13, v23, v16
	v_fma_f32 v16, v53, v20, 0
	s_delay_alu instid0(VALU_DEP_3) | instskip(NEXT) | instid1(VALU_DEP_3)
	v_fmaak_f32 v24, s12, v24, 0xbf600000
	v_cvt_f32_i32_e32 v13, v13
	s_delay_alu instid0(VALU_DEP_2) | instskip(SKIP_1) | instid1(VALU_DEP_2)
	v_fmac_f32_e32 v16, v24, v14
	v_cvt_f32_ubyte0_e32 v14, v55
	v_add_f32_e32 v12, v16, v12
	v_lshrrev_b32_e32 v27, 4, v27
	s_delay_alu instid0(VALU_DEP_1) | instskip(NEXT) | instid1(VALU_DEP_1)
	v_and_b32_e32 v27, 8, v27
	v_cvt_f32_ubyte0_e32 v27, v27
	s_delay_alu instid0(VALU_DEP_1) | instskip(NEXT) | instid1(VALU_DEP_1)
	v_fmaak_f32 v27, s12, v27, 0xbf600000
	v_fmac_f32_e32 v17, v27, v58
	s_delay_alu instid0(VALU_DEP_1) | instskip(SKIP_1) | instid1(VALU_DEP_2)
	v_add_f32_e32 v13, v17, v13
	v_cvt_f32_f16_e32 v17, v18
	v_mul_f32_e32 v13, v13, v15
	s_delay_alu instid0(VALU_DEP_2) | instskip(NEXT) | instid1(VALU_DEP_2)
	v_mul_f32_e32 v11, v11, v17
	v_fmac_f32_e32 v13, v12, v14
	s_delay_alu instid0(VALU_DEP_1)
	v_fmac_f32_e32 v2, v11, v13
	s_and_not1_b32 exec_lo, exec_lo, s4
	s_cbranch_execnz .LBB76_3
; %bb.4:
	s_or_b32 exec_lo, exec_lo, s4
.LBB76_5:
	s_delay_alu instid0(SALU_CYCLE_1) | instskip(SKIP_1) | instid1(VALU_DEP_1)
	s_or_b32 exec_lo, exec_lo, s10
	v_mbcnt_lo_u32_b32 v3, -1, 0
	v_xor_b32_e32 v4, 16, v3
	v_xor_b32_e32 v5, 8, v3
	s_delay_alu instid0(VALU_DEP_2) | instskip(SKIP_1) | instid1(VALU_DEP_3)
	v_cmp_gt_i32_e32 vcc_lo, 32, v4
	v_cndmask_b32_e32 v4, v3, v4, vcc_lo
	v_cmp_gt_i32_e32 vcc_lo, 32, v5
	v_cndmask_b32_e32 v5, v3, v5, vcc_lo
	s_delay_alu instid0(VALU_DEP_1) | instskip(NEXT) | instid1(VALU_DEP_4)
	v_lshlrev_b32_e32 v5, 2, v5
	v_lshlrev_b32_e32 v4, 2, v4
	ds_bpermute_b32 v4, v4, v2
	s_waitcnt lgkmcnt(0)
	v_add_f32_e32 v2, v2, v4
	ds_bpermute_b32 v4, v5, v2
	v_xor_b32_e32 v5, 4, v3
	s_delay_alu instid0(VALU_DEP_1) | instskip(SKIP_2) | instid1(VALU_DEP_1)
	v_cmp_gt_i32_e32 vcc_lo, 32, v5
	v_cndmask_b32_e32 v5, v3, v5, vcc_lo
	s_waitcnt lgkmcnt(0)
	v_dual_add_f32 v2, v2, v4 :: v_dual_lshlrev_b32 v5, 2, v5
	ds_bpermute_b32 v4, v5, v2
	v_xor_b32_e32 v5, 2, v3
	s_delay_alu instid0(VALU_DEP_1) | instskip(SKIP_2) | instid1(VALU_DEP_1)
	v_cmp_gt_i32_e32 vcc_lo, 32, v5
	s_waitcnt lgkmcnt(0)
	v_dual_cndmask_b32 v5, v3, v5 :: v_dual_add_f32 v2, v2, v4
	v_lshlrev_b32_e32 v5, 2, v5
	ds_bpermute_b32 v4, v5, v2
	v_xor_b32_e32 v5, 1, v3
	s_delay_alu instid0(VALU_DEP_1) | instskip(SKIP_3) | instid1(VALU_DEP_2)
	v_cmp_gt_i32_e32 vcc_lo, 32, v5
	v_cndmask_b32_e32 v3, v3, v5, vcc_lo
	v_cmp_eq_u32_e32 vcc_lo, 0, v0
	s_waitcnt lgkmcnt(0)
	v_dual_add_f32 v2, v2, v4 :: v_dual_lshlrev_b32 v3, 2, v3
	ds_bpermute_b32 v3, v3, v2
	s_and_b32 exec_lo, exec_lo, vcc_lo
	s_cbranch_execz .LBB76_7
; %bb.6:
	v_mad_u64_u32 v[4:5], null, s15, s5, v[1:2]
	s_waitcnt lgkmcnt(0)
	v_dual_mov_b32 v5, 0 :: v_dual_add_f32 v2, v2, v3
	s_delay_alu instid0(VALU_DEP_1) | instskip(NEXT) | instid1(VALU_DEP_1)
	v_lshlrev_b64 v[0:1], 2, v[4:5]
	v_add_co_u32 v0, vcc_lo, s6, v0
	s_delay_alu instid0(VALU_DEP_2)
	v_add_co_ci_u32_e32 v1, vcc_lo, s7, v1, vcc_lo
	global_store_b32 v[0:1], v2, off
.LBB76_7:
	s_nop 0
	s_sendmsg sendmsg(MSG_DEALLOC_VGPRS)
	s_endpgm
	.section	.rodata,"a",@progbits
	.p2align	6, 0x0
	.amdhsa_kernel _ZL13mul_mat_vec_qIfLi256ELi8E11block_iq1_mLi1EXadL_ZL18vec_dot_iq1_m_q8_1PKvPK10block_q8_1RKiEEEvS2_S2_PT_iii
		.amdhsa_group_segment_fixed_size 0
		.amdhsa_private_segment_fixed_size 0
		.amdhsa_kernarg_size 296
		.amdhsa_user_sgpr_count 14
		.amdhsa_user_sgpr_dispatch_ptr 0
		.amdhsa_user_sgpr_queue_ptr 0
		.amdhsa_user_sgpr_kernarg_segment_ptr 1
		.amdhsa_user_sgpr_dispatch_id 0
		.amdhsa_user_sgpr_private_segment_size 0
		.amdhsa_wavefront_size32 1
		.amdhsa_uses_dynamic_stack 0
		.amdhsa_enable_private_segment 0
		.amdhsa_system_sgpr_workgroup_id_x 1
		.amdhsa_system_sgpr_workgroup_id_y 1
		.amdhsa_system_sgpr_workgroup_id_z 0
		.amdhsa_system_sgpr_workgroup_info 0
		.amdhsa_system_vgpr_workitem_id 1
		.amdhsa_next_free_vgpr 74
		.amdhsa_next_free_sgpr 16
		.amdhsa_reserve_vcc 1
		.amdhsa_float_round_mode_32 0
		.amdhsa_float_round_mode_16_64 0
		.amdhsa_float_denorm_mode_32 3
		.amdhsa_float_denorm_mode_16_64 3
		.amdhsa_dx10_clamp 1
		.amdhsa_ieee_mode 1
		.amdhsa_fp16_overflow 0
		.amdhsa_workgroup_processor_mode 1
		.amdhsa_memory_ordered 1
		.amdhsa_forward_progress 0
		.amdhsa_shared_vgpr_count 0
		.amdhsa_exception_fp_ieee_invalid_op 0
		.amdhsa_exception_fp_denorm_src 0
		.amdhsa_exception_fp_ieee_div_zero 0
		.amdhsa_exception_fp_ieee_overflow 0
		.amdhsa_exception_fp_ieee_underflow 0
		.amdhsa_exception_fp_ieee_inexact 0
		.amdhsa_exception_int_div_zero 0
	.end_amdhsa_kernel
	.section	.text._ZL13mul_mat_vec_qIfLi256ELi8E11block_iq1_mLi1EXadL_ZL18vec_dot_iq1_m_q8_1PKvPK10block_q8_1RKiEEEvS2_S2_PT_iii,"axG",@progbits,_ZL13mul_mat_vec_qIfLi256ELi8E11block_iq1_mLi1EXadL_ZL18vec_dot_iq1_m_q8_1PKvPK10block_q8_1RKiEEEvS2_S2_PT_iii,comdat
.Lfunc_end76:
	.size	_ZL13mul_mat_vec_qIfLi256ELi8E11block_iq1_mLi1EXadL_ZL18vec_dot_iq1_m_q8_1PKvPK10block_q8_1RKiEEEvS2_S2_PT_iii, .Lfunc_end76-_ZL13mul_mat_vec_qIfLi256ELi8E11block_iq1_mLi1EXadL_ZL18vec_dot_iq1_m_q8_1PKvPK10block_q8_1RKiEEEvS2_S2_PT_iii
                                        ; -- End function
	.section	.AMDGPU.csdata,"",@progbits
; Kernel info:
; codeLenInByte = 1992
; NumSgprs: 18
; NumVgprs: 74
; ScratchSize: 0
; MemoryBound: 0
; FloatMode: 240
; IeeeMode: 1
; LDSByteSize: 0 bytes/workgroup (compile time only)
; SGPRBlocks: 2
; VGPRBlocks: 9
; NumSGPRsForWavesPerEU: 18
; NumVGPRsForWavesPerEU: 74
; Occupancy: 16
; WaveLimiterHint : 0
; COMPUTE_PGM_RSRC2:SCRATCH_EN: 0
; COMPUTE_PGM_RSRC2:USER_SGPR: 14
; COMPUTE_PGM_RSRC2:TRAP_HANDLER: 0
; COMPUTE_PGM_RSRC2:TGID_X_EN: 1
; COMPUTE_PGM_RSRC2:TGID_Y_EN: 1
; COMPUTE_PGM_RSRC2:TGID_Z_EN: 0
; COMPUTE_PGM_RSRC2:TIDIG_COMP_CNT: 1
	.section	.text._ZL13quantize_q8_1IN3c104HalfEEvPKT_Pvii,"axG",@progbits,_ZL13quantize_q8_1IN3c104HalfEEvPKT_Pvii,comdat
	.globl	_ZL13quantize_q8_1IN3c104HalfEEvPKT_Pvii ; -- Begin function _ZL13quantize_q8_1IN3c104HalfEEvPKT_Pvii
	.p2align	8
	.type	_ZL13quantize_q8_1IN3c104HalfEEvPKT_Pvii,@function
_ZL13quantize_q8_1IN3c104HalfEEvPKT_Pvii: ; @_ZL13quantize_q8_1IN3c104HalfEEvPKT_Pvii
; %bb.0:
	s_clause 0x1
	s_load_b32 s6, s[0:1], 0x24
	s_load_b64 s[2:3], s[0:1], 0x10
	v_and_b32_e32 v3, 0x3ff, v0
	s_add_u32 s4, s0, 24
	s_addc_u32 s5, s1, 0
	s_waitcnt lgkmcnt(0)
	s_and_b32 s6, s6, 0xffff
	s_delay_alu instid0(SALU_CYCLE_1) | instskip(SKIP_1) | instid1(VALU_DEP_1)
	v_mad_u64_u32 v[1:2], null, s14, s6, v[3:4]
	s_mov_b32 s6, exec_lo
	v_cmpx_gt_u32_e64 s3, v1
	s_cbranch_execz .LBB77_7
; %bb.1:
	s_load_b32 s4, s[4:5], 0xc
	v_bfe_u32 v0, v0, 10, 10
	s_waitcnt lgkmcnt(0)
	s_lshr_b32 s4, s4, 16
	s_delay_alu instid0(VALU_DEP_1) | instid1(SALU_CYCLE_1)
	v_mad_u64_u32 v[2:3], null, s15, s4, v[0:1]
	v_dual_mov_b32 v3, 0 :: v_dual_mov_b32 v0, 0
	s_mov_b32 s4, exec_lo
	v_cmpx_gt_u32_e64 s2, v1
	s_cbranch_execz .LBB77_3
; %bb.2:
	s_load_b64 s[6:7], s[0:1], 0x0
	s_delay_alu instid0(VALU_DEP_3) | instskip(SKIP_1) | instid1(VALU_DEP_1)
	v_mad_u64_u32 v[4:5], null, v2, s2, v[1:2]
	v_mov_b32_e32 v5, 0
	v_lshlrev_b64 v[4:5], 1, v[4:5]
	s_waitcnt lgkmcnt(0)
	s_delay_alu instid0(VALU_DEP_1) | instskip(NEXT) | instid1(VALU_DEP_2)
	v_add_co_u32 v4, vcc_lo, s6, v4
	v_add_co_ci_u32_e32 v5, vcc_lo, s7, v5, vcc_lo
	global_load_u16 v0, v[4:5], off
	s_waitcnt vmcnt(0)
	v_cvt_f32_f16_e32 v0, v0
.LBB77_3:
	s_or_b32 exec_lo, exec_lo, s4
	v_mbcnt_lo_u32_b32 v4, -1, 0
	s_delay_alu instid0(VALU_DEP_2)
	v_max_f32_e64 v8, |v0|, |v0|
	s_load_b64 s[0:1], s[0:1], 0x8
	s_mov_b32 s2, exec_lo
	v_and_b32_e32 v6, 0x7fffffff, v0
	v_xor_b32_e32 v5, 16, v4
	v_xor_b32_e32 v7, 8, v4
	;; [unrolled: 1-line block ×5, first 2 shown]
	v_cmp_gt_i32_e32 vcc_lo, 32, v5
	v_cndmask_b32_e32 v5, v4, v5, vcc_lo
	v_cmp_gt_i32_e32 vcc_lo, 32, v7
	s_delay_alu instid0(VALU_DEP_2)
	v_lshlrev_b32_e32 v5, 2, v5
	ds_bpermute_b32 v6, v5, v6
	s_waitcnt lgkmcnt(0)
	v_max_f32_e32 v6, v6, v6
	ds_bpermute_b32 v5, v5, v0
	v_max_f32_e32 v6, v8, v6
	v_cndmask_b32_e32 v7, v4, v7, vcc_lo
	v_cmp_gt_i32_e32 vcc_lo, 32, v9
	s_delay_alu instid0(VALU_DEP_2)
	v_lshlrev_b32_e32 v7, 2, v7
	v_cndmask_b32_e32 v9, v4, v9, vcc_lo
	v_cmp_gt_i32_e32 vcc_lo, 32, v10
	v_cndmask_b32_e32 v10, v4, v10, vcc_lo
	v_cmp_gt_i32_e32 vcc_lo, 32, v11
	s_waitcnt lgkmcnt(0)
	v_add_f32_e32 v5, v0, v5
	v_cndmask_b32_e32 v4, v4, v11, vcc_lo
	s_delay_alu instid0(VALU_DEP_1)
	v_lshlrev_b32_e32 v11, 2, v4
	v_lshlrev_b32_e32 v10, 2, v10
	;; [unrolled: 1-line block ×3, first 2 shown]
	ds_bpermute_b32 v8, v7, v6
	s_waitcnt lgkmcnt(0)
	v_max_f32_e32 v8, v8, v8
	ds_bpermute_b32 v7, v7, v5
	v_max_f32_e32 v6, v6, v8
	ds_bpermute_b32 v8, v9, v6
	s_waitcnt lgkmcnt(1)
	v_add_f32_e32 v5, v5, v7
	ds_bpermute_b32 v7, v9, v5
	s_waitcnt lgkmcnt(1)
	v_max_f32_e32 v8, v8, v8
	s_delay_alu instid0(VALU_DEP_1) | instskip(SKIP_3) | instid1(VALU_DEP_1)
	v_max_f32_e32 v6, v6, v8
	ds_bpermute_b32 v8, v10, v6
	s_waitcnt lgkmcnt(0)
	v_max_f32_e32 v8, v8, v8
	v_max_f32_e32 v4, v6, v8
	ds_bpermute_b32 v6, v11, v4
	s_waitcnt lgkmcnt(0)
	v_max_f32_e32 v6, v6, v6
	s_delay_alu instid0(VALU_DEP_1) | instskip(SKIP_1) | instid1(VALU_DEP_2)
	v_max_f32_e32 v8, v4, v6
	v_add_f32_e32 v4, v5, v7
	v_div_scale_f32 v6, null, 0x42fe0000, 0x42fe0000, v8
	ds_bpermute_b32 v5, v10, v4
	v_div_scale_f32 v10, vcc_lo, v8, 0x42fe0000, v8
	v_rcp_f32_e32 v9, v6
	s_waitcnt_depctr 0xfff
	v_fma_f32 v7, -v6, v9, 1.0
	s_delay_alu instid0(VALU_DEP_1) | instskip(SKIP_2) | instid1(VALU_DEP_2)
	v_fmac_f32_e32 v9, v7, v9
	s_waitcnt lgkmcnt(0)
	v_add_f32_e32 v4, v4, v5
	v_mul_f32_e32 v7, v10, v9
	ds_bpermute_b32 v5, v11, v4
	v_fma_f32 v12, -v6, v7, v10
	s_delay_alu instid0(VALU_DEP_1) | instskip(NEXT) | instid1(VALU_DEP_1)
	v_fmac_f32_e32 v7, v12, v9
	v_fma_f32 v6, -v6, v7, v10
	s_delay_alu instid0(VALU_DEP_1) | instskip(NEXT) | instid1(VALU_DEP_1)
	v_div_fmas_f32 v6, v6, v9, v7
	v_div_fixup_f32 v6, v6, 0x42fe0000, v8
	v_cmpx_neq_f32_e32 0, v8
	s_cbranch_execz .LBB77_5
; %bb.4:
	s_delay_alu instid0(VALU_DEP_2) | instskip(SKIP_1) | instid1(VALU_DEP_2)
	v_div_scale_f32 v3, null, v6, v6, v0
	v_div_scale_f32 v9, vcc_lo, v0, v6, v0
	v_rcp_f32_e32 v7, v3
	s_waitcnt_depctr 0xfff
	v_fma_f32 v8, -v3, v7, 1.0
	s_delay_alu instid0(VALU_DEP_1) | instskip(NEXT) | instid1(VALU_DEP_1)
	v_fmac_f32_e32 v7, v8, v7
	v_mul_f32_e32 v8, v9, v7
	s_delay_alu instid0(VALU_DEP_1) | instskip(NEXT) | instid1(VALU_DEP_1)
	v_fma_f32 v10, -v3, v8, v9
	v_fmac_f32_e32 v8, v10, v7
	s_delay_alu instid0(VALU_DEP_1) | instskip(NEXT) | instid1(VALU_DEP_1)
	v_fma_f32 v3, -v3, v8, v9
	v_div_fmas_f32 v3, v3, v7, v8
	s_delay_alu instid0(VALU_DEP_1) | instskip(NEXT) | instid1(VALU_DEP_1)
	v_div_fixup_f32 v0, v3, v6, v0
	v_trunc_f32_e32 v3, v0
	s_delay_alu instid0(VALU_DEP_1) | instskip(NEXT) | instid1(VALU_DEP_1)
	v_sub_f32_e32 v7, v0, v3
	v_cmp_ge_f32_e64 s4, |v7|, 0.5
	s_delay_alu instid0(VALU_DEP_1) | instskip(NEXT) | instid1(VALU_DEP_1)
	v_cndmask_b32_e64 v7, 0, 1.0, s4
	v_bfi_b32 v0, 0x7fffffff, v7, v0
	s_delay_alu instid0(VALU_DEP_1) | instskip(NEXT) | instid1(VALU_DEP_1)
	v_add_f32_e32 v0, v3, v0
	v_cvt_i32_f32_e32 v3, v0
.LBB77_5:
	s_or_b32 exec_lo, exec_lo, s2
	v_mad_u64_u32 v[7:8], null, v2, s3, v[1:2]
	s_delay_alu instid0(VALU_DEP_1) | instskip(NEXT) | instid1(VALU_DEP_1)
	v_ashrrev_i32_e32 v0, 31, v7
	v_lshrrev_b32_e32 v0, 27, v0
	s_delay_alu instid0(VALU_DEP_1) | instskip(NEXT) | instid1(VALU_DEP_1)
	v_add_nc_u32_e32 v0, v7, v0
	v_and_b32_e32 v1, 0xffffffe0, v0
	v_ashrrev_i32_e32 v2, 5, v0
	s_delay_alu instid0(VALU_DEP_2) | instskip(NEXT) | instid1(VALU_DEP_2)
	v_sub_nc_u32_e32 v9, v7, v1
	v_mad_i64_i32 v[0:1], null, v2, 36, s[0:1]
	s_delay_alu instid0(VALU_DEP_2) | instskip(NEXT) | instid1(VALU_DEP_2)
	v_ashrrev_i32_e32 v2, 31, v9
	v_add_co_u32 v7, vcc_lo, v0, v9
	s_delay_alu instid0(VALU_DEP_2)
	v_add_co_ci_u32_e32 v8, vcc_lo, v1, v2, vcc_lo
	v_cmp_gt_i32_e32 vcc_lo, 1, v9
	global_store_b8 v[7:8], v3, off offset:4
	s_and_b32 exec_lo, exec_lo, vcc_lo
	s_cbranch_execz .LBB77_7
; %bb.6:
	s_waitcnt lgkmcnt(0)
	v_add_f32_e32 v2, v4, v5
	v_cvt_f16_f32_e32 v3, v6
	s_delay_alu instid0(VALU_DEP_2) | instskip(NEXT) | instid1(VALU_DEP_1)
	v_cvt_f16_f32_e32 v2, v2
	v_pack_b32_f16 v2, v3, v2
	global_store_b32 v[0:1], v2, off
.LBB77_7:
	s_nop 0
	s_sendmsg sendmsg(MSG_DEALLOC_VGPRS)
	s_endpgm
	.section	.rodata,"a",@progbits
	.p2align	6, 0x0
	.amdhsa_kernel _ZL13quantize_q8_1IN3c104HalfEEvPKT_Pvii
		.amdhsa_group_segment_fixed_size 0
		.amdhsa_private_segment_fixed_size 0
		.amdhsa_kernarg_size 280
		.amdhsa_user_sgpr_count 14
		.amdhsa_user_sgpr_dispatch_ptr 0
		.amdhsa_user_sgpr_queue_ptr 0
		.amdhsa_user_sgpr_kernarg_segment_ptr 1
		.amdhsa_user_sgpr_dispatch_id 0
		.amdhsa_user_sgpr_private_segment_size 0
		.amdhsa_wavefront_size32 1
		.amdhsa_uses_dynamic_stack 0
		.amdhsa_enable_private_segment 0
		.amdhsa_system_sgpr_workgroup_id_x 1
		.amdhsa_system_sgpr_workgroup_id_y 1
		.amdhsa_system_sgpr_workgroup_id_z 0
		.amdhsa_system_sgpr_workgroup_info 0
		.amdhsa_system_vgpr_workitem_id 1
		.amdhsa_next_free_vgpr 13
		.amdhsa_next_free_sgpr 16
		.amdhsa_reserve_vcc 1
		.amdhsa_float_round_mode_32 0
		.amdhsa_float_round_mode_16_64 0
		.amdhsa_float_denorm_mode_32 3
		.amdhsa_float_denorm_mode_16_64 3
		.amdhsa_dx10_clamp 1
		.amdhsa_ieee_mode 1
		.amdhsa_fp16_overflow 0
		.amdhsa_workgroup_processor_mode 1
		.amdhsa_memory_ordered 1
		.amdhsa_forward_progress 0
		.amdhsa_shared_vgpr_count 0
		.amdhsa_exception_fp_ieee_invalid_op 0
		.amdhsa_exception_fp_denorm_src 0
		.amdhsa_exception_fp_ieee_div_zero 0
		.amdhsa_exception_fp_ieee_overflow 0
		.amdhsa_exception_fp_ieee_underflow 0
		.amdhsa_exception_fp_ieee_inexact 0
		.amdhsa_exception_int_div_zero 0
	.end_amdhsa_kernel
	.section	.text._ZL13quantize_q8_1IN3c104HalfEEvPKT_Pvii,"axG",@progbits,_ZL13quantize_q8_1IN3c104HalfEEvPKT_Pvii,comdat
.Lfunc_end77:
	.size	_ZL13quantize_q8_1IN3c104HalfEEvPKT_Pvii, .Lfunc_end77-_ZL13quantize_q8_1IN3c104HalfEEvPKT_Pvii
                                        ; -- End function
	.section	.AMDGPU.csdata,"",@progbits
; Kernel info:
; codeLenInByte = 928
; NumSgprs: 18
; NumVgprs: 13
; ScratchSize: 0
; MemoryBound: 0
; FloatMode: 240
; IeeeMode: 1
; LDSByteSize: 0 bytes/workgroup (compile time only)
; SGPRBlocks: 2
; VGPRBlocks: 1
; NumSGPRsForWavesPerEU: 18
; NumVGPRsForWavesPerEU: 13
; Occupancy: 16
; WaveLimiterHint : 0
; COMPUTE_PGM_RSRC2:SCRATCH_EN: 0
; COMPUTE_PGM_RSRC2:USER_SGPR: 14
; COMPUTE_PGM_RSRC2:TRAP_HANDLER: 0
; COMPUTE_PGM_RSRC2:TGID_X_EN: 1
; COMPUTE_PGM_RSRC2:TGID_Y_EN: 1
; COMPUTE_PGM_RSRC2:TGID_Z_EN: 0
; COMPUTE_PGM_RSRC2:TIDIG_COMP_CNT: 1
	.section	.text._ZL13mul_mat_vec_qIN3c104HalfELi32ELi4E10block_q4_0Li2EXadL_ZL17vec_dot_q4_0_q8_1PKvPK10block_q8_1RKiEEEvS4_S4_PT_iii,"axG",@progbits,_ZL13mul_mat_vec_qIN3c104HalfELi32ELi4E10block_q4_0Li2EXadL_ZL17vec_dot_q4_0_q8_1PKvPK10block_q8_1RKiEEEvS4_S4_PT_iii,comdat
	.globl	_ZL13mul_mat_vec_qIN3c104HalfELi32ELi4E10block_q4_0Li2EXadL_ZL17vec_dot_q4_0_q8_1PKvPK10block_q8_1RKiEEEvS4_S4_PT_iii ; -- Begin function _ZL13mul_mat_vec_qIN3c104HalfELi32ELi4E10block_q4_0Li2EXadL_ZL17vec_dot_q4_0_q8_1PKvPK10block_q8_1RKiEEEvS4_S4_PT_iii
	.p2align	8
	.type	_ZL13mul_mat_vec_qIN3c104HalfELi32ELi4E10block_q4_0Li2EXadL_ZL17vec_dot_q4_0_q8_1PKvPK10block_q8_1RKiEEEvS4_S4_PT_iii,@function
_ZL13mul_mat_vec_qIN3c104HalfELi32ELi4E10block_q4_0Li2EXadL_ZL17vec_dot_q4_0_q8_1PKvPK10block_q8_1RKiEEEvS4_S4_PT_iii: ; @_ZL13mul_mat_vec_qIN3c104HalfELi32ELi4E10block_q4_0Li2EXadL_ZL17vec_dot_q4_0_q8_1PKvPK10block_q8_1RKiEEEvS4_S4_PT_iii
; %bb.0:
	s_clause 0x1
	s_load_b32 s2, s[0:1], 0x34
	s_load_b128 s[4:7], s[0:1], 0x18
	v_bfe_u32 v3, v0, 10, 10
	s_waitcnt lgkmcnt(0)
	s_lshr_b32 s2, s2, 16
	s_cmp_lt_u32 s15, s6
	s_delay_alu instid0(VALU_DEP_1) | instskip(SKIP_1) | instid1(VALU_DEP_1)
	v_mad_u64_u32 v[1:2], null, s14, s2, v[3:4]
	s_cselect_b32 s2, -1, 0
	v_cmp_gt_u32_e32 vcc_lo, s5, v1
	s_and_b32 s2, s2, vcc_lo
	s_delay_alu instid0(SALU_CYCLE_1)
	s_and_saveexec_b32 s3, s2
	s_cbranch_execz .LBB78_7
; %bb.1:
	s_load_b64 s[6:7], s[0:1], 0x10
	v_and_b32_e32 v0, 0x3ff, v0
	s_ashr_i32 s2, s4, 31
	v_mov_b32_e32 v2, 0
	s_lshr_b32 s2, s2, 27
	s_mov_b32 s8, exec_lo
	v_lshrrev_b32_e32 v3, 1, v0
	s_add_i32 s2, s4, s2
	s_delay_alu instid0(SALU_CYCLE_1)
	s_ashr_i32 s9, s2, 5
	s_delay_alu instid0(VALU_DEP_1) | instid1(SALU_CYCLE_1)
	v_cmpx_gt_u32_e64 s9, v3
	s_cbranch_execz .LBB78_5
; %bb.2:
	s_load_b128 s[0:3], s[0:1], 0x0
	s_addk_i32 s4, 0x1ff
	v_lshlrev_b32_e32 v2, 3, v0
	s_ashr_i32 s10, s4, 31
	v_mul_lo_u32 v4, v1, s9
	s_lshr_b32 s10, s10, 23
	s_delay_alu instid0(SALU_CYCLE_1) | instskip(SKIP_4) | instid1(SALU_CYCLE_1)
	s_add_i32 s4, s4, s10
	v_dual_mov_b32 v2, 0 :: v_dual_and_b32 v5, 8, v2
	s_ashr_i32 s4, s4, 9
	s_mov_b32 s10, 0
	s_mul_i32 s4, s15, s4
	s_lshl_b32 s4, s4, 4
.LBB78_3:                               ; =>This Inner Loop Header: Depth=1
	v_add_nc_u32_e32 v8, v4, v3
	v_add_nc_u32_e32 v10, s4, v3
	;; [unrolled: 1-line block ×3, first 2 shown]
	s_waitcnt lgkmcnt(0)
	s_delay_alu instid0(VALU_DEP_3) | instskip(NEXT) | instid1(VALU_DEP_3)
	v_mad_i64_i32 v[6:7], null, v8, 18, s[0:1]
	v_mad_i64_i32 v[8:9], null, v10, 36, s[2:3]
	s_delay_alu instid0(VALU_DEP_2) | instskip(NEXT) | instid1(VALU_DEP_3)
	v_add_co_u32 v10, vcc_lo, v6, v5
	v_add_co_ci_u32_e32 v11, vcc_lo, 0, v7, vcc_lo
	s_delay_alu instid0(VALU_DEP_3) | instskip(NEXT) | instid1(VALU_DEP_4)
	v_add_co_u32 v12, vcc_lo, v8, v5
	v_add_co_ci_u32_e32 v13, vcc_lo, 0, v9, vcc_lo
	v_cmp_le_u32_e32 vcc_lo, s9, v3
	global_load_b64 v[10:11], v[10:11], off offset:2
	s_clause 0x2
	global_load_b64 v[14:15], v[12:13], off offset:4
	global_load_b64 v[12:13], v[12:13], off offset:20
	global_load_b32 v8, v[8:9], off
	global_load_u16 v6, v[6:7], off
	s_or_b32 s10, vcc_lo, s10
	s_waitcnt vmcnt(4)
	v_and_b32_e32 v9, 15, v10
	s_waitcnt vmcnt(3)
	v_bfe_i32 v16, v14, 0, 8
	v_bfe_u32 v17, v10, 8, 4
	v_bfe_i32 v18, v14, 8, 8
	v_bfe_u32 v22, v10, 4, 4
	s_waitcnt vmcnt(2)
	v_bfe_i32 v23, v12, 0, 8
	v_and_b32_e32 v28, 15, v11
	v_bfe_i32 v29, v15, 0, 8
	v_mul_i32_i24_e32 v9, v16, v9
	v_bfe_u32 v19, v10, 16, 4
	v_bfe_i32 v20, v14, 16, 8
	v_bfe_u32 v21, v10, 24, 4
	v_ashrrev_i32_e32 v14, 24, v14
	v_mul_i32_i24_e32 v17, v17, v18
	v_mul_i32_i24_e32 v18, v29, v28
	v_mad_i32_i24 v9, v22, v23, v9
	v_bfe_u32 v7, v10, 20, 4
	v_bfe_u32 v24, v10, 12, 4
	v_bfe_i32 v25, v12, 8, 8
	v_bfe_i32 v26, v12, 16, 8
	v_mul_i32_i24_e32 v19, v19, v20
	v_mul_i32_i24_e32 v14, v21, v14
	v_add3_u32 v9, v9, v18, v17
	v_lshrrev_b32_e32 v10, 28, v10
	v_ashrrev_i32_e32 v12, 24, v12
	v_bfe_u32 v17, v11, 4, 4
	v_bfe_i32 v18, v13, 0, 8
	v_mul_i32_i24_e32 v20, v24, v25
	v_mul_i32_i24_e32 v7, v7, v26
	v_add3_u32 v9, v9, v19, v14
	v_bfe_u32 v30, v11, 8, 4
	v_bfe_i32 v16, v15, 8, 8
	v_bfe_u32 v31, v11, 16, 4
	v_bfe_i32 v22, v15, 16, 8
	v_mul_i32_i24_e32 v10, v10, v12
	v_mul_i32_i24_e32 v12, v17, v18
	v_add3_u32 v7, v9, v20, v7
	v_bfe_u32 v23, v11, 24, 4
	v_ashrrev_i32_e32 v14, 24, v15
	v_bfe_u32 v15, v11, 12, 4
	v_bfe_i32 v9, v13, 8, 8
	v_mul_i32_i24_e32 v16, v30, v16
	v_mul_i32_i24_e32 v18, v31, v22
	v_add3_u32 v7, v7, v10, v12
	v_bfe_u32 v27, v11, 20, 4
	v_bfe_i32 v17, v13, 16, 8
	v_lshrrev_b32_e32 v10, 28, v11
	v_ashrrev_i32_e32 v11, 24, v13
	v_mul_i32_i24_e32 v12, v23, v14
	v_mul_i32_i24_e32 v9, v15, v9
	v_add3_u32 v7, v7, v16, v18
	s_waitcnt vmcnt(1)
	v_lshrrev_b32_e32 v13, 16, v8
	v_mul_i32_i24_e32 v14, v27, v17
	v_mul_i32_i24_e32 v10, v10, v11
	v_add3_u32 v7, v7, v12, v9
	s_delay_alu instid0(VALU_DEP_4) | instskip(NEXT) | instid1(VALU_DEP_2)
	v_cvt_f32_f16_e32 v9, v13
	v_add3_u32 v7, v7, v14, v10
	s_delay_alu instid0(VALU_DEP_2) | instskip(NEXT) | instid1(VALU_DEP_2)
	v_mul_f32_e32 v9, -4.0, v9
	v_cvt_f32_i32_e32 v7, v7
	s_delay_alu instid0(VALU_DEP_1) | instskip(SKIP_1) | instid1(VALU_DEP_1)
	v_fma_mix_f32 v7, v8, v7, v9 op_sel_hi:[1,0,0]
	s_waitcnt vmcnt(0)
	v_fma_mix_f32 v2, v7, v6, v2 op_sel_hi:[0,1,0]
	s_and_not1_b32 exec_lo, exec_lo, s10
	s_cbranch_execnz .LBB78_3
; %bb.4:
	s_or_b32 exec_lo, exec_lo, s10
.LBB78_5:
	s_delay_alu instid0(SALU_CYCLE_1) | instskip(SKIP_1) | instid1(VALU_DEP_1)
	s_or_b32 exec_lo, exec_lo, s8
	v_mbcnt_lo_u32_b32 v3, -1, 0
	v_xor_b32_e32 v4, 16, v3
	v_xor_b32_e32 v5, 8, v3
	s_delay_alu instid0(VALU_DEP_2) | instskip(SKIP_1) | instid1(VALU_DEP_3)
	v_cmp_gt_i32_e32 vcc_lo, 32, v4
	v_cndmask_b32_e32 v4, v3, v4, vcc_lo
	v_cmp_gt_i32_e32 vcc_lo, 32, v5
	v_cndmask_b32_e32 v5, v3, v5, vcc_lo
	s_delay_alu instid0(VALU_DEP_1) | instskip(NEXT) | instid1(VALU_DEP_4)
	v_lshlrev_b32_e32 v5, 2, v5
	v_lshlrev_b32_e32 v4, 2, v4
	ds_bpermute_b32 v4, v4, v2
	s_waitcnt lgkmcnt(0)
	v_add_f32_e32 v2, v2, v4
	ds_bpermute_b32 v4, v5, v2
	v_xor_b32_e32 v5, 4, v3
	s_delay_alu instid0(VALU_DEP_1) | instskip(SKIP_2) | instid1(VALU_DEP_1)
	v_cmp_gt_i32_e32 vcc_lo, 32, v5
	v_cndmask_b32_e32 v5, v3, v5, vcc_lo
	s_waitcnt lgkmcnt(0)
	v_dual_add_f32 v2, v2, v4 :: v_dual_lshlrev_b32 v5, 2, v5
	ds_bpermute_b32 v4, v5, v2
	v_xor_b32_e32 v5, 2, v3
	s_delay_alu instid0(VALU_DEP_1) | instskip(SKIP_2) | instid1(VALU_DEP_1)
	v_cmp_gt_i32_e32 vcc_lo, 32, v5
	s_waitcnt lgkmcnt(0)
	v_dual_cndmask_b32 v5, v3, v5 :: v_dual_add_f32 v2, v2, v4
	v_lshlrev_b32_e32 v5, 2, v5
	ds_bpermute_b32 v4, v5, v2
	v_xor_b32_e32 v5, 1, v3
	s_delay_alu instid0(VALU_DEP_1) | instskip(SKIP_3) | instid1(VALU_DEP_2)
	v_cmp_gt_i32_e32 vcc_lo, 32, v5
	v_cndmask_b32_e32 v3, v3, v5, vcc_lo
	v_cmp_eq_u32_e32 vcc_lo, 0, v0
	s_waitcnt lgkmcnt(0)
	v_dual_add_f32 v2, v2, v4 :: v_dual_lshlrev_b32 v3, 2, v3
	ds_bpermute_b32 v3, v3, v2
	s_and_b32 exec_lo, exec_lo, vcc_lo
	s_cbranch_execz .LBB78_7
; %bb.6:
	v_mad_u64_u32 v[4:5], null, s15, s5, v[1:2]
	s_waitcnt lgkmcnt(0)
	v_dual_mov_b32 v5, 0 :: v_dual_add_f32 v2, v2, v3
	s_delay_alu instid0(VALU_DEP_1) | instskip(NEXT) | instid1(VALU_DEP_2)
	v_cvt_f16_f32_e32 v2, v2
	v_lshlrev_b64 v[0:1], 1, v[4:5]
	s_delay_alu instid0(VALU_DEP_1) | instskip(NEXT) | instid1(VALU_DEP_2)
	v_add_co_u32 v0, vcc_lo, s6, v0
	v_add_co_ci_u32_e32 v1, vcc_lo, s7, v1, vcc_lo
	global_store_b16 v[0:1], v2, off
.LBB78_7:
	s_nop 0
	s_sendmsg sendmsg(MSG_DEALLOC_VGPRS)
	s_endpgm
	.section	.rodata,"a",@progbits
	.p2align	6, 0x0
	.amdhsa_kernel _ZL13mul_mat_vec_qIN3c104HalfELi32ELi4E10block_q4_0Li2EXadL_ZL17vec_dot_q4_0_q8_1PKvPK10block_q8_1RKiEEEvS4_S4_PT_iii
		.amdhsa_group_segment_fixed_size 0
		.amdhsa_private_segment_fixed_size 0
		.amdhsa_kernarg_size 296
		.amdhsa_user_sgpr_count 14
		.amdhsa_user_sgpr_dispatch_ptr 0
		.amdhsa_user_sgpr_queue_ptr 0
		.amdhsa_user_sgpr_kernarg_segment_ptr 1
		.amdhsa_user_sgpr_dispatch_id 0
		.amdhsa_user_sgpr_private_segment_size 0
		.amdhsa_wavefront_size32 1
		.amdhsa_uses_dynamic_stack 0
		.amdhsa_enable_private_segment 0
		.amdhsa_system_sgpr_workgroup_id_x 1
		.amdhsa_system_sgpr_workgroup_id_y 1
		.amdhsa_system_sgpr_workgroup_id_z 0
		.amdhsa_system_sgpr_workgroup_info 0
		.amdhsa_system_vgpr_workitem_id 1
		.amdhsa_next_free_vgpr 32
		.amdhsa_next_free_sgpr 16
		.amdhsa_reserve_vcc 1
		.amdhsa_float_round_mode_32 0
		.amdhsa_float_round_mode_16_64 0
		.amdhsa_float_denorm_mode_32 3
		.amdhsa_float_denorm_mode_16_64 3
		.amdhsa_dx10_clamp 1
		.amdhsa_ieee_mode 1
		.amdhsa_fp16_overflow 0
		.amdhsa_workgroup_processor_mode 1
		.amdhsa_memory_ordered 1
		.amdhsa_forward_progress 0
		.amdhsa_shared_vgpr_count 0
		.amdhsa_exception_fp_ieee_invalid_op 0
		.amdhsa_exception_fp_denorm_src 0
		.amdhsa_exception_fp_ieee_div_zero 0
		.amdhsa_exception_fp_ieee_overflow 0
		.amdhsa_exception_fp_ieee_underflow 0
		.amdhsa_exception_fp_ieee_inexact 0
		.amdhsa_exception_int_div_zero 0
	.end_amdhsa_kernel
	.section	.text._ZL13mul_mat_vec_qIN3c104HalfELi32ELi4E10block_q4_0Li2EXadL_ZL17vec_dot_q4_0_q8_1PKvPK10block_q8_1RKiEEEvS4_S4_PT_iii,"axG",@progbits,_ZL13mul_mat_vec_qIN3c104HalfELi32ELi4E10block_q4_0Li2EXadL_ZL17vec_dot_q4_0_q8_1PKvPK10block_q8_1RKiEEEvS4_S4_PT_iii,comdat
.Lfunc_end78:
	.size	_ZL13mul_mat_vec_qIN3c104HalfELi32ELi4E10block_q4_0Li2EXadL_ZL17vec_dot_q4_0_q8_1PKvPK10block_q8_1RKiEEEvS4_S4_PT_iii, .Lfunc_end78-_ZL13mul_mat_vec_qIN3c104HalfELi32ELi4E10block_q4_0Li2EXadL_ZL17vec_dot_q4_0_q8_1PKvPK10block_q8_1RKiEEEvS4_S4_PT_iii
                                        ; -- End function
	.section	.AMDGPU.csdata,"",@progbits
; Kernel info:
; codeLenInByte = 1020
; NumSgprs: 18
; NumVgprs: 32
; ScratchSize: 0
; MemoryBound: 0
; FloatMode: 240
; IeeeMode: 1
; LDSByteSize: 0 bytes/workgroup (compile time only)
; SGPRBlocks: 2
; VGPRBlocks: 3
; NumSGPRsForWavesPerEU: 18
; NumVGPRsForWavesPerEU: 32
; Occupancy: 16
; WaveLimiterHint : 0
; COMPUTE_PGM_RSRC2:SCRATCH_EN: 0
; COMPUTE_PGM_RSRC2:USER_SGPR: 14
; COMPUTE_PGM_RSRC2:TRAP_HANDLER: 0
; COMPUTE_PGM_RSRC2:TGID_X_EN: 1
; COMPUTE_PGM_RSRC2:TGID_Y_EN: 1
; COMPUTE_PGM_RSRC2:TGID_Z_EN: 0
; COMPUTE_PGM_RSRC2:TIDIG_COMP_CNT: 1
	.section	.text._ZL13mul_mat_vec_qIN3c104HalfELi32ELi4E10block_q4_1Li2EXadL_ZL17vec_dot_q4_1_q8_1PKvPK10block_q8_1RKiEEEvS4_S4_PT_iii,"axG",@progbits,_ZL13mul_mat_vec_qIN3c104HalfELi32ELi4E10block_q4_1Li2EXadL_ZL17vec_dot_q4_1_q8_1PKvPK10block_q8_1RKiEEEvS4_S4_PT_iii,comdat
	.globl	_ZL13mul_mat_vec_qIN3c104HalfELi32ELi4E10block_q4_1Li2EXadL_ZL17vec_dot_q4_1_q8_1PKvPK10block_q8_1RKiEEEvS4_S4_PT_iii ; -- Begin function _ZL13mul_mat_vec_qIN3c104HalfELi32ELi4E10block_q4_1Li2EXadL_ZL17vec_dot_q4_1_q8_1PKvPK10block_q8_1RKiEEEvS4_S4_PT_iii
	.p2align	8
	.type	_ZL13mul_mat_vec_qIN3c104HalfELi32ELi4E10block_q4_1Li2EXadL_ZL17vec_dot_q4_1_q8_1PKvPK10block_q8_1RKiEEEvS4_S4_PT_iii,@function
_ZL13mul_mat_vec_qIN3c104HalfELi32ELi4E10block_q4_1Li2EXadL_ZL17vec_dot_q4_1_q8_1PKvPK10block_q8_1RKiEEEvS4_S4_PT_iii: ; @_ZL13mul_mat_vec_qIN3c104HalfELi32ELi4E10block_q4_1Li2EXadL_ZL17vec_dot_q4_1_q8_1PKvPK10block_q8_1RKiEEEvS4_S4_PT_iii
; %bb.0:
	s_clause 0x1
	s_load_b32 s2, s[0:1], 0x34
	s_load_b128 s[4:7], s[0:1], 0x18
	v_bfe_u32 v3, v0, 10, 10
	s_waitcnt lgkmcnt(0)
	s_lshr_b32 s2, s2, 16
	s_cmp_lt_u32 s15, s6
	s_delay_alu instid0(VALU_DEP_1) | instskip(SKIP_1) | instid1(VALU_DEP_1)
	v_mad_u64_u32 v[1:2], null, s14, s2, v[3:4]
	s_cselect_b32 s2, -1, 0
	v_cmp_gt_u32_e32 vcc_lo, s5, v1
	s_and_b32 s2, s2, vcc_lo
	s_delay_alu instid0(SALU_CYCLE_1)
	s_and_saveexec_b32 s3, s2
	s_cbranch_execz .LBB79_7
; %bb.1:
	s_load_b64 s[6:7], s[0:1], 0x10
	v_and_b32_e32 v0, 0x3ff, v0
	s_ashr_i32 s2, s4, 31
	v_mov_b32_e32 v2, 0
	s_lshr_b32 s2, s2, 27
	s_mov_b32 s8, exec_lo
	v_lshrrev_b32_e32 v3, 1, v0
	s_add_i32 s2, s4, s2
	s_delay_alu instid0(SALU_CYCLE_1)
	s_ashr_i32 s9, s2, 5
	s_delay_alu instid0(VALU_DEP_1) | instid1(SALU_CYCLE_1)
	v_cmpx_gt_u32_e64 s9, v3
	s_cbranch_execz .LBB79_5
; %bb.2:
	s_load_b128 s[0:3], s[0:1], 0x0
	s_addk_i32 s4, 0x1ff
	v_lshlrev_b32_e32 v2, 3, v0
	s_ashr_i32 s10, s4, 31
	v_mul_lo_u32 v4, v1, s9
	s_lshr_b32 s10, s10, 23
	s_mov_b32 s11, 0.5
	s_add_i32 s4, s4, s10
	v_dual_mov_b32 v2, 0 :: v_dual_and_b32 v5, 8, v2
	s_ashr_i32 s4, s4, 9
	s_mov_b32 s10, 0
	s_mul_i32 s4, s15, s4
	s_delay_alu instid0(SALU_CYCLE_1)
	s_lshl_b32 s4, s4, 4
.LBB79_3:                               ; =>This Inner Loop Header: Depth=1
	v_add_nc_u32_e32 v8, v4, v3
	v_add_nc_u32_e32 v10, s4, v3
	;; [unrolled: 1-line block ×3, first 2 shown]
	s_waitcnt lgkmcnt(0)
	s_delay_alu instid0(VALU_DEP_3) | instskip(NEXT) | instid1(VALU_DEP_3)
	v_mad_i64_i32 v[6:7], null, v8, 20, s[0:1]
	v_mad_i64_i32 v[8:9], null, v10, 36, s[2:3]
	s_delay_alu instid0(VALU_DEP_2) | instskip(NEXT) | instid1(VALU_DEP_3)
	v_add_co_u32 v10, vcc_lo, v6, v5
	v_add_co_ci_u32_e32 v11, vcc_lo, 0, v7, vcc_lo
	s_delay_alu instid0(VALU_DEP_3) | instskip(NEXT) | instid1(VALU_DEP_4)
	v_add_co_u32 v12, vcc_lo, v8, v5
	v_add_co_ci_u32_e32 v13, vcc_lo, 0, v9, vcc_lo
	v_cmp_le_u32_e32 vcc_lo, s9, v3
	global_load_b64 v[10:11], v[10:11], off offset:4
	s_clause 0x1
	global_load_b64 v[14:15], v[12:13], off offset:4
	global_load_b64 v[12:13], v[12:13], off offset:20
	global_load_b32 v6, v[6:7], off
	global_load_b32 v7, v[8:9], off
	s_or_b32 s10, vcc_lo, s10
	s_waitcnt vmcnt(4)
	v_and_b32_e32 v9, 15, v10
	s_waitcnt vmcnt(3)
	v_bfe_i32 v16, v14, 0, 8
	v_bfe_u32 v17, v10, 8, 4
	v_bfe_i32 v18, v14, 8, 8
	v_bfe_u32 v19, v10, 16, 4
	;; [unrolled: 2-line block ×3, first 2 shown]
	s_waitcnt vmcnt(2)
	v_bfe_i32 v23, v12, 0, 8
	v_mul_i32_i24_e32 v9, v16, v9
	v_bfe_u32 v21, v10, 24, 4
	v_ashrrev_i32_e32 v14, 24, v14
	v_bfe_u32 v24, v10, 12, 4
	v_bfe_i32 v25, v12, 8, 8
	v_mul_i32_i24_e32 v17, v18, v17
	v_mul_i32_i24_e32 v18, v20, v19
	v_mad_i32_i24 v9, v23, v22, v9
	v_bfe_u32 v8, v10, 20, 4
	v_bfe_i32 v26, v12, 16, 8
	v_lshrrev_b32_e32 v10, 28, v10
	v_ashrrev_i32_e32 v12, 24, v12
	v_mul_i32_i24_e32 v14, v14, v21
	v_mul_i32_i24_e32 v21, v24, v25
	v_add3_u32 v9, v9, v17, v18
	v_and_b32_e32 v28, 15, v11
	v_bfe_i32 v29, v15, 0, 8
	v_bfe_u32 v17, v11, 4, 4
	v_bfe_i32 v18, v13, 0, 8
	v_mul_i32_i24_e32 v8, v8, v26
	v_mul_i32_i24_e32 v10, v10, v12
	v_add3_u32 v9, v9, v14, v21
	v_bfe_u32 v30, v11, 8, 4
	v_bfe_i32 v16, v15, 8, 8
	v_bfe_u32 v31, v11, 16, 4
	v_bfe_i32 v19, v15, 16, 8
	v_ashrrev_i32_e32 v12, 24, v15
	v_mul_i32_i24_e32 v15, v29, v28
	v_mul_i32_i24_e32 v17, v18, v17
	v_add3_u32 v8, v9, v8, v10
	v_bfe_u32 v20, v11, 24, 4
	v_bfe_u32 v14, v11, 12, 4
	v_bfe_i32 v9, v13, 8, 8
	v_mul_i32_i24_e32 v16, v16, v30
	v_mul_i32_i24_e32 v18, v19, v31
	v_add3_u32 v8, v8, v15, v17
	v_bfe_u32 v27, v11, 20, 4
	v_bfe_i32 v10, v13, 16, 8
	v_lshrrev_b32_e32 v11, 28, v11
	v_ashrrev_i32_e32 v13, 24, v13
	v_mul_i32_i24_e32 v12, v12, v20
	v_mul_i32_i24_e32 v9, v14, v9
	v_add3_u32 v8, v8, v16, v18
	v_mul_i32_i24_e32 v10, v27, v10
	v_mul_i32_i24_e32 v11, v11, v13
	s_waitcnt vmcnt(0)
	v_pk_mul_f16 v6, v6, v7
	v_add3_u32 v8, v8, v12, v9
	s_delay_alu instid0(VALU_DEP_1) | instskip(NEXT) | instid1(VALU_DEP_3)
	v_add3_u32 v7, v8, v10, v11
	v_cvt_f32_f16_e32 v8, v6
	s_delay_alu instid0(VALU_DEP_2) | instskip(NEXT) | instid1(VALU_DEP_1)
	v_cvt_f32_i32_e32 v7, v7
	v_mul_f32_e32 v7, v8, v7
	s_delay_alu instid0(VALU_DEP_1) | instskip(NEXT) | instid1(VALU_DEP_1)
	v_fma_mix_f32 v6, v6, s11, v7 op_sel:[1,0,0] op_sel_hi:[1,0,0]
	v_add_f32_e32 v2, v2, v6
	s_and_not1_b32 exec_lo, exec_lo, s10
	s_cbranch_execnz .LBB79_3
; %bb.4:
	s_or_b32 exec_lo, exec_lo, s10
.LBB79_5:
	s_delay_alu instid0(SALU_CYCLE_1) | instskip(SKIP_1) | instid1(VALU_DEP_1)
	s_or_b32 exec_lo, exec_lo, s8
	v_mbcnt_lo_u32_b32 v3, -1, 0
	v_xor_b32_e32 v4, 16, v3
	v_xor_b32_e32 v5, 8, v3
	s_delay_alu instid0(VALU_DEP_2) | instskip(SKIP_1) | instid1(VALU_DEP_3)
	v_cmp_gt_i32_e32 vcc_lo, 32, v4
	v_cndmask_b32_e32 v4, v3, v4, vcc_lo
	v_cmp_gt_i32_e32 vcc_lo, 32, v5
	v_cndmask_b32_e32 v5, v3, v5, vcc_lo
	s_delay_alu instid0(VALU_DEP_1) | instskip(NEXT) | instid1(VALU_DEP_4)
	v_lshlrev_b32_e32 v5, 2, v5
	v_lshlrev_b32_e32 v4, 2, v4
	ds_bpermute_b32 v4, v4, v2
	s_waitcnt lgkmcnt(0)
	v_add_f32_e32 v2, v2, v4
	ds_bpermute_b32 v4, v5, v2
	v_xor_b32_e32 v5, 4, v3
	s_delay_alu instid0(VALU_DEP_1) | instskip(SKIP_2) | instid1(VALU_DEP_1)
	v_cmp_gt_i32_e32 vcc_lo, 32, v5
	v_cndmask_b32_e32 v5, v3, v5, vcc_lo
	s_waitcnt lgkmcnt(0)
	v_dual_add_f32 v2, v2, v4 :: v_dual_lshlrev_b32 v5, 2, v5
	ds_bpermute_b32 v4, v5, v2
	v_xor_b32_e32 v5, 2, v3
	s_delay_alu instid0(VALU_DEP_1) | instskip(SKIP_2) | instid1(VALU_DEP_1)
	v_cmp_gt_i32_e32 vcc_lo, 32, v5
	s_waitcnt lgkmcnt(0)
	v_dual_cndmask_b32 v5, v3, v5 :: v_dual_add_f32 v2, v2, v4
	v_lshlrev_b32_e32 v5, 2, v5
	ds_bpermute_b32 v4, v5, v2
	v_xor_b32_e32 v5, 1, v3
	s_delay_alu instid0(VALU_DEP_1) | instskip(SKIP_3) | instid1(VALU_DEP_2)
	v_cmp_gt_i32_e32 vcc_lo, 32, v5
	v_cndmask_b32_e32 v3, v3, v5, vcc_lo
	v_cmp_eq_u32_e32 vcc_lo, 0, v0
	s_waitcnt lgkmcnt(0)
	v_dual_add_f32 v2, v2, v4 :: v_dual_lshlrev_b32 v3, 2, v3
	ds_bpermute_b32 v3, v3, v2
	s_and_b32 exec_lo, exec_lo, vcc_lo
	s_cbranch_execz .LBB79_7
; %bb.6:
	v_mad_u64_u32 v[4:5], null, s15, s5, v[1:2]
	s_waitcnt lgkmcnt(0)
	v_dual_mov_b32 v5, 0 :: v_dual_add_f32 v2, v2, v3
	s_delay_alu instid0(VALU_DEP_1) | instskip(NEXT) | instid1(VALU_DEP_2)
	v_cvt_f16_f32_e32 v2, v2
	v_lshlrev_b64 v[0:1], 1, v[4:5]
	s_delay_alu instid0(VALU_DEP_1) | instskip(NEXT) | instid1(VALU_DEP_2)
	v_add_co_u32 v0, vcc_lo, s6, v0
	v_add_co_ci_u32_e32 v1, vcc_lo, s7, v1, vcc_lo
	global_store_b16 v[0:1], v2, off
.LBB79_7:
	s_nop 0
	s_sendmsg sendmsg(MSG_DEALLOC_VGPRS)
	s_endpgm
	.section	.rodata,"a",@progbits
	.p2align	6, 0x0
	.amdhsa_kernel _ZL13mul_mat_vec_qIN3c104HalfELi32ELi4E10block_q4_1Li2EXadL_ZL17vec_dot_q4_1_q8_1PKvPK10block_q8_1RKiEEEvS4_S4_PT_iii
		.amdhsa_group_segment_fixed_size 0
		.amdhsa_private_segment_fixed_size 0
		.amdhsa_kernarg_size 296
		.amdhsa_user_sgpr_count 14
		.amdhsa_user_sgpr_dispatch_ptr 0
		.amdhsa_user_sgpr_queue_ptr 0
		.amdhsa_user_sgpr_kernarg_segment_ptr 1
		.amdhsa_user_sgpr_dispatch_id 0
		.amdhsa_user_sgpr_private_segment_size 0
		.amdhsa_wavefront_size32 1
		.amdhsa_uses_dynamic_stack 0
		.amdhsa_enable_private_segment 0
		.amdhsa_system_sgpr_workgroup_id_x 1
		.amdhsa_system_sgpr_workgroup_id_y 1
		.amdhsa_system_sgpr_workgroup_id_z 0
		.amdhsa_system_sgpr_workgroup_info 0
		.amdhsa_system_vgpr_workitem_id 1
		.amdhsa_next_free_vgpr 32
		.amdhsa_next_free_sgpr 16
		.amdhsa_reserve_vcc 1
		.amdhsa_float_round_mode_32 0
		.amdhsa_float_round_mode_16_64 0
		.amdhsa_float_denorm_mode_32 3
		.amdhsa_float_denorm_mode_16_64 3
		.amdhsa_dx10_clamp 1
		.amdhsa_ieee_mode 1
		.amdhsa_fp16_overflow 0
		.amdhsa_workgroup_processor_mode 1
		.amdhsa_memory_ordered 1
		.amdhsa_forward_progress 0
		.amdhsa_shared_vgpr_count 0
		.amdhsa_exception_fp_ieee_invalid_op 0
		.amdhsa_exception_fp_denorm_src 0
		.amdhsa_exception_fp_ieee_div_zero 0
		.amdhsa_exception_fp_ieee_overflow 0
		.amdhsa_exception_fp_ieee_underflow 0
		.amdhsa_exception_fp_ieee_inexact 0
		.amdhsa_exception_int_div_zero 0
	.end_amdhsa_kernel
	.section	.text._ZL13mul_mat_vec_qIN3c104HalfELi32ELi4E10block_q4_1Li2EXadL_ZL17vec_dot_q4_1_q8_1PKvPK10block_q8_1RKiEEEvS4_S4_PT_iii,"axG",@progbits,_ZL13mul_mat_vec_qIN3c104HalfELi32ELi4E10block_q4_1Li2EXadL_ZL17vec_dot_q4_1_q8_1PKvPK10block_q8_1RKiEEEvS4_S4_PT_iii,comdat
.Lfunc_end79:
	.size	_ZL13mul_mat_vec_qIN3c104HalfELi32ELi4E10block_q4_1Li2EXadL_ZL17vec_dot_q4_1_q8_1PKvPK10block_q8_1RKiEEEvS4_S4_PT_iii, .Lfunc_end79-_ZL13mul_mat_vec_qIN3c104HalfELi32ELi4E10block_q4_1Li2EXadL_ZL17vec_dot_q4_1_q8_1PKvPK10block_q8_1RKiEEEvS4_S4_PT_iii
                                        ; -- End function
	.section	.AMDGPU.csdata,"",@progbits
; Kernel info:
; codeLenInByte = 1020
; NumSgprs: 18
; NumVgprs: 32
; ScratchSize: 0
; MemoryBound: 0
; FloatMode: 240
; IeeeMode: 1
; LDSByteSize: 0 bytes/workgroup (compile time only)
; SGPRBlocks: 2
; VGPRBlocks: 3
; NumSGPRsForWavesPerEU: 18
; NumVGPRsForWavesPerEU: 32
; Occupancy: 16
; WaveLimiterHint : 0
; COMPUTE_PGM_RSRC2:SCRATCH_EN: 0
; COMPUTE_PGM_RSRC2:USER_SGPR: 14
; COMPUTE_PGM_RSRC2:TRAP_HANDLER: 0
; COMPUTE_PGM_RSRC2:TGID_X_EN: 1
; COMPUTE_PGM_RSRC2:TGID_Y_EN: 1
; COMPUTE_PGM_RSRC2:TGID_Z_EN: 0
; COMPUTE_PGM_RSRC2:TIDIG_COMP_CNT: 1
	.section	.text._ZL13mul_mat_vec_qIN3c104HalfELi32ELi4E10block_q5_0Li2EXadL_ZL17vec_dot_q5_0_q8_1PKvPK10block_q8_1RKiEEEvS4_S4_PT_iii,"axG",@progbits,_ZL13mul_mat_vec_qIN3c104HalfELi32ELi4E10block_q5_0Li2EXadL_ZL17vec_dot_q5_0_q8_1PKvPK10block_q8_1RKiEEEvS4_S4_PT_iii,comdat
	.globl	_ZL13mul_mat_vec_qIN3c104HalfELi32ELi4E10block_q5_0Li2EXadL_ZL17vec_dot_q5_0_q8_1PKvPK10block_q8_1RKiEEEvS4_S4_PT_iii ; -- Begin function _ZL13mul_mat_vec_qIN3c104HalfELi32ELi4E10block_q5_0Li2EXadL_ZL17vec_dot_q5_0_q8_1PKvPK10block_q8_1RKiEEEvS4_S4_PT_iii
	.p2align	8
	.type	_ZL13mul_mat_vec_qIN3c104HalfELi32ELi4E10block_q5_0Li2EXadL_ZL17vec_dot_q5_0_q8_1PKvPK10block_q8_1RKiEEEvS4_S4_PT_iii,@function
_ZL13mul_mat_vec_qIN3c104HalfELi32ELi4E10block_q5_0Li2EXadL_ZL17vec_dot_q5_0_q8_1PKvPK10block_q8_1RKiEEEvS4_S4_PT_iii: ; @_ZL13mul_mat_vec_qIN3c104HalfELi32ELi4E10block_q5_0Li2EXadL_ZL17vec_dot_q5_0_q8_1PKvPK10block_q8_1RKiEEEvS4_S4_PT_iii
; %bb.0:
	s_clause 0x1
	s_load_b32 s2, s[0:1], 0x34
	s_load_b128 s[4:7], s[0:1], 0x18
	v_bfe_u32 v3, v0, 10, 10
	s_waitcnt lgkmcnt(0)
	s_lshr_b32 s2, s2, 16
	s_cmp_lt_u32 s15, s6
	s_delay_alu instid0(VALU_DEP_1) | instskip(SKIP_1) | instid1(VALU_DEP_1)
	v_mad_u64_u32 v[1:2], null, s14, s2, v[3:4]
	s_cselect_b32 s2, -1, 0
	v_cmp_gt_u32_e32 vcc_lo, s5, v1
	s_and_b32 s2, s2, vcc_lo
	s_delay_alu instid0(SALU_CYCLE_1)
	s_and_saveexec_b32 s3, s2
	s_cbranch_execz .LBB80_7
; %bb.1:
	s_load_b64 s[6:7], s[0:1], 0x10
	v_dual_mov_b32 v3, 0 :: v_dual_and_b32 v0, 0x3ff, v0
	s_ashr_i32 s2, s4, 31
	s_mov_b32 s8, exec_lo
	s_lshr_b32 s2, s2, 27
	s_delay_alu instid0(VALU_DEP_1) | instskip(SKIP_1) | instid1(SALU_CYCLE_1)
	v_lshrrev_b32_e32 v2, 1, v0
	s_add_i32 s2, s4, s2
	s_ashr_i32 s9, s2, 5
	s_delay_alu instid0(VALU_DEP_1) | instid1(SALU_CYCLE_1)
	v_cmpx_gt_u32_e64 s9, v2
	s_cbranch_execz .LBB80_5
; %bb.2:
	s_load_b128 s[0:3], s[0:1], 0x0
	v_lshlrev_b32_e32 v3, 3, v0
	s_addk_i32 s4, 0x1ff
	v_mul_lo_u32 v5, v1, s9
	s_ashr_i32 s10, s4, 31
	s_delay_alu instid0(SALU_CYCLE_1) | instskip(SKIP_2) | instid1(SALU_CYCLE_1)
	s_lshr_b32 s10, s10, 23
	v_dual_mov_b32 v3, 0 :: v_dual_and_b32 v4, 8, v3
	s_add_i32 s4, s4, s10
	s_ashr_i32 s4, s4, 9
	s_delay_alu instid0(VALU_DEP_1) | instskip(SKIP_1) | instid1(SALU_CYCLE_1)
	v_or_b32_e32 v6, 4, v4
	s_mul_i32 s4, s15, s4
	s_lshl_b32 s10, s4, 4
	s_mov_b32 s4, 0
.LBB80_3:                               ; =>This Inner Loop Header: Depth=1
	v_add_nc_u32_e32 v9, v5, v2
	v_add_nc_u32_e32 v11, s10, v2
	;; [unrolled: 1-line block ×3, first 2 shown]
	s_waitcnt lgkmcnt(0)
	s_delay_alu instid0(VALU_DEP_3) | instskip(NEXT) | instid1(VALU_DEP_3)
	v_mad_i64_i32 v[7:8], null, v9, 22, s[0:1]
	v_mad_i64_i32 v[9:10], null, v11, 36, s[2:3]
	s_clause 0x1
	global_load_b32 v15, v[7:8], off
	global_load_u16 v16, v[7:8], off offset:4
	v_add_co_u32 v7, vcc_lo, v7, v4
	v_add_co_ci_u32_e32 v8, vcc_lo, 0, v8, vcc_lo
	v_add_co_u32 v11, vcc_lo, v9, v4
	v_add_co_ci_u32_e32 v12, vcc_lo, 0, v10, vcc_lo
	global_load_b32 v17, v[7:8], off offset:6
	global_load_b64 v[13:14], v[11:12], off offset:4
	global_load_b32 v18, v[7:8], off offset:10
	s_clause 0x1
	global_load_b64 v[7:8], v[11:12], off offset:20
	global_load_b32 v9, v[9:10], off
	v_cmp_le_u32_e32 vcc_lo, s9, v2
	s_or_b32 s4, vcc_lo, s4
	s_waitcnt vmcnt(5)
	v_perm_b32 v10, v15, v16, 0x1000706
	s_delay_alu instid0(VALU_DEP_1)
	v_ashrrev_i32_e32 v11, v4, v10
	v_ashrrev_i32_e32 v10, v6, v10
	s_waitcnt vmcnt(4)
	v_and_b32_e32 v12, 0xf0f0f0f, v17
	v_lshrrev_b32_e32 v17, 4, v17
	s_waitcnt vmcnt(2)
	v_and_b32_e32 v24, 0xf0f0f0f, v18
	v_lshlrev_b32_e32 v34, 25, v11
	v_lshlrev_b32_e32 v32, 11, v11
	v_lshl_or_b32 v31, v11, 4, v12
	v_lshlrev_b32_e32 v33, 18, v11
	v_lshrrev_b32_e32 v35, 12, v11
	v_lshrrev_b32_e32 v36, 5, v11
	v_lshlrev_b32_e32 v37, 2, v11
	v_lshlrev_b32_e32 v11, 9, v11
	v_and_b32_e32 v34, 0x10000000, v34
	v_and_b32_e32 v17, 0xf0f0f0f, v17
	;; [unrolled: 1-line block ×3, first 2 shown]
	v_bfe_i32 v16, v13, 0, 8
	v_and_b32_e32 v11, 0x10000000, v11
	v_and_or_b32 v33, 0x100000, v33, v34
	v_lshl_or_b32 v38, v10, 4, v24
	v_and_b32_e32 v31, 31, v31
	v_and_or_b32 v35, v35, 16, v17
	v_and_b32_e32 v36, 0x1000, v36
	v_and_or_b32 v11, 0x100000, v37, v11
	v_or3_b32 v12, v33, v32, v12
	v_bfe_i32 v19, v13, 8, 8
	s_waitcnt vmcnt(1)
	v_bfe_i32 v21, v7, 0, 8
	v_bfe_i32 v25, v14, 0, 8
	v_lshrrev_b32_e32 v18, 4, v18
	v_lshlrev_b32_e32 v41, 25, v10
	v_and_b32_e32 v38, 31, v38
	v_mul_i32_i24_e32 v16, v31, v16
	v_and_b32_e32 v31, 31, v35
	v_or3_b32 v11, v11, v36, v17
	v_bfe_u32 v17, v12, 8, 5
	v_bfe_i32 v20, v13, 16, 8
	v_ashrrev_i32_e32 v13, 24, v13
	v_lshlrev_b32_e32 v39, 11, v10
	v_lshlrev_b32_e32 v40, 18, v10
	v_and_b32_e32 v18, 0xf0f0f0f, v18
	v_lshrrev_b32_e32 v42, 12, v10
	v_lshrrev_b32_e32 v43, 5, v10
	v_lshlrev_b32_e32 v44, 2, v10
	v_lshlrev_b32_e32 v10, 9, v10
	v_and_b32_e32 v41, 0x10000000, v41
	v_mul_i32_i24_e32 v25, v38, v25
	v_mad_i32_i24 v16, v31, v21, v16
	v_bfe_u32 v21, v12, 16, 5
	v_lshrrev_b32_e32 v12, 24, v12
	v_mul_i32_i24_e32 v17, v17, v19
	v_bfe_i32 v22, v7, 8, 8
	v_bfe_i32 v23, v7, 16, 8
	v_and_b32_e32 v39, 0x1000, v39
	v_and_or_b32 v42, v42, 16, v18
	v_and_b32_e32 v10, 0x10000000, v10
	v_and_or_b32 v34, 0x100000, v40, v41
	v_bfe_u32 v19, v11, 8, 5
	v_bfe_u32 v31, v11, 16, 5
	v_mul_i32_i24_e32 v20, v21, v20
	v_mul_i32_i24_e32 v12, v12, v13
	v_add3_u32 v13, v16, v25, v17
	v_ashrrev_i32_e32 v7, 24, v7
	v_bfe_i32 v28, v8, 0, 8
	v_and_b32_e32 v43, 0x1000, v43
	v_and_or_b32 v10, 0x100000, v44, v10
	v_and_b32_e32 v32, 31, v42
	v_or3_b32 v24, v34, v39, v24
	v_lshrrev_b32_e32 v11, 24, v11
	v_mul_i32_i24_e32 v16, v19, v22
	v_mul_i32_i24_e32 v17, v31, v23
	v_add3_u32 v12, v13, v20, v12
	v_bfe_i32 v26, v14, 8, 8
	v_bfe_i32 v27, v14, 16, 8
	v_or3_b32 v10, v10, v43, v18
	v_mul_i32_i24_e32 v13, v32, v28
	v_bfe_u32 v18, v24, 8, 5
	v_bfe_u32 v19, v24, 16, 5
	v_mul_i32_i24_e32 v7, v11, v7
	v_add3_u32 v11, v12, v16, v17
	v_ashrrev_i32_e32 v14, 24, v14
	v_bfe_i32 v29, v8, 8, 8
	v_lshrrev_b32_e32 v12, 24, v24
	v_bfe_u32 v16, v10, 8, 5
	v_mul_i32_i24_e32 v17, v18, v26
	v_mul_i32_i24_e32 v18, v19, v27
	v_add3_u32 v7, v11, v7, v13
	v_bfe_i32 v30, v8, 16, 8
	v_ashrrev_i32_e32 v8, 24, v8
	v_bfe_u32 v11, v10, 16, 5
	v_lshrrev_b32_e32 v10, 24, v10
	v_mul_i32_i24_e32 v12, v12, v14
	v_mul_i32_i24_e32 v13, v16, v29
	v_add3_u32 v7, v7, v17, v18
	s_waitcnt vmcnt(0)
	v_lshrrev_b32_e32 v14, 16, v9
	v_mul_i32_i24_e32 v11, v11, v30
	v_mul_i32_i24_e32 v8, v10, v8
	v_add3_u32 v7, v7, v12, v13
	s_delay_alu instid0(VALU_DEP_4) | instskip(NEXT) | instid1(VALU_DEP_2)
	v_cvt_f32_f16_e32 v10, v14
	v_add3_u32 v7, v7, v11, v8
	s_delay_alu instid0(VALU_DEP_2) | instskip(NEXT) | instid1(VALU_DEP_2)
	v_mul_f32_e32 v8, 0xc1000000, v10
	v_cvt_f32_i32_e32 v7, v7
	s_delay_alu instid0(VALU_DEP_1) | instskip(NEXT) | instid1(VALU_DEP_1)
	v_fma_mix_f32 v7, v9, v7, v8 op_sel_hi:[1,0,0]
	v_fma_mix_f32 v3, v7, v15, v3 op_sel_hi:[0,1,0]
	s_and_not1_b32 exec_lo, exec_lo, s4
	s_cbranch_execnz .LBB80_3
; %bb.4:
	s_or_b32 exec_lo, exec_lo, s4
.LBB80_5:
	s_delay_alu instid0(SALU_CYCLE_1) | instskip(SKIP_1) | instid1(VALU_DEP_1)
	s_or_b32 exec_lo, exec_lo, s8
	v_mbcnt_lo_u32_b32 v2, -1, 0
	v_xor_b32_e32 v4, 16, v2
	v_xor_b32_e32 v5, 8, v2
	s_delay_alu instid0(VALU_DEP_2) | instskip(SKIP_1) | instid1(VALU_DEP_3)
	v_cmp_gt_i32_e32 vcc_lo, 32, v4
	v_cndmask_b32_e32 v4, v2, v4, vcc_lo
	v_cmp_gt_i32_e32 vcc_lo, 32, v5
	v_cndmask_b32_e32 v5, v2, v5, vcc_lo
	s_delay_alu instid0(VALU_DEP_1) | instskip(NEXT) | instid1(VALU_DEP_4)
	v_lshlrev_b32_e32 v5, 2, v5
	v_lshlrev_b32_e32 v4, 2, v4
	ds_bpermute_b32 v4, v4, v3
	s_waitcnt lgkmcnt(0)
	v_add_f32_e32 v3, v3, v4
	ds_bpermute_b32 v4, v5, v3
	v_xor_b32_e32 v5, 4, v2
	s_delay_alu instid0(VALU_DEP_1) | instskip(SKIP_1) | instid1(VALU_DEP_1)
	v_cmp_gt_i32_e32 vcc_lo, 32, v5
	v_cndmask_b32_e32 v5, v2, v5, vcc_lo
	v_lshlrev_b32_e32 v5, 2, v5
	s_waitcnt lgkmcnt(0)
	v_add_f32_e32 v3, v3, v4
	ds_bpermute_b32 v4, v5, v3
	v_xor_b32_e32 v5, 2, v2
	s_delay_alu instid0(VALU_DEP_1) | instskip(SKIP_1) | instid1(VALU_DEP_1)
	v_cmp_gt_i32_e32 vcc_lo, 32, v5
	v_cndmask_b32_e32 v5, v2, v5, vcc_lo
	v_lshlrev_b32_e32 v5, 2, v5
	s_waitcnt lgkmcnt(0)
	v_add_f32_e32 v3, v3, v4
	ds_bpermute_b32 v4, v5, v3
	v_xor_b32_e32 v5, 1, v2
	s_delay_alu instid0(VALU_DEP_1) | instskip(SKIP_3) | instid1(VALU_DEP_2)
	v_cmp_gt_i32_e32 vcc_lo, 32, v5
	v_cndmask_b32_e32 v5, v2, v5, vcc_lo
	v_cmp_eq_u32_e32 vcc_lo, 0, v0
	s_waitcnt lgkmcnt(0)
	v_dual_add_f32 v2, v3, v4 :: v_dual_lshlrev_b32 v3, 2, v5
	ds_bpermute_b32 v3, v3, v2
	s_and_b32 exec_lo, exec_lo, vcc_lo
	s_cbranch_execz .LBB80_7
; %bb.6:
	v_mad_u64_u32 v[4:5], null, s15, s5, v[1:2]
	s_waitcnt lgkmcnt(0)
	v_dual_mov_b32 v5, 0 :: v_dual_add_f32 v2, v2, v3
	s_delay_alu instid0(VALU_DEP_1) | instskip(NEXT) | instid1(VALU_DEP_2)
	v_cvt_f16_f32_e32 v2, v2
	v_lshlrev_b64 v[0:1], 1, v[4:5]
	s_delay_alu instid0(VALU_DEP_1) | instskip(NEXT) | instid1(VALU_DEP_2)
	v_add_co_u32 v0, vcc_lo, s6, v0
	v_add_co_ci_u32_e32 v1, vcc_lo, s7, v1, vcc_lo
	global_store_b16 v[0:1], v2, off
.LBB80_7:
	s_nop 0
	s_sendmsg sendmsg(MSG_DEALLOC_VGPRS)
	s_endpgm
	.section	.rodata,"a",@progbits
	.p2align	6, 0x0
	.amdhsa_kernel _ZL13mul_mat_vec_qIN3c104HalfELi32ELi4E10block_q5_0Li2EXadL_ZL17vec_dot_q5_0_q8_1PKvPK10block_q8_1RKiEEEvS4_S4_PT_iii
		.amdhsa_group_segment_fixed_size 0
		.amdhsa_private_segment_fixed_size 0
		.amdhsa_kernarg_size 296
		.amdhsa_user_sgpr_count 14
		.amdhsa_user_sgpr_dispatch_ptr 0
		.amdhsa_user_sgpr_queue_ptr 0
		.amdhsa_user_sgpr_kernarg_segment_ptr 1
		.amdhsa_user_sgpr_dispatch_id 0
		.amdhsa_user_sgpr_private_segment_size 0
		.amdhsa_wavefront_size32 1
		.amdhsa_uses_dynamic_stack 0
		.amdhsa_enable_private_segment 0
		.amdhsa_system_sgpr_workgroup_id_x 1
		.amdhsa_system_sgpr_workgroup_id_y 1
		.amdhsa_system_sgpr_workgroup_id_z 0
		.amdhsa_system_sgpr_workgroup_info 0
		.amdhsa_system_vgpr_workitem_id 1
		.amdhsa_next_free_vgpr 45
		.amdhsa_next_free_sgpr 16
		.amdhsa_reserve_vcc 1
		.amdhsa_float_round_mode_32 0
		.amdhsa_float_round_mode_16_64 0
		.amdhsa_float_denorm_mode_32 3
		.amdhsa_float_denorm_mode_16_64 3
		.amdhsa_dx10_clamp 1
		.amdhsa_ieee_mode 1
		.amdhsa_fp16_overflow 0
		.amdhsa_workgroup_processor_mode 1
		.amdhsa_memory_ordered 1
		.amdhsa_forward_progress 0
		.amdhsa_shared_vgpr_count 0
		.amdhsa_exception_fp_ieee_invalid_op 0
		.amdhsa_exception_fp_denorm_src 0
		.amdhsa_exception_fp_ieee_div_zero 0
		.amdhsa_exception_fp_ieee_overflow 0
		.amdhsa_exception_fp_ieee_underflow 0
		.amdhsa_exception_fp_ieee_inexact 0
		.amdhsa_exception_int_div_zero 0
	.end_amdhsa_kernel
	.section	.text._ZL13mul_mat_vec_qIN3c104HalfELi32ELi4E10block_q5_0Li2EXadL_ZL17vec_dot_q5_0_q8_1PKvPK10block_q8_1RKiEEEvS4_S4_PT_iii,"axG",@progbits,_ZL13mul_mat_vec_qIN3c104HalfELi32ELi4E10block_q5_0Li2EXadL_ZL17vec_dot_q5_0_q8_1PKvPK10block_q8_1RKiEEEvS4_S4_PT_iii,comdat
.Lfunc_end80:
	.size	_ZL13mul_mat_vec_qIN3c104HalfELi32ELi4E10block_q5_0Li2EXadL_ZL17vec_dot_q5_0_q8_1PKvPK10block_q8_1RKiEEEvS4_S4_PT_iii, .Lfunc_end80-_ZL13mul_mat_vec_qIN3c104HalfELi32ELi4E10block_q5_0Li2EXadL_ZL17vec_dot_q5_0_q8_1PKvPK10block_q8_1RKiEEEvS4_S4_PT_iii
                                        ; -- End function
	.section	.AMDGPU.csdata,"",@progbits
; Kernel info:
; codeLenInByte = 1324
; NumSgprs: 18
; NumVgprs: 45
; ScratchSize: 0
; MemoryBound: 0
; FloatMode: 240
; IeeeMode: 1
; LDSByteSize: 0 bytes/workgroup (compile time only)
; SGPRBlocks: 2
; VGPRBlocks: 5
; NumSGPRsForWavesPerEU: 18
; NumVGPRsForWavesPerEU: 45
; Occupancy: 16
; WaveLimiterHint : 0
; COMPUTE_PGM_RSRC2:SCRATCH_EN: 0
; COMPUTE_PGM_RSRC2:USER_SGPR: 14
; COMPUTE_PGM_RSRC2:TRAP_HANDLER: 0
; COMPUTE_PGM_RSRC2:TGID_X_EN: 1
; COMPUTE_PGM_RSRC2:TGID_Y_EN: 1
; COMPUTE_PGM_RSRC2:TGID_Z_EN: 0
; COMPUTE_PGM_RSRC2:TIDIG_COMP_CNT: 1
	.section	.text._ZL13mul_mat_vec_qIN3c104HalfELi32ELi4E10block_q5_1Li2EXadL_ZL17vec_dot_q5_1_q8_1PKvPK10block_q8_1RKiEEEvS4_S4_PT_iii,"axG",@progbits,_ZL13mul_mat_vec_qIN3c104HalfELi32ELi4E10block_q5_1Li2EXadL_ZL17vec_dot_q5_1_q8_1PKvPK10block_q8_1RKiEEEvS4_S4_PT_iii,comdat
	.globl	_ZL13mul_mat_vec_qIN3c104HalfELi32ELi4E10block_q5_1Li2EXadL_ZL17vec_dot_q5_1_q8_1PKvPK10block_q8_1RKiEEEvS4_S4_PT_iii ; -- Begin function _ZL13mul_mat_vec_qIN3c104HalfELi32ELi4E10block_q5_1Li2EXadL_ZL17vec_dot_q5_1_q8_1PKvPK10block_q8_1RKiEEEvS4_S4_PT_iii
	.p2align	8
	.type	_ZL13mul_mat_vec_qIN3c104HalfELi32ELi4E10block_q5_1Li2EXadL_ZL17vec_dot_q5_1_q8_1PKvPK10block_q8_1RKiEEEvS4_S4_PT_iii,@function
_ZL13mul_mat_vec_qIN3c104HalfELi32ELi4E10block_q5_1Li2EXadL_ZL17vec_dot_q5_1_q8_1PKvPK10block_q8_1RKiEEEvS4_S4_PT_iii: ; @_ZL13mul_mat_vec_qIN3c104HalfELi32ELi4E10block_q5_1Li2EXadL_ZL17vec_dot_q5_1_q8_1PKvPK10block_q8_1RKiEEEvS4_S4_PT_iii
; %bb.0:
	s_clause 0x1
	s_load_b32 s2, s[0:1], 0x34
	s_load_b128 s[4:7], s[0:1], 0x18
	v_bfe_u32 v3, v0, 10, 10
	s_waitcnt lgkmcnt(0)
	s_lshr_b32 s2, s2, 16
	s_cmp_lt_u32 s15, s6
	s_delay_alu instid0(VALU_DEP_1) | instskip(SKIP_1) | instid1(VALU_DEP_1)
	v_mad_u64_u32 v[1:2], null, s14, s2, v[3:4]
	s_cselect_b32 s2, -1, 0
	v_cmp_gt_u32_e32 vcc_lo, s5, v1
	s_and_b32 s2, s2, vcc_lo
	s_delay_alu instid0(SALU_CYCLE_1)
	s_and_saveexec_b32 s3, s2
	s_cbranch_execz .LBB81_7
; %bb.1:
	s_load_b64 s[6:7], s[0:1], 0x10
	v_dual_mov_b32 v3, 0 :: v_dual_and_b32 v0, 0x3ff, v0
	s_ashr_i32 s2, s4, 31
	s_mov_b32 s8, exec_lo
	s_lshr_b32 s2, s2, 27
	s_delay_alu instid0(VALU_DEP_1) | instskip(SKIP_1) | instid1(SALU_CYCLE_1)
	v_lshrrev_b32_e32 v2, 1, v0
	s_add_i32 s2, s4, s2
	s_ashr_i32 s9, s2, 5
	s_delay_alu instid0(VALU_DEP_1) | instid1(SALU_CYCLE_1)
	v_cmpx_gt_u32_e64 s9, v2
	s_cbranch_execz .LBB81_5
; %bb.2:
	s_load_b128 s[0:3], s[0:1], 0x0
	v_lshlrev_b32_e32 v3, 3, v0
	s_addk_i32 s4, 0x1ff
	v_mul_lo_u32 v5, v1, s9
	s_ashr_i32 s10, s4, 31
	s_mov_b32 s11, 0.5
	s_lshr_b32 s10, s10, 23
	v_dual_mov_b32 v3, 0 :: v_dual_and_b32 v4, 8, v3
	s_add_i32 s4, s4, s10
	s_delay_alu instid0(SALU_CYCLE_1) | instskip(NEXT) | instid1(VALU_DEP_1)
	s_ashr_i32 s4, s4, 9
	v_or_b32_e32 v6, 4, v4
	s_mul_i32 s4, s15, s4
	s_delay_alu instid0(SALU_CYCLE_1)
	s_lshl_b32 s10, s4, 4
	s_mov_b32 s4, 0
.LBB81_3:                               ; =>This Inner Loop Header: Depth=1
	v_add_nc_u32_e32 v9, v5, v2
	v_add_nc_u32_e32 v11, s10, v2
	;; [unrolled: 1-line block ×3, first 2 shown]
	s_waitcnt lgkmcnt(0)
	s_delay_alu instid0(VALU_DEP_3) | instskip(NEXT) | instid1(VALU_DEP_3)
	v_mad_i64_i32 v[7:8], null, v9, 24, s[0:1]
	v_mad_i64_i32 v[9:10], null, v11, 36, s[2:3]
	global_load_b64 v[11:12], v[7:8], off
	v_add_co_u32 v7, vcc_lo, v7, v4
	v_add_co_ci_u32_e32 v8, vcc_lo, 0, v8, vcc_lo
	v_add_co_u32 v13, vcc_lo, v9, v4
	v_add_co_ci_u32_e32 v14, vcc_lo, 0, v10, vcc_lo
	global_load_b64 v[7:8], v[7:8], off offset:8
	s_clause 0x2
	global_load_b64 v[15:16], v[13:14], off offset:4
	global_load_b64 v[13:14], v[13:14], off offset:20
	global_load_b32 v9, v[9:10], off
	v_cmp_le_u32_e32 vcc_lo, s9, v2
	s_or_b32 s4, vcc_lo, s4
	s_waitcnt vmcnt(4)
	v_ashrrev_i32_e32 v10, v4, v12
	v_ashrrev_i32_e32 v12, v6, v12
	s_delay_alu instid0(VALU_DEP_2)
	v_lshlrev_b32_e32 v20, 25, v10
	v_lshlrev_b32_e32 v27, 9, v10
	;; [unrolled: 1-line block ×3, first 2 shown]
	s_waitcnt vmcnt(3)
	v_and_b32_e32 v17, 0xf0f0f0f, v7
	v_lshrrev_b32_e32 v7, 4, v7
	v_and_b32_e32 v31, 0xf0f0f0f, v8
	v_lshrrev_b32_e32 v8, 4, v8
	v_lshlrev_b32_e32 v19, 18, v10
	v_lshrrev_b32_e32 v24, 12, v10
	v_lshrrev_b32_e32 v25, 5, v10
	v_lshlrev_b32_e32 v26, 2, v10
	v_lshrrev_b32_e32 v38, 12, v12
	v_lshl_or_b32 v10, v10, 4, v17
	v_and_b32_e32 v20, 0x10000000, v20
	v_and_b32_e32 v7, 0xf0f0f0f, v7
	;; [unrolled: 1-line block ×4, first 2 shown]
	s_waitcnt vmcnt(2)
	v_bfe_i32 v21, v15, 0, 8
	v_lshlrev_b32_e32 v32, 11, v12
	v_lshlrev_b32_e32 v33, 18, v12
	;; [unrolled: 1-line block ×3, first 2 shown]
	v_lshrrev_b32_e32 v39, 5, v12
	v_lshlrev_b32_e32 v40, 2, v12
	v_lshlrev_b32_e32 v41, 9, v12
	v_and_b32_e32 v18, 0x1000, v18
	v_lshl_or_b32 v12, v12, 4, v31
	v_and_or_b32 v19, 0x100000, v19, v20
	v_and_b32_e32 v10, 31, v10
	v_and_or_b32 v20, v24, 16, v7
	v_and_or_b32 v24, 0x100000, v26, v27
	;; [unrolled: 1-line block ×3, first 2 shown]
	s_waitcnt vmcnt(1)
	v_bfe_i32 v28, v13, 0, 8
	v_bfe_i32 v35, v16, 0, 8
	;; [unrolled: 1-line block ×3, first 2 shown]
	v_and_b32_e32 v25, 0x1000, v25
	v_and_b32_e32 v12, 31, v12
	v_or3_b32 v17, v19, v18, v17
	v_mul_i32_i24_e32 v10, v10, v21
	v_and_b32_e32 v18, 31, v20
	v_and_b32_e32 v20, 31, v27
	v_bfe_i32 v22, v15, 8, 8
	v_bfe_i32 v23, v15, 16, 8
	v_and_b32_e32 v34, 0x10000000, v34
	v_or3_b32 v7, v24, v25, v7
	v_mul_i32_i24_e32 v12, v12, v35
	v_bfe_u32 v21, v17, 8, 5
	v_bfe_u32 v24, v17, 16, 5
	v_mul_i32_i24_e32 v20, v20, v42
	v_mad_i32_i24 v10, v18, v28, v10
	v_ashrrev_i32_e32 v15, 24, v15
	v_bfe_i32 v29, v13, 8, 8
	v_and_b32_e32 v32, 0x1000, v32
	v_and_b32_e32 v41, 0x10000000, v41
	v_and_or_b32 v26, 0x100000, v33, v34
	v_lshrrev_b32_e32 v17, 24, v17
	v_bfe_u32 v18, v7, 8, 5
	v_mul_i32_i24_e32 v21, v21, v22
	v_mul_i32_i24_e32 v22, v24, v23
	v_add3_u32 v10, v10, v12, v20
	v_bfe_i32 v30, v13, 16, 8
	v_ashrrev_i32_e32 v13, 24, v13
	v_and_b32_e32 v39, 0x1000, v39
	v_and_or_b32 v33, 0x100000, v40, v41
	v_or3_b32 v19, v26, v32, v31
	v_bfe_u32 v12, v7, 16, 5
	v_lshrrev_b32_e32 v7, 24, v7
	v_mul_i32_i24_e32 v15, v17, v15
	v_mul_i32_i24_e32 v17, v18, v29
	v_add3_u32 v10, v10, v21, v22
	v_bfe_i32 v36, v16, 8, 8
	v_bfe_i32 v37, v16, 16, 8
	v_or3_b32 v8, v33, v39, v8
	v_bfe_u32 v18, v19, 8, 5
	v_bfe_u32 v20, v19, 16, 5
	v_mul_i32_i24_e32 v12, v12, v30
	v_mul_i32_i24_e32 v7, v7, v13
	v_add3_u32 v10, v10, v15, v17
	v_ashrrev_i32_e32 v16, 24, v16
	v_bfe_i32 v43, v14, 8, 8
	v_lshrrev_b32_e32 v13, 24, v19
	v_bfe_u32 v15, v8, 8, 5
	v_mul_i32_i24_e32 v17, v18, v36
	v_mul_i32_i24_e32 v18, v20, v37
	v_add3_u32 v7, v10, v12, v7
	v_bfe_i32 v44, v14, 16, 8
	v_ashrrev_i32_e32 v14, 24, v14
	v_bfe_u32 v10, v8, 16, 5
	v_lshrrev_b32_e32 v8, 24, v8
	v_mul_i32_i24_e32 v12, v13, v16
	v_mul_i32_i24_e32 v13, v15, v43
	v_add3_u32 v7, v7, v17, v18
	v_mul_i32_i24_e32 v10, v10, v44
	v_mul_i32_i24_e32 v8, v8, v14
	s_waitcnt vmcnt(0)
	v_pk_mul_f16 v9, v11, v9
	v_add3_u32 v7, v7, v12, v13
	s_delay_alu instid0(VALU_DEP_1) | instskip(NEXT) | instid1(VALU_DEP_3)
	v_add3_u32 v7, v7, v10, v8
	v_cvt_f32_f16_e32 v8, v9
	s_delay_alu instid0(VALU_DEP_2) | instskip(NEXT) | instid1(VALU_DEP_1)
	v_cvt_f32_i32_e32 v7, v7
	v_mul_f32_e32 v7, v8, v7
	s_delay_alu instid0(VALU_DEP_1) | instskip(NEXT) | instid1(VALU_DEP_1)
	v_fma_mix_f32 v7, v9, s11, v7 op_sel:[1,0,0] op_sel_hi:[1,0,0]
	v_add_f32_e32 v3, v3, v7
	s_and_not1_b32 exec_lo, exec_lo, s4
	s_cbranch_execnz .LBB81_3
; %bb.4:
	s_or_b32 exec_lo, exec_lo, s4
.LBB81_5:
	s_delay_alu instid0(SALU_CYCLE_1) | instskip(SKIP_1) | instid1(VALU_DEP_1)
	s_or_b32 exec_lo, exec_lo, s8
	v_mbcnt_lo_u32_b32 v2, -1, 0
	v_xor_b32_e32 v4, 16, v2
	v_xor_b32_e32 v5, 8, v2
	s_delay_alu instid0(VALU_DEP_2) | instskip(SKIP_1) | instid1(VALU_DEP_3)
	v_cmp_gt_i32_e32 vcc_lo, 32, v4
	v_cndmask_b32_e32 v4, v2, v4, vcc_lo
	v_cmp_gt_i32_e32 vcc_lo, 32, v5
	v_cndmask_b32_e32 v5, v2, v5, vcc_lo
	s_delay_alu instid0(VALU_DEP_1) | instskip(NEXT) | instid1(VALU_DEP_4)
	v_lshlrev_b32_e32 v5, 2, v5
	v_lshlrev_b32_e32 v4, 2, v4
	ds_bpermute_b32 v4, v4, v3
	s_waitcnt lgkmcnt(0)
	v_add_f32_e32 v3, v3, v4
	ds_bpermute_b32 v4, v5, v3
	v_xor_b32_e32 v5, 4, v2
	s_delay_alu instid0(VALU_DEP_1) | instskip(SKIP_1) | instid1(VALU_DEP_1)
	v_cmp_gt_i32_e32 vcc_lo, 32, v5
	v_cndmask_b32_e32 v5, v2, v5, vcc_lo
	v_lshlrev_b32_e32 v5, 2, v5
	s_waitcnt lgkmcnt(0)
	v_add_f32_e32 v3, v3, v4
	ds_bpermute_b32 v4, v5, v3
	v_xor_b32_e32 v5, 2, v2
	s_delay_alu instid0(VALU_DEP_1) | instskip(SKIP_1) | instid1(VALU_DEP_1)
	v_cmp_gt_i32_e32 vcc_lo, 32, v5
	v_cndmask_b32_e32 v5, v2, v5, vcc_lo
	v_lshlrev_b32_e32 v5, 2, v5
	s_waitcnt lgkmcnt(0)
	v_add_f32_e32 v3, v3, v4
	ds_bpermute_b32 v4, v5, v3
	v_xor_b32_e32 v5, 1, v2
	s_delay_alu instid0(VALU_DEP_1) | instskip(SKIP_3) | instid1(VALU_DEP_2)
	v_cmp_gt_i32_e32 vcc_lo, 32, v5
	v_cndmask_b32_e32 v5, v2, v5, vcc_lo
	v_cmp_eq_u32_e32 vcc_lo, 0, v0
	s_waitcnt lgkmcnt(0)
	v_dual_add_f32 v2, v3, v4 :: v_dual_lshlrev_b32 v3, 2, v5
	ds_bpermute_b32 v3, v3, v2
	s_and_b32 exec_lo, exec_lo, vcc_lo
	s_cbranch_execz .LBB81_7
; %bb.6:
	v_mad_u64_u32 v[4:5], null, s15, s5, v[1:2]
	s_waitcnt lgkmcnt(0)
	v_dual_mov_b32 v5, 0 :: v_dual_add_f32 v2, v2, v3
	s_delay_alu instid0(VALU_DEP_1) | instskip(NEXT) | instid1(VALU_DEP_2)
	v_cvt_f16_f32_e32 v2, v2
	v_lshlrev_b64 v[0:1], 1, v[4:5]
	s_delay_alu instid0(VALU_DEP_1) | instskip(NEXT) | instid1(VALU_DEP_2)
	v_add_co_u32 v0, vcc_lo, s6, v0
	v_add_co_ci_u32_e32 v1, vcc_lo, s7, v1, vcc_lo
	global_store_b16 v[0:1], v2, off
.LBB81_7:
	s_nop 0
	s_sendmsg sendmsg(MSG_DEALLOC_VGPRS)
	s_endpgm
	.section	.rodata,"a",@progbits
	.p2align	6, 0x0
	.amdhsa_kernel _ZL13mul_mat_vec_qIN3c104HalfELi32ELi4E10block_q5_1Li2EXadL_ZL17vec_dot_q5_1_q8_1PKvPK10block_q8_1RKiEEEvS4_S4_PT_iii
		.amdhsa_group_segment_fixed_size 0
		.amdhsa_private_segment_fixed_size 0
		.amdhsa_kernarg_size 296
		.amdhsa_user_sgpr_count 14
		.amdhsa_user_sgpr_dispatch_ptr 0
		.amdhsa_user_sgpr_queue_ptr 0
		.amdhsa_user_sgpr_kernarg_segment_ptr 1
		.amdhsa_user_sgpr_dispatch_id 0
		.amdhsa_user_sgpr_private_segment_size 0
		.amdhsa_wavefront_size32 1
		.amdhsa_uses_dynamic_stack 0
		.amdhsa_enable_private_segment 0
		.amdhsa_system_sgpr_workgroup_id_x 1
		.amdhsa_system_sgpr_workgroup_id_y 1
		.amdhsa_system_sgpr_workgroup_id_z 0
		.amdhsa_system_sgpr_workgroup_info 0
		.amdhsa_system_vgpr_workitem_id 1
		.amdhsa_next_free_vgpr 45
		.amdhsa_next_free_sgpr 16
		.amdhsa_reserve_vcc 1
		.amdhsa_float_round_mode_32 0
		.amdhsa_float_round_mode_16_64 0
		.amdhsa_float_denorm_mode_32 3
		.amdhsa_float_denorm_mode_16_64 3
		.amdhsa_dx10_clamp 1
		.amdhsa_ieee_mode 1
		.amdhsa_fp16_overflow 0
		.amdhsa_workgroup_processor_mode 1
		.amdhsa_memory_ordered 1
		.amdhsa_forward_progress 0
		.amdhsa_shared_vgpr_count 0
		.amdhsa_exception_fp_ieee_invalid_op 0
		.amdhsa_exception_fp_denorm_src 0
		.amdhsa_exception_fp_ieee_div_zero 0
		.amdhsa_exception_fp_ieee_overflow 0
		.amdhsa_exception_fp_ieee_underflow 0
		.amdhsa_exception_fp_ieee_inexact 0
		.amdhsa_exception_int_div_zero 0
	.end_amdhsa_kernel
	.section	.text._ZL13mul_mat_vec_qIN3c104HalfELi32ELi4E10block_q5_1Li2EXadL_ZL17vec_dot_q5_1_q8_1PKvPK10block_q8_1RKiEEEvS4_S4_PT_iii,"axG",@progbits,_ZL13mul_mat_vec_qIN3c104HalfELi32ELi4E10block_q5_1Li2EXadL_ZL17vec_dot_q5_1_q8_1PKvPK10block_q8_1RKiEEEvS4_S4_PT_iii,comdat
.Lfunc_end81:
	.size	_ZL13mul_mat_vec_qIN3c104HalfELi32ELi4E10block_q5_1Li2EXadL_ZL17vec_dot_q5_1_q8_1PKvPK10block_q8_1RKiEEEvS4_S4_PT_iii, .Lfunc_end81-_ZL13mul_mat_vec_qIN3c104HalfELi32ELi4E10block_q5_1Li2EXadL_ZL17vec_dot_q5_1_q8_1PKvPK10block_q8_1RKiEEEvS4_S4_PT_iii
                                        ; -- End function
	.section	.AMDGPU.csdata,"",@progbits
; Kernel info:
; codeLenInByte = 1292
; NumSgprs: 18
; NumVgprs: 45
; ScratchSize: 0
; MemoryBound: 0
; FloatMode: 240
; IeeeMode: 1
; LDSByteSize: 0 bytes/workgroup (compile time only)
; SGPRBlocks: 2
; VGPRBlocks: 5
; NumSGPRsForWavesPerEU: 18
; NumVGPRsForWavesPerEU: 45
; Occupancy: 16
; WaveLimiterHint : 0
; COMPUTE_PGM_RSRC2:SCRATCH_EN: 0
; COMPUTE_PGM_RSRC2:USER_SGPR: 14
; COMPUTE_PGM_RSRC2:TRAP_HANDLER: 0
; COMPUTE_PGM_RSRC2:TGID_X_EN: 1
; COMPUTE_PGM_RSRC2:TGID_Y_EN: 1
; COMPUTE_PGM_RSRC2:TGID_Z_EN: 0
; COMPUTE_PGM_RSRC2:TIDIG_COMP_CNT: 1
	.section	.text._ZL13mul_mat_vec_qIN3c104HalfELi32ELi8E10block_q8_0Li2EXadL_ZL17vec_dot_q8_0_q8_1PKvPK10block_q8_1RKiEEEvS4_S4_PT_iii,"axG",@progbits,_ZL13mul_mat_vec_qIN3c104HalfELi32ELi8E10block_q8_0Li2EXadL_ZL17vec_dot_q8_0_q8_1PKvPK10block_q8_1RKiEEEvS4_S4_PT_iii,comdat
	.globl	_ZL13mul_mat_vec_qIN3c104HalfELi32ELi8E10block_q8_0Li2EXadL_ZL17vec_dot_q8_0_q8_1PKvPK10block_q8_1RKiEEEvS4_S4_PT_iii ; -- Begin function _ZL13mul_mat_vec_qIN3c104HalfELi32ELi8E10block_q8_0Li2EXadL_ZL17vec_dot_q8_0_q8_1PKvPK10block_q8_1RKiEEEvS4_S4_PT_iii
	.p2align	8
	.type	_ZL13mul_mat_vec_qIN3c104HalfELi32ELi8E10block_q8_0Li2EXadL_ZL17vec_dot_q8_0_q8_1PKvPK10block_q8_1RKiEEEvS4_S4_PT_iii,@function
_ZL13mul_mat_vec_qIN3c104HalfELi32ELi8E10block_q8_0Li2EXadL_ZL17vec_dot_q8_0_q8_1PKvPK10block_q8_1RKiEEEvS4_S4_PT_iii: ; @_ZL13mul_mat_vec_qIN3c104HalfELi32ELi8E10block_q8_0Li2EXadL_ZL17vec_dot_q8_0_q8_1PKvPK10block_q8_1RKiEEEvS4_S4_PT_iii
; %bb.0:
	s_clause 0x1
	s_load_b32 s2, s[0:1], 0x34
	s_load_b128 s[4:7], s[0:1], 0x18
	v_bfe_u32 v3, v0, 10, 10
	s_waitcnt lgkmcnt(0)
	s_lshr_b32 s2, s2, 16
	s_cmp_lt_u32 s15, s6
	s_delay_alu instid0(VALU_DEP_1) | instskip(SKIP_1) | instid1(VALU_DEP_1)
	v_mad_u64_u32 v[1:2], null, s14, s2, v[3:4]
	s_cselect_b32 s2, -1, 0
	v_cmp_gt_u32_e32 vcc_lo, s5, v1
	s_and_b32 s2, s2, vcc_lo
	s_delay_alu instid0(SALU_CYCLE_1)
	s_and_saveexec_b32 s3, s2
	s_cbranch_execz .LBB82_7
; %bb.1:
	s_load_b64 s[6:7], s[0:1], 0x10
	v_and_b32_e32 v0, 0x3ff, v0
	s_ashr_i32 s2, s4, 31
	v_mov_b32_e32 v2, 0
	s_lshr_b32 s2, s2, 27
	s_mov_b32 s8, exec_lo
	v_lshrrev_b32_e32 v3, 2, v0
	s_add_i32 s2, s4, s2
	s_delay_alu instid0(SALU_CYCLE_1)
	s_ashr_i32 s9, s2, 5
	s_delay_alu instid0(VALU_DEP_1) | instid1(SALU_CYCLE_1)
	v_cmpx_gt_u32_e64 s9, v3
	s_cbranch_execz .LBB82_5
; %bb.2:
	s_load_b128 s[0:3], s[0:1], 0x0
	s_addk_i32 s4, 0x1ff
	v_lshlrev_b32_e32 v2, 3, v0
	s_ashr_i32 s10, s4, 31
	v_mul_lo_u32 v4, v1, s9
	s_lshr_b32 s10, s10, 23
	s_delay_alu instid0(SALU_CYCLE_1) | instskip(SKIP_4) | instid1(SALU_CYCLE_1)
	s_add_i32 s4, s4, s10
	v_dual_mov_b32 v2, 0 :: v_dual_and_b32 v5, 24, v2
	s_ashr_i32 s4, s4, 9
	s_mov_b32 s10, 0
	s_mul_i32 s4, s15, s4
	s_lshl_b32 s4, s4, 4
	s_set_inst_prefetch_distance 0x1
	.p2align	6
.LBB82_3:                               ; =>This Inner Loop Header: Depth=1
	v_add_nc_u32_e32 v8, v4, v3
	v_add_nc_u32_e32 v10, s4, v3
	;; [unrolled: 1-line block ×3, first 2 shown]
	s_waitcnt lgkmcnt(0)
	s_delay_alu instid0(VALU_DEP_3) | instskip(NEXT) | instid1(VALU_DEP_3)
	v_mad_i64_i32 v[6:7], null, v8, 34, s[0:1]
	v_mad_i64_i32 v[8:9], null, v10, 36, s[2:3]
	s_delay_alu instid0(VALU_DEP_2) | instskip(NEXT) | instid1(VALU_DEP_3)
	v_add_co_u32 v10, vcc_lo, v6, v5
	v_add_co_ci_u32_e32 v11, vcc_lo, 0, v7, vcc_lo
	s_delay_alu instid0(VALU_DEP_3) | instskip(NEXT) | instid1(VALU_DEP_4)
	v_add_co_u32 v12, vcc_lo, v8, v5
	v_add_co_ci_u32_e32 v13, vcc_lo, 0, v9, vcc_lo
	v_cmp_le_u32_e32 vcc_lo, s9, v3
	global_load_b64 v[10:11], v[10:11], off offset:2
	global_load_b64 v[12:13], v[12:13], off offset:4
	global_load_u16 v6, v[6:7], off
	global_load_b32 v7, v[8:9], off
	s_or_b32 s10, vcc_lo, s10
	s_waitcnt vmcnt(2)
	v_perm_b32 v8, v12, v11, 0x6050004
	v_perm_b32 v9, v10, v13, 0x6050004
	;; [unrolled: 1-line block ×4, first 2 shown]
	s_waitcnt vmcnt(1)
	v_cvt_f32_f16_e32 v6, v6
	s_waitcnt vmcnt(0)
	v_cvt_f32_f16_e32 v7, v7
	v_dot4_i32_iu8 v8, v9, v8, 0 neg_lo:[1,1,0]
	s_delay_alu instid0(VALU_DEP_2) | instskip(NEXT) | instid1(VALU_DEP_2)
	v_mul_f32_e32 v6, v6, v7
	v_dot4_i32_iu8 v8, v10, v12, v8 neg_lo:[1,1,0]
	s_delay_alu instid0(VALU_DEP_1) | instskip(NEXT) | instid1(VALU_DEP_1)
	v_cvt_f32_i32_e32 v7, v8
	v_fmac_f32_e32 v2, v6, v7
	s_and_not1_b32 exec_lo, exec_lo, s10
	s_cbranch_execnz .LBB82_3
; %bb.4:
	s_set_inst_prefetch_distance 0x2
	s_or_b32 exec_lo, exec_lo, s10
.LBB82_5:
	s_delay_alu instid0(SALU_CYCLE_1) | instskip(SKIP_1) | instid1(VALU_DEP_1)
	s_or_b32 exec_lo, exec_lo, s8
	v_mbcnt_lo_u32_b32 v3, -1, 0
	v_xor_b32_e32 v4, 16, v3
	v_xor_b32_e32 v5, 8, v3
	s_delay_alu instid0(VALU_DEP_2) | instskip(SKIP_1) | instid1(VALU_DEP_3)
	v_cmp_gt_i32_e32 vcc_lo, 32, v4
	v_cndmask_b32_e32 v4, v3, v4, vcc_lo
	v_cmp_gt_i32_e32 vcc_lo, 32, v5
	v_cndmask_b32_e32 v5, v3, v5, vcc_lo
	s_delay_alu instid0(VALU_DEP_1) | instskip(NEXT) | instid1(VALU_DEP_4)
	v_lshlrev_b32_e32 v5, 2, v5
	v_lshlrev_b32_e32 v4, 2, v4
	ds_bpermute_b32 v4, v4, v2
	s_waitcnt lgkmcnt(0)
	v_add_f32_e32 v2, v2, v4
	ds_bpermute_b32 v4, v5, v2
	v_xor_b32_e32 v5, 4, v3
	s_delay_alu instid0(VALU_DEP_1) | instskip(SKIP_2) | instid1(VALU_DEP_1)
	v_cmp_gt_i32_e32 vcc_lo, 32, v5
	v_cndmask_b32_e32 v5, v3, v5, vcc_lo
	s_waitcnt lgkmcnt(0)
	v_dual_add_f32 v2, v2, v4 :: v_dual_lshlrev_b32 v5, 2, v5
	ds_bpermute_b32 v4, v5, v2
	v_xor_b32_e32 v5, 2, v3
	s_delay_alu instid0(VALU_DEP_1) | instskip(SKIP_2) | instid1(VALU_DEP_1)
	v_cmp_gt_i32_e32 vcc_lo, 32, v5
	s_waitcnt lgkmcnt(0)
	v_dual_cndmask_b32 v5, v3, v5 :: v_dual_add_f32 v2, v2, v4
	v_lshlrev_b32_e32 v5, 2, v5
	ds_bpermute_b32 v4, v5, v2
	v_xor_b32_e32 v5, 1, v3
	s_delay_alu instid0(VALU_DEP_1) | instskip(SKIP_3) | instid1(VALU_DEP_2)
	v_cmp_gt_i32_e32 vcc_lo, 32, v5
	v_cndmask_b32_e32 v3, v3, v5, vcc_lo
	v_cmp_eq_u32_e32 vcc_lo, 0, v0
	s_waitcnt lgkmcnt(0)
	v_dual_add_f32 v2, v2, v4 :: v_dual_lshlrev_b32 v3, 2, v3
	ds_bpermute_b32 v3, v3, v2
	s_and_b32 exec_lo, exec_lo, vcc_lo
	s_cbranch_execz .LBB82_7
; %bb.6:
	v_mad_u64_u32 v[4:5], null, s15, s5, v[1:2]
	s_waitcnt lgkmcnt(0)
	v_dual_mov_b32 v5, 0 :: v_dual_add_f32 v2, v2, v3
	s_delay_alu instid0(VALU_DEP_1) | instskip(NEXT) | instid1(VALU_DEP_2)
	v_cvt_f16_f32_e32 v2, v2
	v_lshlrev_b64 v[0:1], 1, v[4:5]
	s_delay_alu instid0(VALU_DEP_1) | instskip(NEXT) | instid1(VALU_DEP_2)
	v_add_co_u32 v0, vcc_lo, s6, v0
	v_add_co_ci_u32_e32 v1, vcc_lo, s7, v1, vcc_lo
	global_store_b16 v[0:1], v2, off
.LBB82_7:
	s_nop 0
	s_sendmsg sendmsg(MSG_DEALLOC_VGPRS)
	s_endpgm
	.section	.rodata,"a",@progbits
	.p2align	6, 0x0
	.amdhsa_kernel _ZL13mul_mat_vec_qIN3c104HalfELi32ELi8E10block_q8_0Li2EXadL_ZL17vec_dot_q8_0_q8_1PKvPK10block_q8_1RKiEEEvS4_S4_PT_iii
		.amdhsa_group_segment_fixed_size 0
		.amdhsa_private_segment_fixed_size 0
		.amdhsa_kernarg_size 296
		.amdhsa_user_sgpr_count 14
		.amdhsa_user_sgpr_dispatch_ptr 0
		.amdhsa_user_sgpr_queue_ptr 0
		.amdhsa_user_sgpr_kernarg_segment_ptr 1
		.amdhsa_user_sgpr_dispatch_id 0
		.amdhsa_user_sgpr_private_segment_size 0
		.amdhsa_wavefront_size32 1
		.amdhsa_uses_dynamic_stack 0
		.amdhsa_enable_private_segment 0
		.amdhsa_system_sgpr_workgroup_id_x 1
		.amdhsa_system_sgpr_workgroup_id_y 1
		.amdhsa_system_sgpr_workgroup_id_z 0
		.amdhsa_system_sgpr_workgroup_info 0
		.amdhsa_system_vgpr_workitem_id 1
		.amdhsa_next_free_vgpr 14
		.amdhsa_next_free_sgpr 16
		.amdhsa_reserve_vcc 1
		.amdhsa_float_round_mode_32 0
		.amdhsa_float_round_mode_16_64 0
		.amdhsa_float_denorm_mode_32 3
		.amdhsa_float_denorm_mode_16_64 3
		.amdhsa_dx10_clamp 1
		.amdhsa_ieee_mode 1
		.amdhsa_fp16_overflow 0
		.amdhsa_workgroup_processor_mode 1
		.amdhsa_memory_ordered 1
		.amdhsa_forward_progress 0
		.amdhsa_shared_vgpr_count 0
		.amdhsa_exception_fp_ieee_invalid_op 0
		.amdhsa_exception_fp_denorm_src 0
		.amdhsa_exception_fp_ieee_div_zero 0
		.amdhsa_exception_fp_ieee_overflow 0
		.amdhsa_exception_fp_ieee_underflow 0
		.amdhsa_exception_fp_ieee_inexact 0
		.amdhsa_exception_int_div_zero 0
	.end_amdhsa_kernel
	.section	.text._ZL13mul_mat_vec_qIN3c104HalfELi32ELi8E10block_q8_0Li2EXadL_ZL17vec_dot_q8_0_q8_1PKvPK10block_q8_1RKiEEEvS4_S4_PT_iii,"axG",@progbits,_ZL13mul_mat_vec_qIN3c104HalfELi32ELi8E10block_q8_0Li2EXadL_ZL17vec_dot_q8_0_q8_1PKvPK10block_q8_1RKiEEEvS4_S4_PT_iii,comdat
.Lfunc_end82:
	.size	_ZL13mul_mat_vec_qIN3c104HalfELi32ELi8E10block_q8_0Li2EXadL_ZL17vec_dot_q8_0_q8_1PKvPK10block_q8_1RKiEEEvS4_S4_PT_iii, .Lfunc_end82-_ZL13mul_mat_vec_qIN3c104HalfELi32ELi8E10block_q8_0Li2EXadL_ZL17vec_dot_q8_0_q8_1PKvPK10block_q8_1RKiEEEvS4_S4_PT_iii
                                        ; -- End function
	.section	.AMDGPU.csdata,"",@progbits
; Kernel info:
; codeLenInByte = 708
; NumSgprs: 18
; NumVgprs: 14
; ScratchSize: 0
; MemoryBound: 0
; FloatMode: 240
; IeeeMode: 1
; LDSByteSize: 0 bytes/workgroup (compile time only)
; SGPRBlocks: 2
; VGPRBlocks: 1
; NumSGPRsForWavesPerEU: 18
; NumVGPRsForWavesPerEU: 14
; Occupancy: 16
; WaveLimiterHint : 0
; COMPUTE_PGM_RSRC2:SCRATCH_EN: 0
; COMPUTE_PGM_RSRC2:USER_SGPR: 14
; COMPUTE_PGM_RSRC2:TRAP_HANDLER: 0
; COMPUTE_PGM_RSRC2:TGID_X_EN: 1
; COMPUTE_PGM_RSRC2:TGID_Y_EN: 1
; COMPUTE_PGM_RSRC2:TGID_Z_EN: 0
; COMPUTE_PGM_RSRC2:TIDIG_COMP_CNT: 1
	.section	.text._ZL13mul_mat_vec_qIN3c104HalfELi256ELi16E10block_q2_KLi1EXadL_ZL17vec_dot_q2_K_q8_1PKvPK10block_q8_1RKiEEEvS4_S4_PT_iii,"axG",@progbits,_ZL13mul_mat_vec_qIN3c104HalfELi256ELi16E10block_q2_KLi1EXadL_ZL17vec_dot_q2_K_q8_1PKvPK10block_q8_1RKiEEEvS4_S4_PT_iii,comdat
	.globl	_ZL13mul_mat_vec_qIN3c104HalfELi256ELi16E10block_q2_KLi1EXadL_ZL17vec_dot_q2_K_q8_1PKvPK10block_q8_1RKiEEEvS4_S4_PT_iii ; -- Begin function _ZL13mul_mat_vec_qIN3c104HalfELi256ELi16E10block_q2_KLi1EXadL_ZL17vec_dot_q2_K_q8_1PKvPK10block_q8_1RKiEEEvS4_S4_PT_iii
	.p2align	8
	.type	_ZL13mul_mat_vec_qIN3c104HalfELi256ELi16E10block_q2_KLi1EXadL_ZL17vec_dot_q2_K_q8_1PKvPK10block_q8_1RKiEEEvS4_S4_PT_iii,@function
_ZL13mul_mat_vec_qIN3c104HalfELi256ELi16E10block_q2_KLi1EXadL_ZL17vec_dot_q2_K_q8_1PKvPK10block_q8_1RKiEEEvS4_S4_PT_iii: ; @_ZL13mul_mat_vec_qIN3c104HalfELi256ELi16E10block_q2_KLi1EXadL_ZL17vec_dot_q2_K_q8_1PKvPK10block_q8_1RKiEEEvS4_S4_PT_iii
; %bb.0:
	s_clause 0x1
	s_load_b32 s2, s[0:1], 0x34
	s_load_b128 s[4:7], s[0:1], 0x18
	v_bfe_u32 v3, v0, 10, 10
	s_waitcnt lgkmcnt(0)
	s_lshr_b32 s2, s2, 16
	s_cmp_lt_u32 s15, s6
	s_delay_alu instid0(VALU_DEP_1) | instskip(SKIP_1) | instid1(VALU_DEP_1)
	v_mad_u64_u32 v[1:2], null, s14, s2, v[3:4]
	s_cselect_b32 s2, -1, 0
	v_cmp_gt_u32_e32 vcc_lo, s5, v1
	s_and_b32 s2, s2, vcc_lo
	s_delay_alu instid0(SALU_CYCLE_1)
	s_and_saveexec_b32 s3, s2
	s_cbranch_execz .LBB83_7
; %bb.1:
	s_load_b64 s[6:7], s[0:1], 0x10
	v_dual_mov_b32 v3, 0 :: v_dual_and_b32 v0, 0x3ff, v0
	s_ashr_i32 s2, s4, 31
	s_mov_b32 s8, exec_lo
	s_lshr_b32 s2, s2, 24
	s_delay_alu instid0(VALU_DEP_1) | instskip(SKIP_1) | instid1(SALU_CYCLE_1)
	v_lshrrev_b32_e32 v8, 4, v0
	s_add_i32 s2, s4, s2
	s_ashr_i32 s9, s2, 8
	s_delay_alu instid0(VALU_DEP_1) | instid1(SALU_CYCLE_1)
	v_cmpx_gt_u32_e64 s9, v8
	s_cbranch_execz .LBB83_5
; %bb.2:
	v_dual_mov_b32 v3, 0 :: v_dual_and_b32 v4, 15, v0
	s_load_b128 s[0:3], s[0:1], 0x0
	s_addk_i32 s4, 0x1ff
	v_lshlrev_b32_e32 v12, 3, v8
	s_delay_alu instid0(VALU_DEP_2)
	v_add_nc_u32_e32 v2, -8, v4
	v_cmp_gt_u32_e32 vcc_lo, 8, v4
	s_ashr_i32 s10, s4, 31
	v_lshlrev_b32_e32 v10, 2, v4
	s_lshr_b32 s10, s10, 23
	v_mul_lo_u32 v9, v1, s9
	v_cndmask_b32_e32 v2, v2, v4, vcc_lo
	v_cmp_lt_u32_e32 vcc_lo, 7, v4
	s_add_i32 s4, s4, s10
	s_delay_alu instid0(SALU_CYCLE_1) | instskip(NEXT) | instid1(VALU_DEP_2)
	s_ashr_i32 s4, s4, 9
	v_sub_nc_u32_e32 v4, v4, v2
	v_cndmask_b32_e64 v5, 0, 1, vcc_lo
	v_cmp_lt_u32_e32 vcc_lo, 3, v2
	s_mul_i32 s4, s15, s4
	s_delay_alu instid0(SALU_CYCLE_1) | instskip(NEXT) | instid1(VALU_DEP_3)
	v_lshl_add_u32 v12, s4, 4, v12
	v_lshlrev_b32_e32 v6, 2, v5
	v_add_co_ci_u32_e32 v11, vcc_lo, 0, v4, vcc_lo
	s_waitcnt lgkmcnt(0)
	s_delay_alu instid0(VALU_DEP_2) | instskip(SKIP_1) | instid1(VALU_DEP_3)
	v_mad_u64_u32 v[4:5], null, v6, 36, s[2:3]
	v_lshlrev_b64 v[6:7], 2, v[2:3]
	v_ashrrev_i32_e32 v2, 31, v11
	s_mov_b32 s2, 0
.LBB83_3:                               ; =>This Inner Loop Header: Depth=1
	s_delay_alu instid0(VALU_DEP_3)
	v_mad_i64_i32 v[13:14], null, v12, 36, v[4:5]
	v_add_nc_u32_e32 v17, v9, v8
	v_add_nc_u32_e32 v8, 2, v8
	;; [unrolled: 1-line block ×3, first 2 shown]
	s_clause 0x2
	global_load_b32 v27, v[13:14], off
	global_load_b32 v28, v[13:14], off offset:36
	global_load_b32 v29, v[13:14], off offset:72
	v_mad_i64_i32 v[15:16], null, 0x54, v17, s[0:1]
	v_add_co_u32 v17, vcc_lo, v13, v6
	v_add_co_ci_u32_e32 v18, vcc_lo, v14, v7, vcc_lo
	v_add_co_u32 v21, vcc_lo, v13, 36
	v_add_co_ci_u32_e32 v22, vcc_lo, 0, v14, vcc_lo
	;; [unrolled: 2-line block ×5, first 2 shown]
	global_load_b32 v30, v[17:18], off offset:4
	v_add_co_u32 v17, vcc_lo, v21, v6
	v_add_co_ci_u32_e32 v18, vcc_lo, v22, v7, vcc_lo
	v_add_co_u32 v21, vcc_lo, v23, v6
	v_add_co_ci_u32_e32 v22, vcc_lo, v24, v7, vcc_lo
	;; [unrolled: 2-line block ×4, first 2 shown]
	s_clause 0x1
	global_load_b32 v19, v[19:20], off offset:16
	global_load_u8 v20, v[25:26], off
	global_load_b32 v17, v[17:18], off offset:4
	global_load_u8 v18, v[25:26], off offset:2
	global_load_b32 v21, v[21:22], off offset:4
	global_load_u8 v22, v[25:26], off offset:4
	global_load_b32 v23, v[23:24], off offset:4
	s_clause 0x1
	global_load_u8 v24, v[25:26], off offset:6
	global_load_b32 v15, v[15:16], off offset:80
	global_load_b32 v13, v[13:14], off offset:108
	v_cmp_le_u32_e32 vcc_lo, s9, v8
	s_or_b32 s2, vcc_lo, s2
	s_waitcnt vmcnt(10)
	v_bfe_i32 v25, v30, 16, 8
	v_ashrrev_i32_e32 v26, 24, v30
	v_bfe_i32 v14, v30, 0, 8
	v_bfe_i32 v16, v30, 8, 8
	v_perm_b32 v30, v30, v30, 0xc0c0201
	s_waitcnt vmcnt(9)
	v_bfe_u32 v33, v19, 16, 2
	v_bfe_u32 v34, v19, 24, 2
	s_waitcnt vmcnt(8)
	v_and_b32_e32 v35, 15, v20
	v_lshrrev_b32_e32 v20, 4, v20
	v_and_b32_e32 v31, 3, v19
	v_ashrrev_i32_e32 v36, 2, v19
	v_ashrrev_i32_e32 v42, 4, v19
	s_waitcnt vmcnt(6)
	v_and_b32_e32 v41, 15, v18
	v_lshrrev_b32_e32 v18, 4, v18
	v_mul_i32_i24_e32 v25, v25, v33
	v_mul_i32_i24_e32 v33, v26, v34
	v_mul_lo_u32 v34, 0x1010101, v20
	v_bfe_u32 v32, v19, 8, 2
	v_bfe_i32 v37, v17, 0, 8
	s_waitcnt vmcnt(5)
	v_bfe_i32 v45, v21, 16, 8
	v_ashrrev_i32_e32 v19, 6, v19
	v_mul_i32_i24_e32 v31, v14, v31
	v_mul_i32_i24_e32 v14, v20, v14
	v_and_b32_e32 v20, 3, v36
	v_bfe_u32 v59, v42, 16, 2
	s_waitcnt vmcnt(4)
	v_and_b32_e32 v47, 15, v22
	v_lshrrev_b32_e32 v22, 4, v22
	v_mul_lo_u32 v56, 0x1010101, v18
	v_ashrrev_i32_e32 v40, 24, v17
	v_bfe_i32 v43, v21, 0, 8
	s_waitcnt vmcnt(3)
	v_bfe_i32 v50, v23, 16, 8
	v_bfe_u32 v54, v36, 8, 2
	v_bfe_u32 v55, v36, 16, 2
	;; [unrolled: 1-line block ×3, first 2 shown]
	v_mul_i32_i24_e32 v18, v18, v37
	v_and_b32_e32 v57, 3, v42
	v_bfe_u32 v63, v19, 16, 2
	v_mul_i32_i24_e32 v20, v37, v20
	v_mul_i32_i24_e32 v37, v45, v59
	v_lshrrev_b32_e32 v45, 24, v34
	v_perm_b32 v34, v34, v34, 0xc0c0201
	v_bfe_i32 v38, v17, 8, 8
	v_bfe_i32 v39, v17, 16, 8
	s_waitcnt vmcnt(2)
	v_and_b32_e32 v52, 15, v24
	v_lshrrev_b32_e32 v24, 4, v24
	v_mul_lo_u32 v60, 0x1010101, v22
	v_mad_i32_i24 v16, v16, v32, v31
	v_perm_b32 v17, v17, v17, 0xc0c0201
	v_ashrrev_i32_e32 v46, 24, v21
	v_bfe_i32 v48, v23, 0, 8
	v_bfe_u32 v58, v42, 8, 2
	v_bfe_u32 v42, v42, 24, 2
	v_mul_i32_i24_e32 v22, v22, v43
	v_and_b32_e32 v61, 3, v19
	v_mul_i32_i24_e32 v32, v40, v36
	v_mul_i32_i24_e32 v36, v43, v57
	;; [unrolled: 1-line block ×3, first 2 shown]
	v_perm_b32 v50, v56, v56, 0xc0c0201
	v_dot4_i32_iu8 v14, v34, v30, v14 neg_lo:[1,1,0]
	v_bfe_i32 v44, v21, 8, 8
	v_mul_lo_u32 v64, 0x1010101, v24
	v_mul_i32_i24_e32 v31, v39, v55
	v_add3_u32 v16, v16, v25, v33
	v_mad_i32_i24 v20, v38, v54, v20
	v_perm_b32 v21, v21, v21, 0xc0c0201
	v_mul_i32_i24_e32 v24, v24, v48
	v_mul_i32_i24_e32 v39, v46, v42
	;; [unrolled: 1-line block ×3, first 2 shown]
	v_lshrrev_b32_e32 v48, 24, v56
	v_perm_b32 v56, v60, v60, 0xc0c0201
	v_dot4_i32_iu8 v17, v50, v17, v18 neg_lo:[1,1,0]
	v_mad_i32_i24 v14, v45, v26, v14
	v_bfe_i32 v49, v23, 8, 8
	v_ashrrev_i32_e32 v51, 24, v23
	v_bfe_u32 v62, v19, 8, 2
	v_bfe_u32 v19, v19, 24, 2
	v_mad_i32_i24 v25, v44, v58, v36
	v_mul_lo_u32 v16, v35, v16
	v_add3_u32 v20, v20, v31, v32
	v_perm_b32 v23, v23, v23, 0xc0c0201
	v_lshrrev_b32_e32 v55, 24, v60
	v_perm_b32 v59, v64, v64, 0xc0c0201
	v_dot4_i32_iu8 v18, v56, v21, v22 neg_lo:[1,1,0]
	v_mad_i32_i24 v17, v48, v40, v17
	v_cvt_f32_i32_e32 v14, v14
	v_mul_i32_i24_e32 v19, v51, v19
	v_mad_i32_i24 v33, v49, v62, v42
	v_add3_u32 v22, v25, v37, v39
	v_mul_lo_u32 v20, v41, v20
	v_lshrrev_b32_e32 v57, 24, v64
	v_dot4_i32_iu8 v21, v59, v23, v24 neg_lo:[1,1,0]
	v_mad_i32_i24 v18, v55, v46, v18
	v_cvt_f32_i32_e32 v16, v16
	v_cvt_f32_i32_e32 v17, v17
	v_fma_mix_f32 v14, v27, v14, 0 op_sel_hi:[1,0,0]
	v_add3_u32 v19, v33, v43, v19
	v_mul_lo_u32 v22, v47, v22
	v_mad_i32_i24 v21, v57, v51, v21
	v_cvt_f32_i32_e32 v18, v18
	v_fma_mix_f32 v16, v27, v16, 0 op_sel_hi:[1,0,0]
	v_cvt_f32_i32_e32 v20, v20
	v_fma_mix_f32 v14, v28, v17, v14 op_sel_hi:[1,0,0]
	v_mul_lo_u32 v17, v52, v19
	s_waitcnt vmcnt(1)
	v_lshrrev_b32_e32 v53, 16, v15
	v_cvt_f32_i32_e32 v19, v21
	v_cvt_f32_i32_e32 v21, v22
	v_fma_mix_f32 v16, v28, v20, v16 op_sel_hi:[1,0,0]
	v_fma_mix_f32 v14, v29, v18, v14 op_sel_hi:[1,0,0]
	v_cvt_f32_f16_e32 v18, v53
	v_cvt_f32_i32_e32 v17, v17
	s_delay_alu instid0(VALU_DEP_4) | instskip(SKIP_2) | instid1(VALU_DEP_2)
	v_fma_mix_f32 v16, v29, v21, v16 op_sel_hi:[1,0,0]
	s_waitcnt vmcnt(0)
	v_fma_mix_f32 v14, v13, v19, v14 op_sel_hi:[1,0,0]
	v_fma_mix_f32 v13, v13, v17, v16 op_sel_hi:[1,0,0]
	s_delay_alu instid0(VALU_DEP_2) | instskip(NEXT) | instid1(VALU_DEP_1)
	v_mul_f32_e32 v14, v14, v18
	v_fma_mix_f32 v13, v13, v15, -v14 op_sel_hi:[0,1,0]
	s_delay_alu instid0(VALU_DEP_1)
	v_add_f32_e32 v3, v3, v13
	s_and_not1_b32 exec_lo, exec_lo, s2
	s_cbranch_execnz .LBB83_3
; %bb.4:
	s_or_b32 exec_lo, exec_lo, s2
.LBB83_5:
	s_delay_alu instid0(SALU_CYCLE_1) | instskip(SKIP_1) | instid1(VALU_DEP_1)
	s_or_b32 exec_lo, exec_lo, s8
	v_mbcnt_lo_u32_b32 v2, -1, 0
	v_xor_b32_e32 v4, 16, v2
	v_xor_b32_e32 v5, 8, v2
	s_delay_alu instid0(VALU_DEP_2) | instskip(SKIP_1) | instid1(VALU_DEP_3)
	v_cmp_gt_i32_e32 vcc_lo, 32, v4
	v_cndmask_b32_e32 v4, v2, v4, vcc_lo
	v_cmp_gt_i32_e32 vcc_lo, 32, v5
	v_cndmask_b32_e32 v5, v2, v5, vcc_lo
	s_delay_alu instid0(VALU_DEP_1) | instskip(NEXT) | instid1(VALU_DEP_4)
	v_lshlrev_b32_e32 v5, 2, v5
	v_lshlrev_b32_e32 v4, 2, v4
	ds_bpermute_b32 v4, v4, v3
	s_waitcnt lgkmcnt(0)
	v_add_f32_e32 v3, v3, v4
	ds_bpermute_b32 v4, v5, v3
	v_xor_b32_e32 v5, 4, v2
	s_delay_alu instid0(VALU_DEP_1) | instskip(SKIP_1) | instid1(VALU_DEP_1)
	v_cmp_gt_i32_e32 vcc_lo, 32, v5
	v_cndmask_b32_e32 v5, v2, v5, vcc_lo
	v_lshlrev_b32_e32 v5, 2, v5
	s_waitcnt lgkmcnt(0)
	v_add_f32_e32 v3, v3, v4
	ds_bpermute_b32 v4, v5, v3
	v_xor_b32_e32 v5, 2, v2
	s_delay_alu instid0(VALU_DEP_1) | instskip(SKIP_1) | instid1(VALU_DEP_1)
	v_cmp_gt_i32_e32 vcc_lo, 32, v5
	v_cndmask_b32_e32 v5, v2, v5, vcc_lo
	v_lshlrev_b32_e32 v5, 2, v5
	s_waitcnt lgkmcnt(0)
	v_add_f32_e32 v3, v3, v4
	ds_bpermute_b32 v4, v5, v3
	v_xor_b32_e32 v5, 1, v2
	s_delay_alu instid0(VALU_DEP_1) | instskip(SKIP_3) | instid1(VALU_DEP_2)
	v_cmp_gt_i32_e32 vcc_lo, 32, v5
	v_cndmask_b32_e32 v5, v2, v5, vcc_lo
	v_cmp_eq_u32_e32 vcc_lo, 0, v0
	s_waitcnt lgkmcnt(0)
	v_dual_add_f32 v2, v3, v4 :: v_dual_lshlrev_b32 v3, 2, v5
	ds_bpermute_b32 v3, v3, v2
	s_and_b32 exec_lo, exec_lo, vcc_lo
	s_cbranch_execz .LBB83_7
; %bb.6:
	v_mad_u64_u32 v[4:5], null, s15, s5, v[1:2]
	s_waitcnt lgkmcnt(0)
	v_dual_mov_b32 v5, 0 :: v_dual_add_f32 v2, v2, v3
	s_delay_alu instid0(VALU_DEP_1) | instskip(NEXT) | instid1(VALU_DEP_2)
	v_cvt_f16_f32_e32 v2, v2
	v_lshlrev_b64 v[0:1], 1, v[4:5]
	s_delay_alu instid0(VALU_DEP_1) | instskip(NEXT) | instid1(VALU_DEP_2)
	v_add_co_u32 v0, vcc_lo, s6, v0
	v_add_co_ci_u32_e32 v1, vcc_lo, s7, v1, vcc_lo
	global_store_b16 v[0:1], v2, off
.LBB83_7:
	s_nop 0
	s_sendmsg sendmsg(MSG_DEALLOC_VGPRS)
	s_endpgm
	.section	.rodata,"a",@progbits
	.p2align	6, 0x0
	.amdhsa_kernel _ZL13mul_mat_vec_qIN3c104HalfELi256ELi16E10block_q2_KLi1EXadL_ZL17vec_dot_q2_K_q8_1PKvPK10block_q8_1RKiEEEvS4_S4_PT_iii
		.amdhsa_group_segment_fixed_size 0
		.amdhsa_private_segment_fixed_size 0
		.amdhsa_kernarg_size 296
		.amdhsa_user_sgpr_count 14
		.amdhsa_user_sgpr_dispatch_ptr 0
		.amdhsa_user_sgpr_queue_ptr 0
		.amdhsa_user_sgpr_kernarg_segment_ptr 1
		.amdhsa_user_sgpr_dispatch_id 0
		.amdhsa_user_sgpr_private_segment_size 0
		.amdhsa_wavefront_size32 1
		.amdhsa_uses_dynamic_stack 0
		.amdhsa_enable_private_segment 0
		.amdhsa_system_sgpr_workgroup_id_x 1
		.amdhsa_system_sgpr_workgroup_id_y 1
		.amdhsa_system_sgpr_workgroup_id_z 0
		.amdhsa_system_sgpr_workgroup_info 0
		.amdhsa_system_vgpr_workitem_id 1
		.amdhsa_next_free_vgpr 65
		.amdhsa_next_free_sgpr 16
		.amdhsa_reserve_vcc 1
		.amdhsa_float_round_mode_32 0
		.amdhsa_float_round_mode_16_64 0
		.amdhsa_float_denorm_mode_32 3
		.amdhsa_float_denorm_mode_16_64 3
		.amdhsa_dx10_clamp 1
		.amdhsa_ieee_mode 1
		.amdhsa_fp16_overflow 0
		.amdhsa_workgroup_processor_mode 1
		.amdhsa_memory_ordered 1
		.amdhsa_forward_progress 0
		.amdhsa_shared_vgpr_count 0
		.amdhsa_exception_fp_ieee_invalid_op 0
		.amdhsa_exception_fp_denorm_src 0
		.amdhsa_exception_fp_ieee_div_zero 0
		.amdhsa_exception_fp_ieee_overflow 0
		.amdhsa_exception_fp_ieee_underflow 0
		.amdhsa_exception_fp_ieee_inexact 0
		.amdhsa_exception_int_div_zero 0
	.end_amdhsa_kernel
	.section	.text._ZL13mul_mat_vec_qIN3c104HalfELi256ELi16E10block_q2_KLi1EXadL_ZL17vec_dot_q2_K_q8_1PKvPK10block_q8_1RKiEEEvS4_S4_PT_iii,"axG",@progbits,_ZL13mul_mat_vec_qIN3c104HalfELi256ELi16E10block_q2_KLi1EXadL_ZL17vec_dot_q2_K_q8_1PKvPK10block_q8_1RKiEEEvS4_S4_PT_iii,comdat
.Lfunc_end83:
	.size	_ZL13mul_mat_vec_qIN3c104HalfELi256ELi16E10block_q2_KLi1EXadL_ZL17vec_dot_q2_K_q8_1PKvPK10block_q8_1RKiEEEvS4_S4_PT_iii, .Lfunc_end83-_ZL13mul_mat_vec_qIN3c104HalfELi256ELi16E10block_q2_KLi1EXadL_ZL17vec_dot_q2_K_q8_1PKvPK10block_q8_1RKiEEEvS4_S4_PT_iii
                                        ; -- End function
	.section	.AMDGPU.csdata,"",@progbits
; Kernel info:
; codeLenInByte = 1680
; NumSgprs: 18
; NumVgprs: 65
; ScratchSize: 0
; MemoryBound: 0
; FloatMode: 240
; IeeeMode: 1
; LDSByteSize: 0 bytes/workgroup (compile time only)
; SGPRBlocks: 2
; VGPRBlocks: 8
; NumSGPRsForWavesPerEU: 18
; NumVGPRsForWavesPerEU: 65
; Occupancy: 16
; WaveLimiterHint : 0
; COMPUTE_PGM_RSRC2:SCRATCH_EN: 0
; COMPUTE_PGM_RSRC2:USER_SGPR: 14
; COMPUTE_PGM_RSRC2:TRAP_HANDLER: 0
; COMPUTE_PGM_RSRC2:TGID_X_EN: 1
; COMPUTE_PGM_RSRC2:TGID_Y_EN: 1
; COMPUTE_PGM_RSRC2:TGID_Z_EN: 0
; COMPUTE_PGM_RSRC2:TIDIG_COMP_CNT: 1
	.section	.text._ZL13mul_mat_vec_qIN3c104HalfELi256ELi16E10block_q3_KLi1EXadL_ZL17vec_dot_q3_K_q8_1PKvPK10block_q8_1RKiEEEvS4_S4_PT_iii,"axG",@progbits,_ZL13mul_mat_vec_qIN3c104HalfELi256ELi16E10block_q3_KLi1EXadL_ZL17vec_dot_q3_K_q8_1PKvPK10block_q8_1RKiEEEvS4_S4_PT_iii,comdat
	.globl	_ZL13mul_mat_vec_qIN3c104HalfELi256ELi16E10block_q3_KLi1EXadL_ZL17vec_dot_q3_K_q8_1PKvPK10block_q8_1RKiEEEvS4_S4_PT_iii ; -- Begin function _ZL13mul_mat_vec_qIN3c104HalfELi256ELi16E10block_q3_KLi1EXadL_ZL17vec_dot_q3_K_q8_1PKvPK10block_q8_1RKiEEEvS4_S4_PT_iii
	.p2align	8
	.type	_ZL13mul_mat_vec_qIN3c104HalfELi256ELi16E10block_q3_KLi1EXadL_ZL17vec_dot_q3_K_q8_1PKvPK10block_q8_1RKiEEEvS4_S4_PT_iii,@function
_ZL13mul_mat_vec_qIN3c104HalfELi256ELi16E10block_q3_KLi1EXadL_ZL17vec_dot_q3_K_q8_1PKvPK10block_q8_1RKiEEEvS4_S4_PT_iii: ; @_ZL13mul_mat_vec_qIN3c104HalfELi256ELi16E10block_q3_KLi1EXadL_ZL17vec_dot_q3_K_q8_1PKvPK10block_q8_1RKiEEEvS4_S4_PT_iii
; %bb.0:
	s_clause 0x1
	s_load_b32 s2, s[0:1], 0x34
	s_load_b128 s[4:7], s[0:1], 0x18
	v_bfe_u32 v3, v0, 10, 10
	s_waitcnt lgkmcnt(0)
	s_lshr_b32 s2, s2, 16
	s_cmp_lt_u32 s15, s6
	s_delay_alu instid0(VALU_DEP_1) | instskip(SKIP_1) | instid1(VALU_DEP_1)
	v_mad_u64_u32 v[1:2], null, s14, s2, v[3:4]
	s_cselect_b32 s2, -1, 0
	v_cmp_gt_u32_e32 vcc_lo, s5, v1
	s_and_b32 s2, s2, vcc_lo
	s_delay_alu instid0(SALU_CYCLE_1)
	s_and_saveexec_b32 s3, s2
	s_cbranch_execz .LBB84_7
; %bb.1:
	s_load_b64 s[6:7], s[0:1], 0x10
	v_dual_mov_b32 v3, 0 :: v_dual_and_b32 v0, 0x3ff, v0
	s_ashr_i32 s2, s4, 31
	s_mov_b32 s8, exec_lo
	s_lshr_b32 s2, s2, 24
	s_delay_alu instid0(VALU_DEP_1) | instskip(SKIP_1) | instid1(SALU_CYCLE_1)
	v_lshrrev_b32_e32 v8, 4, v0
	s_add_i32 s2, s4, s2
	s_ashr_i32 s9, s2, 8
	s_delay_alu instid0(VALU_DEP_1) | instid1(SALU_CYCLE_1)
	v_cmpx_gt_u32_e64 s9, v8
	s_cbranch_execz .LBB84_5
; %bb.2:
	v_and_b32_e32 v4, 15, v0
	s_load_b128 s[0:3], s[0:1], 0x0
	s_addk_i32 s4, 0x1ff
	v_lshlrev_b32_e32 v35, 3, v8
	s_ashr_i32 s10, s4, 31
	v_add_nc_u32_e32 v2, -8, v4
	v_cmp_gt_u32_e32 vcc_lo, 8, v4
	s_lshr_b32 s10, s10, 23
	v_mul_lo_u32 v9, v1, s9
	s_add_i32 s4, s4, s10
	v_cndmask_b32_e32 v2, v2, v4, vcc_lo
	s_ashr_i32 s4, s4, 9
	s_delay_alu instid0(SALU_CYCLE_1) | instskip(NEXT) | instid1(VALU_DEP_1)
	s_mul_i32 s4, s15, s4
	v_sub_nc_u32_e32 v3, v4, v2
	v_cmp_lt_u32_e32 vcc_lo, 3, v2
	v_lshl_add_u32 v35, s4, 4, v35
	s_delay_alu instid0(VALU_DEP_3) | instskip(SKIP_3) | instid1(VALU_DEP_4)
	v_add_co_ci_u32_e32 v6, vcc_lo, 0, v3, vcc_lo
	v_mov_b32_e32 v3, 0
	v_cmp_lt_u32_e32 vcc_lo, 7, v4
	v_lshlrev_b32_e32 v10, 2, v4
	v_bfe_i32 v7, v6, 0, 8
	v_add_nc_u16 v20, v6, 2
	v_add_nc_u16 v26, v6, 4
	v_cndmask_b32_e64 v5, 0, 1, vcc_lo
	v_add_nc_u16 v29, v6, 6
	v_lshrrev_b16 v4, 7, v7
	v_bfe_i32 v7, v20, 0, 8
	v_bfe_i32 v12, v26, 0, 8
	v_lshlrev_b32_e32 v11, 2, v5
	v_bfe_i32 v23, v29, 0, 8
	v_and_b32_e32 v13, 0xff, v4
	v_lshrrev_b16 v7, 7, v7
	v_lshlrev_b64 v[4:5], 2, v[2:3]
	v_lshrrev_b16 v2, 7, v12
	v_lshrrev_b16 v23, 7, v23
	;; [unrolled: 1-line block ×4, first 2 shown]
	v_and_b32_e32 v7, 0xff, v7
	v_and_b32_e32 v21, 0xff, v2
	;; [unrolled: 1-line block ×3, first 2 shown]
	v_add_nc_u16 v2, v6, v12
	v_add_nc_u16 v12, v6, v13
	v_lshrrev_b16 v13, 5, v7
	v_lshrrev_b16 v7, 6, v7
	;; [unrolled: 1-line block ×3, first 2 shown]
	v_bfe_i32 v15, v2, 0, 8
	v_and_b32_e32 v2, 0xf8, v2
	v_bfe_i32 v16, v12, 0, 8
	v_and_b32_e32 v12, 0xfc, v12
	v_add_nc_u16 v13, v20, v13
	v_add_nc_u16 v7, v20, v7
	v_add_nc_u16 v22, v26, v14
	v_lshrrev_b16 v14, 3, v15
	v_sub_nc_u16 v2, v6, v2
	v_ashrrev_i16 v15, 2, v16
	v_sub_nc_u16 v6, v6, v12
	v_bfe_i32 v12, v13, 0, 8
	v_bfe_i32 v16, v7, 0, 8
	v_and_b32_e32 v13, 0xf8, v13
	v_bfe_i32 v17, v15, 0, 16
	v_and_b32_e32 v7, 0xfc, v7
	v_lshrrev_b16 v15, 3, v12
	v_bfe_i32 v12, v6, 0, 8
	v_ashrrev_i16 v6, 2, v16
	v_bfe_i32 v24, v22, 0, 8
	v_lshrrev_b16 v21, 6, v21
	v_sub_nc_u16 v18, v20, v13
	v_sub_nc_u16 v7, v20, v7
	v_bfe_i32 v6, v6, 0, 16
	v_lshrrev_b16 v25, 5, v28
	v_add_nc_u16 v27, v26, v21
	v_lshrrev_b16 v28, 6, v28
	v_bfe_i32 v21, v7, 0, 8
	v_lshlrev_b32_e32 v20, 1, v6
	v_lshrrev_b16 v6, 3, v24
	v_bfe_i32 v7, v27, 0, 8
	v_and_b32_e32 v22, 0xf8, v22
	v_and_b32_e32 v27, 0xfc, v27
	v_add_nc_u16 v28, v29, v28
	v_and_b32_e32 v6, 0xff, v6
	v_and_b32_e32 v14, 0xff, v14
	v_sub_nc_u16 v22, v26, v22
	v_sub_nc_u16 v27, v26, v27
	v_and_b32_e32 v31, 0xfc, v28
	v_lshlrev_b32_e32 v24, 2, v6
	v_lshrrev_b16 v6, 2, v7
	v_add_nc_u16 v7, v29, v25
	v_bfe_i32 v2, v2, 0, 8
	v_sub_nc_u16 v32, v29, v31
	v_lshlrev_b32_e32 v13, 2, v14
	v_and_b32_e32 v6, 0xff, v6
	v_bfe_i32 v30, v7, 0, 8
	v_and_b32_e32 v7, 0xf8, v7
	v_and_b32_e32 v19, 0xff, v15
	v_bfe_i32 v14, v18, 0, 8
	v_lshlrev_b32_e32 v26, 1, v6
	v_lshrrev_b16 v6, 3, v30
	v_sub_nc_u16 v7, v29, v7
	v_bfe_i32 v30, v28, 0, 8
	v_bfe_i32 v22, v22, 0, 8
	;; [unrolled: 1-line block ×3, first 2 shown]
	v_and_b32_e32 v6, 0xff, v6
	v_bfe_i32 v28, v7, 0, 8
	v_lshrrev_b16 v7, 2, v30
	v_bfe_i32 v32, v32, 0, 8
	v_ashrrev_i32_e32 v15, 31, v2
	v_lshlrev_b32_e32 v30, 2, v6
	v_lshlrev_b32_e32 v16, 1, v17
	v_and_b32_e32 v33, 0xff, v7
	s_waitcnt lgkmcnt(0)
	v_mad_u64_u32 v[6:7], null, v11, 36, s[2:3]
	v_ashrrev_i32_e32 v17, 31, v12
	v_lshlrev_b32_e32 v18, 2, v19
	v_ashrrev_i32_e32 v19, 31, v14
	v_ashrrev_i32_e32 v23, 31, v21
	;; [unrolled: 1-line block ×5, first 2 shown]
	v_lshlrev_b32_e32 v33, 1, v33
	v_ashrrev_i32_e32 v34, 31, v32
	s_mov_b32 s2, 0
.LBB84_3:                               ; =>This Inner Loop Header: Depth=1
	v_mad_i64_i32 v[36:37], null, v35, 36, v[6:7]
	v_add_nc_u32_e32 v40, v9, v8
	v_add_nc_u32_e32 v8, 2, v8
	;; [unrolled: 1-line block ×3, first 2 shown]
	s_delay_alu instid0(VALU_DEP_3)
	v_mad_i64_i32 v[38:39], null, 0x6e, v40, s[0:1]
	v_add_co_u32 v40, vcc_lo, v36, v4
	v_add_co_ci_u32_e32 v41, vcc_lo, v37, v5, vcc_lo
	v_add_co_u32 v46, vcc_lo, v36, 36
	v_add_co_ci_u32_e32 v47, vcc_lo, 0, v37, vcc_lo
	;; [unrolled: 2-line block ×6, first 2 shown]
	global_load_b32 v65, v[40:41], off offset:4
	v_add_co_u32 v40, vcc_lo, v46, v4
	v_add_co_ci_u32_e32 v41, vcc_lo, v47, v5, vcc_lo
	v_add_co_u32 v46, vcc_lo, v48, v4
	v_add_co_ci_u32_e32 v47, vcc_lo, v49, v5, vcc_lo
	;; [unrolled: 2-line block ×9, first 2 shown]
	global_load_u16 v64, v[38:39], off offset:108
	v_add_co_u32 v38, vcc_lo, v38, v32
	v_add_co_ci_u32_e32 v39, vcc_lo, v39, v34, vcc_lo
	s_clause 0x5
	global_load_b32 v44, v[44:45], off
	global_load_u8 v45, v[48:49], off offset:96
	global_load_u8 v48, v[50:51], off offset:104
	global_load_b32 v42, v[42:43], off offset:32
	global_load_u8 v43, v[52:53], off offset:96
	global_load_u8 v49, v[54:55], off offset:104
	global_load_b32 v40, v[40:41], off offset:4
	s_clause 0x3
	global_load_u8 v41, v[56:57], off offset:96
	global_load_u8 v50, v[58:59], off offset:104
	;; [unrolled: 1-line block ×4, first 2 shown]
	global_load_b32 v46, v[46:47], off offset:4
	v_add_co_u32 v38, vcc_lo, v62, v4
	v_add_co_ci_u32_e32 v39, vcc_lo, v63, v5, vcc_lo
	s_clause 0x4
	global_load_b32 v38, v[38:39], off offset:4
	global_load_b32 v39, v[36:37], off
	global_load_b32 v47, v[36:37], off offset:36
	global_load_b32 v53, v[36:37], off offset:72
	;; [unrolled: 1-line block ×3, first 2 shown]
	v_cmp_le_u32_e32 vcc_lo, s9, v8
	s_or_b32 s2, vcc_lo, s2
	s_waitcnt vmcnt(18)
	v_perm_b32 v37, v65, v65, 0x30201
	s_waitcnt vmcnt(16)
	v_ashrrev_i32_e32 v44, v11, v44
	s_waitcnt vmcnt(15)
	v_bfe_u32 v45, v45, v13, 4
	s_waitcnt vmcnt(14)
	v_lshrrev_b32_e32 v48, v16, v48
	s_waitcnt vmcnt(13)
	v_lshrrev_b32_e32 v57, 4, v42
	v_and_b32_e32 v54, 0x3030303, v42
	v_not_b32_e32 v44, v44
	s_waitcnt vmcnt(11)
	v_lshrrev_b32_e32 v49, v20, v49
	v_lshlrev_b32_e32 v48, 4, v48
	s_waitcnt vmcnt(8)
	v_lshrrev_b32_e32 v50, v26, v50
	v_lshrrev_b32_e32 v56, 2, v42
	v_bfe_u32 v41, v41, v24, 4
	s_waitcnt vmcnt(6)
	v_lshrrev_b32_e32 v52, v33, v52
	v_and_or_b32 v45, v48, 48, v45
	v_lshlrev_b32_e32 v48, 2, v44
	v_lshrrev_b32_e32 v58, 6, v42
	v_lshlrev_b32_e32 v50, 4, v50
	v_and_b32_e32 v62, 0x3030303, v57
	v_lshlrev_b32_e32 v65, 1, v44
	v_and_b32_e32 v67, 0x4040404, v44
	v_lshrrev_b32_e32 v44, 1, v44
	v_and_b32_e32 v48, 0x4040404, v48
	v_bfe_u32 v55, v42, 24, 2
	v_bfe_u32 v43, v43, v18, 4
	;; [unrolled: 1-line block ×3, first 2 shown]
	v_lshrrev_b16 v59, 8, v54
	v_lshrrev_b32_e32 v60, 16, v54
	v_lshlrev_b32_e32 v49, 4, v49
	v_and_b32_e32 v61, 0x3030303, v56
	v_bfe_u32 v57, v57, 24, 2
	v_lshlrev_b32_e32 v52, 4, v52
	v_and_b32_e32 v58, 0x3030303, v58
	v_and_or_b32 v41, v50, 48, v41
	v_lshrrev_b16 v50, 8, v62
	v_lshrrev_b32_e32 v66, 16, v62
	v_and_b32_e32 v65, 0x4040404, v65
	v_lshrrev_b16 v69, 8, v67
	v_lshrrev_b32_e32 v70, 16, v67
	v_lshrrev_b32_e32 v71, 24, v67
	v_sub_nc_u16 v62, v62, v67
	v_and_b32_e32 v44, 0x4040404, v44
	v_lshrrev_b16 v67, 8, v48
	v_lshrrev_b32_e32 v72, 16, v48
	v_lshrrev_b32_e32 v73, 24, v48
	v_bfe_u32 v56, v56, 24, 2
	v_and_or_b32 v43, v49, 48, v43
	v_lshrrev_b16 v49, 8, v61
	v_lshrrev_b32_e32 v63, 16, v61
	v_and_or_b32 v51, v52, 48, v51
	v_lshrrev_b16 v52, 8, v58
	v_lshrrev_b32_e32 v68, 16, v58
	v_sub_nc_u16 v48, v54, v48
	v_lshrrev_b16 v54, 8, v65
	v_lshrrev_b32_e32 v74, 16, v65
	v_lshrrev_b32_e32 v75, 24, v65
	v_sub_nc_u16 v61, v61, v65
	v_sub_nc_u16 v57, v57, v71
	v_sub_nc_u16 v65, v66, v70
	v_sub_nc_u16 v50, v50, v69
	v_lshrrev_b16 v69, 8, v44
	v_lshrrev_b32_e32 v70, 16, v44
	v_lshrrev_b32_e32 v71, 24, v44
	v_sub_nc_u16 v44, v58, v44
	v_sub_nc_u16 v55, v55, v73
	;; [unrolled: 1-line block ×4, first 2 shown]
	v_lshrrev_b32_e32 v42, 30, v42
	v_and_b32_e32 v60, 0xff, v48
	v_sub_nc_u16 v56, v56, v75
	v_sub_nc_u16 v63, v63, v74
	;; [unrolled: 1-line block ×3, first 2 shown]
	v_lshlrev_b16 v54, 8, v57
	v_and_b32_e32 v57, 0xff, v65
	v_sub_nc_u16 v52, v52, v69
	v_lshlrev_b16 v55, 8, v55
	v_and_b32_e32 v69, 0xff, v58
	v_lshlrev_b16 v59, 8, v59
	v_and_b32_e32 v67, 0xff, v61
	v_sub_nc_u16 v42, v42, v71
	v_lshlrev_b16 v56, 8, v56
	v_and_b32_e32 v71, 0xff, v63
	v_lshlrev_b16 v49, 8, v49
	v_or_b32_e32 v54, v57, v54
	v_or_b32_e32 v57, v60, v59
	;; [unrolled: 1-line block ×3, first 2 shown]
	v_and_b32_e32 v66, 0xff, v62
	v_lshlrev_b16 v50, 8, v50
	v_sub_nc_u16 v68, v68, v70
	v_or_b32_e32 v56, v71, v56
	v_or_b32_e32 v49, v67, v49
	v_perm_b32 v57, v58, v57, 0xc0c0401
	v_perm_b32 v48, v48, v55, 0x4010c0c
	v_and_b32_e32 v70, 0xff, v44
	v_or_b32_e32 v50, v66, v50
	v_lshlrev_b16 v42, 8, v42
	v_and_b32_e32 v59, 0xff, v68
	v_lshlrev_b16 v52, 8, v52
	v_perm_b32 v49, v63, v49, 0xc0c0401
	v_perm_b32 v55, v61, v56, 0x4010c0c
	v_or_b32_e32 v48, v48, v57
	v_perm_b32 v40, v40, v40, 0x30201
	v_subrev_nc_u32_e32 v45, 32, v45
	v_perm_b32 v50, v65, v50, 0xc0c0401
	v_perm_b32 v54, v62, v54, 0x4010c0c
	v_or_b32_e32 v52, v70, v52
	v_or_b32_e32 v42, v59, v42
	;; [unrolled: 1-line block ×3, first 2 shown]
	v_dot4_i32_iu8 v37, v48, v37, 0 neg_lo:[1,1,0]
	s_waitcnt vmcnt(5)
	v_perm_b32 v46, v46, v46, 0x30201
	v_subrev_nc_u32_e32 v43, 32, v43
	v_or_b32_e32 v48, v54, v50
	v_perm_b32 v44, v52, v44, 0xc0c0500
	v_perm_b32 v42, v42, v68, 0x5000c0c
	v_dot4_i32_iu8 v40, v49, v40, 0 neg_lo:[1,1,0]
	v_mul_lo_u32 v37, v45, v37
	v_subrev_nc_u32_e32 v41, 32, v41
	v_dot4_i32_iu8 v45, v48, v46, 0 neg_lo:[1,1,0]
	v_or_b32_e32 v42, v42, v44
	v_mul_lo_u32 v40, v43, v40
	v_subrev_nc_u32_e32 v43, 32, v51
	s_delay_alu instid0(VALU_DEP_4)
	v_mul_lo_u32 v41, v41, v45
	v_cvt_f32_i32_e32 v37, v37
	s_waitcnt vmcnt(4)
	v_dot4_i32_iu8 v38, v38, v42, 0 neg_lo:[1,1,0]
	v_cvt_f32_i32_e32 v40, v40
	s_waitcnt vmcnt(3)
	v_fma_mix_f32 v37, v39, v37, 0 op_sel_hi:[1,0,0]
	s_delay_alu instid0(VALU_DEP_3) | instskip(SKIP_2) | instid1(VALU_DEP_3)
	v_mul_lo_u32 v38, v43, v38
	v_cvt_f32_i32_e32 v39, v41
	s_waitcnt vmcnt(2)
	v_fma_mix_f32 v37, v47, v40, v37 op_sel_hi:[1,0,0]
	s_delay_alu instid0(VALU_DEP_3) | instskip(SKIP_1) | instid1(VALU_DEP_2)
	v_cvt_f32_i32_e32 v38, v38
	s_waitcnt vmcnt(1)
	v_fma_mix_f32 v37, v53, v39, v37 op_sel_hi:[1,0,0]
	s_waitcnt vmcnt(0)
	s_delay_alu instid0(VALU_DEP_1) | instskip(NEXT) | instid1(VALU_DEP_1)
	v_fma_mix_f32 v36, v36, v38, v37 op_sel_hi:[1,0,0]
	v_fma_mix_f32 v3, v36, v64, v3 op_sel_hi:[0,1,0]
	s_and_not1_b32 exec_lo, exec_lo, s2
	s_cbranch_execnz .LBB84_3
; %bb.4:
	s_or_b32 exec_lo, exec_lo, s2
.LBB84_5:
	s_delay_alu instid0(SALU_CYCLE_1) | instskip(SKIP_1) | instid1(VALU_DEP_1)
	s_or_b32 exec_lo, exec_lo, s8
	v_mbcnt_lo_u32_b32 v2, -1, 0
	v_xor_b32_e32 v4, 16, v2
	v_xor_b32_e32 v5, 8, v2
	s_delay_alu instid0(VALU_DEP_2) | instskip(SKIP_1) | instid1(VALU_DEP_3)
	v_cmp_gt_i32_e32 vcc_lo, 32, v4
	v_cndmask_b32_e32 v4, v2, v4, vcc_lo
	v_cmp_gt_i32_e32 vcc_lo, 32, v5
	v_cndmask_b32_e32 v5, v2, v5, vcc_lo
	s_delay_alu instid0(VALU_DEP_1) | instskip(NEXT) | instid1(VALU_DEP_4)
	v_lshlrev_b32_e32 v5, 2, v5
	v_lshlrev_b32_e32 v4, 2, v4
	ds_bpermute_b32 v4, v4, v3
	s_waitcnt lgkmcnt(0)
	v_add_f32_e32 v3, v3, v4
	ds_bpermute_b32 v4, v5, v3
	v_xor_b32_e32 v5, 4, v2
	s_delay_alu instid0(VALU_DEP_1) | instskip(SKIP_1) | instid1(VALU_DEP_1)
	v_cmp_gt_i32_e32 vcc_lo, 32, v5
	v_cndmask_b32_e32 v5, v2, v5, vcc_lo
	v_lshlrev_b32_e32 v5, 2, v5
	s_waitcnt lgkmcnt(0)
	v_add_f32_e32 v3, v3, v4
	ds_bpermute_b32 v4, v5, v3
	v_xor_b32_e32 v5, 2, v2
	s_delay_alu instid0(VALU_DEP_1) | instskip(SKIP_1) | instid1(VALU_DEP_1)
	v_cmp_gt_i32_e32 vcc_lo, 32, v5
	v_cndmask_b32_e32 v5, v2, v5, vcc_lo
	v_lshlrev_b32_e32 v5, 2, v5
	s_waitcnt lgkmcnt(0)
	v_add_f32_e32 v3, v3, v4
	ds_bpermute_b32 v4, v5, v3
	v_xor_b32_e32 v5, 1, v2
	s_delay_alu instid0(VALU_DEP_1) | instskip(SKIP_3) | instid1(VALU_DEP_2)
	v_cmp_gt_i32_e32 vcc_lo, 32, v5
	v_cndmask_b32_e32 v5, v2, v5, vcc_lo
	v_cmp_eq_u32_e32 vcc_lo, 0, v0
	s_waitcnt lgkmcnt(0)
	v_dual_add_f32 v2, v3, v4 :: v_dual_lshlrev_b32 v3, 2, v5
	ds_bpermute_b32 v3, v3, v2
	s_and_b32 exec_lo, exec_lo, vcc_lo
	s_cbranch_execz .LBB84_7
; %bb.6:
	v_mad_u64_u32 v[4:5], null, s15, s5, v[1:2]
	s_waitcnt lgkmcnt(0)
	v_dual_mov_b32 v5, 0 :: v_dual_add_f32 v2, v2, v3
	s_delay_alu instid0(VALU_DEP_1) | instskip(NEXT) | instid1(VALU_DEP_2)
	v_cvt_f16_f32_e32 v2, v2
	v_lshlrev_b64 v[0:1], 1, v[4:5]
	s_delay_alu instid0(VALU_DEP_1) | instskip(NEXT) | instid1(VALU_DEP_2)
	v_add_co_u32 v0, vcc_lo, s6, v0
	v_add_co_ci_u32_e32 v1, vcc_lo, s7, v1, vcc_lo
	global_store_b16 v[0:1], v2, off
.LBB84_7:
	s_nop 0
	s_sendmsg sendmsg(MSG_DEALLOC_VGPRS)
	s_endpgm
	.section	.rodata,"a",@progbits
	.p2align	6, 0x0
	.amdhsa_kernel _ZL13mul_mat_vec_qIN3c104HalfELi256ELi16E10block_q3_KLi1EXadL_ZL17vec_dot_q3_K_q8_1PKvPK10block_q8_1RKiEEEvS4_S4_PT_iii
		.amdhsa_group_segment_fixed_size 0
		.amdhsa_private_segment_fixed_size 0
		.amdhsa_kernarg_size 296
		.amdhsa_user_sgpr_count 14
		.amdhsa_user_sgpr_dispatch_ptr 0
		.amdhsa_user_sgpr_queue_ptr 0
		.amdhsa_user_sgpr_kernarg_segment_ptr 1
		.amdhsa_user_sgpr_dispatch_id 0
		.amdhsa_user_sgpr_private_segment_size 0
		.amdhsa_wavefront_size32 1
		.amdhsa_uses_dynamic_stack 0
		.amdhsa_enable_private_segment 0
		.amdhsa_system_sgpr_workgroup_id_x 1
		.amdhsa_system_sgpr_workgroup_id_y 1
		.amdhsa_system_sgpr_workgroup_id_z 0
		.amdhsa_system_sgpr_workgroup_info 0
		.amdhsa_system_vgpr_workitem_id 1
		.amdhsa_next_free_vgpr 76
		.amdhsa_next_free_sgpr 16
		.amdhsa_reserve_vcc 1
		.amdhsa_float_round_mode_32 0
		.amdhsa_float_round_mode_16_64 0
		.amdhsa_float_denorm_mode_32 3
		.amdhsa_float_denorm_mode_16_64 3
		.amdhsa_dx10_clamp 1
		.amdhsa_ieee_mode 1
		.amdhsa_fp16_overflow 0
		.amdhsa_workgroup_processor_mode 1
		.amdhsa_memory_ordered 1
		.amdhsa_forward_progress 0
		.amdhsa_shared_vgpr_count 0
		.amdhsa_exception_fp_ieee_invalid_op 0
		.amdhsa_exception_fp_denorm_src 0
		.amdhsa_exception_fp_ieee_div_zero 0
		.amdhsa_exception_fp_ieee_overflow 0
		.amdhsa_exception_fp_ieee_underflow 0
		.amdhsa_exception_fp_ieee_inexact 0
		.amdhsa_exception_int_div_zero 0
	.end_amdhsa_kernel
	.section	.text._ZL13mul_mat_vec_qIN3c104HalfELi256ELi16E10block_q3_KLi1EXadL_ZL17vec_dot_q3_K_q8_1PKvPK10block_q8_1RKiEEEvS4_S4_PT_iii,"axG",@progbits,_ZL13mul_mat_vec_qIN3c104HalfELi256ELi16E10block_q3_KLi1EXadL_ZL17vec_dot_q3_K_q8_1PKvPK10block_q8_1RKiEEEvS4_S4_PT_iii,comdat
.Lfunc_end84:
	.size	_ZL13mul_mat_vec_qIN3c104HalfELi256ELi16E10block_q3_KLi1EXadL_ZL17vec_dot_q3_K_q8_1PKvPK10block_q8_1RKiEEEvS4_S4_PT_iii, .Lfunc_end84-_ZL13mul_mat_vec_qIN3c104HalfELi256ELi16E10block_q3_KLi1EXadL_ZL17vec_dot_q3_K_q8_1PKvPK10block_q8_1RKiEEEvS4_S4_PT_iii
                                        ; -- End function
	.section	.AMDGPU.csdata,"",@progbits
; Kernel info:
; codeLenInByte = 2652
; NumSgprs: 18
; NumVgprs: 76
; ScratchSize: 0
; MemoryBound: 0
; FloatMode: 240
; IeeeMode: 1
; LDSByteSize: 0 bytes/workgroup (compile time only)
; SGPRBlocks: 2
; VGPRBlocks: 9
; NumSGPRsForWavesPerEU: 18
; NumVGPRsForWavesPerEU: 76
; Occupancy: 16
; WaveLimiterHint : 0
; COMPUTE_PGM_RSRC2:SCRATCH_EN: 0
; COMPUTE_PGM_RSRC2:USER_SGPR: 14
; COMPUTE_PGM_RSRC2:TRAP_HANDLER: 0
; COMPUTE_PGM_RSRC2:TGID_X_EN: 1
; COMPUTE_PGM_RSRC2:TGID_Y_EN: 1
; COMPUTE_PGM_RSRC2:TGID_Z_EN: 0
; COMPUTE_PGM_RSRC2:TIDIG_COMP_CNT: 1
	.section	.text._ZL13mul_mat_vec_qIN3c104HalfELi256ELi32E10block_q4_KLi2EXadL_ZL17vec_dot_q4_K_q8_1PKvPK10block_q8_1RKiEEEvS4_S4_PT_iii,"axG",@progbits,_ZL13mul_mat_vec_qIN3c104HalfELi256ELi32E10block_q4_KLi2EXadL_ZL17vec_dot_q4_K_q8_1PKvPK10block_q8_1RKiEEEvS4_S4_PT_iii,comdat
	.globl	_ZL13mul_mat_vec_qIN3c104HalfELi256ELi32E10block_q4_KLi2EXadL_ZL17vec_dot_q4_K_q8_1PKvPK10block_q8_1RKiEEEvS4_S4_PT_iii ; -- Begin function _ZL13mul_mat_vec_qIN3c104HalfELi256ELi32E10block_q4_KLi2EXadL_ZL17vec_dot_q4_K_q8_1PKvPK10block_q8_1RKiEEEvS4_S4_PT_iii
	.p2align	8
	.type	_ZL13mul_mat_vec_qIN3c104HalfELi256ELi32E10block_q4_KLi2EXadL_ZL17vec_dot_q4_K_q8_1PKvPK10block_q8_1RKiEEEvS4_S4_PT_iii,@function
_ZL13mul_mat_vec_qIN3c104HalfELi256ELi32E10block_q4_KLi2EXadL_ZL17vec_dot_q4_K_q8_1PKvPK10block_q8_1RKiEEEvS4_S4_PT_iii: ; @_ZL13mul_mat_vec_qIN3c104HalfELi256ELi32E10block_q4_KLi2EXadL_ZL17vec_dot_q4_K_q8_1PKvPK10block_q8_1RKiEEEvS4_S4_PT_iii
; %bb.0:
	s_clause 0x1
	s_load_b32 s2, s[0:1], 0x34
	s_load_b128 s[4:7], s[0:1], 0x18
	v_bfe_u32 v3, v0, 10, 10
	s_waitcnt lgkmcnt(0)
	s_lshr_b32 s2, s2, 16
	s_cmp_lt_u32 s15, s6
	s_delay_alu instid0(VALU_DEP_1) | instskip(SKIP_1) | instid1(VALU_DEP_1)
	v_mad_u64_u32 v[1:2], null, s14, s2, v[3:4]
	s_cselect_b32 s2, -1, 0
	v_cmp_gt_u32_e32 vcc_lo, s5, v1
	s_and_b32 s2, s2, vcc_lo
	s_delay_alu instid0(SALU_CYCLE_1)
	s_and_saveexec_b32 s3, s2
	s_cbranch_execz .LBB85_11
; %bb.1:
	s_load_b64 s[2:3], s[0:1], 0x10
	v_dual_mov_b32 v9, 0 :: v_dual_and_b32 v0, 0x3ff, v0
	s_ashr_i32 s6, s4, 31
	s_delay_alu instid0(SALU_CYCLE_1) | instskip(NEXT) | instid1(VALU_DEP_1)
	s_lshr_b32 s6, s6, 24
	v_lshrrev_b32_e32 v8, 4, v0
	s_add_i32 s6, s4, s6
	s_delay_alu instid0(SALU_CYCLE_1) | instskip(SKIP_1) | instid1(VALU_DEP_1)
	s_ashr_i32 s7, s6, 8
	s_mov_b32 s6, exec_lo
	v_cmpx_gt_u32_e64 s7, v8
	s_cbranch_execz .LBB85_9
; %bb.2:
	s_load_b128 s[8:11], s[0:1], 0x0
	v_dual_mov_b32 v9, 0 :: v_dual_lshlrev_b32 v2, 1, v0
	s_addk_i32 s4, 0x1ff
	v_and_b32_e32 v5, 3, v0
	s_ashr_i32 s0, s4, 31
	s_delay_alu instid0(VALU_DEP_2)
	v_bfe_u32 v4, v2, 3, 2
	s_lshr_b32 s0, s0, 23
	v_and_b32_e32 v2, 30, v2
	s_add_i32 s4, s4, s0
	v_lshlrev_b32_e32 v7, 3, v8
	v_lshlrev_b32_e32 v6, 1, v4
	s_ashr_i32 s0, s4, 9
	v_mul_lo_u32 v10, v1, s7
	v_cmp_lt_u32_e32 vcc_lo, 15, v2
	s_mul_i32 s0, s15, s0
	v_lshlrev_b32_e32 v11, 5, v4
	v_lshlrev_b32_e32 v12, 2, v5
	v_lshl_add_u32 v13, s0, 4, v7
	v_lshlrev_b32_e32 v14, 1, v4
	s_waitcnt lgkmcnt(0)
	v_mad_u64_u32 v[2:3], null, v6, 36, s[10:11]
	v_lshlrev_b32_e32 v15, 2, v5
	s_mov_b32 s1, 0
	s_branch .LBB85_4
.LBB85_3:                               ;   in Loop: Header=BB85_4 Depth=1
	s_or_b32 exec_lo, exec_lo, s0
	v_mad_i64_i32 v[6:7], null, v13, 36, v[2:3]
	s_waitcnt vmcnt(1)
	v_and_b32_e32 v25, 15, v16
	v_bfe_u32 v26, v16, 8, 4
	v_bfe_u32 v27, v16, 16, 4
	;; [unrolled: 1-line block ×3, first 2 shown]
	v_ashrrev_i32_e32 v16, 4, v16
	s_waitcnt vmcnt(0)
	v_and_b32_e32 v29, 15, v17
	v_add_co_u32 v20, s0, v6, v15
	s_delay_alu instid0(VALU_DEP_1)
	v_add_co_ci_u32_e64 v21, s0, 0, v7, s0
	v_bfe_u32 v30, v17, 8, 4
	v_bfe_u32 v31, v17, 16, 4
	;; [unrolled: 1-line block ×3, first 2 shown]
	s_clause 0x3
	global_load_b32 v22, v[20:21], off offset:4
	global_load_b32 v23, v[20:21], off offset:20
	;; [unrolled: 1-line block ×4, first 2 shown]
	global_load_b32 v4, v[4:5], off
	s_clause 0x1
	global_load_b32 v5, v[6:7], off
	global_load_b32 v6, v[6:7], off offset:36
	v_ashrrev_i32_e32 v17, 4, v17
	v_and_b32_e32 v33, 15, v16
	v_bfe_u32 v34, v16, 8, 4
	v_bfe_u32 v35, v16, 16, 4
	v_lshrrev_b16 v7, 8, v18
	v_and_b32_e32 v36, 15, v17
	v_and_b32_e32 v18, 0xff, v18
	v_bfe_u32 v16, v16, 24, 4
	v_bfe_u32 v37, v17, 8, 4
	v_lshrrev_b16 v21, 8, v19
	v_and_b32_e32 v19, 0xff, v19
	v_and_b32_e32 v18, 0xffff, v18
	v_bfe_u32 v38, v17, 16, 4
	v_bfe_u32 v17, v17, 24, 4
	v_and_b32_e32 v7, 0xffff, v7
	v_and_b32_e32 v19, 0xffff, v19
	;; [unrolled: 1-line block ×3, first 2 shown]
	v_add_nc_u32_e32 v8, 2, v8
	v_add_nc_u32_e32 v13, 16, v13
	s_delay_alu instid0(VALU_DEP_2) | instskip(NEXT) | instid1(VALU_DEP_1)
	v_cmp_le_u32_e64 s0, s7, v8
	s_or_b32 s1, s0, s1
	s_waitcnt vmcnt(6)
	v_bfe_i32 v39, v22, 0, 8
	s_waitcnt vmcnt(5)
	v_bfe_i32 v42, v23, 0, 8
	v_bfe_i32 v40, v22, 8, 8
	;; [unrolled: 1-line block ×3, first 2 shown]
	s_waitcnt vmcnt(4)
	v_bfe_i32 v45, v24, 0, 8
	s_waitcnt vmcnt(3)
	v_bfe_i32 v48, v20, 0, 8
	v_mul_i32_i24_e32 v25, v39, v25
	v_add_nc_u32_e32 v39, v42, v39
	v_ashrrev_i32_e32 v22, 24, v22
	v_bfe_i32 v43, v23, 8, 8
	v_bfe_i32 v46, v24, 8, 8
	;; [unrolled: 1-line block ×3, first 2 shown]
	v_mul_i32_i24_e32 v26, v40, v26
	v_mul_i32_i24_e32 v27, v41, v27
	;; [unrolled: 1-line block ×3, first 2 shown]
	v_add_nc_u32_e32 v45, v48, v45
	v_mad_i32_i24 v25, v42, v29, v25
	v_add3_u32 v29, v39, v40, v41
	v_bfe_i32 v44, v23, 16, 8
	v_ashrrev_i32_e32 v23, 24, v23
	v_ashrrev_i32_e32 v24, 24, v24
	v_bfe_i32 v49, v20, 8, 8
	v_mul_i32_i24_e32 v28, v22, v28
	v_mul_i32_i24_e32 v30, v43, v30
	;; [unrolled: 1-line block ×4, first 2 shown]
	v_mad_i32_i24 v33, v48, v36, v33
	v_add3_u32 v36, v45, v46, v47
	v_add3_u32 v25, v25, v26, v27
	;; [unrolled: 1-line block ×3, first 2 shown]
	v_bfe_i32 v50, v20, 16, 8
	v_ashrrev_i32_e32 v20, 24, v20
	v_mul_i32_i24_e32 v31, v44, v31
	v_mul_i32_i24_e32 v32, v23, v32
	;; [unrolled: 1-line block ×4, first 2 shown]
	v_add3_u32 v27, v33, v34, v35
	v_add3_u32 v24, v36, v24, v49
	;; [unrolled: 1-line block ×4, first 2 shown]
	v_mul_i32_i24_e32 v26, v50, v38
	v_mul_i32_i24_e32 v17, v20, v17
	v_add3_u32 v16, v27, v16, v37
	v_add3_u32 v20, v24, v50, v20
	;; [unrolled: 1-line block ×3, first 2 shown]
	v_mul_lo_u32 v18, v22, v18
	s_delay_alu instid0(VALU_DEP_4) | instskip(NEXT) | instid1(VALU_DEP_4)
	v_add3_u32 v16, v16, v26, v17
	v_mul_lo_u32 v7, v20, v7
	s_delay_alu instid0(VALU_DEP_4) | instskip(SKIP_4) | instid1(VALU_DEP_3)
	v_mul_lo_u32 v17, v23, v19
	s_waitcnt vmcnt(2)
	v_lshrrev_b32_e32 v19, 16, v4
	v_mul_lo_u32 v16, v16, v21
	v_cvt_f32_i32_e32 v18, v18
	v_cvt_f32_f16_e32 v19, v19
	v_cvt_f32_i32_e32 v7, v7
	v_cvt_f32_i32_e32 v17, v17
	s_waitcnt vmcnt(1)
	v_fma_mix_f32 v18, v5, v18, 0 op_sel_hi:[1,0,0]
	v_cvt_f32_i32_e32 v16, v16
	s_delay_alu instid0(VALU_DEP_3) | instskip(SKIP_1) | instid1(VALU_DEP_3)
	v_fma_mix_f32 v5, v5, v17, 0 op_sel_hi:[1,0,0]
	s_waitcnt vmcnt(0)
	v_fma_mix_f32 v7, v6, v7, v18 op_sel_hi:[1,0,0]
	s_delay_alu instid0(VALU_DEP_2) | instskip(NEXT) | instid1(VALU_DEP_2)
	v_fma_mix_f32 v5, v6, v16, v5 op_sel_hi:[1,0,0]
	v_mul_f32_e32 v6, v7, v19
	s_delay_alu instid0(VALU_DEP_1) | instskip(NEXT) | instid1(VALU_DEP_1)
	v_fma_mix_f32 v4, v5, v4, -v6 op_sel_hi:[0,1,0]
	v_add_f32_e32 v9, v9, v4
	s_and_not1_b32 exec_lo, exec_lo, s1
	s_cbranch_execz .LBB85_8
.LBB85_4:                               ; =>This Inner Loop Header: Depth=1
	v_add_nc_u32_e32 v6, v10, v8
                                        ; implicit-def: $vgpr19
                                        ; implicit-def: $vgpr18
	s_delay_alu instid0(VALU_DEP_1) | instskip(NEXT) | instid1(VALU_DEP_1)
	v_mad_i64_i32 v[4:5], null, 0x90, v6, s[8:9]
	v_add_co_u32 v6, s0, v4, v11
	s_delay_alu instid0(VALU_DEP_1) | instskip(NEXT) | instid1(VALU_DEP_2)
	v_add_co_ci_u32_e64 v7, s0, 0, v5, s0
	v_add_co_u32 v6, s0, v6, v12
	s_delay_alu instid0(VALU_DEP_1) | instskip(SKIP_4) | instid1(VALU_DEP_1)
	v_add_co_ci_u32_e64 v7, s0, 0, v7, s0
	s_clause 0x1
	global_load_b32 v16, v[6:7], off offset:16
	global_load_b32 v17, v[6:7], off offset:32
	v_add_co_u32 v6, s0, v4, v14
	v_add_co_ci_u32_e64 v7, s0, 0, v5, s0
	s_and_saveexec_b32 s0, vcc_lo
	s_delay_alu instid0(SALU_CYCLE_1)
	s_xor_b32 s0, exec_lo, s0
	s_cbranch_execz .LBB85_6
; %bb.5:                                ;   in Loop: Header=BB85_4 Depth=1
	s_clause 0x2
	global_load_u16 v18, v[6:7], off
	global_load_u16 v19, v[6:7], off offset:8
	global_load_u16 v6, v[6:7], off offset:4
	s_waitcnt vmcnt(2)
	v_lshrrev_b16 v7, 2, v18
	s_waitcnt vmcnt(1)
	v_lshrrev_b16 v18, 4, v19
	;; [unrolled: 2-line block ×3, first 2 shown]
	v_and_b32_e32 v19, 0xf0f, v19
	v_and_b32_e32 v7, 0x3030, v7
	;; [unrolled: 1-line block ×3, first 2 shown]
	s_delay_alu instid0(VALU_DEP_4) | instskip(NEXT) | instid1(VALU_DEP_3)
	v_and_b32_e32 v6, 0x3030, v6
	v_or_b32_e32 v19, v7, v19
	s_delay_alu instid0(VALU_DEP_2)
	v_or_b32_e32 v18, v6, v18
                                        ; implicit-def: $vgpr6_vgpr7
.LBB85_6:                               ;   in Loop: Header=BB85_4 Depth=1
	s_and_not1_saveexec_b32 s0, s0
	s_cbranch_execz .LBB85_3
; %bb.7:                                ;   in Loop: Header=BB85_4 Depth=1
	s_clause 0x1
	global_load_u16 v18, v[6:7], off offset:4
	global_load_u16 v6, v[6:7], off offset:8
	s_waitcnt vmcnt(1)
	v_and_b32_e32 v19, 0x3f3f, v18
	s_waitcnt vmcnt(0)
	v_and_b32_e32 v18, 0x3f3f, v6
	s_branch .LBB85_3
.LBB85_8:
	s_or_b32 exec_lo, exec_lo, s1
.LBB85_9:
	s_delay_alu instid0(SALU_CYCLE_1) | instskip(SKIP_1) | instid1(VALU_DEP_1)
	s_or_b32 exec_lo, exec_lo, s6
	v_mbcnt_lo_u32_b32 v2, -1, 0
	v_xor_b32_e32 v3, 16, v2
	v_xor_b32_e32 v4, 8, v2
	;; [unrolled: 1-line block ×3, first 2 shown]
	s_delay_alu instid0(VALU_DEP_3) | instskip(SKIP_1) | instid1(VALU_DEP_4)
	v_cmp_gt_i32_e32 vcc_lo, 32, v3
	v_cndmask_b32_e32 v3, v2, v3, vcc_lo
	v_cmp_gt_i32_e32 vcc_lo, 32, v4
	v_cndmask_b32_e32 v4, v2, v4, vcc_lo
	v_cmp_gt_i32_e32 vcc_lo, 32, v5
	s_delay_alu instid0(VALU_DEP_2)
	v_lshlrev_b32_e32 v4, 2, v4
	v_lshlrev_b32_e32 v3, 2, v3
	v_cndmask_b32_e32 v5, v2, v5, vcc_lo
	ds_bpermute_b32 v3, v3, v9
	v_lshlrev_b32_e32 v5, 2, v5
	s_waitcnt lgkmcnt(0)
	v_add_f32_e32 v3, v9, v3
	ds_bpermute_b32 v4, v4, v3
	s_waitcnt lgkmcnt(0)
	v_add_f32_e32 v3, v3, v4
	ds_bpermute_b32 v4, v5, v3
	v_xor_b32_e32 v5, 2, v2
	s_delay_alu instid0(VALU_DEP_1) | instskip(SKIP_1) | instid1(VALU_DEP_1)
	v_cmp_gt_i32_e32 vcc_lo, 32, v5
	v_cndmask_b32_e32 v5, v2, v5, vcc_lo
	v_lshlrev_b32_e32 v5, 2, v5
	s_waitcnt lgkmcnt(0)
	v_add_f32_e32 v3, v3, v4
	ds_bpermute_b32 v4, v5, v3
	v_xor_b32_e32 v5, 1, v2
	s_delay_alu instid0(VALU_DEP_1) | instskip(SKIP_3) | instid1(VALU_DEP_2)
	v_cmp_gt_i32_e32 vcc_lo, 32, v5
	v_cndmask_b32_e32 v5, v2, v5, vcc_lo
	v_cmp_eq_u32_e32 vcc_lo, 0, v0
	s_waitcnt lgkmcnt(0)
	v_dual_add_f32 v2, v3, v4 :: v_dual_lshlrev_b32 v3, 2, v5
	ds_bpermute_b32 v3, v3, v2
	s_and_b32 exec_lo, exec_lo, vcc_lo
	s_cbranch_execz .LBB85_11
; %bb.10:
	v_mad_u64_u32 v[4:5], null, s15, s5, v[1:2]
	s_waitcnt lgkmcnt(0)
	v_dual_mov_b32 v5, 0 :: v_dual_add_f32 v2, v2, v3
	s_delay_alu instid0(VALU_DEP_1) | instskip(NEXT) | instid1(VALU_DEP_2)
	v_cvt_f16_f32_e32 v2, v2
	v_lshlrev_b64 v[0:1], 1, v[4:5]
	s_delay_alu instid0(VALU_DEP_1) | instskip(NEXT) | instid1(VALU_DEP_2)
	v_add_co_u32 v0, vcc_lo, s2, v0
	v_add_co_ci_u32_e32 v1, vcc_lo, s3, v1, vcc_lo
	global_store_b16 v[0:1], v2, off
.LBB85_11:
	s_nop 0
	s_sendmsg sendmsg(MSG_DEALLOC_VGPRS)
	s_endpgm
	.section	.rodata,"a",@progbits
	.p2align	6, 0x0
	.amdhsa_kernel _ZL13mul_mat_vec_qIN3c104HalfELi256ELi32E10block_q4_KLi2EXadL_ZL17vec_dot_q4_K_q8_1PKvPK10block_q8_1RKiEEEvS4_S4_PT_iii
		.amdhsa_group_segment_fixed_size 0
		.amdhsa_private_segment_fixed_size 0
		.amdhsa_kernarg_size 296
		.amdhsa_user_sgpr_count 14
		.amdhsa_user_sgpr_dispatch_ptr 0
		.amdhsa_user_sgpr_queue_ptr 0
		.amdhsa_user_sgpr_kernarg_segment_ptr 1
		.amdhsa_user_sgpr_dispatch_id 0
		.amdhsa_user_sgpr_private_segment_size 0
		.amdhsa_wavefront_size32 1
		.amdhsa_uses_dynamic_stack 0
		.amdhsa_enable_private_segment 0
		.amdhsa_system_sgpr_workgroup_id_x 1
		.amdhsa_system_sgpr_workgroup_id_y 1
		.amdhsa_system_sgpr_workgroup_id_z 0
		.amdhsa_system_sgpr_workgroup_info 0
		.amdhsa_system_vgpr_workitem_id 1
		.amdhsa_next_free_vgpr 51
		.amdhsa_next_free_sgpr 16
		.amdhsa_reserve_vcc 1
		.amdhsa_float_round_mode_32 0
		.amdhsa_float_round_mode_16_64 0
		.amdhsa_float_denorm_mode_32 3
		.amdhsa_float_denorm_mode_16_64 3
		.amdhsa_dx10_clamp 1
		.amdhsa_ieee_mode 1
		.amdhsa_fp16_overflow 0
		.amdhsa_workgroup_processor_mode 1
		.amdhsa_memory_ordered 1
		.amdhsa_forward_progress 0
		.amdhsa_shared_vgpr_count 0
		.amdhsa_exception_fp_ieee_invalid_op 0
		.amdhsa_exception_fp_denorm_src 0
		.amdhsa_exception_fp_ieee_div_zero 0
		.amdhsa_exception_fp_ieee_overflow 0
		.amdhsa_exception_fp_ieee_underflow 0
		.amdhsa_exception_fp_ieee_inexact 0
		.amdhsa_exception_int_div_zero 0
	.end_amdhsa_kernel
	.section	.text._ZL13mul_mat_vec_qIN3c104HalfELi256ELi32E10block_q4_KLi2EXadL_ZL17vec_dot_q4_K_q8_1PKvPK10block_q8_1RKiEEEvS4_S4_PT_iii,"axG",@progbits,_ZL13mul_mat_vec_qIN3c104HalfELi256ELi32E10block_q4_KLi2EXadL_ZL17vec_dot_q4_K_q8_1PKvPK10block_q8_1RKiEEEvS4_S4_PT_iii,comdat
.Lfunc_end85:
	.size	_ZL13mul_mat_vec_qIN3c104HalfELi256ELi32E10block_q4_KLi2EXadL_ZL17vec_dot_q4_K_q8_1PKvPK10block_q8_1RKiEEEvS4_S4_PT_iii, .Lfunc_end85-_ZL13mul_mat_vec_qIN3c104HalfELi256ELi32E10block_q4_KLi2EXadL_ZL17vec_dot_q4_K_q8_1PKvPK10block_q8_1RKiEEEvS4_S4_PT_iii
                                        ; -- End function
	.section	.AMDGPU.csdata,"",@progbits
; Kernel info:
; codeLenInByte = 1576
; NumSgprs: 18
; NumVgprs: 51
; ScratchSize: 0
; MemoryBound: 0
; FloatMode: 240
; IeeeMode: 1
; LDSByteSize: 0 bytes/workgroup (compile time only)
; SGPRBlocks: 2
; VGPRBlocks: 6
; NumSGPRsForWavesPerEU: 18
; NumVGPRsForWavesPerEU: 51
; Occupancy: 16
; WaveLimiterHint : 0
; COMPUTE_PGM_RSRC2:SCRATCH_EN: 0
; COMPUTE_PGM_RSRC2:USER_SGPR: 14
; COMPUTE_PGM_RSRC2:TRAP_HANDLER: 0
; COMPUTE_PGM_RSRC2:TGID_X_EN: 1
; COMPUTE_PGM_RSRC2:TGID_Y_EN: 1
; COMPUTE_PGM_RSRC2:TGID_Z_EN: 0
; COMPUTE_PGM_RSRC2:TIDIG_COMP_CNT: 1
	.section	.text._ZL13mul_mat_vec_qIN3c104HalfELi256ELi32E10block_q5_KLi2EXadL_ZL17vec_dot_q5_K_q8_1PKvPK10block_q8_1RKiEEEvS4_S4_PT_iii,"axG",@progbits,_ZL13mul_mat_vec_qIN3c104HalfELi256ELi32E10block_q5_KLi2EXadL_ZL17vec_dot_q5_K_q8_1PKvPK10block_q8_1RKiEEEvS4_S4_PT_iii,comdat
	.globl	_ZL13mul_mat_vec_qIN3c104HalfELi256ELi32E10block_q5_KLi2EXadL_ZL17vec_dot_q5_K_q8_1PKvPK10block_q8_1RKiEEEvS4_S4_PT_iii ; -- Begin function _ZL13mul_mat_vec_qIN3c104HalfELi256ELi32E10block_q5_KLi2EXadL_ZL17vec_dot_q5_K_q8_1PKvPK10block_q8_1RKiEEEvS4_S4_PT_iii
	.p2align	8
	.type	_ZL13mul_mat_vec_qIN3c104HalfELi256ELi32E10block_q5_KLi2EXadL_ZL17vec_dot_q5_K_q8_1PKvPK10block_q8_1RKiEEEvS4_S4_PT_iii,@function
_ZL13mul_mat_vec_qIN3c104HalfELi256ELi32E10block_q5_KLi2EXadL_ZL17vec_dot_q5_K_q8_1PKvPK10block_q8_1RKiEEEvS4_S4_PT_iii: ; @_ZL13mul_mat_vec_qIN3c104HalfELi256ELi32E10block_q5_KLi2EXadL_ZL17vec_dot_q5_K_q8_1PKvPK10block_q8_1RKiEEEvS4_S4_PT_iii
; %bb.0:
	s_clause 0x1
	s_load_b32 s2, s[0:1], 0x34
	s_load_b128 s[4:7], s[0:1], 0x18
	v_bfe_u32 v3, v0, 10, 10
	s_waitcnt lgkmcnt(0)
	s_lshr_b32 s2, s2, 16
	s_cmp_lt_u32 s15, s6
	s_delay_alu instid0(VALU_DEP_1) | instskip(SKIP_1) | instid1(VALU_DEP_1)
	v_mad_u64_u32 v[1:2], null, s14, s2, v[3:4]
	s_cselect_b32 s2, -1, 0
	v_cmp_gt_u32_e32 vcc_lo, s5, v1
	s_and_b32 s2, s2, vcc_lo
	s_delay_alu instid0(SALU_CYCLE_1)
	s_and_saveexec_b32 s3, s2
	s_cbranch_execz .LBB86_11
; %bb.1:
	s_load_b64 s[2:3], s[0:1], 0x10
	v_dual_mov_b32 v9, 0 :: v_dual_and_b32 v0, 0x3ff, v0
	s_ashr_i32 s6, s4, 31
	s_delay_alu instid0(SALU_CYCLE_1) | instskip(NEXT) | instid1(VALU_DEP_1)
	s_lshr_b32 s6, s6, 24
	v_lshrrev_b32_e32 v8, 4, v0
	s_add_i32 s6, s4, s6
	s_delay_alu instid0(SALU_CYCLE_1) | instskip(SKIP_1) | instid1(VALU_DEP_1)
	s_ashr_i32 s7, s6, 8
	s_mov_b32 s6, exec_lo
	v_cmpx_gt_u32_e64 s7, v8
	s_cbranch_execz .LBB86_9
; %bb.2:
	s_load_b128 s[8:11], s[0:1], 0x0
	v_dual_mov_b32 v9, 0 :: v_dual_lshlrev_b32 v2, 1, v0
	s_addk_i32 s4, 0x1ff
	v_and_b32_e32 v5, 3, v0
	s_ashr_i32 s0, s4, 31
	s_delay_alu instid0(VALU_DEP_2)
	v_bfe_u32 v4, v2, 3, 2
	s_lshr_b32 s0, s0, 23
	v_and_b32_e32 v2, 30, v2
	s_add_i32 s4, s4, s0
	v_lshlrev_b32_e32 v6, 3, v8
	v_lshlrev_b32_e32 v12, 1, v4
	s_ashr_i32 s0, s4, 9
	v_mul_lo_u32 v10, v1, s7
	v_cmp_lt_u32_e32 vcc_lo, 15, v2
	s_mul_i32 s0, s15, s0
	v_lshlrev_b32_e32 v11, 5, v4
	v_lshlrev_b32_e32 v13, 2, v5
	v_lshl_add_u32 v14, s0, 4, v6
	v_lshlrev_b32_e32 v15, 1, v4
	s_waitcnt lgkmcnt(0)
	v_mad_u64_u32 v[2:3], null, v12, 36, s[10:11]
	v_lshlrev_b32_e32 v16, 2, v5
	s_mov_b32 s1, 0
	s_branch .LBB86_4
.LBB86_3:                               ;   in Loop: Header=BB86_4 Depth=1
	s_or_b32 exec_lo, exec_lo, s0
	v_mad_i64_i32 v[6:7], null, v14, 36, v[2:3]
	s_waitcnt vmcnt(3)
	v_ashrrev_i32_e32 v21, v12, v21
	s_waitcnt vmcnt(0)
	v_ashrrev_i32_e32 v22, v12, v22
	v_and_b32_e32 v28, 0xf0f0f0f, v18
	v_lshrrev_b32_e32 v18, 4, v18
	v_and_b32_e32 v29, 0xf0f0f0f, v17
	v_lshlrev_b32_e32 v30, 4, v21
	v_add_co_u32 v23, s0, v6, v16
	s_delay_alu instid0(VALU_DEP_1)
	v_add_co_ci_u32_e64 v24, s0, 0, v7, s0
	v_lshrrev_b32_e32 v17, 4, v17
	v_lshlrev_b32_e32 v31, 4, v22
	v_and_b32_e32 v18, 0xf0f0f0f, v18
	s_clause 0x3
	global_load_b32 v25, v[23:24], off offset:20
	global_load_b32 v26, v[23:24], off offset:4
	;; [unrolled: 1-line block ×4, first 2 shown]
	global_load_b32 v4, v[4:5], off
	s_clause 0x1
	global_load_b32 v5, v[6:7], off
	global_load_b32 v6, v[6:7], off offset:36
	v_lshlrev_b32_e32 v21, 3, v21
	v_and_or_b32 v28, 0x10101010, v30, v28
	v_and_b32_e32 v17, 0xf0f0f0f, v17
	v_lshlrev_b32_e32 v22, 3, v22
	v_and_or_b32 v29, 0x10101010, v31, v29
	v_and_or_b32 v18, 0x10101010, v21, v18
	v_and_b32_e32 v31, 31, v28
	v_bfe_u32 v32, v28, 8, 5
	v_and_or_b32 v17, 0x10101010, v22, v17
	v_and_b32_e32 v21, 31, v29
	v_bfe_u32 v33, v28, 16, 5
	v_and_b32_e32 v37, 31, v18
	v_bfe_u32 v22, v29, 8, 5
	v_lshrrev_b32_e32 v28, 24, v28
	v_and_b32_e32 v34, 31, v17
	v_bfe_u32 v38, v18, 8, 5
	v_bfe_u32 v39, v18, 16, 5
	v_lshrrev_b16 v7, 8, v19
	v_and_b32_e32 v19, 0xff, v19
	v_bfe_u32 v30, v29, 16, 5
	v_lshrrev_b32_e32 v29, 24, v29
	v_bfe_u32 v35, v17, 8, 5
	v_lshrrev_b32_e32 v18, 24, v18
	v_lshrrev_b16 v24, 8, v20
	v_and_b32_e32 v20, 0xff, v20
	v_and_b32_e32 v19, 0xffff, v19
	v_bfe_u32 v36, v17, 16, 5
	v_lshrrev_b32_e32 v17, 24, v17
	v_and_b32_e32 v7, 0xffff, v7
	v_and_b32_e32 v20, 0xffff, v20
	v_add_nc_u32_e32 v8, 2, v8
	v_add_nc_u32_e32 v14, 16, v14
	s_delay_alu instid0(VALU_DEP_2) | instskip(NEXT) | instid1(VALU_DEP_1)
	v_cmp_le_u32_e64 s0, s7, v8
	s_or_b32 s1, s0, s1
	s_waitcnt vmcnt(6)
	v_bfe_i32 v40, v25, 0, 8
	s_waitcnt vmcnt(5)
	v_bfe_i32 v43, v26, 0, 8
	v_bfe_i32 v44, v26, 8, 8
	;; [unrolled: 1-line block ×3, first 2 shown]
	s_waitcnt vmcnt(4)
	v_bfe_i32 v46, v27, 0, 8
	s_waitcnt vmcnt(3)
	v_bfe_i32 v49, v23, 0, 8
	v_mul_i32_i24_e32 v31, v43, v31
	v_add_nc_u32_e32 v43, v40, v43
	v_bfe_i32 v41, v25, 8, 8
	v_ashrrev_i32_e32 v26, 24, v26
	v_bfe_i32 v50, v23, 8, 8
	v_bfe_i32 v51, v23, 16, 8
	v_mul_i32_i24_e32 v32, v44, v32
	v_mul_i32_i24_e32 v33, v45, v33
	;; [unrolled: 1-line block ×3, first 2 shown]
	v_add_nc_u32_e32 v49, v46, v49
	v_mad_i32_i24 v21, v40, v21, v31
	v_add3_u32 v31, v43, v44, v45
	v_bfe_i32 v42, v25, 16, 8
	v_ashrrev_i32_e32 v25, 24, v25
	v_bfe_i32 v47, v27, 8, 8
	v_ashrrev_i32_e32 v23, 24, v23
	v_mul_i32_i24_e32 v22, v41, v22
	v_mul_i32_i24_e32 v28, v26, v28
	;; [unrolled: 1-line block ×4, first 2 shown]
	v_mad_i32_i24 v34, v46, v34, v37
	v_add3_u32 v37, v49, v50, v51
	v_add3_u32 v21, v21, v32, v33
	;; [unrolled: 1-line block ×3, first 2 shown]
	v_bfe_i32 v48, v27, 16, 8
	v_ashrrev_i32_e32 v27, 24, v27
	v_mul_i32_i24_e32 v30, v42, v30
	v_mul_i32_i24_e32 v29, v25, v29
	v_mul_i32_i24_e32 v35, v47, v35
	v_mul_i32_i24_e32 v18, v23, v18
	v_add3_u32 v31, v34, v38, v39
	v_add3_u32 v23, v37, v23, v47
	;; [unrolled: 1-line block ×4, first 2 shown]
	v_mul_i32_i24_e32 v36, v48, v36
	v_mul_i32_i24_e32 v17, v27, v17
	v_add3_u32 v18, v31, v18, v35
	v_add3_u32 v23, v23, v48, v27
	v_add3_u32 v21, v21, v30, v29
	v_mul_lo_u32 v19, v22, v19
	v_and_b32_e32 v22, 0xffff, v24
	v_add3_u32 v17, v18, v36, v17
	v_mul_lo_u32 v7, v23, v7
	v_mul_lo_u32 v18, v21, v20
	s_waitcnt vmcnt(2)
	v_lshrrev_b32_e32 v20, 16, v4
	v_mul_lo_u32 v17, v17, v22
	v_cvt_f32_i32_e32 v19, v19
	s_delay_alu instid0(VALU_DEP_3)
	v_cvt_f32_f16_e32 v20, v20
	v_cvt_f32_i32_e32 v7, v7
	v_cvt_f32_i32_e32 v18, v18
	s_waitcnt vmcnt(1)
	v_fma_mix_f32 v19, v5, v19, 0 op_sel_hi:[1,0,0]
	v_cvt_f32_i32_e32 v17, v17
	s_delay_alu instid0(VALU_DEP_3) | instskip(SKIP_1) | instid1(VALU_DEP_3)
	v_fma_mix_f32 v5, v5, v18, 0 op_sel_hi:[1,0,0]
	s_waitcnt vmcnt(0)
	v_fma_mix_f32 v7, v6, v7, v19 op_sel_hi:[1,0,0]
	s_delay_alu instid0(VALU_DEP_2) | instskip(NEXT) | instid1(VALU_DEP_2)
	v_fma_mix_f32 v5, v6, v17, v5 op_sel_hi:[1,0,0]
	v_mul_f32_e32 v6, v7, v20
	s_delay_alu instid0(VALU_DEP_1) | instskip(NEXT) | instid1(VALU_DEP_1)
	v_fma_mix_f32 v4, v5, v4, -v6 op_sel_hi:[0,1,0]
	v_add_f32_e32 v9, v9, v4
	s_and_not1_b32 exec_lo, exec_lo, s1
	s_cbranch_execz .LBB86_8
.LBB86_4:                               ; =>This Inner Loop Header: Depth=1
	v_add_nc_u32_e32 v6, v10, v8
                                        ; implicit-def: $vgpr20
	s_delay_alu instid0(VALU_DEP_1) | instskip(NEXT) | instid1(VALU_DEP_1)
	v_mad_i64_i32 v[4:5], null, 0xb0, v6, s[8:9]
	v_add_co_u32 v6, s0, v4, v13
	s_delay_alu instid0(VALU_DEP_1) | instskip(NEXT) | instid1(VALU_DEP_2)
	v_add_co_ci_u32_e64 v7, s0, 0, v5, s0
	v_add_co_u32 v18, s0, v6, v11
	s_delay_alu instid0(VALU_DEP_1)
	v_add_co_ci_u32_e64 v19, s0, 0, v7, s0
	s_clause 0x3
	global_load_b32 v21, v[6:7], off offset:16
	global_load_b32 v17, v[18:19], off offset:64
	;; [unrolled: 1-line block ×4, first 2 shown]
	v_add_co_u32 v6, s0, v4, v15
	s_delay_alu instid0(VALU_DEP_1) | instskip(SKIP_1) | instid1(SALU_CYCLE_1)
	v_add_co_ci_u32_e64 v7, s0, 0, v5, s0
                                        ; implicit-def: $vgpr19
	s_and_saveexec_b32 s0, vcc_lo
	s_xor_b32 s0, exec_lo, s0
	s_cbranch_execz .LBB86_6
; %bb.5:                                ;   in Loop: Header=BB86_4 Depth=1
	s_clause 0x2
	global_load_u16 v19, v[6:7], off
	global_load_u16 v20, v[6:7], off offset:8
	global_load_u16 v6, v[6:7], off offset:4
	s_waitcnt vmcnt(2)
	v_lshrrev_b16 v7, 2, v19
	s_waitcnt vmcnt(1)
	v_lshrrev_b16 v19, 4, v20
	;; [unrolled: 2-line block ×3, first 2 shown]
	v_and_b32_e32 v20, 0xf0f, v20
	v_and_b32_e32 v7, 0x3030, v7
	;; [unrolled: 1-line block ×3, first 2 shown]
	s_delay_alu instid0(VALU_DEP_4) | instskip(NEXT) | instid1(VALU_DEP_3)
	v_and_b32_e32 v6, 0x3030, v6
	v_or_b32_e32 v20, v7, v20
	s_delay_alu instid0(VALU_DEP_2)
	v_or_b32_e32 v19, v6, v19
                                        ; implicit-def: $vgpr6_vgpr7
.LBB86_6:                               ;   in Loop: Header=BB86_4 Depth=1
	s_and_not1_saveexec_b32 s0, s0
	s_cbranch_execz .LBB86_3
; %bb.7:                                ;   in Loop: Header=BB86_4 Depth=1
	s_clause 0x1
	global_load_u16 v19, v[6:7], off offset:4
	global_load_u16 v6, v[6:7], off offset:8
	s_waitcnt vmcnt(1)
	v_and_b32_e32 v20, 0x3f3f, v19
	s_waitcnt vmcnt(0)
	v_and_b32_e32 v19, 0x3f3f, v6
	s_branch .LBB86_3
.LBB86_8:
	s_or_b32 exec_lo, exec_lo, s1
.LBB86_9:
	s_delay_alu instid0(SALU_CYCLE_1) | instskip(SKIP_1) | instid1(VALU_DEP_1)
	s_or_b32 exec_lo, exec_lo, s6
	v_mbcnt_lo_u32_b32 v2, -1, 0
	v_xor_b32_e32 v3, 16, v2
	v_xor_b32_e32 v4, 8, v2
	;; [unrolled: 1-line block ×3, first 2 shown]
	s_delay_alu instid0(VALU_DEP_3) | instskip(SKIP_1) | instid1(VALU_DEP_4)
	v_cmp_gt_i32_e32 vcc_lo, 32, v3
	v_cndmask_b32_e32 v3, v2, v3, vcc_lo
	v_cmp_gt_i32_e32 vcc_lo, 32, v4
	v_cndmask_b32_e32 v4, v2, v4, vcc_lo
	v_cmp_gt_i32_e32 vcc_lo, 32, v5
	s_delay_alu instid0(VALU_DEP_2)
	v_lshlrev_b32_e32 v4, 2, v4
	v_lshlrev_b32_e32 v3, 2, v3
	v_cndmask_b32_e32 v5, v2, v5, vcc_lo
	ds_bpermute_b32 v3, v3, v9
	v_lshlrev_b32_e32 v5, 2, v5
	s_waitcnt lgkmcnt(0)
	v_add_f32_e32 v3, v9, v3
	ds_bpermute_b32 v4, v4, v3
	s_waitcnt lgkmcnt(0)
	v_add_f32_e32 v3, v3, v4
	ds_bpermute_b32 v4, v5, v3
	v_xor_b32_e32 v5, 2, v2
	s_delay_alu instid0(VALU_DEP_1) | instskip(SKIP_1) | instid1(VALU_DEP_1)
	v_cmp_gt_i32_e32 vcc_lo, 32, v5
	v_cndmask_b32_e32 v5, v2, v5, vcc_lo
	v_lshlrev_b32_e32 v5, 2, v5
	s_waitcnt lgkmcnt(0)
	v_add_f32_e32 v3, v3, v4
	ds_bpermute_b32 v4, v5, v3
	v_xor_b32_e32 v5, 1, v2
	s_delay_alu instid0(VALU_DEP_1) | instskip(SKIP_3) | instid1(VALU_DEP_2)
	v_cmp_gt_i32_e32 vcc_lo, 32, v5
	v_cndmask_b32_e32 v5, v2, v5, vcc_lo
	v_cmp_eq_u32_e32 vcc_lo, 0, v0
	s_waitcnt lgkmcnt(0)
	v_dual_add_f32 v2, v3, v4 :: v_dual_lshlrev_b32 v3, 2, v5
	ds_bpermute_b32 v3, v3, v2
	s_and_b32 exec_lo, exec_lo, vcc_lo
	s_cbranch_execz .LBB86_11
; %bb.10:
	v_mad_u64_u32 v[4:5], null, s15, s5, v[1:2]
	s_waitcnt lgkmcnt(0)
	v_dual_mov_b32 v5, 0 :: v_dual_add_f32 v2, v2, v3
	s_delay_alu instid0(VALU_DEP_1) | instskip(NEXT) | instid1(VALU_DEP_2)
	v_cvt_f16_f32_e32 v2, v2
	v_lshlrev_b64 v[0:1], 1, v[4:5]
	s_delay_alu instid0(VALU_DEP_1) | instskip(NEXT) | instid1(VALU_DEP_2)
	v_add_co_u32 v0, vcc_lo, s2, v0
	v_add_co_ci_u32_e32 v1, vcc_lo, s3, v1, vcc_lo
	global_store_b16 v[0:1], v2, off
.LBB86_11:
	s_nop 0
	s_sendmsg sendmsg(MSG_DEALLOC_VGPRS)
	s_endpgm
	.section	.rodata,"a",@progbits
	.p2align	6, 0x0
	.amdhsa_kernel _ZL13mul_mat_vec_qIN3c104HalfELi256ELi32E10block_q5_KLi2EXadL_ZL17vec_dot_q5_K_q8_1PKvPK10block_q8_1RKiEEEvS4_S4_PT_iii
		.amdhsa_group_segment_fixed_size 0
		.amdhsa_private_segment_fixed_size 0
		.amdhsa_kernarg_size 296
		.amdhsa_user_sgpr_count 14
		.amdhsa_user_sgpr_dispatch_ptr 0
		.amdhsa_user_sgpr_queue_ptr 0
		.amdhsa_user_sgpr_kernarg_segment_ptr 1
		.amdhsa_user_sgpr_dispatch_id 0
		.amdhsa_user_sgpr_private_segment_size 0
		.amdhsa_wavefront_size32 1
		.amdhsa_uses_dynamic_stack 0
		.amdhsa_enable_private_segment 0
		.amdhsa_system_sgpr_workgroup_id_x 1
		.amdhsa_system_sgpr_workgroup_id_y 1
		.amdhsa_system_sgpr_workgroup_id_z 0
		.amdhsa_system_sgpr_workgroup_info 0
		.amdhsa_system_vgpr_workitem_id 1
		.amdhsa_next_free_vgpr 52
		.amdhsa_next_free_sgpr 16
		.amdhsa_reserve_vcc 1
		.amdhsa_float_round_mode_32 0
		.amdhsa_float_round_mode_16_64 0
		.amdhsa_float_denorm_mode_32 3
		.amdhsa_float_denorm_mode_16_64 3
		.amdhsa_dx10_clamp 1
		.amdhsa_ieee_mode 1
		.amdhsa_fp16_overflow 0
		.amdhsa_workgroup_processor_mode 1
		.amdhsa_memory_ordered 1
		.amdhsa_forward_progress 0
		.amdhsa_shared_vgpr_count 0
		.amdhsa_exception_fp_ieee_invalid_op 0
		.amdhsa_exception_fp_denorm_src 0
		.amdhsa_exception_fp_ieee_div_zero 0
		.amdhsa_exception_fp_ieee_overflow 0
		.amdhsa_exception_fp_ieee_underflow 0
		.amdhsa_exception_fp_ieee_inexact 0
		.amdhsa_exception_int_div_zero 0
	.end_amdhsa_kernel
	.section	.text._ZL13mul_mat_vec_qIN3c104HalfELi256ELi32E10block_q5_KLi2EXadL_ZL17vec_dot_q5_K_q8_1PKvPK10block_q8_1RKiEEEvS4_S4_PT_iii,"axG",@progbits,_ZL13mul_mat_vec_qIN3c104HalfELi256ELi32E10block_q5_KLi2EXadL_ZL17vec_dot_q5_K_q8_1PKvPK10block_q8_1RKiEEEvS4_S4_PT_iii,comdat
.Lfunc_end86:
	.size	_ZL13mul_mat_vec_qIN3c104HalfELi256ELi32E10block_q5_KLi2EXadL_ZL17vec_dot_q5_K_q8_1PKvPK10block_q8_1RKiEEEvS4_S4_PT_iii, .Lfunc_end86-_ZL13mul_mat_vec_qIN3c104HalfELi256ELi32E10block_q5_KLi2EXadL_ZL17vec_dot_q5_K_q8_1PKvPK10block_q8_1RKiEEEvS4_S4_PT_iii
                                        ; -- End function
	.section	.AMDGPU.csdata,"",@progbits
; Kernel info:
; codeLenInByte = 1676
; NumSgprs: 18
; NumVgprs: 52
; ScratchSize: 0
; MemoryBound: 0
; FloatMode: 240
; IeeeMode: 1
; LDSByteSize: 0 bytes/workgroup (compile time only)
; SGPRBlocks: 2
; VGPRBlocks: 6
; NumSGPRsForWavesPerEU: 18
; NumVGPRsForWavesPerEU: 52
; Occupancy: 16
; WaveLimiterHint : 0
; COMPUTE_PGM_RSRC2:SCRATCH_EN: 0
; COMPUTE_PGM_RSRC2:USER_SGPR: 14
; COMPUTE_PGM_RSRC2:TRAP_HANDLER: 0
; COMPUTE_PGM_RSRC2:TGID_X_EN: 1
; COMPUTE_PGM_RSRC2:TGID_Y_EN: 1
; COMPUTE_PGM_RSRC2:TGID_Z_EN: 0
; COMPUTE_PGM_RSRC2:TIDIG_COMP_CNT: 1
	.section	.text._ZL13mul_mat_vec_qIN3c104HalfELi256ELi32E10block_q6_KLi1EXadL_ZL17vec_dot_q6_K_q8_1PKvPK10block_q8_1RKiEEEvS4_S4_PT_iii,"axG",@progbits,_ZL13mul_mat_vec_qIN3c104HalfELi256ELi32E10block_q6_KLi1EXadL_ZL17vec_dot_q6_K_q8_1PKvPK10block_q8_1RKiEEEvS4_S4_PT_iii,comdat
	.globl	_ZL13mul_mat_vec_qIN3c104HalfELi256ELi32E10block_q6_KLi1EXadL_ZL17vec_dot_q6_K_q8_1PKvPK10block_q8_1RKiEEEvS4_S4_PT_iii ; -- Begin function _ZL13mul_mat_vec_qIN3c104HalfELi256ELi32E10block_q6_KLi1EXadL_ZL17vec_dot_q6_K_q8_1PKvPK10block_q8_1RKiEEEvS4_S4_PT_iii
	.p2align	8
	.type	_ZL13mul_mat_vec_qIN3c104HalfELi256ELi32E10block_q6_KLi1EXadL_ZL17vec_dot_q6_K_q8_1PKvPK10block_q8_1RKiEEEvS4_S4_PT_iii,@function
_ZL13mul_mat_vec_qIN3c104HalfELi256ELi32E10block_q6_KLi1EXadL_ZL17vec_dot_q6_K_q8_1PKvPK10block_q8_1RKiEEEvS4_S4_PT_iii: ; @_ZL13mul_mat_vec_qIN3c104HalfELi256ELi32E10block_q6_KLi1EXadL_ZL17vec_dot_q6_K_q8_1PKvPK10block_q8_1RKiEEEvS4_S4_PT_iii
; %bb.0:
	s_clause 0x1
	s_load_b32 s2, s[0:1], 0x34
	s_load_b128 s[4:7], s[0:1], 0x18
	v_bfe_u32 v3, v0, 10, 10
	s_waitcnt lgkmcnt(0)
	s_lshr_b32 s2, s2, 16
	s_cmp_lt_u32 s15, s6
	s_delay_alu instid0(VALU_DEP_1) | instskip(SKIP_1) | instid1(VALU_DEP_1)
	v_mad_u64_u32 v[1:2], null, s14, s2, v[3:4]
	s_cselect_b32 s2, -1, 0
	v_cmp_gt_u32_e32 vcc_lo, s5, v1
	s_and_b32 s2, s2, vcc_lo
	s_delay_alu instid0(SALU_CYCLE_1)
	s_and_saveexec_b32 s3, s2
	s_cbranch_execz .LBB87_7
; %bb.1:
	s_load_b64 s[6:7], s[0:1], 0x10
	v_dual_mov_b32 v5, 0 :: v_dual_and_b32 v0, 0x3ff, v0
	s_ashr_i32 s2, s4, 31
	s_mov_b32 s8, exec_lo
	s_lshr_b32 s2, s2, 24
	s_delay_alu instid0(VALU_DEP_1) | instskip(SKIP_1) | instid1(SALU_CYCLE_1)
	v_lshrrev_b32_e32 v4, 5, v0
	s_add_i32 s2, s4, s2
	s_ashr_i32 s9, s2, 8
	s_delay_alu instid0(VALU_DEP_1) | instid1(SALU_CYCLE_1)
	v_cmpx_gt_u32_e64 s9, v4
	s_cbranch_execz .LBB87_5
; %bb.2:
	v_dual_mov_b32 v5, 0 :: v_dual_and_b32 v2, 31, v0
	s_load_b128 s[0:3], s[0:1], 0x0
	v_and_b32_e32 v9, 7, v0
	s_addk_i32 s4, 0x1ff
	s_delay_alu instid0(VALU_DEP_2)
	v_add_nc_u32_e32 v3, 0xf0, v2
	v_cmp_gt_u32_e32 vcc_lo, 16, v2
	s_ashr_i32 s10, s4, 31
	v_lshlrev_b32_e32 v14, 3, v4
	s_lshr_b32 s10, s10, 23
	v_mul_lo_u32 v6, v1, s9
	v_cndmask_b32_e32 v3, v3, v2, vcc_lo
	v_cmp_lt_u32_e32 vcc_lo, 15, v2
	s_add_i32 s4, s4, s10
	s_delay_alu instid0(SALU_CYCLE_1) | instskip(NEXT) | instid1(VALU_DEP_2)
	s_ashr_i32 s4, s4, 9
	v_and_b32_e32 v7, 0xf8, v3
	v_cndmask_b32_e64 v8, 0, 1, vcc_lo
	s_mul_i32 s4, s15, s4
	s_delay_alu instid0(VALU_DEP_2) | instskip(NEXT) | instid1(VALU_DEP_2)
	v_cmp_ne_u32_e32 vcc_lo, 0, v7
	v_lshlrev_b32_e32 v11, 3, v8
	v_lshlrev_b32_e32 v7, 2, v2
	v_cndmask_b32_e64 v10, 0, 1, vcc_lo
	s_delay_alu instid0(VALU_DEP_3) | instskip(SKIP_1) | instid1(VALU_DEP_3)
	v_or_b32_e32 v12, v11, v9
	v_lshlrev_b32_e32 v9, 2, v9
	v_lshl_or_b32 v13, v8, 2, v10
	s_delay_alu instid0(VALU_DEP_3) | instskip(SKIP_4) | instid1(VALU_DEP_3)
	v_lshlrev_b32_e32 v8, 2, v12
	v_bfe_u32 v12, v3, 2, 6
	v_lshlrev_b32_e32 v10, 1, v10
	s_waitcnt lgkmcnt(0)
	v_mad_u64_u32 v[2:3], null, v13, 36, s[2:3]
	v_add_nc_u32_e32 v11, v12, v11
	v_lshl_add_u32 v12, s4, 4, v14
	s_mov_b32 s2, 0
.LBB87_3:                               ; =>This Inner Loop Header: Depth=1
	v_add_nc_u32_e32 v17, v6, v4
	s_delay_alu instid0(VALU_DEP_2) | instskip(SKIP_2) | instid1(VALU_DEP_4)
	v_mad_i64_i32 v[13:14], null, v12, 36, v[2:3]
	v_add_nc_u32_e32 v4, 1, v4
	v_add_nc_u32_e32 v12, 8, v12
	v_mad_i64_i32 v[15:16], null, 0xd2, v17, s[0:1]
	s_delay_alu instid0(VALU_DEP_4) | instskip(SKIP_1) | instid1(VALU_DEP_3)
	v_add_co_u32 v17, vcc_lo, v13, v9
	v_add_co_ci_u32_e32 v18, vcc_lo, 0, v14, vcc_lo
	v_add_co_u32 v19, vcc_lo, v15, v8
	s_delay_alu instid0(VALU_DEP_4)
	v_add_co_ci_u32_e32 v20, vcc_lo, 0, v16, vcc_lo
	v_add_co_u32 v21, vcc_lo, v15, v7
	v_add_co_ci_u32_e32 v22, vcc_lo, 0, v16, vcc_lo
	global_load_b32 v23, v[17:18], off offset:4
	s_clause 0x1
	global_load_b32 v19, v[19:20], off offset:128
	global_load_b32 v20, v[21:22], off
	global_load_b32 v21, v[17:18], off offset:76
	v_add_co_u32 v17, vcc_lo, v15, v11
	v_add_co_ci_u32_e32 v18, vcc_lo, 0, v16, vcc_lo
	v_cmp_le_u32_e32 vcc_lo, s9, v4
	s_clause 0x1
	global_load_i8 v22, v[17:18], off offset:192
	global_load_i8 v17, v[17:18], off offset:196
	s_clause 0x1
	global_load_b32 v18, v[13:14], off
	global_load_b32 v13, v[13:14], off offset:72
	global_load_u16 v14, v[15:16], off offset:208
	s_or_b32 s2, vcc_lo, s2
	s_waitcnt vmcnt(8)
	v_bfe_i32 v16, v23, 8, 8
	s_waitcnt vmcnt(7)
	v_ashrrev_i32_e32 v19, v10, v19
	s_waitcnt vmcnt(6)
	v_and_b32_e32 v28, 0xf0f0f0f, v20
	v_lshrrev_b32_e32 v20, 4, v20
	v_bfe_i32 v15, v23, 0, 8
	v_bfe_i32 v24, v23, 16, 8
	v_lshlrev_b32_e32 v29, 4, v19
	v_and_b32_e32 v19, 0x30303030, v19
	v_ashrrev_i32_e32 v23, 24, v23
	s_waitcnt vmcnt(5)
	v_bfe_i32 v26, v21, 8, 8
	v_bfe_i32 v25, v21, 0, 8
	v_and_or_b32 v28, 0x30303030, v29, v28
	v_and_or_b32 v19, 0xf0f0f0f, v20, v19
	v_bfe_i32 v27, v21, 16, 8
	v_ashrrev_i32_e32 v21, 24, v21
	s_delay_alu instid0(VALU_DEP_4)
	v_lshrrev_b32_e32 v20, 16, v28
	v_and_b32_e32 v29, 0x3f00, v28
	v_lshlrev_b16 v28, 8, v28
	v_lshrrev_b32_e32 v30, 16, v19
	v_and_b32_e32 v31, 0x3f00, v19
	v_lshlrev_b16 v19, 8, v19
	v_and_b32_e32 v32, 0x3f00, v20
	v_add_nc_u16 v28, v28, 0xe000
	v_lshlrev_b16 v20, 8, v20
	v_and_b32_e32 v33, 0x3f00, v30
	v_add_nc_u16 v19, v19, 0xe000
	v_lshlrev_b16 v30, 8, v30
	v_lshrrev_b16 v28, 8, v28
	v_add_nc_u16 v20, v20, 0xe000
	s_delay_alu instid0(VALU_DEP_4) | instskip(NEXT) | instid1(VALU_DEP_4)
	v_lshrrev_b16 v19, 8, v19
	v_add_nc_u16 v30, v30, 0xe000
	s_delay_alu instid0(VALU_DEP_4) | instskip(NEXT) | instid1(VALU_DEP_4)
	v_or_b32_e32 v28, v29, v28
	v_lshrrev_b16 v20, 8, v20
	s_delay_alu instid0(VALU_DEP_4) | instskip(NEXT) | instid1(VALU_DEP_4)
	v_or_b32_e32 v19, v31, v19
	v_lshrrev_b16 v29, 8, v30
	s_delay_alu instid0(VALU_DEP_4) | instskip(NEXT) | instid1(VALU_DEP_4)
	v_add_nc_u16 v28, v28, 0xe000
	v_or_b32_e32 v20, v32, v20
	s_delay_alu instid0(VALU_DEP_4) | instskip(NEXT) | instid1(VALU_DEP_4)
	v_add_nc_u16 v19, v19, 0xe000
	v_or_b32_e32 v29, v33, v29
	s_delay_alu instid0(VALU_DEP_4) | instskip(NEXT) | instid1(VALU_DEP_4)
	v_and_b32_e32 v28, 0xffff, v28
	v_add_nc_u16 v20, v20, 0xe000
	s_delay_alu instid0(VALU_DEP_4) | instskip(NEXT) | instid1(VALU_DEP_4)
	v_and_b32_e32 v19, 0xffff, v19
	v_add_nc_u16 v29, v29, 0xe000
	s_delay_alu instid0(VALU_DEP_4)
	v_bfe_i32 v30, v28, 0, 8
	v_bfe_i32 v28, v28, 8, 8
	;; [unrolled: 1-line block ×6, first 2 shown]
	v_mul_i32_i24_e32 v16, v28, v16
	v_bfe_i32 v33, v29, 0, 8
	v_bfe_i32 v28, v29, 8, 8
	v_mul_i32_i24_e32 v15, v30, v15
	v_mul_i32_i24_e32 v20, v20, v23
	;; [unrolled: 1-line block ×3, first 2 shown]
	v_mad_i32_i24 v16, v31, v24, v16
	v_mul_i32_i24_e32 v23, v32, v25
	v_mul_i32_i24_e32 v21, v28, v21
	s_delay_alu instid0(VALU_DEP_4) | instskip(NEXT) | instid1(VALU_DEP_4)
	v_mad_i32_i24 v19, v33, v27, v19
	v_add3_u32 v15, v16, v20, v15
	s_delay_alu instid0(VALU_DEP_2) | instskip(SKIP_1) | instid1(VALU_DEP_2)
	v_add3_u32 v16, v19, v21, v23
	s_waitcnt vmcnt(4)
	v_mul_lo_u32 v15, v15, v22
	s_waitcnt vmcnt(3)
	s_delay_alu instid0(VALU_DEP_2) | instskip(NEXT) | instid1(VALU_DEP_2)
	v_mul_lo_u32 v16, v16, v17
	v_cvt_f32_i32_e32 v15, v15
	s_delay_alu instid0(VALU_DEP_2) | instskip(SKIP_1) | instid1(VALU_DEP_2)
	v_cvt_f32_i32_e32 v16, v16
	s_waitcnt vmcnt(2)
	v_fma_mix_f32 v15, v18, v15, 0 op_sel_hi:[1,0,0]
	s_waitcnt vmcnt(1)
	s_delay_alu instid0(VALU_DEP_1) | instskip(SKIP_1) | instid1(VALU_DEP_1)
	v_fma_mix_f32 v13, v13, v16, v15 op_sel_hi:[1,0,0]
	s_waitcnt vmcnt(0)
	v_fma_mix_f32 v5, v13, v14, v5 op_sel_hi:[0,1,0]
	s_and_not1_b32 exec_lo, exec_lo, s2
	s_cbranch_execnz .LBB87_3
; %bb.4:
	s_or_b32 exec_lo, exec_lo, s2
.LBB87_5:
	s_delay_alu instid0(SALU_CYCLE_1) | instskip(SKIP_1) | instid1(VALU_DEP_1)
	s_or_b32 exec_lo, exec_lo, s8
	v_mbcnt_lo_u32_b32 v2, -1, 0
	v_xor_b32_e32 v3, 16, v2
	v_xor_b32_e32 v4, 8, v2
	s_delay_alu instid0(VALU_DEP_2) | instskip(SKIP_1) | instid1(VALU_DEP_3)
	v_cmp_gt_i32_e32 vcc_lo, 32, v3
	v_cndmask_b32_e32 v3, v2, v3, vcc_lo
	v_cmp_gt_i32_e32 vcc_lo, 32, v4
	v_cndmask_b32_e32 v4, v2, v4, vcc_lo
	s_delay_alu instid0(VALU_DEP_1) | instskip(NEXT) | instid1(VALU_DEP_4)
	v_lshlrev_b32_e32 v4, 2, v4
	v_lshlrev_b32_e32 v3, 2, v3
	ds_bpermute_b32 v3, v3, v5
	s_waitcnt lgkmcnt(0)
	v_add_f32_e32 v3, v5, v3
	v_xor_b32_e32 v5, 4, v2
	ds_bpermute_b32 v4, v4, v3
	v_cmp_gt_i32_e32 vcc_lo, 32, v5
	v_cndmask_b32_e32 v5, v2, v5, vcc_lo
	s_delay_alu instid0(VALU_DEP_1) | instskip(SKIP_4) | instid1(VALU_DEP_1)
	v_lshlrev_b32_e32 v5, 2, v5
	s_waitcnt lgkmcnt(0)
	v_add_f32_e32 v3, v3, v4
	ds_bpermute_b32 v4, v5, v3
	v_xor_b32_e32 v5, 2, v2
	v_cmp_gt_i32_e32 vcc_lo, 32, v5
	v_cndmask_b32_e32 v5, v2, v5, vcc_lo
	s_delay_alu instid0(VALU_DEP_1) | instskip(SKIP_4) | instid1(VALU_DEP_1)
	v_lshlrev_b32_e32 v5, 2, v5
	s_waitcnt lgkmcnt(0)
	v_add_f32_e32 v3, v3, v4
	ds_bpermute_b32 v4, v5, v3
	v_xor_b32_e32 v5, 1, v2
	v_cmp_gt_i32_e32 vcc_lo, 32, v5
	v_cndmask_b32_e32 v5, v2, v5, vcc_lo
	v_cmp_eq_u32_e32 vcc_lo, 0, v0
	s_waitcnt lgkmcnt(0)
	s_delay_alu instid0(VALU_DEP_2)
	v_dual_add_f32 v2, v3, v4 :: v_dual_lshlrev_b32 v3, 2, v5
	ds_bpermute_b32 v3, v3, v2
	s_and_b32 exec_lo, exec_lo, vcc_lo
	s_cbranch_execz .LBB87_7
; %bb.6:
	v_mad_u64_u32 v[4:5], null, s15, s5, v[1:2]
	s_waitcnt lgkmcnt(0)
	v_dual_mov_b32 v5, 0 :: v_dual_add_f32 v2, v2, v3
	s_delay_alu instid0(VALU_DEP_1) | instskip(NEXT) | instid1(VALU_DEP_2)
	v_cvt_f16_f32_e32 v2, v2
	v_lshlrev_b64 v[0:1], 1, v[4:5]
	s_delay_alu instid0(VALU_DEP_1) | instskip(NEXT) | instid1(VALU_DEP_2)
	v_add_co_u32 v0, vcc_lo, s6, v0
	v_add_co_ci_u32_e32 v1, vcc_lo, s7, v1, vcc_lo
	global_store_b16 v[0:1], v2, off
.LBB87_7:
	s_nop 0
	s_sendmsg sendmsg(MSG_DEALLOC_VGPRS)
	s_endpgm
	.section	.rodata,"a",@progbits
	.p2align	6, 0x0
	.amdhsa_kernel _ZL13mul_mat_vec_qIN3c104HalfELi256ELi32E10block_q6_KLi1EXadL_ZL17vec_dot_q6_K_q8_1PKvPK10block_q8_1RKiEEEvS4_S4_PT_iii
		.amdhsa_group_segment_fixed_size 0
		.amdhsa_private_segment_fixed_size 0
		.amdhsa_kernarg_size 296
		.amdhsa_user_sgpr_count 14
		.amdhsa_user_sgpr_dispatch_ptr 0
		.amdhsa_user_sgpr_queue_ptr 0
		.amdhsa_user_sgpr_kernarg_segment_ptr 1
		.amdhsa_user_sgpr_dispatch_id 0
		.amdhsa_user_sgpr_private_segment_size 0
		.amdhsa_wavefront_size32 1
		.amdhsa_uses_dynamic_stack 0
		.amdhsa_enable_private_segment 0
		.amdhsa_system_sgpr_workgroup_id_x 1
		.amdhsa_system_sgpr_workgroup_id_y 1
		.amdhsa_system_sgpr_workgroup_id_z 0
		.amdhsa_system_sgpr_workgroup_info 0
		.amdhsa_system_vgpr_workitem_id 1
		.amdhsa_next_free_vgpr 34
		.amdhsa_next_free_sgpr 16
		.amdhsa_reserve_vcc 1
		.amdhsa_float_round_mode_32 0
		.amdhsa_float_round_mode_16_64 0
		.amdhsa_float_denorm_mode_32 3
		.amdhsa_float_denorm_mode_16_64 3
		.amdhsa_dx10_clamp 1
		.amdhsa_ieee_mode 1
		.amdhsa_fp16_overflow 0
		.amdhsa_workgroup_processor_mode 1
		.amdhsa_memory_ordered 1
		.amdhsa_forward_progress 0
		.amdhsa_shared_vgpr_count 0
		.amdhsa_exception_fp_ieee_invalid_op 0
		.amdhsa_exception_fp_denorm_src 0
		.amdhsa_exception_fp_ieee_div_zero 0
		.amdhsa_exception_fp_ieee_overflow 0
		.amdhsa_exception_fp_ieee_underflow 0
		.amdhsa_exception_fp_ieee_inexact 0
		.amdhsa_exception_int_div_zero 0
	.end_amdhsa_kernel
	.section	.text._ZL13mul_mat_vec_qIN3c104HalfELi256ELi32E10block_q6_KLi1EXadL_ZL17vec_dot_q6_K_q8_1PKvPK10block_q8_1RKiEEEvS4_S4_PT_iii,"axG",@progbits,_ZL13mul_mat_vec_qIN3c104HalfELi256ELi32E10block_q6_KLi1EXadL_ZL17vec_dot_q6_K_q8_1PKvPK10block_q8_1RKiEEEvS4_S4_PT_iii,comdat
.Lfunc_end87:
	.size	_ZL13mul_mat_vec_qIN3c104HalfELi256ELi32E10block_q6_KLi1EXadL_ZL17vec_dot_q6_K_q8_1PKvPK10block_q8_1RKiEEEvS4_S4_PT_iii, .Lfunc_end87-_ZL13mul_mat_vec_qIN3c104HalfELi256ELi32E10block_q6_KLi1EXadL_ZL17vec_dot_q6_K_q8_1PKvPK10block_q8_1RKiEEEvS4_S4_PT_iii
                                        ; -- End function
	.section	.AMDGPU.csdata,"",@progbits
; Kernel info:
; codeLenInByte = 1400
; NumSgprs: 18
; NumVgprs: 34
; ScratchSize: 0
; MemoryBound: 0
; FloatMode: 240
; IeeeMode: 1
; LDSByteSize: 0 bytes/workgroup (compile time only)
; SGPRBlocks: 2
; VGPRBlocks: 4
; NumSGPRsForWavesPerEU: 18
; NumVGPRsForWavesPerEU: 34
; Occupancy: 16
; WaveLimiterHint : 0
; COMPUTE_PGM_RSRC2:SCRATCH_EN: 0
; COMPUTE_PGM_RSRC2:USER_SGPR: 14
; COMPUTE_PGM_RSRC2:TRAP_HANDLER: 0
; COMPUTE_PGM_RSRC2:TGID_X_EN: 1
; COMPUTE_PGM_RSRC2:TGID_Y_EN: 1
; COMPUTE_PGM_RSRC2:TGID_Z_EN: 0
; COMPUTE_PGM_RSRC2:TIDIG_COMP_CNT: 1
	.section	.text._ZL13mul_mat_vec_qIN3c104HalfELi256ELi8E13block_iq2_xxsLi1EXadL_ZL20vec_dot_iq2_xxs_q8_1PKvPK10block_q8_1RKiEEEvS4_S4_PT_iii,"axG",@progbits,_ZL13mul_mat_vec_qIN3c104HalfELi256ELi8E13block_iq2_xxsLi1EXadL_ZL20vec_dot_iq2_xxs_q8_1PKvPK10block_q8_1RKiEEEvS4_S4_PT_iii,comdat
	.globl	_ZL13mul_mat_vec_qIN3c104HalfELi256ELi8E13block_iq2_xxsLi1EXadL_ZL20vec_dot_iq2_xxs_q8_1PKvPK10block_q8_1RKiEEEvS4_S4_PT_iii ; -- Begin function _ZL13mul_mat_vec_qIN3c104HalfELi256ELi8E13block_iq2_xxsLi1EXadL_ZL20vec_dot_iq2_xxs_q8_1PKvPK10block_q8_1RKiEEEvS4_S4_PT_iii
	.p2align	8
	.type	_ZL13mul_mat_vec_qIN3c104HalfELi256ELi8E13block_iq2_xxsLi1EXadL_ZL20vec_dot_iq2_xxs_q8_1PKvPK10block_q8_1RKiEEEvS4_S4_PT_iii,@function
_ZL13mul_mat_vec_qIN3c104HalfELi256ELi8E13block_iq2_xxsLi1EXadL_ZL20vec_dot_iq2_xxs_q8_1PKvPK10block_q8_1RKiEEEvS4_S4_PT_iii: ; @_ZL13mul_mat_vec_qIN3c104HalfELi256ELi8E13block_iq2_xxsLi1EXadL_ZL20vec_dot_iq2_xxs_q8_1PKvPK10block_q8_1RKiEEEvS4_S4_PT_iii
; %bb.0:
	s_clause 0x1
	s_load_b32 s2, s[0:1], 0x34
	s_load_b128 s[16:19], s[0:1], 0x18
	v_bfe_u32 v3, v0, 10, 10
	s_waitcnt lgkmcnt(0)
	s_lshr_b32 s2, s2, 16
	s_cmp_lt_u32 s15, s18
	s_delay_alu instid0(VALU_DEP_1) | instskip(SKIP_1) | instid1(VALU_DEP_1)
	v_mad_u64_u32 v[1:2], null, s14, s2, v[3:4]
	s_cselect_b32 s2, -1, 0
	v_cmp_gt_u32_e32 vcc_lo, s17, v1
	s_and_b32 s2, s2, vcc_lo
	s_delay_alu instid0(SALU_CYCLE_1)
	s_and_saveexec_b32 s3, s2
	s_cbranch_execz .LBB88_7
; %bb.1:
	s_load_b64 s[12:13], s[0:1], 0x10
	v_dual_mov_b32 v5, 0 :: v_dual_and_b32 v0, 0x3ff, v0
	s_ashr_i32 s2, s16, 31
	s_mov_b32 s11, exec_lo
	s_lshr_b32 s2, s2, 24
	s_delay_alu instid0(VALU_DEP_1) | instskip(SKIP_1) | instid1(SALU_CYCLE_1)
	v_lshrrev_b32_e32 v4, 3, v0
	s_add_i32 s2, s16, s2
	s_ashr_i32 s14, s2, 8
	s_delay_alu instid0(VALU_DEP_1) | instid1(SALU_CYCLE_1)
	v_cmpx_gt_u32_e64 s14, v4
	s_cbranch_execz .LBB88_5
; %bb.2:
	s_load_b128 s[20:23], s[0:1], 0x0
	s_add_i32 s0, s16, 0x1ff
	v_and_b32_e32 v5, 7, v0
	s_ashr_i32 s1, s0, 31
	v_lshlrev_b32_e32 v7, 3, v4
	s_lshr_b32 s1, s1, 23
	v_mul_lo_u32 v6, v1, s14
	s_add_i32 s0, s0, s1
	v_lshlrev_b32_e32 v8, 2, v5
	s_ashr_i32 s0, s0, 9
	s_mov_b32 s16, 0
	s_mul_i32 s0, s15, s0
	s_delay_alu instid0(SALU_CYCLE_1)
	v_lshl_add_u32 v7, s0, 4, v7
	s_waitcnt lgkmcnt(0)
	v_mad_u64_u32 v[2:3], null, v5, 36, s[22:23]
	v_dual_mov_b32 v5, 0 :: v_dual_lshlrev_b32 v8, 1, v8
.LBB88_3:                               ; =>This Inner Loop Header: Depth=1
	v_add_nc_u32_e32 v9, v6, v4
	s_delay_alu instid0(VALU_DEP_3)
	v_mad_i64_i32 v[19:20], null, v7, 36, v[2:3]
	s_getpc_b64 s[0:1]
	s_add_u32 s0, s0, _ZL11iq2xxs_grid@rel32@lo+4
	s_addc_u32 s1, s1, _ZL11iq2xxs_grid@rel32@hi+12
	s_getpc_b64 s[2:3]
	s_add_u32 s2, s2, _ZL12ksigns_iq2xs@rel32@lo+4
	s_addc_u32 s3, s3, _ZL12ksigns_iq2xs@rel32@hi+12
	v_mad_i64_i32 v[17:18], null, 0x42, v9, s[20:21]
	v_add_nc_u32_e32 v4, 4, v4
	v_add_nc_u32_e32 v7, 32, v7
	s_delay_alu instid0(VALU_DEP_3) | instskip(NEXT) | instid1(VALU_DEP_4)
	v_add_co_u32 v9, vcc_lo, v17, v8
	v_add_co_ci_u32_e32 v10, vcc_lo, 0, v18, vcc_lo
	s_clause 0x1
	global_load_b32 v27, v[9:10], off offset:6
	global_load_b32 v21, v[9:10], off offset:2
	s_clause 0x1
	global_load_b128 v[9:12], v[19:20], off offset:4
	global_load_b128 v[13:16], v[19:20], off offset:20
	global_load_u16 v28, v[17:18], off
	s_waitcnt vmcnt(2)
	v_bfe_i32 v37, v9, 8, 8
	v_and_b32_e32 v29, 0x7f, v27
	v_bfe_u32 v30, v27, 7, 7
	v_bfe_u32 v31, v27, 21, 7
	v_lshrrev_b32_e32 v22, 5, v21
	v_lshrrev_b32_e32 v23, 13, v21
	s_clause 0x2
	global_load_i8 v32, v29, s[2:3]
	global_load_i8 v33, v30, s[2:3]
	;; [unrolled: 1-line block ×3, first 2 shown]
	s_waitcnt vmcnt(3)
	v_cvt_f32_f16_e32 v28, v28
	v_and_b32_e32 v22, 0x7f8, v22
	v_and_b32_e32 v23, 0x7f8, v23
	v_bfe_i32 v39, v10, 0, 8
	v_bfe_i32 v38, v9, 16, 8
	;; [unrolled: 1-line block ×12, first 2 shown]
	v_ashrrev_i32_e32 v14, 24, v14
	v_bfe_i32 v41, v10, 16, 8
	v_ashrrev_i32_e32 v10, 24, v10
	v_bfe_i32 v42, v11, 0, 8
	v_bfe_i32 v43, v11, 8, 8
	v_bfe_i32 v44, v11, 16, 8
	v_ashrrev_i32_e32 v11, 24, v11
	v_bfe_i32 v45, v12, 0, 8
	v_bfe_i32 v46, v12, 8, 8
	;; [unrolled: 4-line block ×3, first 2 shown]
	v_bfe_i32 v50, v13, 16, 8
	v_ashrrev_i32_e32 v13, 24, v13
	v_ashrrev_i32_e32 v15, 24, v15
	;; [unrolled: 1-line block ×3, first 2 shown]
	s_waitcnt vmcnt(2)
	v_and_b32_e32 v60, 2, v32
	v_and_b32_e32 v62, 8, v32
	;; [unrolled: 1-line block ×5, first 2 shown]
	v_cmp_eq_u16_e32 vcc_lo, 0, v60
	v_and_b32_e32 v17, 0xffff0000, v27
	s_waitcnt vmcnt(1)
	v_and_b32_e32 v65, 1, v33
	v_and_b32_e32 v66, 2, v33
	;; [unrolled: 1-line block ×4, first 2 shown]
	v_and_or_b32 v17, 0xffff, v27, v17
	v_lshrrev_b32_e32 v27, 28, v27
	v_and_b32_e32 v93, 16, v33
	v_cmp_gt_i16_e64 s6, 0, v33
	v_cmp_eq_u16_e64 s4, 0, v68
	v_bfe_u32 v35, v17, 14, 7
	v_cvt_f32_ubyte0_e32 v27, v27
	v_and_b32_e32 v18, 0xff, v21
	v_lshrrev_b32_e32 v21, 21, v21
	s_delay_alu instid0(VALU_DEP_2) | instskip(NEXT) | instid1(VALU_DEP_1)
	v_dual_add_f32 v27, 0.5, v27 :: v_dual_lshlrev_b32 v18, 3, v18
	v_mul_f32_e32 v27, v27, v28
	s_delay_alu instid0(VALU_DEP_3)
	v_and_b32_e32 v25, 0x7f8, v21
	s_clause 0x3
	global_load_b64 v[17:18], v18, s[0:1]
	global_load_b64 v[21:22], v22, s[0:1]
	;; [unrolled: 1-line block ×4, first 2 shown]
	global_load_i8 v36, v35, s[2:3]
	global_load_u16 v19, v[19:20], off
	v_bfe_i32 v20, v9, 0, 8
	v_ashrrev_i32_e32 v9, 24, v9
	v_cmp_eq_u16_e64 s0, 0, v62
	v_cmp_eq_u16_e64 s1, 0, v64
	v_cmp_gt_i16_e64 s2, 0, v32
	v_cmp_eq_u16_e64 s3, 0, v66
	s_waitcnt vmcnt(5)
	v_bfe_u32 v72, v17, 8, 8
	v_and_b32_e32 v73, 0xff, v18
	v_lshrrev_b32_e32 v69, 24, v17
	v_and_b32_e32 v71, 0xff, v17
	v_bfe_u32 v17, v17, 16, 8
	s_waitcnt vmcnt(2)
	v_lshrrev_b32_e32 v87, 24, v25
	v_and_b32_e32 v89, 0xff, v25
	v_bfe_u32 v90, v25, 8, 8
	v_bfe_u32 v25, v25, 16, 8
	;; [unrolled: 1-line block ×3, first 2 shown]
	v_mul_i32_i24_e32 v37, v72, v37
	v_mul_i32_i24_e32 v39, v73, v39
	v_lshrrev_b32_e32 v82, 24, v24
	v_and_b32_e32 v85, 0xff, v24
	v_bfe_u32 v86, v24, 8, 8
	v_bfe_u32 v24, v24, 16, 8
	v_lshrrev_b32_e32 v88, 24, v26
	v_and_b32_e32 v91, 0xff, v26
	v_bfe_u32 v26, v26, 16, 8
	v_mul_i32_i24_e32 v20, v71, v20
	v_mul_i32_i24_e32 v17, v17, v38
	;; [unrolled: 1-line block ×4, first 2 shown]
	v_sub_nc_u32_e32 v58, 0, v37
	v_sub_nc_u32_e32 v62, 0, v39
	v_and_b32_e32 v28, 1, v32
	v_bfe_u32 v74, v18, 8, 8
	v_mul_i32_i24_e32 v9, v69, v9
	v_mul_i32_i24_e32 v24, v24, v53
	;; [unrolled: 1-line block ×6, first 2 shown]
	v_sub_nc_u32_e32 v57, 0, v20
	v_sub_nc_u32_e32 v59, 0, v17
	v_cmp_eq_u16_e64 s10, 0, v28
	v_cndmask_b32_e32 v28, v58, v37, vcc_lo
	v_cmp_eq_u16_e32 vcc_lo, 0, v61
	v_lshrrev_b32_e32 v70, 24, v18
	v_bfe_u32 v18, v18, 16, 8
	v_and_b32_e32 v77, 0xff, v21
	v_mul_i32_i24_e32 v40, v74, v40
	v_mul_i32_i24_e32 v14, v82, v14
	v_sub_nc_u32_e32 v60, 0, v9
	v_cndmask_b32_e64 v20, v57, v20, s10
	v_cndmask_b32_e32 v17, v59, v17, vcc_lo
	v_cmp_eq_u16_e32 vcc_lo, 0, v63
	v_bfe_u32 v78, v21, 8, 8
	v_mul_i32_i24_e32 v18, v18, v41
	v_mul_i32_i24_e32 v10, v70, v10
	;; [unrolled: 1-line block ×3, first 2 shown]
	v_cndmask_b32_e32 v39, v62, v39, vcc_lo
	v_sub_nc_u32_e32 v77, 0, v40
	v_cndmask_b32_e64 v9, v60, v9, s0
	v_add_nc_u32_e32 v20, v28, v20
	v_sub_nc_u32_e32 v28, 0, v14
	s_waitcnt vmcnt(1)
	v_cmp_gt_i16_e32 vcc_lo, 0, v36
	v_lshrrev_b32_e32 v75, 24, v21
	v_bfe_u32 v21, v21, 16, 8
	v_and_b32_e32 v79, 0xff, v22
	v_mul_i32_i24_e32 v43, v78, v43
	v_sub_nc_u32_e32 v64, 0, v18
	v_sub_nc_u32_e32 v78, 0, v10
	v_cndmask_b32_e64 v40, v77, v40, s1
	v_add3_u32 v9, v20, v17, v9
	v_cndmask_b32_e32 v14, v14, v28, vcc_lo
	v_cmp_gt_u32_e64 s0, 64, v29
	v_bfe_u32 v80, v22, 8, 8
	v_mul_i32_i24_e32 v21, v21, v44
	v_mul_i32_i24_e32 v11, v75, v11
	;; [unrolled: 1-line block ×3, first 2 shown]
	v_sub_nc_u32_e32 v32, 0, v42
	v_sub_nc_u32_e32 v79, 0, v43
	v_cndmask_b32_e64 v17, v64, v18, s0
	v_cndmask_b32_e64 v10, v10, v78, s2
	v_add3_u32 v9, v9, v39, v40
	v_cmp_eq_u16_e64 s0, 0, v65
	v_lshrrev_b32_e32 v76, 24, v22
	v_bfe_u32 v22, v22, 16, 8
	v_lshrrev_b32_e32 v81, 24, v23
	v_and_b32_e32 v71, 32, v33
	v_mul_i32_i24_e32 v45, v80, v46
	v_sub_nc_u32_e32 v66, 0, v21
	v_sub_nc_u32_e32 v80, 0, v11
	v_cndmask_b32_e64 v20, v32, v42, s0
	v_cndmask_b32_e64 v29, v79, v43, s3
	v_add3_u32 v9, v9, v17, v10
	v_cmp_eq_u16_e64 s0, 0, v67
	v_and_b32_e32 v83, 0xff, v23
	v_bfe_u32 v84, v23, 8, 8
	v_mul_i32_i24_e32 v22, v22, v47
	v_mul_i32_i24_e32 v12, v76, v12
	;; [unrolled: 1-line block ×3, first 2 shown]
	v_sub_nc_u32_e32 v68, 0, v44
	v_sub_nc_u32_e32 v81, 0, v45
	v_cmp_eq_u16_e64 s5, 0, v71
	v_cndmask_b32_e64 v17, v66, v21, s0
	v_cndmask_b32_e64 v11, v80, v11, s4
	v_add3_u32 v9, v9, v20, v29
	v_cmp_eq_u16_e64 s1, 0, v93
	v_bfe_u32 v23, v23, 16, 8
	v_mul_i32_i24_e32 v46, v83, v48
	v_and_b32_e32 v47, 1, v36
	v_mul_i32_i24_e32 v48, v84, v49
	v_and_b32_e32 v49, 2, v36
	v_sub_nc_u32_e32 v71, 0, v22
	v_sub_nc_u32_e32 v82, 0, v12
	v_cndmask_b32_e64 v20, v68, v44, s1
	v_cndmask_b32_e64 v21, v81, v45, s5
	v_add3_u32 v9, v9, v17, v11
	v_cmp_gt_u32_e64 s1, 64, v30
	v_mul_i32_i24_e32 v23, v23, v50
	v_and_b32_e32 v50, 4, v36
	v_and_b32_e32 v70, 8, v36
	v_sub_nc_u32_e32 v33, 0, v46
	v_sub_nc_u32_e32 v83, 0, v48
	v_cmp_eq_u16_e64 s7, 0, v49
	v_cndmask_b32_e64 v17, v71, v22, s1
	v_cndmask_b32_e64 v12, v12, v82, s6
	v_add3_u32 v9, v9, v20, v21
	v_cmp_eq_u16_e64 s1, 0, v47
	v_mul_i32_i24_e32 v51, v85, v51
	v_and_b32_e32 v75, 16, v36
	v_mul_i32_i24_e32 v52, v86, v52
	v_and_b32_e32 v76, 32, v36
	v_sub_nc_u32_e32 v49, 0, v23
	v_sub_nc_u32_e32 v84, 0, v13
	v_cmp_eq_u16_e64 s8, 0, v70
	v_cndmask_b32_e64 v21, v33, v46, s1
	v_cndmask_b32_e64 v22, v83, v48, s7
	v_add3_u32 v9, v9, v17, v12
	v_cmp_eq_u16_e64 s2, 0, v50
	v_sub_nc_u32_e32 v70, 0, v51
	v_sub_nc_u32_e32 v85, 0, v52
	v_cmp_eq_u16_e64 s9, 0, v76
	v_cndmask_b32_e64 v13, v84, v13, s8
	v_cndmask_b32_e64 v12, v49, v23, s2
	v_add3_u32 v9, v9, v21, v22
	v_cmp_eq_u16_e64 s2, 0, v75
	v_and_b32_e32 v72, 1, v34
	v_and_b32_e32 v38, 2, v34
	v_sub_nc_u32_e32 v37, 0, v24
	v_cndmask_b32_e64 v22, v85, v52, s9
	v_cndmask_b32_e64 v21, v70, v51, s2
	v_add3_u32 v9, v9, v12, v13
	v_cmp_gt_u32_e64 s2, 64, v35
	v_and_b32_e32 v69, 4, v34
	v_and_b32_e32 v73, 8, v34
	v_mul_i32_i24_e32 v15, v87, v15
	v_sub_nc_u32_e32 v18, 0, v53
	v_sub_nc_u32_e32 v10, 0, v54
	v_cmp_eq_u16_e64 s0, 0, v38
	v_cndmask_b32_e64 v13, v37, v24, s2
	v_add3_u32 v9, v9, v21, v22
	v_cmp_eq_u16_e64 s2, 0, v72
	v_and_b32_e32 v74, 16, v34
	v_and_b32_e32 v41, 32, v34
	v_sub_nc_u32_e32 v11, 0, v25
	v_sub_nc_u32_e32 v20, 0, v15
	v_cmp_eq_u16_e64 s1, 0, v73
	v_cndmask_b32_e64 v18, v18, v53, s2
	v_cndmask_b32_e64 v10, v10, v54, s0
	v_add3_u32 v9, v9, v13, v14
	v_cmp_eq_u16_e64 s0, 0, v69
	v_mul_i32_i24_e32 v16, v88, v16
	v_sub_nc_u32_e32 v17, 0, v55
	v_sub_nc_u32_e32 v12, 0, v56
	v_cmp_eq_u16_e32 vcc_lo, 0, v41
	v_cndmask_b32_e64 v11, v11, v25, s0
	v_cndmask_b32_e64 v14, v20, v15, s1
	v_add3_u32 v9, v9, v18, v10
	v_cmp_eq_u16_e64 s0, 0, v74
	v_sub_nc_u32_e32 v13, 0, v26
	v_sub_nc_u32_e32 v10, 0, v16
	v_cndmask_b32_e32 v12, v12, v56, vcc_lo
	v_add3_u32 v9, v9, v11, v14
	v_cndmask_b32_e64 v15, v17, v55, s0
	v_cmp_gt_i16_e32 vcc_lo, 0, v34
	v_cmp_gt_u32_e64 s0, 64, v31
	s_waitcnt vmcnt(0)
	v_cvt_f32_f16_e32 v19, v19
	v_add3_u32 v9, v9, v15, v12
	v_cndmask_b32_e32 v10, v16, v10, vcc_lo
	v_cndmask_b32_e64 v11, v13, v26, s0
	s_delay_alu instid0(VALU_DEP_4) | instskip(SKIP_1) | instid1(VALU_DEP_3)
	v_mul_f32_e32 v12, v27, v19
	v_cmp_le_u32_e32 vcc_lo, s14, v4
	v_add3_u32 v9, v9, v11, v10
	s_delay_alu instid0(VALU_DEP_3) | instskip(SKIP_1) | instid1(VALU_DEP_2)
	v_mul_f32_e32 v10, 0x3e800000, v12
	s_or_b32 s16, vcc_lo, s16
	v_cvt_f32_i32_e32 v9, v9
	s_delay_alu instid0(VALU_DEP_1)
	v_fmac_f32_e32 v5, v10, v9
	s_and_not1_b32 exec_lo, exec_lo, s16
	s_cbranch_execnz .LBB88_3
; %bb.4:
	s_or_b32 exec_lo, exec_lo, s16
.LBB88_5:
	s_delay_alu instid0(SALU_CYCLE_1) | instskip(SKIP_1) | instid1(VALU_DEP_1)
	s_or_b32 exec_lo, exec_lo, s11
	v_mbcnt_lo_u32_b32 v2, -1, 0
	v_xor_b32_e32 v3, 16, v2
	v_xor_b32_e32 v4, 8, v2
	s_delay_alu instid0(VALU_DEP_2) | instskip(SKIP_1) | instid1(VALU_DEP_3)
	v_cmp_gt_i32_e32 vcc_lo, 32, v3
	v_cndmask_b32_e32 v3, v2, v3, vcc_lo
	v_cmp_gt_i32_e32 vcc_lo, 32, v4
	v_cndmask_b32_e32 v4, v2, v4, vcc_lo
	s_delay_alu instid0(VALU_DEP_1) | instskip(NEXT) | instid1(VALU_DEP_4)
	v_lshlrev_b32_e32 v4, 2, v4
	v_lshlrev_b32_e32 v3, 2, v3
	ds_bpermute_b32 v3, v3, v5
	s_waitcnt lgkmcnt(0)
	v_add_f32_e32 v3, v5, v3
	v_xor_b32_e32 v5, 4, v2
	ds_bpermute_b32 v4, v4, v3
	v_cmp_gt_i32_e32 vcc_lo, 32, v5
	v_cndmask_b32_e32 v5, v2, v5, vcc_lo
	s_delay_alu instid0(VALU_DEP_1) | instskip(SKIP_4) | instid1(VALU_DEP_1)
	v_lshlrev_b32_e32 v5, 2, v5
	s_waitcnt lgkmcnt(0)
	v_add_f32_e32 v3, v3, v4
	ds_bpermute_b32 v4, v5, v3
	v_xor_b32_e32 v5, 2, v2
	v_cmp_gt_i32_e32 vcc_lo, 32, v5
	v_cndmask_b32_e32 v5, v2, v5, vcc_lo
	s_delay_alu instid0(VALU_DEP_1) | instskip(SKIP_4) | instid1(VALU_DEP_1)
	v_lshlrev_b32_e32 v5, 2, v5
	s_waitcnt lgkmcnt(0)
	v_add_f32_e32 v3, v3, v4
	ds_bpermute_b32 v4, v5, v3
	v_xor_b32_e32 v5, 1, v2
	v_cmp_gt_i32_e32 vcc_lo, 32, v5
	v_cndmask_b32_e32 v5, v2, v5, vcc_lo
	v_cmp_eq_u32_e32 vcc_lo, 0, v0
	s_waitcnt lgkmcnt(0)
	s_delay_alu instid0(VALU_DEP_2)
	v_dual_add_f32 v2, v3, v4 :: v_dual_lshlrev_b32 v3, 2, v5
	ds_bpermute_b32 v3, v3, v2
	s_and_b32 exec_lo, exec_lo, vcc_lo
	s_cbranch_execz .LBB88_7
; %bb.6:
	v_mad_u64_u32 v[4:5], null, s15, s17, v[1:2]
	s_waitcnt lgkmcnt(0)
	v_dual_mov_b32 v5, 0 :: v_dual_add_f32 v2, v2, v3
	s_delay_alu instid0(VALU_DEP_1) | instskip(NEXT) | instid1(VALU_DEP_2)
	v_cvt_f16_f32_e32 v2, v2
	v_lshlrev_b64 v[0:1], 1, v[4:5]
	s_delay_alu instid0(VALU_DEP_1) | instskip(NEXT) | instid1(VALU_DEP_2)
	v_add_co_u32 v0, vcc_lo, s12, v0
	v_add_co_ci_u32_e32 v1, vcc_lo, s13, v1, vcc_lo
	global_store_b16 v[0:1], v2, off
.LBB88_7:
	s_nop 0
	s_sendmsg sendmsg(MSG_DEALLOC_VGPRS)
	s_endpgm
	.section	.rodata,"a",@progbits
	.p2align	6, 0x0
	.amdhsa_kernel _ZL13mul_mat_vec_qIN3c104HalfELi256ELi8E13block_iq2_xxsLi1EXadL_ZL20vec_dot_iq2_xxs_q8_1PKvPK10block_q8_1RKiEEEvS4_S4_PT_iii
		.amdhsa_group_segment_fixed_size 0
		.amdhsa_private_segment_fixed_size 0
		.amdhsa_kernarg_size 296
		.amdhsa_user_sgpr_count 14
		.amdhsa_user_sgpr_dispatch_ptr 0
		.amdhsa_user_sgpr_queue_ptr 0
		.amdhsa_user_sgpr_kernarg_segment_ptr 1
		.amdhsa_user_sgpr_dispatch_id 0
		.amdhsa_user_sgpr_private_segment_size 0
		.amdhsa_wavefront_size32 1
		.amdhsa_uses_dynamic_stack 0
		.amdhsa_enable_private_segment 0
		.amdhsa_system_sgpr_workgroup_id_x 1
		.amdhsa_system_sgpr_workgroup_id_y 1
		.amdhsa_system_sgpr_workgroup_id_z 0
		.amdhsa_system_sgpr_workgroup_info 0
		.amdhsa_system_vgpr_workitem_id 1
		.amdhsa_next_free_vgpr 94
		.amdhsa_next_free_sgpr 24
		.amdhsa_reserve_vcc 1
		.amdhsa_float_round_mode_32 0
		.amdhsa_float_round_mode_16_64 0
		.amdhsa_float_denorm_mode_32 3
		.amdhsa_float_denorm_mode_16_64 3
		.amdhsa_dx10_clamp 1
		.amdhsa_ieee_mode 1
		.amdhsa_fp16_overflow 0
		.amdhsa_workgroup_processor_mode 1
		.amdhsa_memory_ordered 1
		.amdhsa_forward_progress 0
		.amdhsa_shared_vgpr_count 0
		.amdhsa_exception_fp_ieee_invalid_op 0
		.amdhsa_exception_fp_denorm_src 0
		.amdhsa_exception_fp_ieee_div_zero 0
		.amdhsa_exception_fp_ieee_overflow 0
		.amdhsa_exception_fp_ieee_underflow 0
		.amdhsa_exception_fp_ieee_inexact 0
		.amdhsa_exception_int_div_zero 0
	.end_amdhsa_kernel
	.section	.text._ZL13mul_mat_vec_qIN3c104HalfELi256ELi8E13block_iq2_xxsLi1EXadL_ZL20vec_dot_iq2_xxs_q8_1PKvPK10block_q8_1RKiEEEvS4_S4_PT_iii,"axG",@progbits,_ZL13mul_mat_vec_qIN3c104HalfELi256ELi8E13block_iq2_xxsLi1EXadL_ZL20vec_dot_iq2_xxs_q8_1PKvPK10block_q8_1RKiEEEvS4_S4_PT_iii,comdat
.Lfunc_end88:
	.size	_ZL13mul_mat_vec_qIN3c104HalfELi256ELi8E13block_iq2_xxsLi1EXadL_ZL20vec_dot_iq2_xxs_q8_1PKvPK10block_q8_1RKiEEEvS4_S4_PT_iii, .Lfunc_end88-_ZL13mul_mat_vec_qIN3c104HalfELi256ELi8E13block_iq2_xxsLi1EXadL_ZL20vec_dot_iq2_xxs_q8_1PKvPK10block_q8_1RKiEEEvS4_S4_PT_iii
                                        ; -- End function
	.section	.AMDGPU.csdata,"",@progbits
; Kernel info:
; codeLenInByte = 2328
; NumSgprs: 26
; NumVgprs: 94
; ScratchSize: 0
; MemoryBound: 0
; FloatMode: 240
; IeeeMode: 1
; LDSByteSize: 0 bytes/workgroup (compile time only)
; SGPRBlocks: 3
; VGPRBlocks: 11
; NumSGPRsForWavesPerEU: 26
; NumVGPRsForWavesPerEU: 94
; Occupancy: 16
; WaveLimiterHint : 0
; COMPUTE_PGM_RSRC2:SCRATCH_EN: 0
; COMPUTE_PGM_RSRC2:USER_SGPR: 14
; COMPUTE_PGM_RSRC2:TRAP_HANDLER: 0
; COMPUTE_PGM_RSRC2:TGID_X_EN: 1
; COMPUTE_PGM_RSRC2:TGID_Y_EN: 1
; COMPUTE_PGM_RSRC2:TGID_Z_EN: 0
; COMPUTE_PGM_RSRC2:TIDIG_COMP_CNT: 1
	.section	.text._ZL13mul_mat_vec_qIN3c104HalfELi256ELi8E12block_iq2_xsLi1EXadL_ZL19vec_dot_iq2_xs_q8_1PKvPK10block_q8_1RKiEEEvS4_S4_PT_iii,"axG",@progbits,_ZL13mul_mat_vec_qIN3c104HalfELi256ELi8E12block_iq2_xsLi1EXadL_ZL19vec_dot_iq2_xs_q8_1PKvPK10block_q8_1RKiEEEvS4_S4_PT_iii,comdat
	.globl	_ZL13mul_mat_vec_qIN3c104HalfELi256ELi8E12block_iq2_xsLi1EXadL_ZL19vec_dot_iq2_xs_q8_1PKvPK10block_q8_1RKiEEEvS4_S4_PT_iii ; -- Begin function _ZL13mul_mat_vec_qIN3c104HalfELi256ELi8E12block_iq2_xsLi1EXadL_ZL19vec_dot_iq2_xs_q8_1PKvPK10block_q8_1RKiEEEvS4_S4_PT_iii
	.p2align	8
	.type	_ZL13mul_mat_vec_qIN3c104HalfELi256ELi8E12block_iq2_xsLi1EXadL_ZL19vec_dot_iq2_xs_q8_1PKvPK10block_q8_1RKiEEEvS4_S4_PT_iii,@function
_ZL13mul_mat_vec_qIN3c104HalfELi256ELi8E12block_iq2_xsLi1EXadL_ZL19vec_dot_iq2_xs_q8_1PKvPK10block_q8_1RKiEEEvS4_S4_PT_iii: ; @_ZL13mul_mat_vec_qIN3c104HalfELi256ELi8E12block_iq2_xsLi1EXadL_ZL19vec_dot_iq2_xs_q8_1PKvPK10block_q8_1RKiEEEvS4_S4_PT_iii
; %bb.0:
	s_clause 0x1
	s_load_b32 s2, s[0:1], 0x34
	s_load_b128 s[36:39], s[0:1], 0x18
	v_bfe_u32 v3, v0, 10, 10
	s_waitcnt lgkmcnt(0)
	s_lshr_b32 s2, s2, 16
	s_cmp_lt_u32 s15, s38
	s_delay_alu instid0(VALU_DEP_1) | instskip(SKIP_1) | instid1(VALU_DEP_1)
	v_mad_u64_u32 v[1:2], null, s14, s2, v[3:4]
	s_cselect_b32 s2, -1, 0
	v_cmp_gt_u32_e32 vcc_lo, s37, v1
	s_and_b32 s2, s2, vcc_lo
	s_delay_alu instid0(SALU_CYCLE_1)
	s_and_saveexec_b32 s3, s2
	s_cbranch_execz .LBB89_7
; %bb.1:
	s_load_b64 s[34:35], s[0:1], 0x10
	v_dual_mov_b32 v7, 0 :: v_dual_and_b32 v0, 0x3ff, v0
	s_ashr_i32 s2, s36, 31
	s_mov_b32 s31, exec_lo
	s_lshr_b32 s2, s2, 24
	s_delay_alu instid0(VALU_DEP_1) | instskip(SKIP_1) | instid1(SALU_CYCLE_1)
	v_lshrrev_b32_e32 v6, 3, v0
	s_add_i32 s2, s36, s2
	s_ashr_i32 s33, s2, 8
	s_delay_alu instid0(VALU_DEP_1) | instid1(SALU_CYCLE_1)
	v_cmpx_gt_u32_e64 s33, v6
	s_cbranch_execz .LBB89_5
; %bb.2:
	s_load_b128 s[40:43], s[0:1], 0x0
	s_add_i32 s0, s36, 0x1ff
	v_dual_mov_b32 v7, 0 :: v_dual_and_b32 v8, 7, v0
	s_ashr_i32 s1, s0, 31
	v_lshlrev_b32_e32 v4, 3, v6
	s_lshr_b32 s1, s1, 23
	s_delay_alu instid0(VALU_DEP_2)
	v_lshlrev_b32_e32 v5, 2, v8
	s_add_i32 s0, s0, s1
	v_mul_lo_u32 v9, v1, s33
	s_ashr_i32 s0, s0, 9
	s_mov_b32 s36, 0
	s_mul_i32 s0, s15, s0
	v_lshlrev_b32_e32 v11, 1, v5
	v_lshl_add_u32 v10, s0, 4, v4
	s_waitcnt lgkmcnt(0)
	v_mad_u64_u32 v[2:3], null, v8, 36, s[42:43]
.LBB89_3:                               ; =>This Inner Loop Header: Depth=1
	v_add_nc_u32_e32 v4, v9, v6
	s_delay_alu instid0(VALU_DEP_2)
	v_mad_i64_i32 v[22:23], null, v10, 36, v[2:3]
	s_getpc_b64 s[0:1]
	s_add_u32 s0, s0, _ZL10iq2xs_grid@rel32@lo+4
	s_addc_u32 s1, s1, _ZL10iq2xs_grid@rel32@hi+12
	s_getpc_b64 s[2:3]
	s_add_u32 s2, s2, _ZL12ksigns_iq2xs@rel32@lo+4
	s_addc_u32 s3, s3, _ZL12ksigns_iq2xs@rel32@hi+12
	v_mad_i64_i32 v[20:21], null, 0x4a, v4, s[40:41]
	v_add_nc_u32_e32 v6, 4, v6
	v_add_nc_u32_e32 v10, 32, v10
	s_delay_alu instid0(VALU_DEP_3) | instskip(NEXT) | instid1(VALU_DEP_4)
	v_add_co_u32 v4, vcc_lo, v20, v11
	v_add_co_ci_u32_e32 v5, vcc_lo, 0, v21, vcc_lo
	v_add_co_u32 v24, vcc_lo, v20, v8
	v_add_co_ci_u32_e32 v25, vcc_lo, 0, v21, vcc_lo
	global_load_b64 v[4:5], v[4:5], off offset:2
	s_clause 0x1
	global_load_b128 v[12:15], v[22:23], off offset:4
	global_load_b128 v[16:19], v[22:23], off offset:20
	s_clause 0x1
	global_load_u8 v30, v[24:25], off offset:66
	global_load_u16 v31, v[20:21], off
	s_waitcnt vmcnt(3)
	v_bfe_i32 v36, v12, 8, 8
	v_and_b32_e32 v20, 0x1ff, v4
	v_lshrrev_b32_e32 v24, 13, v4
	v_and_b32_e32 v26, 0x1ff, v5
	v_lshrrev_b32_e32 v28, 13, v5
	v_bfe_u32 v21, v4, 9, 7
	v_lshrrev_b32_e32 v25, 25, v4
	v_bfe_u32 v27, v5, 9, 7
	v_lshrrev_b32_e32 v29, 25, v5
	v_lshlrev_b32_e32 v20, 3, v20
	v_and_b32_e32 v24, 0xff8, v24
	v_lshlrev_b32_e32 v26, 3, v26
	v_and_b32_e32 v28, 0xff8, v28
	s_clause 0x3
	global_load_i8 v32, v21, s[2:3]
	global_load_i8 v33, v25, s[2:3]
	;; [unrolled: 1-line block ×4, first 2 shown]
	s_clause 0x3
	global_load_b64 v[20:21], v20, s[0:1]
	global_load_b64 v[24:25], v24, s[0:1]
	;; [unrolled: 1-line block ×4, first 2 shown]
	global_load_u16 v22, v[22:23], off
	v_bfe_i32 v38, v13, 0, 8
	v_bfe_i32 v39, v13, 8, 8
	s_waitcnt vmcnt(11)
	v_bfe_i32 v47, v16, 0, 8
	v_bfe_i32 v48, v16, 8, 8
	s_waitcnt vmcnt(10)
	v_lshrrev_b16 v59, 4, v30
	v_bfe_i32 v23, v12, 0, 8
	v_bfe_i32 v37, v12, 16, 8
	v_ashrrev_i32_e32 v12, 24, v12
	v_bfe_i32 v40, v13, 16, 8
	v_ashrrev_i32_e32 v13, 24, v13
	;; [unrolled: 2-line block ×3, first 2 shown]
	v_bfe_i32 v50, v17, 0, 8
	v_bfe_i32 v51, v17, 8, 8
	;; [unrolled: 1-line block ×4, first 2 shown]
	v_cvt_f32_ubyte0_e32 v59, v59
	v_bfe_i32 v41, v14, 0, 8
	v_bfe_i32 v42, v14, 8, 8
	v_bfe_i32 v43, v14, 16, 8
	v_ashrrev_i32_e32 v14, 24, v14
	v_bfe_i32 v44, v15, 0, 8
	v_bfe_i32 v45, v15, 8, 8
	;; [unrolled: 1-line block ×3, first 2 shown]
	v_ashrrev_i32_e32 v15, 24, v15
	v_bfe_i32 v55, v18, 16, 8
	v_bfe_i32 v52, v17, 16, 8
	v_ashrrev_i32_e32 v17, 24, v17
	v_bfe_i32 v54, v18, 8, 8
	v_bfe_i32 v57, v19, 8, 8
	;; [unrolled: 1-line block ×3, first 2 shown]
	v_lshrrev_b32_e32 v60, 16, v4
	v_cmp_gt_i16_e64 s4, 0, v4
	v_ashrrev_i32_e32 v18, 24, v18
	v_lshrrev_b32_e32 v61, 16, v5
	v_cmp_gt_i16_e64 s20, 0, v5
	v_ashrrev_i32_e32 v19, 24, v19
	v_and_b32_e32 v30, 15, v30
	s_delay_alu instid0(VALU_DEP_4)
	v_cmp_gt_i16_e64 s28, 0, v61
	s_waitcnt vmcnt(5)
	v_cmp_gt_i16_e64 s29, 0, v35
	s_waitcnt vmcnt(4)
	v_bfe_u32 v72, v20, 8, 8
	v_and_b32_e32 v73, 0xff, v21
	v_bfe_u32 v74, v21, 8, 8
	s_waitcnt vmcnt(2)
	v_and_b32_e32 v83, 0xff, v26
	v_bfe_u32 v84, v26, 8, 8
	v_and_b32_e32 v63, 2, v32
	v_and_b32_e32 v64, 4, v32
	;; [unrolled: 1-line block ×4, first 2 shown]
	v_lshrrev_b32_e32 v69, 24, v20
	v_lshrrev_b32_e32 v70, 24, v21
	v_and_b32_e32 v71, 0xff, v20
	v_bfe_u32 v20, v20, 16, 8
	v_bfe_u32 v21, v21, 16, 8
	v_lshrrev_b32_e32 v81, 24, v26
	v_bfe_u32 v26, v26, 16, 8
	v_and_b32_e32 v85, 0xff, v27
	v_bfe_u32 v86, v27, 8, 8
	s_waitcnt vmcnt(1)
	v_and_b32_e32 v89, 0xff, v28
	v_and_b32_e32 v91, 0xff, v29
	v_mul_i32_i24_e32 v36, v72, v36
	v_mul_i32_i24_e32 v38, v73, v38
	v_and_b32_e32 v73, 1, v34
	v_mul_i32_i24_e32 v39, v74, v39
	v_and_b32_e32 v74, 2, v34
	v_mul_i32_i24_e32 v47, v83, v47
	v_mul_i32_i24_e32 v48, v84, v48
	v_and_b32_e32 v62, 1, v32
	v_and_b32_e32 v68, 1, v33
	v_lshrrev_b32_e32 v75, 24, v24
	v_lshrrev_b32_e32 v76, 24, v25
	v_and_b32_e32 v77, 0xff, v24
	v_bfe_u32 v78, v24, 8, 8
	v_bfe_u32 v24, v24, 16, 8
	v_and_b32_e32 v79, 0xff, v25
	v_bfe_u32 v80, v25, 8, 8
	v_bfe_u32 v25, v25, 16, 8
	v_lshrrev_b32_e32 v87, 24, v28
	v_bfe_u32 v90, v28, 8, 8
	v_bfe_u32 v28, v28, 16, 8
	v_and_b32_e32 v93, 2, v33
	v_mul_i32_i24_e32 v23, v71, v23
	v_and_b32_e32 v71, 4, v33
	v_and_b32_e32 v72, 8, v33
	v_mul_i32_i24_e32 v20, v20, v37
	v_and_b32_e32 v37, 16, v33
	v_mul_i32_i24_e32 v12, v69, v12
	;; [unrolled: 2-line block ×5, first 2 shown]
	v_mul_i32_i24_e32 v16, v81, v16
	v_mul_i32_i24_e32 v49, v85, v50
	;; [unrolled: 1-line block ×5, first 2 shown]
	v_sub_nc_u32_e32 v56, 0, v36
	v_cmp_eq_u16_e32 vcc_lo, 0, v63
	v_cmp_eq_u16_e64 s0, 0, v64
	v_sub_nc_u32_e32 v63, 0, v38
	v_cmp_eq_u16_e64 s2, 0, v66
	v_sub_nc_u32_e32 v64, 0, v39
	v_cmp_eq_u16_e64 s3, 0, v67
	v_cmp_gt_i16_e64 s12, 0, v33
	v_sub_nc_u32_e32 v33, 0, v47
	v_cmp_eq_u16_e64 s13, 0, v73
	v_sub_nc_u32_e32 v73, 0, v48
	v_cmp_eq_u16_e64 s14, 0, v74
	s_waitcnt vmcnt(0)
	v_cvt_f32_f16_e32 v22, v22
	v_and_b32_e32 v65, 8, v32
	v_lshrrev_b32_e32 v82, 24, v27
	v_bfe_u32 v27, v27, 16, 8
	v_lshrrev_b32_e32 v88, 24, v29
	v_bfe_u32 v92, v29, 8, 8
	v_bfe_u32 v29, v29, 16, 8
	v_mul_i32_i24_e32 v41, v77, v41
	v_and_b32_e32 v77, 16, v34
	v_mul_i32_i24_e32 v42, v78, v42
	v_and_b32_e32 v78, 32, v34
	;; [unrolled: 2-line block ×8, first 2 shown]
	v_mul_i32_i24_e32 v28, v28, v55
	v_sub_nc_u32_e32 v55, 0, v23
	v_sub_nc_u32_e32 v4, 0, v13
	v_cmp_gt_i16_e64 s5, 0, v32
	v_sub_nc_u32_e32 v74, 0, v26
	v_cmp_eq_u16_e64 s16, 0, v40
	v_sub_nc_u32_e32 v40, 0, v16
	v_cmp_eq_u16_e64 s17, 0, v70
	v_cmp_eq_u16_e64 s30, 0, v62
	v_cndmask_b32_e32 v35, v56, v36, vcc_lo
	v_cndmask_b32_e64 v36, v63, v38, s2
	v_cndmask_b32_e64 v38, v64, v39, s3
	;; [unrolled: 1-line block ×4, first 2 shown]
	v_mul_i32_i24_e32 v27, v27, v52
	v_mul_i32_i24_e32 v17, v82, v17
	;; [unrolled: 1-line block ×5, first 2 shown]
	v_sub_nc_u32_e32 v57, 0, v20
	v_sub_nc_u32_e32 v58, 0, v12
	v_cmp_eq_u16_e64 s1, 0, v65
	v_sub_nc_u32_e32 v70, 0, v49
	v_cmp_eq_u16_e64 s18, 0, v77
	;; [unrolled: 2-line block ×3, first 2 shown]
	v_cndmask_b32_e64 v23, v55, v23, s30
	v_cndmask_b32_e64 v4, v13, v4, s5
	;; [unrolled: 1-line block ×4, first 2 shown]
	v_add_nc_u32_e32 v26, v39, v33
	v_sub_nc_u32_e32 v78, 0, v27
	v_sub_nc_u32_e32 v5, 0, v17
	v_cmp_gt_i16_e64 s21, 0, v34
	v_cndmask_b32_e64 v20, v57, v20, s0
	v_cndmask_b32_e64 v12, v58, v12, s1
	;; [unrolled: 1-line block ×4, first 2 shown]
	v_add_nc_u32_e32 v23, v35, v23
	v_add3_u32 v13, v26, v13, v16
	v_mul_i32_i24_e32 v18, v87, v18
	v_sub_nc_u32_e32 v65, 0, v21
	v_sub_nc_u32_e32 v34, 0, v51
	v_cmp_eq_u16_e64 s22, 0, v43
	v_sub_nc_u32_e32 v43, 0, v52
	v_cmp_eq_u16_e64 s23, 0, v75
	v_cndmask_b32_e64 v26, v27, v78, s20
	v_cndmask_b32_e64 v5, v17, v5, s21
	v_add3_u32 v12, v23, v20, v12
	v_add3_u32 v13, v13, v33, v39
	v_sub_nc_u32_e32 v32, 0, v41
	v_cmp_eq_u16_e64 s6, 0, v68
	v_sub_nc_u32_e32 v66, 0, v42
	v_cmp_eq_u16_e64 s7, 0, v93
	;; [unrolled: 2-line block ×5, first 2 shown]
	v_cndmask_b32_e64 v21, v21, v65, s4
	v_cndmask_b32_e64 v20, v34, v51, s22
	;; [unrolled: 1-line block ×3, first 2 shown]
	v_add3_u32 v12, v12, v36, v38
	v_add3_u32 v5, v13, v26, v5
	v_mul_i32_i24_e32 v19, v88, v19
	v_sub_nc_u32_e32 v67, 0, v24
	v_cmp_eq_u16_e64 s8, 0, v71
	v_sub_nc_u32_e32 v80, 0, v53
	v_cmp_eq_u16_e64 s26, 0, v46
	;; [unrolled: 2-line block ×3, first 2 shown]
	v_cndmask_b32_e64 v32, v32, v41, s6
	v_cndmask_b32_e64 v16, v66, v42, s7
	;; [unrolled: 1-line block ×5, first 2 shown]
	v_add3_u32 v4, v12, v21, v4
	v_add3_u32 v5, v5, v20, v23
	v_sub_nc_u32_e32 v71, 0, v44
	v_cmp_eq_u16_e64 s10, 0, v37
	v_sub_nc_u32_e32 v37, 0, v45
	v_cmp_eq_u16_e64 s11, 0, v69
	v_sub_nc_u32_e32 v76, 0, v29
	v_sub_nc_u32_e32 v61, 0, v19
	v_cndmask_b32_e64 v17, v67, v24, s8
	v_cndmask_b32_e64 v20, v80, v53, s26
	;; [unrolled: 1-line block ×3, first 2 shown]
	v_add3_u32 v4, v4, v32, v16
	v_add3_u32 v5, v5, v14, v18
	v_sub_nc_u32_e32 v69, 0, v25
	v_sub_nc_u32_e32 v72, 0, v15
	v_cndmask_b32_e64 v12, v71, v44, s10
	v_cndmask_b32_e64 v14, v37, v45, s11
	v_cndmask_b32_e64 v16, v29, v76, s28
	v_cndmask_b32_e64 v18, v19, v61, s29
	v_add3_u32 v4, v4, v17, v13
	v_add3_u32 v5, v5, v20, v21
	v_cmp_gt_i16_e32 vcc_lo, 0, v60
	v_cndmask_b32_e64 v15, v15, v72, s12
	s_delay_alu instid0(VALU_DEP_4) | instskip(NEXT) | instid1(VALU_DEP_4)
	v_add3_u32 v4, v4, v12, v14
	v_add3_u32 v5, v5, v16, v18
	v_cndmask_b32_e32 v13, v25, v69, vcc_lo
	v_cvt_f32_f16_e32 v12, v31
	v_cvt_f32_ubyte0_e32 v14, v30
	v_add_f32_e32 v16, 0.5, v59
	v_cvt_f32_i32_e32 v5, v5
	v_add3_u32 v4, v4, v13, v15
	v_mul_f32_e32 v12, v12, v22
	v_add_f32_e32 v13, 0.5, v14
	v_cmp_le_u32_e32 vcc_lo, s33, v6
	v_mul_f32_e32 v5, v16, v5
	v_cvt_f32_i32_e32 v4, v4
	v_mul_f32_e32 v12, 0x3e800000, v12
	s_or_b32 s36, vcc_lo, s36
	s_delay_alu instid0(VALU_DEP_2) | instskip(NEXT) | instid1(VALU_DEP_1)
	v_fmac_f32_e32 v5, v13, v4
	v_fmac_f32_e32 v7, v12, v5
	s_and_not1_b32 exec_lo, exec_lo, s36
	s_cbranch_execnz .LBB89_3
; %bb.4:
	s_or_b32 exec_lo, exec_lo, s36
.LBB89_5:
	s_delay_alu instid0(SALU_CYCLE_1) | instskip(SKIP_1) | instid1(VALU_DEP_1)
	s_or_b32 exec_lo, exec_lo, s31
	v_mbcnt_lo_u32_b32 v2, -1, 0
	v_xor_b32_e32 v3, 16, v2
	v_xor_b32_e32 v4, 8, v2
	v_xor_b32_e32 v5, 4, v2
	s_delay_alu instid0(VALU_DEP_3) | instskip(SKIP_1) | instid1(VALU_DEP_4)
	v_cmp_gt_i32_e32 vcc_lo, 32, v3
	v_cndmask_b32_e32 v3, v2, v3, vcc_lo
	v_cmp_gt_i32_e32 vcc_lo, 32, v4
	v_cndmask_b32_e32 v4, v2, v4, vcc_lo
	v_cmp_gt_i32_e32 vcc_lo, 32, v5
	s_delay_alu instid0(VALU_DEP_2)
	v_lshlrev_b32_e32 v4, 2, v4
	v_lshlrev_b32_e32 v3, 2, v3
	v_cndmask_b32_e32 v5, v2, v5, vcc_lo
	ds_bpermute_b32 v3, v3, v7
	v_lshlrev_b32_e32 v5, 2, v5
	s_waitcnt lgkmcnt(0)
	v_add_f32_e32 v3, v7, v3
	ds_bpermute_b32 v4, v4, v3
	s_waitcnt lgkmcnt(0)
	v_add_f32_e32 v3, v3, v4
	ds_bpermute_b32 v4, v5, v3
	v_xor_b32_e32 v5, 2, v2
	s_delay_alu instid0(VALU_DEP_1) | instskip(SKIP_1) | instid1(VALU_DEP_1)
	v_cmp_gt_i32_e32 vcc_lo, 32, v5
	v_cndmask_b32_e32 v5, v2, v5, vcc_lo
	v_lshlrev_b32_e32 v5, 2, v5
	s_waitcnt lgkmcnt(0)
	v_add_f32_e32 v3, v3, v4
	ds_bpermute_b32 v4, v5, v3
	v_xor_b32_e32 v5, 1, v2
	s_delay_alu instid0(VALU_DEP_1) | instskip(SKIP_3) | instid1(VALU_DEP_2)
	v_cmp_gt_i32_e32 vcc_lo, 32, v5
	v_cndmask_b32_e32 v5, v2, v5, vcc_lo
	v_cmp_eq_u32_e32 vcc_lo, 0, v0
	s_waitcnt lgkmcnt(0)
	v_dual_add_f32 v2, v3, v4 :: v_dual_lshlrev_b32 v3, 2, v5
	ds_bpermute_b32 v3, v3, v2
	s_and_b32 exec_lo, exec_lo, vcc_lo
	s_cbranch_execz .LBB89_7
; %bb.6:
	v_mad_u64_u32 v[4:5], null, s15, s37, v[1:2]
	s_waitcnt lgkmcnt(0)
	v_dual_mov_b32 v5, 0 :: v_dual_add_f32 v2, v2, v3
	s_delay_alu instid0(VALU_DEP_1) | instskip(NEXT) | instid1(VALU_DEP_2)
	v_cvt_f16_f32_e32 v2, v2
	v_lshlrev_b64 v[0:1], 1, v[4:5]
	s_delay_alu instid0(VALU_DEP_1) | instskip(NEXT) | instid1(VALU_DEP_2)
	v_add_co_u32 v0, vcc_lo, s34, v0
	v_add_co_ci_u32_e32 v1, vcc_lo, s35, v1, vcc_lo
	global_store_b16 v[0:1], v2, off
.LBB89_7:
	s_nop 0
	s_sendmsg sendmsg(MSG_DEALLOC_VGPRS)
	s_endpgm
	.section	.rodata,"a",@progbits
	.p2align	6, 0x0
	.amdhsa_kernel _ZL13mul_mat_vec_qIN3c104HalfELi256ELi8E12block_iq2_xsLi1EXadL_ZL19vec_dot_iq2_xs_q8_1PKvPK10block_q8_1RKiEEEvS4_S4_PT_iii
		.amdhsa_group_segment_fixed_size 0
		.amdhsa_private_segment_fixed_size 0
		.amdhsa_kernarg_size 296
		.amdhsa_user_sgpr_count 14
		.amdhsa_user_sgpr_dispatch_ptr 0
		.amdhsa_user_sgpr_queue_ptr 0
		.amdhsa_user_sgpr_kernarg_segment_ptr 1
		.amdhsa_user_sgpr_dispatch_id 0
		.amdhsa_user_sgpr_private_segment_size 0
		.amdhsa_wavefront_size32 1
		.amdhsa_uses_dynamic_stack 0
		.amdhsa_enable_private_segment 0
		.amdhsa_system_sgpr_workgroup_id_x 1
		.amdhsa_system_sgpr_workgroup_id_y 1
		.amdhsa_system_sgpr_workgroup_id_z 0
		.amdhsa_system_sgpr_workgroup_info 0
		.amdhsa_system_vgpr_workitem_id 1
		.amdhsa_next_free_vgpr 94
		.amdhsa_next_free_sgpr 44
		.amdhsa_reserve_vcc 1
		.amdhsa_float_round_mode_32 0
		.amdhsa_float_round_mode_16_64 0
		.amdhsa_float_denorm_mode_32 3
		.amdhsa_float_denorm_mode_16_64 3
		.amdhsa_dx10_clamp 1
		.amdhsa_ieee_mode 1
		.amdhsa_fp16_overflow 0
		.amdhsa_workgroup_processor_mode 1
		.amdhsa_memory_ordered 1
		.amdhsa_forward_progress 0
		.amdhsa_shared_vgpr_count 0
		.amdhsa_exception_fp_ieee_invalid_op 0
		.amdhsa_exception_fp_denorm_src 0
		.amdhsa_exception_fp_ieee_div_zero 0
		.amdhsa_exception_fp_ieee_overflow 0
		.amdhsa_exception_fp_ieee_underflow 0
		.amdhsa_exception_fp_ieee_inexact 0
		.amdhsa_exception_int_div_zero 0
	.end_amdhsa_kernel
	.section	.text._ZL13mul_mat_vec_qIN3c104HalfELi256ELi8E12block_iq2_xsLi1EXadL_ZL19vec_dot_iq2_xs_q8_1PKvPK10block_q8_1RKiEEEvS4_S4_PT_iii,"axG",@progbits,_ZL13mul_mat_vec_qIN3c104HalfELi256ELi8E12block_iq2_xsLi1EXadL_ZL19vec_dot_iq2_xs_q8_1PKvPK10block_q8_1RKiEEEvS4_S4_PT_iii,comdat
.Lfunc_end89:
	.size	_ZL13mul_mat_vec_qIN3c104HalfELi256ELi8E12block_iq2_xsLi1EXadL_ZL19vec_dot_iq2_xs_q8_1PKvPK10block_q8_1RKiEEEvS4_S4_PT_iii, .Lfunc_end89-_ZL13mul_mat_vec_qIN3c104HalfELi256ELi8E12block_iq2_xsLi1EXadL_ZL19vec_dot_iq2_xs_q8_1PKvPK10block_q8_1RKiEEEvS4_S4_PT_iii
                                        ; -- End function
	.section	.AMDGPU.csdata,"",@progbits
; Kernel info:
; codeLenInByte = 2360
; NumSgprs: 46
; NumVgprs: 94
; ScratchSize: 0
; MemoryBound: 0
; FloatMode: 240
; IeeeMode: 1
; LDSByteSize: 0 bytes/workgroup (compile time only)
; SGPRBlocks: 5
; VGPRBlocks: 11
; NumSGPRsForWavesPerEU: 46
; NumVGPRsForWavesPerEU: 94
; Occupancy: 16
; WaveLimiterHint : 0
; COMPUTE_PGM_RSRC2:SCRATCH_EN: 0
; COMPUTE_PGM_RSRC2:USER_SGPR: 14
; COMPUTE_PGM_RSRC2:TRAP_HANDLER: 0
; COMPUTE_PGM_RSRC2:TGID_X_EN: 1
; COMPUTE_PGM_RSRC2:TGID_Y_EN: 1
; COMPUTE_PGM_RSRC2:TGID_Z_EN: 0
; COMPUTE_PGM_RSRC2:TIDIG_COMP_CNT: 1
	.section	.text._ZL13mul_mat_vec_qIN3c104HalfELi256ELi8E13block_iq3_xxsLi1EXadL_ZL20vec_dot_iq3_xxs_q8_1PKvPK10block_q8_1RKiEEEvS4_S4_PT_iii,"axG",@progbits,_ZL13mul_mat_vec_qIN3c104HalfELi256ELi8E13block_iq3_xxsLi1EXadL_ZL20vec_dot_iq3_xxs_q8_1PKvPK10block_q8_1RKiEEEvS4_S4_PT_iii,comdat
	.globl	_ZL13mul_mat_vec_qIN3c104HalfELi256ELi8E13block_iq3_xxsLi1EXadL_ZL20vec_dot_iq3_xxs_q8_1PKvPK10block_q8_1RKiEEEvS4_S4_PT_iii ; -- Begin function _ZL13mul_mat_vec_qIN3c104HalfELi256ELi8E13block_iq3_xxsLi1EXadL_ZL20vec_dot_iq3_xxs_q8_1PKvPK10block_q8_1RKiEEEvS4_S4_PT_iii
	.p2align	8
	.type	_ZL13mul_mat_vec_qIN3c104HalfELi256ELi8E13block_iq3_xxsLi1EXadL_ZL20vec_dot_iq3_xxs_q8_1PKvPK10block_q8_1RKiEEEvS4_S4_PT_iii,@function
_ZL13mul_mat_vec_qIN3c104HalfELi256ELi8E13block_iq3_xxsLi1EXadL_ZL20vec_dot_iq3_xxs_q8_1PKvPK10block_q8_1RKiEEEvS4_S4_PT_iii: ; @_ZL13mul_mat_vec_qIN3c104HalfELi256ELi8E13block_iq3_xxsLi1EXadL_ZL20vec_dot_iq3_xxs_q8_1PKvPK10block_q8_1RKiEEEvS4_S4_PT_iii
; %bb.0:
	s_clause 0x1
	s_load_b32 s2, s[0:1], 0x34
	s_load_b128 s[4:7], s[0:1], 0x18
	v_bfe_u32 v3, v0, 10, 10
	s_waitcnt lgkmcnt(0)
	s_lshr_b32 s2, s2, 16
	s_cmp_lt_u32 s15, s6
	s_delay_alu instid0(VALU_DEP_1) | instskip(SKIP_1) | instid1(VALU_DEP_1)
	v_mad_u64_u32 v[1:2], null, s14, s2, v[3:4]
	s_cselect_b32 s2, -1, 0
	v_cmp_gt_u32_e32 vcc_lo, s5, v1
	s_and_b32 s2, s2, vcc_lo
	s_delay_alu instid0(SALU_CYCLE_1)
	s_and_saveexec_b32 s3, s2
	s_cbranch_execz .LBB90_9
; %bb.1:
	s_load_b64 s[6:7], s[0:1], 0x10
	v_dual_mov_b32 v15, 0 :: v_dual_and_b32 v0, 0x3ff, v0
	s_ashr_i32 s2, s4, 31
	s_mov_b32 s8, exec_lo
	s_lshr_b32 s2, s2, 24
	s_delay_alu instid0(VALU_DEP_1) | instskip(SKIP_1) | instid1(SALU_CYCLE_1)
	v_lshrrev_b32_e32 v14, 3, v0
	s_add_i32 s2, s4, s2
	s_ashr_i32 s9, s2, 8
	s_delay_alu instid0(VALU_DEP_1) | instid1(SALU_CYCLE_1)
	v_cmpx_gt_u32_e64 s9, v14
	s_cbranch_execz .LBB90_7
; %bb.2:
	s_load_b128 s[0:3], s[0:1], 0x0
	v_dual_mov_b32 v15, 0 :: v_dual_and_b32 v4, 7, v0
	s_addk_i32 s4, 0x1ff
	v_mul_lo_u32 v16, v1, s9
	s_ashr_i32 s10, s4, 31
	s_delay_alu instid0(VALU_DEP_2)
	v_lshlrev_b32_e32 v5, 3, v4
	s_lshr_b32 s10, s10, 23
	v_lshlrev_b32_e32 v8, 1, v4
	s_add_i32 s4, s4, s10
	s_mov_b32 s10, 0
	s_ashr_i32 s4, s4, 9
	v_add_nc_u32_e32 v17, v14, v16
	s_mul_i32 s4, s15, s4
	v_lshlrev_b32_e32 v19, 1, v8
	s_lshl_b32 s4, s4, 4
	s_getpc_b64 s[12:13]
	s_add_u32 s12, s12, _ZL11iq3xxs_grid@rel32@lo+4
	s_addc_u32 s13, s13, _ZL11iq3xxs_grid@rel32@hi+12
	v_lshl_add_u32 v18, v14, 3, s4
	s_getpc_b64 s[16:17]
	s_add_u32 s16, s16, _ZL8ksigns64@rel32@lo+4
	s_addc_u32 s17, s17, _ZL8ksigns64@rel32@hi+12
	s_waitcnt lgkmcnt(0)
	v_mad_u64_u32 v[2:3], null, v4, 36, s[2:3]
	v_add_co_u32 v4, s2, v5, s0
	s_delay_alu instid0(VALU_DEP_1) | instskip(NEXT) | instid1(VALU_DEP_2)
	v_add_co_ci_u32_e64 v5, null, 0, s1, s2
	v_add_co_u32 v4, vcc_lo, v4, 2
	s_delay_alu instid0(VALU_DEP_2)
	v_add_co_ci_u32_e32 v5, vcc_lo, 0, v5, vcc_lo
	v_add_co_u32 v6, vcc_lo, v2, 4
	v_add_co_ci_u32_e32 v7, vcc_lo, 0, v3, vcc_lo
.LBB90_3:                               ; =>This Loop Header: Depth=1
                                        ;     Child Loop BB90_4 Depth 2
	v_dual_mov_b32 v21, 0 :: v_dual_add_nc_u32 v10, v14, v16
	s_delay_alu instid0(VALU_DEP_4) | instskip(SKIP_1) | instid1(VALU_DEP_2)
	v_mad_i64_i32 v[12:13], null, 0x62, v17, v[4:5]
	s_mov_b64 s[2:3], 0
	v_mad_i64_i32 v[8:9], null, 0x62, v10, s[0:1]
	s_delay_alu instid0(VALU_DEP_1) | instskip(NEXT) | instid1(VALU_DEP_2)
	v_add_co_u32 v10, vcc_lo, v8, v19
	v_add_co_ci_u32_e32 v11, vcc_lo, 0, v9, vcc_lo
	global_load_b32 v20, v[10:11], off offset:66
	v_mad_i64_i32 v[10:11], null, v18, 36, v[6:7]
.LBB90_4:                               ;   Parent Loop BB90_3 Depth=1
                                        ; =>  This Inner Loop Header: Depth=2
	global_load_u16 v26, v[12:13], off
	s_waitcnt vmcnt(1)
	v_and_b32_e32 v24, 0x7f, v20
	v_add_co_u32 v22, vcc_lo, v10, s2
	v_add_co_ci_u32_e32 v23, vcc_lo, s3, v11, vcc_lo
	s_delay_alu instid0(VALU_DEP_3)
	v_lshlrev_b32_e32 v24, 3, v24
	v_add_co_u32 v12, vcc_lo, v12, 2
	v_lshrrev_b32_e32 v20, 7, v20
	v_add_co_ci_u32_e32 v13, vcc_lo, 0, v13, vcc_lo
	global_load_b64 v[24:25], v24, s[16:17]
	s_add_u32 s2, s2, 8
	s_addc_u32 s3, s3, 0
	s_cmp_lg_u32 s2, 32
	s_waitcnt vmcnt(1)
	v_lshrrev_b16 v27, 8, v26
	v_and_b32_e32 v26, 0xff, v26
	s_delay_alu instid0(VALU_DEP_2) | instskip(NEXT) | instid1(VALU_DEP_2)
	v_and_b32_e32 v27, 0xffff, v27
	v_lshlrev_b32_e32 v26, 2, v26
	s_delay_alu instid0(VALU_DEP_2)
	v_lshlrev_b32_e32 v27, 2, v27
	s_clause 0x1
	global_load_b32 v26, v26, s[12:13]
	global_load_b32 v27, v27, s[12:13]
	global_load_b64 v[22:23], v[22:23], off
	s_waitcnt vmcnt(3)
	v_and_b32_e32 v32, 0xff0000, v24
	v_and_b32_e32 v33, 0xff00, v24
	;; [unrolled: 1-line block ×6, first 2 shown]
	s_waitcnt vmcnt(2)
	v_xor_b32_e32 v26, v24, v26
	s_waitcnt vmcnt(1)
	v_xor_b32_e32 v27, v25, v27
	s_waitcnt vmcnt(0)
	v_bfe_i32 v28, v22, 0, 8
	v_bfe_i32 v29, v23, 0, 8
	v_perm_b32 v30, v22, v22, 0xc0c0201
	v_sub_nc_u32_e32 v32, v26, v32
	v_sub_nc_u32_e32 v33, v26, v33
	;; [unrolled: 1-line block ×5, first 2 shown]
	v_perm_b32 v22, v23, v22, 0x7060503
	v_perm_b32 v26, v32, v33, 0xc06010c
	v_sub_nc_u32_e32 v32, v27, v35
	v_sub_nc_u32_e32 v35, v27, v36
	v_bfe_i32 v24, v24, 0, 8
	v_bfe_i32 v25, v25, 0, 8
	v_sub_nc_u32_e32 v27, v27, v34
	v_perm_b32 v26, v26, v33, 0xc0c0601
	v_perm_b32 v32, v32, v35, 0xc06010c
	v_mul_i32_i24_e32 v24, v28, v24
	v_mul_i32_i24_e32 v25, v29, v25
	v_perm_b32 v28, v35, v31, 0xc0c0503
	s_delay_alu instid0(VALU_DEP_4) | instskip(NEXT) | instid1(VALU_DEP_3)
	v_perm_b32 v27, v27, v32, 0x7020c0c
	v_add3_u32 v21, v24, v21, v25
	s_delay_alu instid0(VALU_DEP_2) | instskip(NEXT) | instid1(VALU_DEP_2)
	v_or_b32_e32 v23, v27, v28
	v_dot4_i32_iu8 v21, v26, v30, v21 neg_lo:[1,1,0]
	s_delay_alu instid0(VALU_DEP_1)
	v_dot4_i32_iu8 v21, v23, v22, v21 neg_lo:[1,1,0]
	s_cbranch_scc1 .LBB90_4
; %bb.5:                                ;   in Loop: Header=BB90_3 Depth=1
	v_lshl_add_u32 v12, v14, 3, s4
	v_add_nc_u32_e32 v14, 4, v14
	v_add_nc_u32_e32 v18, 32, v18
	;; [unrolled: 1-line block ×3, first 2 shown]
	s_delay_alu instid0(VALU_DEP_4) | instskip(SKIP_4) | instid1(VALU_DEP_2)
	v_mad_i64_i32 v[10:11], null, v12, 36, v[2:3]
	global_load_u16 v8, v[8:9], off
	global_load_b32 v9, v[10:11], off
	v_cvt_f32_u32_e32 v10, v20
	v_cmp_le_u32_e32 vcc_lo, s9, v14
	v_add_f32_e32 v10, 0.5, v10
	s_or_b32 s10, vcc_lo, s10
	s_waitcnt vmcnt(1)
	v_cvt_f32_f16_e32 v8, v8
	s_waitcnt vmcnt(0)
	v_cvt_f32_f16_e32 v9, v9
	s_delay_alu instid0(VALU_DEP_2) | instskip(NEXT) | instid1(VALU_DEP_1)
	v_mul_f32_e32 v8, v10, v8
	v_mul_f32_e32 v8, v8, v9
	v_cvt_f32_i32_e32 v9, v21
	s_delay_alu instid0(VALU_DEP_2) | instskip(NEXT) | instid1(VALU_DEP_1)
	v_mul_f32_e32 v8, 0.5, v8
	v_fmac_f32_e32 v15, v8, v9
	s_and_not1_b32 exec_lo, exec_lo, s10
	s_cbranch_execnz .LBB90_3
; %bb.6:
	s_or_b32 exec_lo, exec_lo, s10
.LBB90_7:
	s_delay_alu instid0(SALU_CYCLE_1) | instskip(SKIP_1) | instid1(VALU_DEP_1)
	s_or_b32 exec_lo, exec_lo, s8
	v_mbcnt_lo_u32_b32 v2, -1, 0
	v_xor_b32_e32 v3, 16, v2
	v_xor_b32_e32 v4, 8, v2
	;; [unrolled: 1-line block ×3, first 2 shown]
	s_delay_alu instid0(VALU_DEP_3) | instskip(SKIP_1) | instid1(VALU_DEP_4)
	v_cmp_gt_i32_e32 vcc_lo, 32, v3
	v_cndmask_b32_e32 v3, v2, v3, vcc_lo
	v_cmp_gt_i32_e32 vcc_lo, 32, v4
	v_cndmask_b32_e32 v4, v2, v4, vcc_lo
	v_cmp_gt_i32_e32 vcc_lo, 32, v5
	s_delay_alu instid0(VALU_DEP_2)
	v_lshlrev_b32_e32 v4, 2, v4
	v_lshlrev_b32_e32 v3, 2, v3
	v_cndmask_b32_e32 v5, v2, v5, vcc_lo
	ds_bpermute_b32 v3, v3, v15
	v_lshlrev_b32_e32 v5, 2, v5
	s_waitcnt lgkmcnt(0)
	v_add_f32_e32 v3, v15, v3
	ds_bpermute_b32 v4, v4, v3
	s_waitcnt lgkmcnt(0)
	v_add_f32_e32 v3, v3, v4
	ds_bpermute_b32 v4, v5, v3
	v_xor_b32_e32 v5, 2, v2
	s_delay_alu instid0(VALU_DEP_1) | instskip(SKIP_1) | instid1(VALU_DEP_1)
	v_cmp_gt_i32_e32 vcc_lo, 32, v5
	v_cndmask_b32_e32 v5, v2, v5, vcc_lo
	v_lshlrev_b32_e32 v5, 2, v5
	s_waitcnt lgkmcnt(0)
	v_add_f32_e32 v3, v3, v4
	ds_bpermute_b32 v4, v5, v3
	v_xor_b32_e32 v5, 1, v2
	s_delay_alu instid0(VALU_DEP_1) | instskip(SKIP_3) | instid1(VALU_DEP_2)
	v_cmp_gt_i32_e32 vcc_lo, 32, v5
	v_cndmask_b32_e32 v5, v2, v5, vcc_lo
	v_cmp_eq_u32_e32 vcc_lo, 0, v0
	s_waitcnt lgkmcnt(0)
	v_dual_add_f32 v2, v3, v4 :: v_dual_lshlrev_b32 v3, 2, v5
	ds_bpermute_b32 v3, v3, v2
	s_and_b32 exec_lo, exec_lo, vcc_lo
	s_cbranch_execz .LBB90_9
; %bb.8:
	v_mad_u64_u32 v[4:5], null, s15, s5, v[1:2]
	s_waitcnt lgkmcnt(0)
	v_dual_mov_b32 v5, 0 :: v_dual_add_f32 v2, v2, v3
	s_delay_alu instid0(VALU_DEP_1) | instskip(NEXT) | instid1(VALU_DEP_2)
	v_cvt_f16_f32_e32 v2, v2
	v_lshlrev_b64 v[0:1], 1, v[4:5]
	s_delay_alu instid0(VALU_DEP_1) | instskip(NEXT) | instid1(VALU_DEP_2)
	v_add_co_u32 v0, vcc_lo, s6, v0
	v_add_co_ci_u32_e32 v1, vcc_lo, s7, v1, vcc_lo
	global_store_b16 v[0:1], v2, off
.LBB90_9:
	s_nop 0
	s_sendmsg sendmsg(MSG_DEALLOC_VGPRS)
	s_endpgm
	.section	.rodata,"a",@progbits
	.p2align	6, 0x0
	.amdhsa_kernel _ZL13mul_mat_vec_qIN3c104HalfELi256ELi8E13block_iq3_xxsLi1EXadL_ZL20vec_dot_iq3_xxs_q8_1PKvPK10block_q8_1RKiEEEvS4_S4_PT_iii
		.amdhsa_group_segment_fixed_size 0
		.amdhsa_private_segment_fixed_size 0
		.amdhsa_kernarg_size 296
		.amdhsa_user_sgpr_count 14
		.amdhsa_user_sgpr_dispatch_ptr 0
		.amdhsa_user_sgpr_queue_ptr 0
		.amdhsa_user_sgpr_kernarg_segment_ptr 1
		.amdhsa_user_sgpr_dispatch_id 0
		.amdhsa_user_sgpr_private_segment_size 0
		.amdhsa_wavefront_size32 1
		.amdhsa_uses_dynamic_stack 0
		.amdhsa_enable_private_segment 0
		.amdhsa_system_sgpr_workgroup_id_x 1
		.amdhsa_system_sgpr_workgroup_id_y 1
		.amdhsa_system_sgpr_workgroup_id_z 0
		.amdhsa_system_sgpr_workgroup_info 0
		.amdhsa_system_vgpr_workitem_id 1
		.amdhsa_next_free_vgpr 37
		.amdhsa_next_free_sgpr 18
		.amdhsa_reserve_vcc 1
		.amdhsa_float_round_mode_32 0
		.amdhsa_float_round_mode_16_64 0
		.amdhsa_float_denorm_mode_32 3
		.amdhsa_float_denorm_mode_16_64 3
		.amdhsa_dx10_clamp 1
		.amdhsa_ieee_mode 1
		.amdhsa_fp16_overflow 0
		.amdhsa_workgroup_processor_mode 1
		.amdhsa_memory_ordered 1
		.amdhsa_forward_progress 0
		.amdhsa_shared_vgpr_count 0
		.amdhsa_exception_fp_ieee_invalid_op 0
		.amdhsa_exception_fp_denorm_src 0
		.amdhsa_exception_fp_ieee_div_zero 0
		.amdhsa_exception_fp_ieee_overflow 0
		.amdhsa_exception_fp_ieee_underflow 0
		.amdhsa_exception_fp_ieee_inexact 0
		.amdhsa_exception_int_div_zero 0
	.end_amdhsa_kernel
	.section	.text._ZL13mul_mat_vec_qIN3c104HalfELi256ELi8E13block_iq3_xxsLi1EXadL_ZL20vec_dot_iq3_xxs_q8_1PKvPK10block_q8_1RKiEEEvS4_S4_PT_iii,"axG",@progbits,_ZL13mul_mat_vec_qIN3c104HalfELi256ELi8E13block_iq3_xxsLi1EXadL_ZL20vec_dot_iq3_xxs_q8_1PKvPK10block_q8_1RKiEEEvS4_S4_PT_iii,comdat
.Lfunc_end90:
	.size	_ZL13mul_mat_vec_qIN3c104HalfELi256ELi8E13block_iq3_xxsLi1EXadL_ZL20vec_dot_iq3_xxs_q8_1PKvPK10block_q8_1RKiEEEvS4_S4_PT_iii, .Lfunc_end90-_ZL13mul_mat_vec_qIN3c104HalfELi256ELi8E13block_iq3_xxsLi1EXadL_ZL20vec_dot_iq3_xxs_q8_1PKvPK10block_q8_1RKiEEEvS4_S4_PT_iii
                                        ; -- End function
	.section	.AMDGPU.csdata,"",@progbits
; Kernel info:
; codeLenInByte = 1204
; NumSgprs: 20
; NumVgprs: 37
; ScratchSize: 0
; MemoryBound: 0
; FloatMode: 240
; IeeeMode: 1
; LDSByteSize: 0 bytes/workgroup (compile time only)
; SGPRBlocks: 2
; VGPRBlocks: 4
; NumSGPRsForWavesPerEU: 20
; NumVGPRsForWavesPerEU: 37
; Occupancy: 16
; WaveLimiterHint : 0
; COMPUTE_PGM_RSRC2:SCRATCH_EN: 0
; COMPUTE_PGM_RSRC2:USER_SGPR: 14
; COMPUTE_PGM_RSRC2:TRAP_HANDLER: 0
; COMPUTE_PGM_RSRC2:TGID_X_EN: 1
; COMPUTE_PGM_RSRC2:TGID_Y_EN: 1
; COMPUTE_PGM_RSRC2:TGID_Z_EN: 0
; COMPUTE_PGM_RSRC2:TIDIG_COMP_CNT: 1
	.section	.text._ZL13mul_mat_vec_qIN3c104HalfELi256ELi8E11block_iq1_sLi1EXadL_ZL18vec_dot_iq1_s_q8_1PKvPK10block_q8_1RKiEEEvS4_S4_PT_iii,"axG",@progbits,_ZL13mul_mat_vec_qIN3c104HalfELi256ELi8E11block_iq1_sLi1EXadL_ZL18vec_dot_iq1_s_q8_1PKvPK10block_q8_1RKiEEEvS4_S4_PT_iii,comdat
	.globl	_ZL13mul_mat_vec_qIN3c104HalfELi256ELi8E11block_iq1_sLi1EXadL_ZL18vec_dot_iq1_s_q8_1PKvPK10block_q8_1RKiEEEvS4_S4_PT_iii ; -- Begin function _ZL13mul_mat_vec_qIN3c104HalfELi256ELi8E11block_iq1_sLi1EXadL_ZL18vec_dot_iq1_s_q8_1PKvPK10block_q8_1RKiEEEvS4_S4_PT_iii
	.p2align	8
	.type	_ZL13mul_mat_vec_qIN3c104HalfELi256ELi8E11block_iq1_sLi1EXadL_ZL18vec_dot_iq1_s_q8_1PKvPK10block_q8_1RKiEEEvS4_S4_PT_iii,@function
_ZL13mul_mat_vec_qIN3c104HalfELi256ELi8E11block_iq1_sLi1EXadL_ZL18vec_dot_iq1_s_q8_1PKvPK10block_q8_1RKiEEEvS4_S4_PT_iii: ; @_ZL13mul_mat_vec_qIN3c104HalfELi256ELi8E11block_iq1_sLi1EXadL_ZL18vec_dot_iq1_s_q8_1PKvPK10block_q8_1RKiEEEvS4_S4_PT_iii
; %bb.0:
	s_clause 0x1
	s_load_b32 s2, s[0:1], 0x34
	s_load_b128 s[4:7], s[0:1], 0x18
	v_bfe_u32 v3, v0, 10, 10
	s_waitcnt lgkmcnt(0)
	s_lshr_b32 s2, s2, 16
	s_cmp_lt_u32 s15, s6
	s_delay_alu instid0(VALU_DEP_1) | instskip(SKIP_1) | instid1(VALU_DEP_1)
	v_mad_u64_u32 v[1:2], null, s14, s2, v[3:4]
	s_cselect_b32 s2, -1, 0
	v_cmp_gt_u32_e32 vcc_lo, s5, v1
	s_and_b32 s2, s2, vcc_lo
	s_delay_alu instid0(SALU_CYCLE_1)
	s_and_saveexec_b32 s3, s2
	s_cbranch_execz .LBB91_7
; %bb.1:
	s_load_b64 s[6:7], s[0:1], 0x10
	v_dual_mov_b32 v3, 0 :: v_dual_and_b32 v0, 0x3ff, v0
	s_ashr_i32 s2, s4, 31
	s_mov_b32 s10, exec_lo
	s_lshr_b32 s2, s2, 24
	s_delay_alu instid0(VALU_DEP_1) | instskip(SKIP_1) | instid1(SALU_CYCLE_1)
	v_lshrrev_b32_e32 v2, 3, v0
	s_add_i32 s2, s4, s2
	s_ashr_i32 s11, s2, 8
	s_delay_alu instid0(VALU_DEP_1) | instid1(SALU_CYCLE_1)
	v_cmpx_gt_u32_e64 s11, v2
	s_cbranch_execz .LBB91_5
; %bb.2:
	s_load_b128 s[0:3], s[0:1], 0x0
	s_addk_i32 s4, 0x1ff
	v_dual_mov_b32 v3, 0 :: v_dual_and_b32 v4, 7, v0
	s_ashr_i32 s8, s4, 31
	v_lshlrev_b32_e32 v6, 3, v2
	s_lshr_b32 s8, s8, 23
	s_delay_alu instid0(VALU_DEP_2)
	v_lshlrev_b32_e32 v7, 1, v4
	s_add_i32 s4, s4, s8
	v_mul_lo_u32 v5, v1, s11
	s_ashr_i32 s4, s4, 9
	v_lshlrev_b32_e32 v8, 1, v4
	s_mul_i32 s4, s15, s4
	v_lshlrev_b32_e32 v7, 1, v7
	v_lshl_add_u32 v6, s4, 4, v6
	s_mov_b32 s4, 0
	s_mov_b32 s12, 0xb7000000
	s_getpc_b64 s[8:9]
	s_add_u32 s8, s8, _ZL13iq1s_grid_gpu@rel32@lo+4
	s_addc_u32 s9, s9, _ZL13iq1s_grid_gpu@rel32@hi+12
.LBB91_3:                               ; =>This Inner Loop Header: Depth=1
	v_add_nc_u32_e32 v9, v5, v2
	v_add_nc_u32_e32 v2, 4, v2
	s_waitcnt lgkmcnt(0)
	s_delay_alu instid0(VALU_DEP_2) | instskip(NEXT) | instid1(VALU_DEP_1)
	v_mad_i64_i32 v[17:18], null, v9, 50, s[0:1]
	v_add_co_u32 v9, vcc_lo, v17, v7
	s_delay_alu instid0(VALU_DEP_2)
	v_add_co_ci_u32_e32 v10, vcc_lo, 0, v18, vcc_lo
	v_add_co_u32 v11, vcc_lo, v17, v8
	v_add_co_ci_u32_e32 v12, vcc_lo, 0, v18, vcc_lo
	v_cmp_le_u32_e32 vcc_lo, s11, v2
	s_clause 0x1
	global_load_b32 v21, v[9:10], off offset:2
	global_load_u16 v22, v[11:12], off offset:34
	v_mad_i64_i32 v[9:10], null, v6, 36, s[2:3]
	v_add_nc_u32_e32 v6, 32, v6
	s_or_b32 s4, vcc_lo, s4
	s_delay_alu instid0(VALU_DEP_2)
	v_mad_u64_u32 v[19:20], null, v4, 36, v[9:10]
	s_clause 0x1
	global_load_b128 v[9:12], v[19:20], off
	global_load_b128 v[13:16], v[19:20], off offset:16
	global_load_u16 v17, v[17:18], off
	global_load_b32 v19, v[19:20], off offset:32
	s_waitcnt vmcnt(5)
	v_and_b32_e32 v18, 0xff, v21
	s_waitcnt vmcnt(4)
	v_lshlrev_b32_e32 v23, 8, v22
	v_lshrrev_b16 v24, 8, v21
	v_lshlrev_b32_e32 v25, 5, v22
	v_bfe_u32 v20, v21, 16, 8
	v_lshrrev_b32_e32 v21, 24, v21
	v_and_or_b32 v18, 0x700, v23, v18
	v_and_b32_e32 v23, 0xffff, v24
	v_lshlrev_b32_e32 v24, 2, v22
	s_delay_alu instid0(VALU_DEP_3) | instskip(NEXT) | instid1(VALU_DEP_3)
	v_lshlrev_b32_e32 v18, 3, v18
	v_and_or_b32 v23, 0x700, v25, v23
	s_delay_alu instid0(VALU_DEP_3)
	v_and_or_b32 v20, 0x700, v24, v20
	v_lshrrev_b32_e32 v24, 1, v22
	global_load_b32 v18, v18, s[8:9]
	v_lshlrev_b32_e32 v23, 3, v23
	v_lshlrev_b32_e32 v20, 3, v20
	v_and_or_b32 v21, 0x700, v24, v21
	s_waitcnt vmcnt(4)
	v_bfe_i32 v24, v10, 0, 8
	v_bfe_i32 v25, v10, 8, 8
	s_clause 0x1
	global_load_b32 v23, v23, s[8:9]
	global_load_b32 v20, v20, s[8:9]
	v_lshlrev_b32_e32 v21, 3, v21
	v_bfe_i32 v26, v10, 16, 8
	v_bfe_i32 v27, v11, 0, 8
	v_ashrrev_i32_e32 v10, 24, v10
	v_bfe_i32 v28, v11, 8, 8
	global_load_b32 v21, v21, s[8:9]
	v_bfe_i32 v29, v11, 16, 8
	v_ashrrev_i32_e32 v11, 24, v11
	v_bfe_i32 v30, v12, 0, 8
	s_waitcnt vmcnt(6)
	v_bfe_i32 v33, v13, 0, 8
	v_bfe_i32 v31, v12, 8, 8
	;; [unrolled: 1-line block ×3, first 2 shown]
	v_ashrrev_i32_e32 v12, 24, v12
	v_bfe_i32 v34, v13, 8, 8
	v_bfe_i32 v35, v13, 16, 8
	v_ashrrev_i32_e32 v13, 24, v13
	v_bfe_i32 v36, v14, 0, 8
	v_bfe_i32 v39, v15, 0, 8
	;; [unrolled: 1-line block ×4, first 2 shown]
	v_ashrrev_i32_e32 v14, 24, v14
	v_bfe_i32 v40, v15, 8, 8
	v_bfe_i32 v41, v15, 16, 8
	v_ashrrev_i32_e32 v15, 24, v15
	v_bfe_i32 v42, v16, 0, 8
	s_waitcnt vmcnt(4)
	v_bfe_i32 v45, v19, 0, 8
	v_bfe_i32 v43, v16, 8, 8
	v_bfe_i32 v44, v16, 16, 8
	v_ashrrev_i32_e32 v16, 24, v16
	v_bfe_i32 v46, v19, 8, 8
	v_bfe_i32 v47, v19, 16, 8
	v_ashrrev_i32_e32 v19, 24, v19
	s_waitcnt vmcnt(3)
	v_and_b32_e32 v48, 15, v18
	v_bfe_u32 v49, v18, 8, 4
	v_bfe_u32 v50, v18, 16, 4
	;; [unrolled: 1-line block ×4, first 2 shown]
	v_mul_i32_i24_e32 v24, v24, v48
	v_bfe_u32 v48, v18, 24, 4
	v_mul_i32_i24_e32 v25, v49, v25
	v_mul_i32_i24_e32 v26, v50, v26
	;; [unrolled: 1-line block ×3, first 2 shown]
	v_mad_i32_i24 v24, v27, v51, v24
	v_bfe_u32 v27, v18, 20, 4
	v_lshrrev_b32_e32 v18, 28, v18
	v_mul_i32_i24_e32 v10, v48, v10
	s_delay_alu instid0(VALU_DEP_4) | instskip(NEXT) | instid1(VALU_DEP_4)
	v_add3_u32 v24, v24, v25, v26
	v_mul_i32_i24_e32 v25, v27, v29
	s_delay_alu instid0(VALU_DEP_4)
	v_mul_i32_i24_e32 v11, v18, v11
	s_waitcnt vmcnt(2)
	v_and_b32_e32 v18, 15, v23
	v_bfe_u32 v26, v23, 4, 4
	v_add3_u32 v10, v24, v10, v28
	v_bfe_u32 v24, v23, 8, 4
	v_bfe_u32 v27, v23, 16, 4
	v_mul_i32_i24_e32 v18, v30, v18
	v_mul_i32_i24_e32 v26, v33, v26
	v_add3_u32 v10, v10, v25, v11
	v_bfe_u32 v11, v23, 24, 4
	v_bfe_u32 v25, v23, 12, 4
	v_mul_i32_i24_e32 v24, v24, v31
	v_mul_i32_i24_e32 v27, v27, v32
	v_add3_u32 v10, v10, v18, v26
	v_bfe_u32 v18, v23, 20, 4
	v_lshrrev_b32_e32 v23, 28, v23
	v_mul_i32_i24_e32 v11, v11, v12
	v_mul_i32_i24_e32 v12, v25, v34
	v_add3_u32 v10, v10, v24, v27
	s_waitcnt vmcnt(1)
	v_and_b32_e32 v24, 15, v20
	v_bfe_u32 v25, v20, 4, 4
	v_mul_i32_i24_e32 v18, v18, v35
	v_mul_i32_i24_e32 v13, v23, v13
	v_add3_u32 v10, v10, v11, v12
	v_bfe_u32 v11, v20, 8, 4
	v_bfe_u32 v12, v20, 16, 4
	v_mul_i32_i24_e32 v23, v36, v24
	v_mul_i32_i24_e32 v24, v39, v25
	v_add3_u32 v10, v10, v18, v13
	v_bfe_u32 v13, v20, 24, 4
	;; [unrolled: 5-line block ×3, first 2 shown]
	v_lshrrev_b32_e32 v20, 28, v20
	v_mul_i32_i24_e32 v13, v13, v14
	v_mul_i32_i24_e32 v14, v18, v40
	v_add3_u32 v10, v10, v11, v12
	s_waitcnt vmcnt(0)
	v_and_b32_e32 v11, 15, v21
	v_bfe_u32 v12, v21, 4, 4
	v_mul_i32_i24_e32 v18, v23, v41
	v_mul_i32_i24_e32 v15, v20, v15
	v_add3_u32 v10, v10, v13, v14
	v_bfe_u32 v13, v21, 8, 4
	v_bfe_u32 v14, v21, 16, 4
	v_mul_i32_i24_e32 v11, v42, v11
	v_mul_i32_i24_e32 v12, v45, v12
	v_add3_u32 v10, v10, v18, v15
	v_bfe_u32 v15, v21, 24, 4
	;; [unrolled: 5-line block ×3, first 2 shown]
	v_lshrrev_b32_e32 v12, 28, v21
	v_mul_i32_i24_e32 v15, v15, v16
	v_mul_i32_i24_e32 v16, v18, v46
	v_add3_u32 v10, v10, v13, v14
	v_mul_i32_i24_e32 v11, v11, v47
	v_mul_i32_i24_e32 v12, v12, v19
	v_lshrrev_b32_e32 v13, 11, v22
	v_and_b32_e32 v14, 0x8000, v22
	v_add3_u32 v10, v10, v15, v16
	s_delay_alu instid0(VALU_DEP_1)
	v_add3_u32 v10, v10, v11, v12
	v_cvt_f32_f16_e32 v11, v9
	v_and_or_b32 v12, v13, 14, 1
	v_cvt_f32_u32_e32 v13, v14
	v_cvt_f32_f16_e32 v14, v17
	v_cvt_f32_i32_e32 v10, v10
	s_delay_alu instid0(VALU_DEP_4) | instskip(NEXT) | instid1(VALU_DEP_2)
	v_cvt_f32_ubyte0_e32 v12, v12
	v_dual_fmaak_f32 v13, s12, v13, 0xbf600000 :: v_dual_mul_f32 v10, v11, v10
	s_delay_alu instid0(VALU_DEP_2) | instskip(NEXT) | instid1(VALU_DEP_2)
	v_mul_f32_e32 v11, v12, v14
	v_fma_mix_f32 v9, v13, v9, v10 op_sel:[0,1,0] op_sel_hi:[0,1,0]
	s_delay_alu instid0(VALU_DEP_1)
	v_fmac_f32_e32 v3, v11, v9
	s_and_not1_b32 exec_lo, exec_lo, s4
	s_cbranch_execnz .LBB91_3
; %bb.4:
	s_or_b32 exec_lo, exec_lo, s4
.LBB91_5:
	s_delay_alu instid0(SALU_CYCLE_1) | instskip(SKIP_1) | instid1(VALU_DEP_1)
	s_or_b32 exec_lo, exec_lo, s10
	v_mbcnt_lo_u32_b32 v2, -1, 0
	v_xor_b32_e32 v4, 16, v2
	v_xor_b32_e32 v5, 8, v2
	s_delay_alu instid0(VALU_DEP_2) | instskip(SKIP_1) | instid1(VALU_DEP_3)
	v_cmp_gt_i32_e32 vcc_lo, 32, v4
	v_cndmask_b32_e32 v4, v2, v4, vcc_lo
	v_cmp_gt_i32_e32 vcc_lo, 32, v5
	v_cndmask_b32_e32 v5, v2, v5, vcc_lo
	s_delay_alu instid0(VALU_DEP_1) | instskip(NEXT) | instid1(VALU_DEP_4)
	v_lshlrev_b32_e32 v5, 2, v5
	v_lshlrev_b32_e32 v4, 2, v4
	ds_bpermute_b32 v4, v4, v3
	s_waitcnt lgkmcnt(0)
	v_add_f32_e32 v3, v3, v4
	ds_bpermute_b32 v4, v5, v3
	v_xor_b32_e32 v5, 4, v2
	s_delay_alu instid0(VALU_DEP_1) | instskip(SKIP_1) | instid1(VALU_DEP_1)
	v_cmp_gt_i32_e32 vcc_lo, 32, v5
	v_cndmask_b32_e32 v5, v2, v5, vcc_lo
	v_lshlrev_b32_e32 v5, 2, v5
	s_waitcnt lgkmcnt(0)
	v_add_f32_e32 v3, v3, v4
	ds_bpermute_b32 v4, v5, v3
	v_xor_b32_e32 v5, 2, v2
	s_delay_alu instid0(VALU_DEP_1) | instskip(SKIP_1) | instid1(VALU_DEP_1)
	v_cmp_gt_i32_e32 vcc_lo, 32, v5
	v_cndmask_b32_e32 v5, v2, v5, vcc_lo
	v_lshlrev_b32_e32 v5, 2, v5
	s_waitcnt lgkmcnt(0)
	v_add_f32_e32 v3, v3, v4
	ds_bpermute_b32 v4, v5, v3
	v_xor_b32_e32 v5, 1, v2
	s_delay_alu instid0(VALU_DEP_1) | instskip(SKIP_3) | instid1(VALU_DEP_2)
	v_cmp_gt_i32_e32 vcc_lo, 32, v5
	v_cndmask_b32_e32 v5, v2, v5, vcc_lo
	v_cmp_eq_u32_e32 vcc_lo, 0, v0
	s_waitcnt lgkmcnt(0)
	v_dual_add_f32 v2, v3, v4 :: v_dual_lshlrev_b32 v3, 2, v5
	ds_bpermute_b32 v3, v3, v2
	s_and_b32 exec_lo, exec_lo, vcc_lo
	s_cbranch_execz .LBB91_7
; %bb.6:
	v_mad_u64_u32 v[4:5], null, s15, s5, v[1:2]
	s_waitcnt lgkmcnt(0)
	v_dual_mov_b32 v5, 0 :: v_dual_add_f32 v2, v2, v3
	s_delay_alu instid0(VALU_DEP_1) | instskip(NEXT) | instid1(VALU_DEP_2)
	v_cvt_f16_f32_e32 v2, v2
	v_lshlrev_b64 v[0:1], 1, v[4:5]
	s_delay_alu instid0(VALU_DEP_1) | instskip(NEXT) | instid1(VALU_DEP_2)
	v_add_co_u32 v0, vcc_lo, s6, v0
	v_add_co_ci_u32_e32 v1, vcc_lo, s7, v1, vcc_lo
	global_store_b16 v[0:1], v2, off
.LBB91_7:
	s_nop 0
	s_sendmsg sendmsg(MSG_DEALLOC_VGPRS)
	s_endpgm
	.section	.rodata,"a",@progbits
	.p2align	6, 0x0
	.amdhsa_kernel _ZL13mul_mat_vec_qIN3c104HalfELi256ELi8E11block_iq1_sLi1EXadL_ZL18vec_dot_iq1_s_q8_1PKvPK10block_q8_1RKiEEEvS4_S4_PT_iii
		.amdhsa_group_segment_fixed_size 0
		.amdhsa_private_segment_fixed_size 0
		.amdhsa_kernarg_size 296
		.amdhsa_user_sgpr_count 14
		.amdhsa_user_sgpr_dispatch_ptr 0
		.amdhsa_user_sgpr_queue_ptr 0
		.amdhsa_user_sgpr_kernarg_segment_ptr 1
		.amdhsa_user_sgpr_dispatch_id 0
		.amdhsa_user_sgpr_private_segment_size 0
		.amdhsa_wavefront_size32 1
		.amdhsa_uses_dynamic_stack 0
		.amdhsa_enable_private_segment 0
		.amdhsa_system_sgpr_workgroup_id_x 1
		.amdhsa_system_sgpr_workgroup_id_y 1
		.amdhsa_system_sgpr_workgroup_id_z 0
		.amdhsa_system_sgpr_workgroup_info 0
		.amdhsa_system_vgpr_workitem_id 1
		.amdhsa_next_free_vgpr 53
		.amdhsa_next_free_sgpr 16
		.amdhsa_reserve_vcc 1
		.amdhsa_float_round_mode_32 0
		.amdhsa_float_round_mode_16_64 0
		.amdhsa_float_denorm_mode_32 3
		.amdhsa_float_denorm_mode_16_64 3
		.amdhsa_dx10_clamp 1
		.amdhsa_ieee_mode 1
		.amdhsa_fp16_overflow 0
		.amdhsa_workgroup_processor_mode 1
		.amdhsa_memory_ordered 1
		.amdhsa_forward_progress 0
		.amdhsa_shared_vgpr_count 0
		.amdhsa_exception_fp_ieee_invalid_op 0
		.amdhsa_exception_fp_denorm_src 0
		.amdhsa_exception_fp_ieee_div_zero 0
		.amdhsa_exception_fp_ieee_overflow 0
		.amdhsa_exception_fp_ieee_underflow 0
		.amdhsa_exception_fp_ieee_inexact 0
		.amdhsa_exception_int_div_zero 0
	.end_amdhsa_kernel
	.section	.text._ZL13mul_mat_vec_qIN3c104HalfELi256ELi8E11block_iq1_sLi1EXadL_ZL18vec_dot_iq1_s_q8_1PKvPK10block_q8_1RKiEEEvS4_S4_PT_iii,"axG",@progbits,_ZL13mul_mat_vec_qIN3c104HalfELi256ELi8E11block_iq1_sLi1EXadL_ZL18vec_dot_iq1_s_q8_1PKvPK10block_q8_1RKiEEEvS4_S4_PT_iii,comdat
.Lfunc_end91:
	.size	_ZL13mul_mat_vec_qIN3c104HalfELi256ELi8E11block_iq1_sLi1EXadL_ZL18vec_dot_iq1_s_q8_1PKvPK10block_q8_1RKiEEEvS4_S4_PT_iii, .Lfunc_end91-_ZL13mul_mat_vec_qIN3c104HalfELi256ELi8E11block_iq1_sLi1EXadL_ZL18vec_dot_iq1_s_q8_1PKvPK10block_q8_1RKiEEEvS4_S4_PT_iii
                                        ; -- End function
	.section	.AMDGPU.csdata,"",@progbits
; Kernel info:
; codeLenInByte = 1660
; NumSgprs: 18
; NumVgprs: 53
; ScratchSize: 0
; MemoryBound: 0
; FloatMode: 240
; IeeeMode: 1
; LDSByteSize: 0 bytes/workgroup (compile time only)
; SGPRBlocks: 2
; VGPRBlocks: 6
; NumSGPRsForWavesPerEU: 18
; NumVGPRsForWavesPerEU: 53
; Occupancy: 16
; WaveLimiterHint : 0
; COMPUTE_PGM_RSRC2:SCRATCH_EN: 0
; COMPUTE_PGM_RSRC2:USER_SGPR: 14
; COMPUTE_PGM_RSRC2:TRAP_HANDLER: 0
; COMPUTE_PGM_RSRC2:TGID_X_EN: 1
; COMPUTE_PGM_RSRC2:TGID_Y_EN: 1
; COMPUTE_PGM_RSRC2:TGID_Z_EN: 0
; COMPUTE_PGM_RSRC2:TIDIG_COMP_CNT: 1
	.section	.text._ZL13mul_mat_vec_qIN3c104HalfELi32ELi4E12block_iq4_nlLi2EXadL_ZL19vec_dot_iq4_nl_q8_1PKvPK10block_q8_1RKiEEEvS4_S4_PT_iii,"axG",@progbits,_ZL13mul_mat_vec_qIN3c104HalfELi32ELi4E12block_iq4_nlLi2EXadL_ZL19vec_dot_iq4_nl_q8_1PKvPK10block_q8_1RKiEEEvS4_S4_PT_iii,comdat
	.globl	_ZL13mul_mat_vec_qIN3c104HalfELi32ELi4E12block_iq4_nlLi2EXadL_ZL19vec_dot_iq4_nl_q8_1PKvPK10block_q8_1RKiEEEvS4_S4_PT_iii ; -- Begin function _ZL13mul_mat_vec_qIN3c104HalfELi32ELi4E12block_iq4_nlLi2EXadL_ZL19vec_dot_iq4_nl_q8_1PKvPK10block_q8_1RKiEEEvS4_S4_PT_iii
	.p2align	8
	.type	_ZL13mul_mat_vec_qIN3c104HalfELi32ELi4E12block_iq4_nlLi2EXadL_ZL19vec_dot_iq4_nl_q8_1PKvPK10block_q8_1RKiEEEvS4_S4_PT_iii,@function
_ZL13mul_mat_vec_qIN3c104HalfELi32ELi4E12block_iq4_nlLi2EXadL_ZL19vec_dot_iq4_nl_q8_1PKvPK10block_q8_1RKiEEEvS4_S4_PT_iii: ; @_ZL13mul_mat_vec_qIN3c104HalfELi32ELi4E12block_iq4_nlLi2EXadL_ZL19vec_dot_iq4_nl_q8_1PKvPK10block_q8_1RKiEEEvS4_S4_PT_iii
; %bb.0:
	s_clause 0x1
	s_load_b32 s2, s[0:1], 0x34
	s_load_b128 s[4:7], s[0:1], 0x18
	v_bfe_u32 v3, v0, 10, 10
	s_waitcnt lgkmcnt(0)
	s_lshr_b32 s2, s2, 16
	s_cmp_lt_u32 s15, s6
	s_delay_alu instid0(VALU_DEP_1) | instskip(SKIP_1) | instid1(VALU_DEP_1)
	v_mad_u64_u32 v[1:2], null, s14, s2, v[3:4]
	s_cselect_b32 s2, -1, 0
	v_cmp_gt_u32_e32 vcc_lo, s5, v1
	s_and_b32 s2, s2, vcc_lo
	s_delay_alu instid0(SALU_CYCLE_1)
	s_and_saveexec_b32 s3, s2
	s_cbranch_execz .LBB92_7
; %bb.1:
	s_load_b64 s[6:7], s[0:1], 0x10
	v_dual_mov_b32 v3, 0 :: v_dual_and_b32 v0, 0x3ff, v0
	s_ashr_i32 s2, s4, 31
	s_mov_b32 s8, exec_lo
	s_lshr_b32 s2, s2, 27
	s_delay_alu instid0(VALU_DEP_1) | instskip(SKIP_1) | instid1(SALU_CYCLE_1)
	v_lshrrev_b32_e32 v2, 1, v0
	s_add_i32 s2, s4, s2
	s_ashr_i32 s9, s2, 5
	s_delay_alu instid0(VALU_DEP_1) | instid1(SALU_CYCLE_1)
	v_cmpx_gt_u32_e64 s9, v2
	s_cbranch_execz .LBB92_5
; %bb.2:
	v_lshlrev_b32_e32 v3, 1, v0
	s_load_b128 s[0:3], s[0:1], 0x0
	s_addk_i32 s4, 0x1ff
	v_mul_lo_u32 v4, v1, s9
	s_ashr_i32 s10, s4, 31
	v_dual_mov_b32 v3, 0 :: v_dual_and_b32 v6, 2, v3
	s_lshr_b32 s10, s10, 23
	s_delay_alu instid0(SALU_CYCLE_1) | instskip(NEXT) | instid1(VALU_DEP_1)
	s_add_i32 s4, s4, s10
	v_lshlrev_b32_e32 v5, 1, v6
	s_ashr_i32 s4, s4, 9
	v_lshlrev_b32_e32 v6, 2, v6
	s_mul_i32 s4, s15, s4
	s_delay_alu instid0(SALU_CYCLE_1)
	s_lshl_b32 s10, s4, 4
	v_lshlrev_b32_e32 v5, 1, v5
	s_mov_b32 s4, 0
	s_getpc_b64 s[12:13]
	s_add_u32 s12, s12, _ZL13kvalues_iq4nl@rel32@lo+4
	s_addc_u32 s13, s13, _ZL13kvalues_iq4nl@rel32@hi+12
.LBB92_3:                               ; =>This Inner Loop Header: Depth=1
	v_add_nc_u32_e32 v9, v4, v2
	v_add_nc_u32_e32 v13, s10, v2
	s_waitcnt lgkmcnt(0)
	s_delay_alu instid0(VALU_DEP_2) | instskip(NEXT) | instid1(VALU_DEP_2)
	v_mad_i64_i32 v[7:8], null, v9, 18, s[0:1]
	v_mad_i64_i32 v[11:12], null, v13, 36, s[2:3]
	s_delay_alu instid0(VALU_DEP_2) | instskip(NEXT) | instid1(VALU_DEP_3)
	v_add_co_u32 v9, vcc_lo, v7, v5
	v_add_co_ci_u32_e32 v10, vcc_lo, 0, v8, vcc_lo
	s_delay_alu instid0(VALU_DEP_3) | instskip(NEXT) | instid1(VALU_DEP_4)
	v_add_co_u32 v13, vcc_lo, v11, v6
	v_add_co_ci_u32_e32 v14, vcc_lo, 0, v12, vcc_lo
	global_load_b64 v[9:10], v[9:10], off offset:2
	global_load_b64 v[15:16], v[13:14], off offset:4
	s_waitcnt vmcnt(1)
	v_bfe_u32 v19, v9, 8, 4
	v_bfe_u32 v20, v9, 16, 4
	;; [unrolled: 1-line block ×5, first 2 shown]
	v_and_b32_e32 v18, 15, v9
	v_lshrrev_b32_e32 v23, 28, v9
	v_bfe_u32 v9, v9, 4, 4
	s_clause 0x7
	global_load_i8 v19, v19, s[12:13]
	global_load_i8 v20, v20, s[12:13]
	global_load_i8 v21, v21, s[12:13]
	global_load_i8 v22, v22, s[12:13]
	global_load_i8 v31, v9, s[12:13]
	global_load_i8 v23, v23, s[12:13]
	global_load_i8 v18, v18, s[12:13]
	global_load_i8 v17, v17, s[12:13]
	v_bfe_u32 v26, v10, 8, 4
	v_bfe_u32 v27, v10, 16, 4
	;; [unrolled: 1-line block ×5, first 2 shown]
	v_and_b32_e32 v25, 15, v10
	v_lshrrev_b32_e32 v30, 28, v10
	v_bfe_u32 v9, v10, 4, 4
	s_clause 0x7
	global_load_i8 v26, v26, s[12:13]
	global_load_i8 v27, v27, s[12:13]
	;; [unrolled: 1-line block ×8, first 2 shown]
	global_load_b64 v[9:10], v[13:14], off offset:20
	global_load_u16 v7, v[7:8], off
	global_load_b32 v8, v[11:12], off
	s_waitcnt vmcnt(14)
	v_perm_b32 v13, v21, v31, 0xc0c0400
	s_waitcnt vmcnt(13)
	v_perm_b32 v14, v23, v22, 0x4000c0c
	;; [unrolled: 2-line block ×4, first 2 shown]
	v_or_b32_e32 v13, v14, v13
	s_delay_alu instid0(VALU_DEP_2)
	v_or_b32_e32 v11, v12, v11
	s_waitcnt vmcnt(5)
	v_perm_b32 v12, v26, v25, 0xc0c0400
	s_waitcnt vmcnt(4)
	v_perm_b32 v17, v24, v27, 0x4000c0c
	;; [unrolled: 2-line block ×3, first 2 shown]
	s_waitcnt vmcnt(1)
	v_cvt_f32_f16_e32 v7, v7
	v_dot4_i32_iu8 v11, v15, v11, 0 neg_lo:[1,1,0]
	v_perm_b32 v15, v30, v29, 0x4000c0c
	v_or_b32_e32 v12, v17, v12
	s_waitcnt vmcnt(0)
	v_cvt_f32_f16_e32 v8, v8
	v_dot4_i32_iu8 v9, v9, v13, v11 neg_lo:[1,1,0]
	v_or_b32_e32 v11, v15, v14
	s_delay_alu instid0(VALU_DEP_3) | instskip(NEXT) | instid1(VALU_DEP_3)
	v_mul_f32_e32 v7, v7, v8
	v_dot4_i32_iu8 v9, v16, v12, v9 neg_lo:[1,1,0]
	s_delay_alu instid0(VALU_DEP_1) | instskip(NEXT) | instid1(VALU_DEP_1)
	v_dot4_i32_iu8 v9, v10, v11, v9 neg_lo:[1,1,0]
	v_cvt_f32_i32_e32 v8, v9
	s_delay_alu instid0(VALU_DEP_1) | instskip(NEXT) | instid1(VALU_DEP_1)
	v_dual_fmac_f32 v3, v7, v8 :: v_dual_add_nc_u32 v2, 16, v2
	v_cmp_le_u32_e32 vcc_lo, s9, v2
	s_or_b32 s4, vcc_lo, s4
	s_delay_alu instid0(SALU_CYCLE_1)
	s_and_not1_b32 exec_lo, exec_lo, s4
	s_cbranch_execnz .LBB92_3
; %bb.4:
	s_or_b32 exec_lo, exec_lo, s4
.LBB92_5:
	s_delay_alu instid0(SALU_CYCLE_1) | instskip(SKIP_1) | instid1(VALU_DEP_1)
	s_or_b32 exec_lo, exec_lo, s8
	v_mbcnt_lo_u32_b32 v2, -1, 0
	v_xor_b32_e32 v4, 16, v2
	v_xor_b32_e32 v5, 8, v2
	s_delay_alu instid0(VALU_DEP_2) | instskip(SKIP_1) | instid1(VALU_DEP_3)
	v_cmp_gt_i32_e32 vcc_lo, 32, v4
	v_cndmask_b32_e32 v4, v2, v4, vcc_lo
	v_cmp_gt_i32_e32 vcc_lo, 32, v5
	v_cndmask_b32_e32 v5, v2, v5, vcc_lo
	s_delay_alu instid0(VALU_DEP_1) | instskip(NEXT) | instid1(VALU_DEP_4)
	v_lshlrev_b32_e32 v5, 2, v5
	v_lshlrev_b32_e32 v4, 2, v4
	ds_bpermute_b32 v4, v4, v3
	s_waitcnt lgkmcnt(0)
	v_add_f32_e32 v3, v3, v4
	ds_bpermute_b32 v4, v5, v3
	v_xor_b32_e32 v5, 4, v2
	s_delay_alu instid0(VALU_DEP_1) | instskip(SKIP_1) | instid1(VALU_DEP_1)
	v_cmp_gt_i32_e32 vcc_lo, 32, v5
	v_cndmask_b32_e32 v5, v2, v5, vcc_lo
	v_lshlrev_b32_e32 v5, 2, v5
	s_waitcnt lgkmcnt(0)
	v_add_f32_e32 v3, v3, v4
	ds_bpermute_b32 v4, v5, v3
	v_xor_b32_e32 v5, 2, v2
	s_delay_alu instid0(VALU_DEP_1) | instskip(SKIP_1) | instid1(VALU_DEP_1)
	v_cmp_gt_i32_e32 vcc_lo, 32, v5
	v_cndmask_b32_e32 v5, v2, v5, vcc_lo
	v_lshlrev_b32_e32 v5, 2, v5
	s_waitcnt lgkmcnt(0)
	v_add_f32_e32 v3, v3, v4
	ds_bpermute_b32 v4, v5, v3
	v_xor_b32_e32 v5, 1, v2
	s_delay_alu instid0(VALU_DEP_1) | instskip(SKIP_3) | instid1(VALU_DEP_2)
	v_cmp_gt_i32_e32 vcc_lo, 32, v5
	v_cndmask_b32_e32 v5, v2, v5, vcc_lo
	v_cmp_eq_u32_e32 vcc_lo, 0, v0
	s_waitcnt lgkmcnt(0)
	v_dual_add_f32 v2, v3, v4 :: v_dual_lshlrev_b32 v3, 2, v5
	ds_bpermute_b32 v3, v3, v2
	s_and_b32 exec_lo, exec_lo, vcc_lo
	s_cbranch_execz .LBB92_7
; %bb.6:
	v_mad_u64_u32 v[4:5], null, s15, s5, v[1:2]
	s_waitcnt lgkmcnt(0)
	v_dual_mov_b32 v5, 0 :: v_dual_add_f32 v2, v2, v3
	s_delay_alu instid0(VALU_DEP_1) | instskip(NEXT) | instid1(VALU_DEP_2)
	v_cvt_f16_f32_e32 v2, v2
	v_lshlrev_b64 v[0:1], 1, v[4:5]
	s_delay_alu instid0(VALU_DEP_1) | instskip(NEXT) | instid1(VALU_DEP_2)
	v_add_co_u32 v0, vcc_lo, s6, v0
	v_add_co_ci_u32_e32 v1, vcc_lo, s7, v1, vcc_lo
	global_store_b16 v[0:1], v2, off
.LBB92_7:
	s_nop 0
	s_sendmsg sendmsg(MSG_DEALLOC_VGPRS)
	s_endpgm
	.section	.rodata,"a",@progbits
	.p2align	6, 0x0
	.amdhsa_kernel _ZL13mul_mat_vec_qIN3c104HalfELi32ELi4E12block_iq4_nlLi2EXadL_ZL19vec_dot_iq4_nl_q8_1PKvPK10block_q8_1RKiEEEvS4_S4_PT_iii
		.amdhsa_group_segment_fixed_size 0
		.amdhsa_private_segment_fixed_size 0
		.amdhsa_kernarg_size 296
		.amdhsa_user_sgpr_count 14
		.amdhsa_user_sgpr_dispatch_ptr 0
		.amdhsa_user_sgpr_queue_ptr 0
		.amdhsa_user_sgpr_kernarg_segment_ptr 1
		.amdhsa_user_sgpr_dispatch_id 0
		.amdhsa_user_sgpr_private_segment_size 0
		.amdhsa_wavefront_size32 1
		.amdhsa_uses_dynamic_stack 0
		.amdhsa_enable_private_segment 0
		.amdhsa_system_sgpr_workgroup_id_x 1
		.amdhsa_system_sgpr_workgroup_id_y 1
		.amdhsa_system_sgpr_workgroup_id_z 0
		.amdhsa_system_sgpr_workgroup_info 0
		.amdhsa_system_vgpr_workitem_id 1
		.amdhsa_next_free_vgpr 33
		.amdhsa_next_free_sgpr 16
		.amdhsa_reserve_vcc 1
		.amdhsa_float_round_mode_32 0
		.amdhsa_float_round_mode_16_64 0
		.amdhsa_float_denorm_mode_32 3
		.amdhsa_float_denorm_mode_16_64 3
		.amdhsa_dx10_clamp 1
		.amdhsa_ieee_mode 1
		.amdhsa_fp16_overflow 0
		.amdhsa_workgroup_processor_mode 1
		.amdhsa_memory_ordered 1
		.amdhsa_forward_progress 0
		.amdhsa_shared_vgpr_count 0
		.amdhsa_exception_fp_ieee_invalid_op 0
		.amdhsa_exception_fp_denorm_src 0
		.amdhsa_exception_fp_ieee_div_zero 0
		.amdhsa_exception_fp_ieee_overflow 0
		.amdhsa_exception_fp_ieee_underflow 0
		.amdhsa_exception_fp_ieee_inexact 0
		.amdhsa_exception_int_div_zero 0
	.end_amdhsa_kernel
	.section	.text._ZL13mul_mat_vec_qIN3c104HalfELi32ELi4E12block_iq4_nlLi2EXadL_ZL19vec_dot_iq4_nl_q8_1PKvPK10block_q8_1RKiEEEvS4_S4_PT_iii,"axG",@progbits,_ZL13mul_mat_vec_qIN3c104HalfELi32ELi4E12block_iq4_nlLi2EXadL_ZL19vec_dot_iq4_nl_q8_1PKvPK10block_q8_1RKiEEEvS4_S4_PT_iii,comdat
.Lfunc_end92:
	.size	_ZL13mul_mat_vec_qIN3c104HalfELi32ELi4E12block_iq4_nlLi2EXadL_ZL19vec_dot_iq4_nl_q8_1PKvPK10block_q8_1RKiEEEvS4_S4_PT_iii, .Lfunc_end92-_ZL13mul_mat_vec_qIN3c104HalfELi32ELi4E12block_iq4_nlLi2EXadL_ZL19vec_dot_iq4_nl_q8_1PKvPK10block_q8_1RKiEEEvS4_S4_PT_iii
                                        ; -- End function
	.section	.AMDGPU.csdata,"",@progbits
; Kernel info:
; codeLenInByte = 1112
; NumSgprs: 18
; NumVgprs: 33
; ScratchSize: 0
; MemoryBound: 0
; FloatMode: 240
; IeeeMode: 1
; LDSByteSize: 0 bytes/workgroup (compile time only)
; SGPRBlocks: 2
; VGPRBlocks: 4
; NumSGPRsForWavesPerEU: 18
; NumVGPRsForWavesPerEU: 33
; Occupancy: 16
; WaveLimiterHint : 0
; COMPUTE_PGM_RSRC2:SCRATCH_EN: 0
; COMPUTE_PGM_RSRC2:USER_SGPR: 14
; COMPUTE_PGM_RSRC2:TRAP_HANDLER: 0
; COMPUTE_PGM_RSRC2:TGID_X_EN: 1
; COMPUTE_PGM_RSRC2:TGID_Y_EN: 1
; COMPUTE_PGM_RSRC2:TGID_Z_EN: 0
; COMPUTE_PGM_RSRC2:TIDIG_COMP_CNT: 1
	.section	.text._ZL13mul_mat_vec_qIN3c104HalfELi256ELi8E11block_iq3_sLi1EXadL_ZL18vec_dot_iq3_s_q8_1PKvPK10block_q8_1RKiEEEvS4_S4_PT_iii,"axG",@progbits,_ZL13mul_mat_vec_qIN3c104HalfELi256ELi8E11block_iq3_sLi1EXadL_ZL18vec_dot_iq3_s_q8_1PKvPK10block_q8_1RKiEEEvS4_S4_PT_iii,comdat
	.globl	_ZL13mul_mat_vec_qIN3c104HalfELi256ELi8E11block_iq3_sLi1EXadL_ZL18vec_dot_iq3_s_q8_1PKvPK10block_q8_1RKiEEEvS4_S4_PT_iii ; -- Begin function _ZL13mul_mat_vec_qIN3c104HalfELi256ELi8E11block_iq3_sLi1EXadL_ZL18vec_dot_iq3_s_q8_1PKvPK10block_q8_1RKiEEEvS4_S4_PT_iii
	.p2align	8
	.type	_ZL13mul_mat_vec_qIN3c104HalfELi256ELi8E11block_iq3_sLi1EXadL_ZL18vec_dot_iq3_s_q8_1PKvPK10block_q8_1RKiEEEvS4_S4_PT_iii,@function
_ZL13mul_mat_vec_qIN3c104HalfELi256ELi8E11block_iq3_sLi1EXadL_ZL18vec_dot_iq3_s_q8_1PKvPK10block_q8_1RKiEEEvS4_S4_PT_iii: ; @_ZL13mul_mat_vec_qIN3c104HalfELi256ELi8E11block_iq3_sLi1EXadL_ZL18vec_dot_iq3_s_q8_1PKvPK10block_q8_1RKiEEEvS4_S4_PT_iii
; %bb.0:
	s_clause 0x1
	s_load_b32 s2, s[0:1], 0x34
	s_load_b128 s[4:7], s[0:1], 0x18
	v_bfe_u32 v3, v0, 10, 10
	s_waitcnt lgkmcnt(0)
	s_lshr_b32 s2, s2, 16
	s_cmp_lt_u32 s15, s6
	s_delay_alu instid0(VALU_DEP_1) | instskip(SKIP_1) | instid1(VALU_DEP_1)
	v_mad_u64_u32 v[1:2], null, s14, s2, v[3:4]
	s_cselect_b32 s2, -1, 0
	v_cmp_gt_u32_e32 vcc_lo, s5, v1
	s_and_b32 s2, s2, vcc_lo
	s_delay_alu instid0(SALU_CYCLE_1)
	s_and_saveexec_b32 s3, s2
	s_cbranch_execz .LBB93_9
; %bb.1:
	s_load_b64 s[6:7], s[0:1], 0x10
	v_and_b32_e32 v0, 0x3ff, v0
	s_ashr_i32 s2, s4, 31
	v_mov_b32_e32 v18, 0
	s_lshr_b32 s2, s2, 24
	s_mov_b32 s8, exec_lo
	v_lshrrev_b32_e32 v19, 3, v0
	s_add_i32 s2, s4, s2
	s_delay_alu instid0(SALU_CYCLE_1)
	s_ashr_i32 s9, s2, 8
	s_delay_alu instid0(VALU_DEP_1) | instid1(SALU_CYCLE_1)
	v_cmpx_gt_u32_e64 s9, v19
	s_cbranch_execz .LBB93_7
; %bb.2:
	s_load_b128 s[0:3], s[0:1], 0x0
	v_dual_mov_b32 v18, 0 :: v_dual_and_b32 v21, 7, v0
	s_addk_i32 s4, 0x1ff
	v_lshlrev_b32_e32 v2, 2, v0
	s_ashr_i32 s10, s4, 31
	s_delay_alu instid0(VALU_DEP_2)
	v_lshlrev_b32_e32 v3, 2, v21
	s_lshr_b32 s10, s10, 23
	v_lshlrev_b32_e32 v6, 3, v21
	s_add_i32 s4, s4, s10
	v_mul_lo_u32 v20, v1, s9
	v_and_b32_e32 v23, 4, v2
	s_ashr_i32 s4, s4, 9
	v_bfe_u32 v22, v0, 1, 2
	s_mul_i32 s4, s15, s4
	s_delay_alu instid0(VALU_DEP_3) | instskip(SKIP_2) | instid1(VALU_DEP_1)
	v_add_nc_u32_e32 v24, v19, v20
	s_waitcnt lgkmcnt(0)
	v_add_co_u32 v4, s10, v3, s0
	v_add_co_ci_u32_e64 v5, null, 0, s1, s10
	v_mad_u64_u32 v[2:3], null, v21, 36, s[2:3]
	v_add_co_u32 v6, s2, v6, s0
	s_delay_alu instid0(VALU_DEP_4) | instskip(SKIP_2) | instid1(VALU_DEP_4)
	v_add_co_u32 v4, vcc_lo, 0x4a, v4
	v_add_co_ci_u32_e64 v7, null, 0, s1, s2
	v_add_co_ci_u32_e32 v5, vcc_lo, 0, v5, vcc_lo
	v_add_co_u32 v6, vcc_lo, v6, 2
	s_delay_alu instid0(VALU_DEP_3)
	v_add_co_ci_u32_e32 v7, vcc_lo, 0, v7, vcc_lo
	s_lshl_b32 s3, s4, 4
	s_mov_b32 s2, 0
	s_getpc_b64 s[10:11]
	s_add_u32 s10, s10, _ZL10iq3xs_grid@rel32@lo+4
	s_addc_u32 s11, s11, _ZL10iq3xs_grid@rel32@hi+12
.LBB93_3:                               ; =>This Loop Header: Depth=1
                                        ;     Child Loop BB93_4 Depth 2
	v_dual_mov_b32 v25, 0 :: v_dual_add_nc_u32 v10, v19, v20
	v_lshl_add_u32 v12, v19, 3, s3
	v_mad_i64_i32 v[14:15], null, 0x6e, v24, v[6:7]
	s_delay_alu instid0(VALU_DEP_3) | instskip(SKIP_1) | instid1(VALU_DEP_1)
	v_mad_i64_i32 v[8:9], null, 0x6e, v10, s[0:1]
	s_mov_b32 s4, 7
	v_add_co_u32 v10, vcc_lo, v8, v21
	s_delay_alu instid0(VALU_DEP_2) | instskip(SKIP_3) | instid1(VALU_DEP_2)
	v_add_co_ci_u32_e32 v11, vcc_lo, 0, v9, vcc_lo
	global_load_u8 v26, v[10:11], off offset:66
	v_mad_i64_i32 v[10:11], null, v12, 36, v[2:3]
	v_mad_i64_i32 v[12:13], null, 0x6e, v24, v[4:5]
	v_add_co_u32 v16, vcc_lo, v10, 4
	s_delay_alu instid0(VALU_DEP_3)
	v_add_co_ci_u32_e32 v17, vcc_lo, 0, v11, vcc_lo
.LBB93_4:                               ;   Parent Loop BB93_3 Depth=1
                                        ; =>  This Inner Loop Header: Depth=2
	global_load_u16 v27, v[14:15], off
	global_load_u8 v29, v[12:13], off
	s_add_i32 s12, s4, 1
	s_waitcnt vmcnt(2)
	v_lshlrev_b32_e32 v28, s4, v26
	v_lshlrev_b32_e32 v30, s12, v26
	s_add_i32 s4, s4, -2
	s_delay_alu instid0(SALU_CYCLE_1)
	s_cmp_lg_u32 s4, -1
	s_waitcnt vmcnt(1)
	v_lshrrev_b16 v31, 8, v27
	v_and_b32_e32 v27, 0xff, v27
	s_waitcnt vmcnt(0)
	v_and_b32_e32 v32, 15, v29
	v_lshrrev_b16 v29, 4, v29
	v_and_b32_e32 v31, 0xffff, v31
	v_and_or_b32 v27, 0x100, v30, v27
	s_delay_alu instid0(VALU_DEP_4) | instskip(NEXT) | instid1(VALU_DEP_4)
	v_and_b32_e32 v32, 0xffff, v32
	v_and_b32_e32 v29, 0xffff, v29
	s_delay_alu instid0(VALU_DEP_4) | instskip(NEXT) | instid1(VALU_DEP_4)
	v_and_or_b32 v28, 0x100, v28, v31
	v_lshlrev_b32_e32 v27, 2, v27
	s_delay_alu instid0(VALU_DEP_4) | instskip(NEXT) | instid1(VALU_DEP_4)
	v_mul_lo_u32 v32, 0x1010101, v32
	v_mul_lo_u32 v29, 0x1010101, v29
	s_delay_alu instid0(VALU_DEP_4)
	v_lshlrev_b32_e32 v28, 2, v28
	s_clause 0x1
	global_load_b32 v30, v27, s[10:11]
	global_load_b32 v31, v28, s[10:11]
	global_load_b64 v[27:28], v[16:17], off
	v_not_b32_e32 v32, v32
	v_add_co_u32 v16, vcc_lo, v16, 8
	v_add_co_ci_u32_e32 v17, vcc_lo, 0, v17, vcc_lo
	s_delay_alu instid0(VALU_DEP_3)
	v_and_b32_e32 v33, 0x8040201, v32
	v_and_b32_e32 v34, 0x40000, v32
	;; [unrolled: 1-line block ×3, first 2 shown]
	v_not_b32_e32 v29, v29
	v_and_b32_e32 v32, 1, v32
	v_cmp_gt_u32_e32 vcc_lo, 0x1000000, v33
	s_delay_alu instid0(VALU_DEP_3)
	v_and_b32_e32 v36, 0x8040201, v29
	v_and_b32_e32 v38, 0x200, v29
	v_cndmask_b32_e64 v33, 0, -1, vcc_lo
	v_cmp_eq_u32_e32 vcc_lo, 0, v34
	v_and_b32_e32 v37, 0x40000, v29
	v_and_b32_e32 v29, 1, v29
	s_delay_alu instid0(VALU_DEP_4)
	v_lshlrev_b32_e32 v33, 24, v33
	v_cndmask_b32_e64 v34, 0, 0xff0000, vcc_lo
	v_cmp_eq_u32_e32 vcc_lo, 0, v35
	v_cndmask_b32_e64 v35, 0, 0xff00, vcc_lo
	v_cmp_eq_u32_e32 vcc_lo, 0, v32
	v_cndmask_b32_e64 v32, 0, 0xff, vcc_lo
	v_cmp_gt_u32_e32 vcc_lo, 0x1000000, v36
	s_delay_alu instid0(VALU_DEP_2) | instskip(SKIP_2) | instid1(VALU_DEP_3)
	v_or_b32_e32 v39, v35, v32
	v_cndmask_b32_e64 v36, 0, -1, vcc_lo
	v_cmp_eq_u32_e32 vcc_lo, 0, v38
	v_or3_b32 v39, v39, v34, v33
	s_delay_alu instid0(VALU_DEP_3) | instskip(SKIP_4) | instid1(VALU_DEP_2)
	v_lshlrev_b32_e32 v36, 24, v36
	v_cndmask_b32_e64 v38, 0, 0xff00, vcc_lo
	v_cmp_eq_u32_e32 vcc_lo, 0, v29
	v_cndmask_b32_e64 v29, 0, 0xff, vcc_lo
	v_cmp_eq_u32_e32 vcc_lo, 0, v37
	v_or_b32_e32 v40, v38, v29
	v_cndmask_b32_e64 v37, 0, 0xff0000, vcc_lo
	v_add_co_u32 v12, vcc_lo, v12, 1
	v_add_co_ci_u32_e32 v13, vcc_lo, 0, v13, vcc_lo
	s_delay_alu instid0(VALU_DEP_3)
	v_or3_b32 v40, v40, v37, v36
	v_add_co_u32 v14, vcc_lo, v14, 2
	v_add_co_ci_u32_e32 v15, vcc_lo, 0, v15, vcc_lo
	s_waitcnt vmcnt(2)
	v_xor_b32_e32 v30, v39, v30
	s_waitcnt vmcnt(1)
	v_xor_b32_e32 v31, v40, v31
	s_waitcnt vmcnt(0)
	v_bfe_i32 v41, v27, 0, 8
	v_bfe_i32 v39, v28, 0, 8
	v_sub_nc_u32_e32 v32, v30, v32
	v_sub_nc_u32_e32 v29, v31, v29
	;; [unrolled: 1-line block ×7, first 2 shown]
	v_bfe_i32 v32, v32, 0, 8
	v_bfe_i32 v29, v29, 0, 8
	v_perm_b32 v34, v34, v30, 0xc06010c
	v_sub_nc_u32_e32 v31, v31, v36
	v_perm_b32 v35, v35, v37, 0xc06010c
	v_mul_i32_i24_e32 v32, v32, v41
	v_mul_i32_i24_e32 v29, v29, v39
	v_perm_b32 v36, v27, v27, 0xc0c0201
	v_perm_b32 v30, v34, v30, 0xc0c0601
	;; [unrolled: 1-line block ×4, first 2 shown]
	v_add3_u32 v25, v32, v25, v29
	v_perm_b32 v27, v28, v27, 0x7060503
	s_delay_alu instid0(VALU_DEP_3) | instskip(NEXT) | instid1(VALU_DEP_3)
	v_or_b32_e32 v28, v31, v33
	v_dot4_i32_iu8 v25, v30, v36, v25 neg_lo:[1,1,0]
	s_delay_alu instid0(VALU_DEP_1)
	v_dot4_i32_iu8 v25, v28, v27, v25 neg_lo:[1,1,0]
	s_cbranch_scc1 .LBB93_4
; %bb.5:                                ;   in Loop: Header=BB93_3 Depth=1
	v_add_co_u32 v12, vcc_lo, v8, v22
	v_add_co_ci_u32_e32 v13, vcc_lo, 0, v9, vcc_lo
	v_add_nc_u32_e32 v24, 4, v24
	s_clause 0x1
	global_load_u8 v12, v[12:13], off offset:106
	global_load_u16 v8, v[8:9], off
	global_load_b32 v9, v[10:11], off
	v_add_nc_u32_e32 v19, 4, v19
	s_delay_alu instid0(VALU_DEP_1)
	v_cmp_le_u32_e32 vcc_lo, s9, v19
	s_or_b32 s2, vcc_lo, s2
	s_waitcnt vmcnt(2)
	v_bfe_u32 v10, v12, v23, 4
	s_waitcnt vmcnt(1)
	v_cvt_f32_f16_e32 v8, v8
	s_waitcnt vmcnt(0)
	v_cvt_f32_f16_e32 v9, v9
	v_cvt_f32_ubyte0_e32 v10, v10
	s_delay_alu instid0(VALU_DEP_1) | instskip(NEXT) | instid1(VALU_DEP_1)
	v_add_f32_e32 v10, 0.5, v10
	v_mul_f32_e32 v8, v10, v8
	s_delay_alu instid0(VALU_DEP_1) | instskip(SKIP_1) | instid1(VALU_DEP_2)
	v_mul_f32_e32 v8, v8, v9
	v_cvt_f32_i32_e32 v9, v25
	v_mul_f32_e32 v8, 0.5, v8
	s_delay_alu instid0(VALU_DEP_1)
	v_fmac_f32_e32 v18, v8, v9
	s_and_not1_b32 exec_lo, exec_lo, s2
	s_cbranch_execnz .LBB93_3
; %bb.6:
	s_or_b32 exec_lo, exec_lo, s2
.LBB93_7:
	s_delay_alu instid0(SALU_CYCLE_1) | instskip(SKIP_1) | instid1(VALU_DEP_1)
	s_or_b32 exec_lo, exec_lo, s8
	v_mbcnt_lo_u32_b32 v2, -1, 0
	v_xor_b32_e32 v3, 16, v2
	v_xor_b32_e32 v4, 8, v2
	;; [unrolled: 1-line block ×3, first 2 shown]
	s_delay_alu instid0(VALU_DEP_3) | instskip(SKIP_1) | instid1(VALU_DEP_4)
	v_cmp_gt_i32_e32 vcc_lo, 32, v3
	v_cndmask_b32_e32 v3, v2, v3, vcc_lo
	v_cmp_gt_i32_e32 vcc_lo, 32, v4
	v_cndmask_b32_e32 v4, v2, v4, vcc_lo
	;; [unrolled: 2-line block ×3, first 2 shown]
	s_delay_alu instid0(VALU_DEP_1) | instskip(NEXT) | instid1(VALU_DEP_4)
	v_lshlrev_b32_e32 v5, 2, v5
	v_lshlrev_b32_e32 v4, 2, v4
	;; [unrolled: 1-line block ×3, first 2 shown]
	ds_bpermute_b32 v3, v3, v18
	s_waitcnt lgkmcnt(0)
	v_add_f32_e32 v3, v18, v3
	ds_bpermute_b32 v4, v4, v3
	s_waitcnt lgkmcnt(0)
	v_add_f32_e32 v3, v3, v4
	ds_bpermute_b32 v4, v5, v3
	v_xor_b32_e32 v5, 2, v2
	s_delay_alu instid0(VALU_DEP_1) | instskip(SKIP_1) | instid1(VALU_DEP_1)
	v_cmp_gt_i32_e32 vcc_lo, 32, v5
	v_cndmask_b32_e32 v5, v2, v5, vcc_lo
	v_lshlrev_b32_e32 v5, 2, v5
	s_waitcnt lgkmcnt(0)
	v_add_f32_e32 v3, v3, v4
	ds_bpermute_b32 v4, v5, v3
	v_xor_b32_e32 v5, 1, v2
	s_delay_alu instid0(VALU_DEP_1) | instskip(SKIP_3) | instid1(VALU_DEP_2)
	v_cmp_gt_i32_e32 vcc_lo, 32, v5
	v_cndmask_b32_e32 v5, v2, v5, vcc_lo
	v_cmp_eq_u32_e32 vcc_lo, 0, v0
	s_waitcnt lgkmcnt(0)
	v_dual_add_f32 v2, v3, v4 :: v_dual_lshlrev_b32 v3, 2, v5
	ds_bpermute_b32 v3, v3, v2
	s_and_b32 exec_lo, exec_lo, vcc_lo
	s_cbranch_execz .LBB93_9
; %bb.8:
	v_mad_u64_u32 v[4:5], null, s15, s5, v[1:2]
	s_waitcnt lgkmcnt(0)
	v_dual_mov_b32 v5, 0 :: v_dual_add_f32 v2, v2, v3
	s_delay_alu instid0(VALU_DEP_1) | instskip(NEXT) | instid1(VALU_DEP_2)
	v_cvt_f16_f32_e32 v2, v2
	v_lshlrev_b64 v[0:1], 1, v[4:5]
	s_delay_alu instid0(VALU_DEP_1) | instskip(NEXT) | instid1(VALU_DEP_2)
	v_add_co_u32 v0, vcc_lo, s6, v0
	v_add_co_ci_u32_e32 v1, vcc_lo, s7, v1, vcc_lo
	global_store_b16 v[0:1], v2, off
.LBB93_9:
	s_nop 0
	s_sendmsg sendmsg(MSG_DEALLOC_VGPRS)
	s_endpgm
	.section	.rodata,"a",@progbits
	.p2align	6, 0x0
	.amdhsa_kernel _ZL13mul_mat_vec_qIN3c104HalfELi256ELi8E11block_iq3_sLi1EXadL_ZL18vec_dot_iq3_s_q8_1PKvPK10block_q8_1RKiEEEvS4_S4_PT_iii
		.amdhsa_group_segment_fixed_size 0
		.amdhsa_private_segment_fixed_size 0
		.amdhsa_kernarg_size 296
		.amdhsa_user_sgpr_count 14
		.amdhsa_user_sgpr_dispatch_ptr 0
		.amdhsa_user_sgpr_queue_ptr 0
		.amdhsa_user_sgpr_kernarg_segment_ptr 1
		.amdhsa_user_sgpr_dispatch_id 0
		.amdhsa_user_sgpr_private_segment_size 0
		.amdhsa_wavefront_size32 1
		.amdhsa_uses_dynamic_stack 0
		.amdhsa_enable_private_segment 0
		.amdhsa_system_sgpr_workgroup_id_x 1
		.amdhsa_system_sgpr_workgroup_id_y 1
		.amdhsa_system_sgpr_workgroup_id_z 0
		.amdhsa_system_sgpr_workgroup_info 0
		.amdhsa_system_vgpr_workitem_id 1
		.amdhsa_next_free_vgpr 42
		.amdhsa_next_free_sgpr 16
		.amdhsa_reserve_vcc 1
		.amdhsa_float_round_mode_32 0
		.amdhsa_float_round_mode_16_64 0
		.amdhsa_float_denorm_mode_32 3
		.amdhsa_float_denorm_mode_16_64 3
		.amdhsa_dx10_clamp 1
		.amdhsa_ieee_mode 1
		.amdhsa_fp16_overflow 0
		.amdhsa_workgroup_processor_mode 1
		.amdhsa_memory_ordered 1
		.amdhsa_forward_progress 0
		.amdhsa_shared_vgpr_count 0
		.amdhsa_exception_fp_ieee_invalid_op 0
		.amdhsa_exception_fp_denorm_src 0
		.amdhsa_exception_fp_ieee_div_zero 0
		.amdhsa_exception_fp_ieee_overflow 0
		.amdhsa_exception_fp_ieee_underflow 0
		.amdhsa_exception_fp_ieee_inexact 0
		.amdhsa_exception_int_div_zero 0
	.end_amdhsa_kernel
	.section	.text._ZL13mul_mat_vec_qIN3c104HalfELi256ELi8E11block_iq3_sLi1EXadL_ZL18vec_dot_iq3_s_q8_1PKvPK10block_q8_1RKiEEEvS4_S4_PT_iii,"axG",@progbits,_ZL13mul_mat_vec_qIN3c104HalfELi256ELi8E11block_iq3_sLi1EXadL_ZL18vec_dot_iq3_s_q8_1PKvPK10block_q8_1RKiEEEvS4_S4_PT_iii,comdat
.Lfunc_end93:
	.size	_ZL13mul_mat_vec_qIN3c104HalfELi256ELi8E11block_iq3_sLi1EXadL_ZL18vec_dot_iq3_s_q8_1PKvPK10block_q8_1RKiEEEvS4_S4_PT_iii, .Lfunc_end93-_ZL13mul_mat_vec_qIN3c104HalfELi256ELi8E11block_iq3_sLi1EXadL_ZL18vec_dot_iq3_s_q8_1PKvPK10block_q8_1RKiEEEvS4_S4_PT_iii
                                        ; -- End function
	.section	.AMDGPU.csdata,"",@progbits
; Kernel info:
; codeLenInByte = 1552
; NumSgprs: 18
; NumVgprs: 42
; ScratchSize: 0
; MemoryBound: 0
; FloatMode: 240
; IeeeMode: 1
; LDSByteSize: 0 bytes/workgroup (compile time only)
; SGPRBlocks: 2
; VGPRBlocks: 5
; NumSGPRsForWavesPerEU: 18
; NumVGPRsForWavesPerEU: 42
; Occupancy: 16
; WaveLimiterHint : 0
; COMPUTE_PGM_RSRC2:SCRATCH_EN: 0
; COMPUTE_PGM_RSRC2:USER_SGPR: 14
; COMPUTE_PGM_RSRC2:TRAP_HANDLER: 0
; COMPUTE_PGM_RSRC2:TGID_X_EN: 1
; COMPUTE_PGM_RSRC2:TGID_Y_EN: 1
; COMPUTE_PGM_RSRC2:TGID_Z_EN: 0
; COMPUTE_PGM_RSRC2:TIDIG_COMP_CNT: 1
	.section	.text._ZL13mul_mat_vec_qIN3c104HalfELi256ELi8E11block_iq2_sLi1EXadL_ZL18vec_dot_iq2_s_q8_1PKvPK10block_q8_1RKiEEEvS4_S4_PT_iii,"axG",@progbits,_ZL13mul_mat_vec_qIN3c104HalfELi256ELi8E11block_iq2_sLi1EXadL_ZL18vec_dot_iq2_s_q8_1PKvPK10block_q8_1RKiEEEvS4_S4_PT_iii,comdat
	.globl	_ZL13mul_mat_vec_qIN3c104HalfELi256ELi8E11block_iq2_sLi1EXadL_ZL18vec_dot_iq2_s_q8_1PKvPK10block_q8_1RKiEEEvS4_S4_PT_iii ; -- Begin function _ZL13mul_mat_vec_qIN3c104HalfELi256ELi8E11block_iq2_sLi1EXadL_ZL18vec_dot_iq2_s_q8_1PKvPK10block_q8_1RKiEEEvS4_S4_PT_iii
	.p2align	8
	.type	_ZL13mul_mat_vec_qIN3c104HalfELi256ELi8E11block_iq2_sLi1EXadL_ZL18vec_dot_iq2_s_q8_1PKvPK10block_q8_1RKiEEEvS4_S4_PT_iii,@function
_ZL13mul_mat_vec_qIN3c104HalfELi256ELi8E11block_iq2_sLi1EXadL_ZL18vec_dot_iq2_s_q8_1PKvPK10block_q8_1RKiEEEvS4_S4_PT_iii: ; @_ZL13mul_mat_vec_qIN3c104HalfELi256ELi8E11block_iq2_sLi1EXadL_ZL18vec_dot_iq2_s_q8_1PKvPK10block_q8_1RKiEEEvS4_S4_PT_iii
; %bb.0:
	s_clause 0x1
	s_load_b32 s2, s[0:1], 0x34
	s_load_b128 s[4:7], s[0:1], 0x18
	v_bfe_u32 v3, v0, 10, 10
	s_waitcnt lgkmcnt(0)
	s_lshr_b32 s2, s2, 16
	s_cmp_lt_u32 s15, s6
	s_delay_alu instid0(VALU_DEP_1) | instskip(SKIP_1) | instid1(VALU_DEP_1)
	v_mad_u64_u32 v[1:2], null, s14, s2, v[3:4]
	s_cselect_b32 s2, -1, 0
	v_cmp_gt_u32_e32 vcc_lo, s5, v1
	s_and_b32 s2, s2, vcc_lo
	s_delay_alu instid0(SALU_CYCLE_1)
	s_and_saveexec_b32 s3, s2
	s_cbranch_execz .LBB94_11
; %bb.1:
	s_load_b64 s[2:3], s[0:1], 0x10
	v_dual_mov_b32 v15, 0 :: v_dual_and_b32 v0, 0x3ff, v0
	s_ashr_i32 s6, s4, 31
	s_delay_alu instid0(SALU_CYCLE_1) | instskip(NEXT) | instid1(VALU_DEP_1)
	s_lshr_b32 s6, s6, 24
	v_lshrrev_b32_e32 v14, 3, v0
	s_add_i32 s6, s4, s6
	s_delay_alu instid0(SALU_CYCLE_1) | instskip(SKIP_1) | instid1(VALU_DEP_1)
	s_ashr_i32 s7, s6, 8
	s_mov_b32 s6, exec_lo
	v_cmpx_gt_u32_e64 s7, v14
	s_cbranch_execz .LBB94_9
; %bb.2:
	s_load_b128 s[8:11], s[0:1], 0x0
	v_dual_mov_b32 v15, 0 :: v_dual_and_b32 v16, 7, v0
	s_add_i32 s0, s4, 0x1ff
	v_mul_lo_u32 v17, v1, s7
	s_ashr_i32 s1, s0, 31
	s_delay_alu instid0(VALU_DEP_2) | instskip(SKIP_1) | instid1(SALU_CYCLE_1)
	v_lshlrev_b32_e32 v18, 2, v16
	s_lshr_b32 s1, s1, 23
	s_add_i32 s0, s0, s1
	s_delay_alu instid0(SALU_CYCLE_1) | instskip(NEXT) | instid1(VALU_DEP_2)
	s_ashr_i32 s0, s0, 9
	v_add_nc_u32_e32 v19, v14, v17
	s_mul_i32 s0, s15, s0
	s_delay_alu instid0(SALU_CYCLE_1) | instskip(SKIP_2) | instid1(VALU_DEP_1)
	s_lshl_b32 s4, s0, 4
	s_waitcnt lgkmcnt(0)
	v_add_co_u32 v4, s1, v18, s8
	v_add_co_ci_u32_e64 v5, null, 0, s9, s1
	v_mad_u64_u32 v[2:3], null, v16, 36, s[10:11]
	s_delay_alu instid0(VALU_DEP_3) | instskip(NEXT) | instid1(VALU_DEP_3)
	v_add_co_u32 v4, vcc_lo, v4, 36
	v_add_co_ci_u32_e32 v5, vcc_lo, 0, v5, vcc_lo
	s_mov_b32 s1, 0
.LBB94_3:                               ; =>This Loop Header: Depth=1
                                        ;     Child Loop BB94_4 Depth 2
                                        ;     Child Loop BB94_6 Depth 2
	v_add_nc_u32_e32 v8, v14, v17
	v_lshl_add_u32 v10, v14, 3, s4
	s_mov_b32 s0, -1
	s_mov_b32 s10, 0
	s_delay_alu instid0(VALU_DEP_2) | instskip(NEXT) | instid1(VALU_DEP_1)
	v_mad_i64_i32 v[6:7], null, 0x52, v8, s[8:9]
	v_add_co_u32 v8, vcc_lo, v6, v16
	s_delay_alu instid0(VALU_DEP_2) | instskip(SKIP_4) | instid1(VALU_DEP_1)
	v_add_co_ci_u32_e32 v9, vcc_lo, 0, v7, vcc_lo
	s_clause 0x1
	global_load_u8 v20, v[8:9], off offset:74
	global_load_u8 v21, v[8:9], off offset:66
	v_mad_i64_i32 v[8:9], null, v10, 36, v[2:3]
	v_add_co_u32 v10, vcc_lo, v8, 4
	s_delay_alu instid0(VALU_DEP_2) | instskip(SKIP_4) | instid1(VALU_DEP_4)
	v_add_co_ci_u32_e32 v11, vcc_lo, 0, v9, vcc_lo
	v_add_co_u32 v22, vcc_lo, v6, v18
	v_add_co_ci_u32_e32 v24, vcc_lo, 0, v7, vcc_lo
	v_add_co_u32 v12, vcc_lo, v6, 2
	;; [unrolled: 2-line block ×3, first 2 shown]
	s_delay_alu instid0(VALU_DEP_4)
	v_add_co_ci_u32_e32 v24, vcc_lo, 0, v24, vcc_lo
	v_mov_b32_e32 v22, 0
.LBB94_4:                               ;   Parent Loop BB94_3 Depth=1
                                        ; =>  This Inner Loop Header: Depth=2
	v_or_b32_e32 v25, s10, v18
	s_lshl_b32 s12, s10, 1
	s_delay_alu instid0(VALU_DEP_1)
	v_add_co_u32 v25, vcc_lo, v12, v25
	v_add_co_ci_u32_e32 v26, vcc_lo, 0, v13, vcc_lo
	global_load_u8 v27, v[25:26], off
	v_add_co_u32 v25, vcc_lo, v23, s10
	v_add_co_ci_u32_e32 v26, vcc_lo, 0, v24, vcc_lo
	s_getpc_b64 s[10:11]
	s_add_u32 s10, s10, _ZL9iq2s_grid@rel32@lo+4
	s_addc_u32 s11, s11, _ZL9iq2s_grid@rel32@hi+12
	s_sub_i32 s12, 8, s12
	global_load_u8 v29, v[25:26], off
	s_waitcnt vmcnt(2)
	v_lshlrev_b32_e32 v25, s12, v21
	s_waitcnt vmcnt(1)
	s_delay_alu instid0(VALU_DEP_1) | instskip(NEXT) | instid1(VALU_DEP_1)
	v_and_or_b32 v25, 0x300, v25, v27
	v_lshlrev_b32_e32 v25, 3, v25
	global_load_b64 v[25:26], v25, s[10:11]
	global_load_b64 v[27:28], v[10:11], off
	s_waitcnt vmcnt(2)
	v_and_b32_e32 v30, 15, v29
	v_lshrrev_b16 v29, 4, v29
	s_mov_b32 s10, 1
	s_delay_alu instid0(VALU_DEP_2) | instskip(NEXT) | instid1(VALU_DEP_2)
	v_and_b32_e32 v30, 0xffff, v30
	v_and_b32_e32 v29, 0xffff, v29
	s_delay_alu instid0(VALU_DEP_2) | instskip(NEXT) | instid1(VALU_DEP_2)
	v_mul_lo_u32 v30, 0x1010101, v30
	v_mul_lo_u32 v29, 0x1010101, v29
	s_delay_alu instid0(VALU_DEP_2) | instskip(NEXT) | instid1(VALU_DEP_2)
	v_not_b32_e32 v30, v30
	v_not_b32_e32 v29, v29
	s_delay_alu instid0(VALU_DEP_2)
	v_and_b32_e32 v31, 0x8040201, v30
	v_and_b32_e32 v32, 0x40000, v30
	;; [unrolled: 1-line block ×5, first 2 shown]
	v_cmp_gt_u32_e32 vcc_lo, 0x1000000, v31
	v_and_b32_e32 v35, 0x40000, v29
	v_and_b32_e32 v36, 0x200, v29
	;; [unrolled: 1-line block ×3, first 2 shown]
	v_cndmask_b32_e64 v31, 0, -1, vcc_lo
	v_cmp_eq_u32_e32 vcc_lo, 0, v32
	s_delay_alu instid0(VALU_DEP_2)
	v_lshlrev_b32_e32 v31, 24, v31
	v_cndmask_b32_e64 v32, 0, 0xff0000, vcc_lo
	v_cmp_eq_u32_e32 vcc_lo, 0, v33
	v_cndmask_b32_e64 v33, 0, 0xff00, vcc_lo
	v_cmp_eq_u32_e32 vcc_lo, 0, v30
	v_cndmask_b32_e64 v30, 0, 0xff, vcc_lo
	v_cmp_gt_u32_e32 vcc_lo, 0x1000000, v34
	s_delay_alu instid0(VALU_DEP_2) | instskip(SKIP_2) | instid1(VALU_DEP_3)
	v_or_b32_e32 v37, v33, v30
	v_cndmask_b32_e64 v34, 0, -1, vcc_lo
	v_cmp_eq_u32_e32 vcc_lo, 0, v35
	v_or3_b32 v37, v37, v32, v31
	s_delay_alu instid0(VALU_DEP_3)
	v_lshlrev_b32_e32 v34, 24, v34
	v_cndmask_b32_e64 v35, 0, 0xff0000, vcc_lo
	v_cmp_eq_u32_e32 vcc_lo, 0, v36
	v_cndmask_b32_e64 v36, 0, 0xff00, vcc_lo
	v_cmp_eq_u32_e32 vcc_lo, 0, v29
	v_cndmask_b32_e64 v29, 0, 0xff, vcc_lo
	v_add_co_u32 v10, vcc_lo, v10, 8
	v_add_co_ci_u32_e32 v11, vcc_lo, 0, v11, vcc_lo
	s_delay_alu instid0(VALU_DEP_3) | instskip(SKIP_2) | instid1(VALU_DEP_1)
	v_or_b32_e32 v38, v36, v29
	s_and_b32 vcc_lo, exec_lo, s0
	s_mov_b32 s0, 0
	v_or3_b32 v38, v38, v35, v34
	s_waitcnt vmcnt(1)
	v_xor_b32_e32 v25, v37, v25
	s_delay_alu instid0(VALU_DEP_2)
	v_xor_b32_e32 v26, v38, v26
	s_waitcnt vmcnt(0)
	v_bfe_i32 v39, v27, 0, 8
	v_bfe_i32 v37, v28, 0, 8
	v_sub_nc_u32_e32 v30, v25, v30
	v_sub_nc_u32_e32 v29, v26, v29
	;; [unrolled: 1-line block ×7, first 2 shown]
	v_bfe_i32 v30, v30, 0, 8
	v_bfe_i32 v29, v29, 0, 8
	v_sub_nc_u32_e32 v26, v26, v34
	v_perm_b32 v32, v32, v25, 0xc06010c
	v_perm_b32 v33, v33, v35, 0xc06010c
	v_mul_i32_i24_e32 v30, v30, v39
	v_mul_i32_i24_e32 v29, v29, v37
	v_perm_b32 v34, v27, v27, 0xc0c0201
	v_perm_b32 v31, v35, v31, 0xc0c0503
	;; [unrolled: 1-line block ×4, first 2 shown]
	v_add3_u32 v22, v30, v22, v29
	v_perm_b32 v27, v28, v27, 0x7060503
	s_delay_alu instid0(VALU_DEP_3) | instskip(NEXT) | instid1(VALU_DEP_3)
	v_or_b32_e32 v26, v26, v31
	v_dot4_i32_iu8 v22, v25, v34, v22 neg_lo:[1,1,0]
	s_delay_alu instid0(VALU_DEP_1)
	v_dot4_i32_iu8 v22, v26, v27, v22 neg_lo:[1,1,0]
	s_cbranch_vccnz .LBB94_4
; %bb.5:                                ;   in Loop: Header=BB94_3 Depth=1
	v_mad_i64_i32 v[12:13], null, 0x52, v19, v[4:5]
	v_mov_b32_e32 v23, 0
	s_mov_b32 s10, 4
.LBB94_6:                               ;   Parent Loop BB94_3 Depth=1
                                        ; =>  This Inner Loop Header: Depth=2
	s_clause 0x1
	global_load_u8 v24, v[12:13], off offset:-32
	global_load_u8 v28, v[12:13], off
	v_lshlrev_b32_e32 v25, s10, v21
	s_getpc_b64 s[12:13]
	s_add_u32 s12, s12, _ZL9iq2s_grid@rel32@lo+4
	s_addc_u32 s13, s13, _ZL9iq2s_grid@rel32@hi+12
	s_add_i32 s10, s10, -2
	s_delay_alu instid0(SALU_CYCLE_1)
	s_cmp_lg_u32 s10, 0
	s_waitcnt vmcnt(1)
	v_and_or_b32 v24, 0x300, v25, v24
	s_waitcnt vmcnt(0)
	v_and_b32_e32 v29, 15, v28
	v_lshrrev_b16 v28, 4, v28
	s_delay_alu instid0(VALU_DEP_3) | instskip(NEXT) | instid1(VALU_DEP_3)
	v_lshlrev_b32_e32 v24, 3, v24
	v_and_b32_e32 v29, 0xffff, v29
	s_delay_alu instid0(VALU_DEP_3)
	v_and_b32_e32 v28, 0xffff, v28
	global_load_b64 v[24:25], v24, s[12:13]
	global_load_b64 v[26:27], v[10:11], off
	v_mul_lo_u32 v29, 0x1010101, v29
	v_mul_lo_u32 v28, 0x1010101, v28
	v_add_co_u32 v10, vcc_lo, v10, 8
	v_add_co_ci_u32_e32 v11, vcc_lo, 0, v11, vcc_lo
	v_add_co_u32 v12, vcc_lo, v12, 1
	v_not_b32_e32 v29, v29
	v_not_b32_e32 v28, v28
	v_add_co_ci_u32_e32 v13, vcc_lo, 0, v13, vcc_lo
	s_delay_alu instid0(VALU_DEP_3)
	v_and_b32_e32 v33, 0x8040201, v29
	v_and_b32_e32 v34, 0x40000, v29
	;; [unrolled: 1-line block ×5, first 2 shown]
	v_cmp_gt_u32_e64 s0, 0x1000000, v33
	v_and_b32_e32 v37, 0x40000, v28
	v_and_b32_e32 v38, 0x200, v28
	v_and_b32_e32 v28, 1, v28
	s_delay_alu instid0(VALU_DEP_4) | instskip(SKIP_1) | instid1(VALU_DEP_2)
	v_cndmask_b32_e64 v33, 0, -1, s0
	v_cmp_eq_u32_e64 s0, 0, v34
	v_lshlrev_b32_e32 v33, 24, v33
	s_delay_alu instid0(VALU_DEP_2) | instskip(SKIP_1) | instid1(VALU_DEP_1)
	v_cndmask_b32_e64 v34, 0, 0xff0000, s0
	v_cmp_eq_u32_e64 s0, 0, v35
	v_cndmask_b32_e64 v35, 0, 0xff00, s0
	v_cmp_eq_u32_e64 s0, 0, v29
	s_delay_alu instid0(VALU_DEP_1) | instskip(SKIP_1) | instid1(VALU_DEP_2)
	v_cndmask_b32_e64 v29, 0, 0xff, s0
	v_cmp_gt_u32_e64 s0, 0x1000000, v36
	v_or_b32_e32 v39, v35, v29
	s_delay_alu instid0(VALU_DEP_2) | instskip(SKIP_1) | instid1(VALU_DEP_3)
	v_cndmask_b32_e64 v36, 0, -1, s0
	v_cmp_eq_u32_e64 s0, 0, v37
	v_or3_b32 v39, v39, v34, v33
	s_delay_alu instid0(VALU_DEP_3) | instskip(NEXT) | instid1(VALU_DEP_3)
	v_lshlrev_b32_e32 v36, 24, v36
	v_cndmask_b32_e64 v37, 0, 0xff0000, s0
	v_cmp_eq_u32_e64 s0, 0, v38
	s_delay_alu instid0(VALU_DEP_1) | instskip(SKIP_1) | instid1(VALU_DEP_1)
	v_cndmask_b32_e64 v38, 0, 0xff00, s0
	v_cmp_eq_u32_e64 s0, 0, v28
	v_cndmask_b32_e64 v28, 0, 0xff, s0
	s_delay_alu instid0(VALU_DEP_1) | instskip(NEXT) | instid1(VALU_DEP_1)
	v_or_b32_e32 v40, v38, v28
	v_or3_b32 v40, v40, v37, v36
	s_waitcnt vmcnt(1)
	v_xor_b32_e32 v24, v39, v24
	s_delay_alu instid0(VALU_DEP_2)
	v_xor_b32_e32 v25, v40, v25
	s_waitcnt vmcnt(0)
	v_bfe_i32 v30, v26, 0, 8
	v_bfe_i32 v31, v27, 0, 8
	v_perm_b32 v32, v26, v26, 0xc0c0201
	v_sub_nc_u32_e32 v33, v24, v33
	v_sub_nc_u32_e32 v34, v24, v34
	;; [unrolled: 1-line block ×8, first 2 shown]
	v_bfe_i32 v24, v24, 0, 8
	v_bfe_i32 v28, v28, 0, 8
	v_perm_b32 v34, v34, v35, 0xc06010c
	s_delay_alu instid0(VALU_DEP_4) | instskip(NEXT) | instid1(VALU_DEP_4)
	v_perm_b32 v36, v36, v25, 0xc06010c
	v_mul_i32_i24_e32 v24, v24, v30
	s_delay_alu instid0(VALU_DEP_4) | instskip(SKIP_3) | instid1(VALU_DEP_4)
	v_mul_i32_i24_e32 v28, v28, v31
	v_perm_b32 v25, v25, v33, 0xc0c0503
	v_perm_b32 v30, v34, v35, 0xc0c0601
	;; [unrolled: 1-line block ×3, first 2 shown]
	v_add3_u32 v23, v24, v23, v28
	v_perm_b32 v24, v27, v26, 0x7060503
	s_delay_alu instid0(VALU_DEP_3) | instskip(NEXT) | instid1(VALU_DEP_3)
	v_or_b32_e32 v25, v29, v25
	v_dot4_i32_iu8 v23, v30, v32, v23 neg_lo:[1,1,0]
	s_delay_alu instid0(VALU_DEP_1)
	v_dot4_i32_iu8 v23, v25, v24, v23 neg_lo:[1,1,0]
	s_cbranch_scc1 .LBB94_6
; %bb.7:                                ;   in Loop: Header=BB94_3 Depth=1
	global_load_u16 v6, v[6:7], off
	global_load_b32 v7, v[8:9], off
	v_lshrrev_b16 v8, 4, v20
	v_cvt_f32_i32_e32 v10, v23
	v_and_b32_e32 v9, 15, v20
	v_cvt_f32_i32_e32 v11, v22
	v_add_nc_u32_e32 v14, 4, v14
	v_add_nc_u32_e32 v19, 4, v19
	s_delay_alu instid0(VALU_DEP_4) | instskip(SKIP_1) | instid1(VALU_DEP_4)
	v_cvt_f32_ubyte0_e32 v9, v9
	v_and_b32_e32 v8, 15, v8
	v_cmp_le_u32_e32 vcc_lo, s7, v14
	s_delay_alu instid0(VALU_DEP_3) | instskip(NEXT) | instid1(VALU_DEP_3)
	v_add_f32_e32 v9, 0.5, v9
	v_cvt_f32_ubyte0_e32 v8, v8
	s_or_b32 s1, vcc_lo, s1
	s_delay_alu instid0(VALU_DEP_1) | instskip(NEXT) | instid1(VALU_DEP_1)
	v_add_f32_e32 v8, 0.5, v8
	v_mul_f32_e32 v8, v8, v10
	s_delay_alu instid0(VALU_DEP_1) | instskip(SKIP_4) | instid1(VALU_DEP_1)
	v_fmac_f32_e32 v8, v9, v11
	s_waitcnt vmcnt(1)
	v_cvt_f32_f16_e32 v6, v6
	s_waitcnt vmcnt(0)
	v_cvt_f32_f16_e32 v7, v7
	v_mul_f32_e32 v6, v6, v7
	s_delay_alu instid0(VALU_DEP_1) | instskip(NEXT) | instid1(VALU_DEP_1)
	v_mul_f32_e32 v6, 0x3e800000, v6
	v_fmac_f32_e32 v15, v8, v6
	s_and_not1_b32 exec_lo, exec_lo, s1
	s_cbranch_execnz .LBB94_3
; %bb.8:
	s_or_b32 exec_lo, exec_lo, s1
.LBB94_9:
	s_delay_alu instid0(SALU_CYCLE_1) | instskip(SKIP_1) | instid1(VALU_DEP_1)
	s_or_b32 exec_lo, exec_lo, s6
	v_mbcnt_lo_u32_b32 v2, -1, 0
	v_xor_b32_e32 v3, 16, v2
	v_xor_b32_e32 v4, 8, v2
	;; [unrolled: 1-line block ×3, first 2 shown]
	s_delay_alu instid0(VALU_DEP_3) | instskip(SKIP_1) | instid1(VALU_DEP_4)
	v_cmp_gt_i32_e32 vcc_lo, 32, v3
	v_cndmask_b32_e32 v3, v2, v3, vcc_lo
	v_cmp_gt_i32_e32 vcc_lo, 32, v4
	v_cndmask_b32_e32 v4, v2, v4, vcc_lo
	v_cmp_gt_i32_e32 vcc_lo, 32, v5
	s_delay_alu instid0(VALU_DEP_2)
	v_lshlrev_b32_e32 v4, 2, v4
	v_lshlrev_b32_e32 v3, 2, v3
	v_cndmask_b32_e32 v5, v2, v5, vcc_lo
	ds_bpermute_b32 v3, v3, v15
	v_lshlrev_b32_e32 v5, 2, v5
	s_waitcnt lgkmcnt(0)
	v_add_f32_e32 v3, v15, v3
	ds_bpermute_b32 v4, v4, v3
	s_waitcnt lgkmcnt(0)
	v_add_f32_e32 v3, v3, v4
	ds_bpermute_b32 v4, v5, v3
	v_xor_b32_e32 v5, 2, v2
	s_delay_alu instid0(VALU_DEP_1) | instskip(SKIP_1) | instid1(VALU_DEP_1)
	v_cmp_gt_i32_e32 vcc_lo, 32, v5
	v_cndmask_b32_e32 v5, v2, v5, vcc_lo
	v_lshlrev_b32_e32 v5, 2, v5
	s_waitcnt lgkmcnt(0)
	v_add_f32_e32 v3, v3, v4
	ds_bpermute_b32 v4, v5, v3
	v_xor_b32_e32 v5, 1, v2
	s_delay_alu instid0(VALU_DEP_1) | instskip(SKIP_3) | instid1(VALU_DEP_2)
	v_cmp_gt_i32_e32 vcc_lo, 32, v5
	v_cndmask_b32_e32 v5, v2, v5, vcc_lo
	v_cmp_eq_u32_e32 vcc_lo, 0, v0
	s_waitcnt lgkmcnt(0)
	v_dual_add_f32 v2, v3, v4 :: v_dual_lshlrev_b32 v3, 2, v5
	ds_bpermute_b32 v3, v3, v2
	s_and_b32 exec_lo, exec_lo, vcc_lo
	s_cbranch_execz .LBB94_11
; %bb.10:
	v_mad_u64_u32 v[4:5], null, s15, s5, v[1:2]
	s_waitcnt lgkmcnt(0)
	v_dual_mov_b32 v5, 0 :: v_dual_add_f32 v2, v2, v3
	s_delay_alu instid0(VALU_DEP_1) | instskip(NEXT) | instid1(VALU_DEP_2)
	v_cvt_f16_f32_e32 v2, v2
	v_lshlrev_b64 v[0:1], 1, v[4:5]
	s_delay_alu instid0(VALU_DEP_1) | instskip(NEXT) | instid1(VALU_DEP_2)
	v_add_co_u32 v0, vcc_lo, s2, v0
	v_add_co_ci_u32_e32 v1, vcc_lo, s3, v1, vcc_lo
	global_store_b16 v[0:1], v2, off
.LBB94_11:
	s_nop 0
	s_sendmsg sendmsg(MSG_DEALLOC_VGPRS)
	s_endpgm
	.section	.rodata,"a",@progbits
	.p2align	6, 0x0
	.amdhsa_kernel _ZL13mul_mat_vec_qIN3c104HalfELi256ELi8E11block_iq2_sLi1EXadL_ZL18vec_dot_iq2_s_q8_1PKvPK10block_q8_1RKiEEEvS4_S4_PT_iii
		.amdhsa_group_segment_fixed_size 0
		.amdhsa_private_segment_fixed_size 0
		.amdhsa_kernarg_size 296
		.amdhsa_user_sgpr_count 14
		.amdhsa_user_sgpr_dispatch_ptr 0
		.amdhsa_user_sgpr_queue_ptr 0
		.amdhsa_user_sgpr_kernarg_segment_ptr 1
		.amdhsa_user_sgpr_dispatch_id 0
		.amdhsa_user_sgpr_private_segment_size 0
		.amdhsa_wavefront_size32 1
		.amdhsa_uses_dynamic_stack 0
		.amdhsa_enable_private_segment 0
		.amdhsa_system_sgpr_workgroup_id_x 1
		.amdhsa_system_sgpr_workgroup_id_y 1
		.amdhsa_system_sgpr_workgroup_id_z 0
		.amdhsa_system_sgpr_workgroup_info 0
		.amdhsa_system_vgpr_workitem_id 1
		.amdhsa_next_free_vgpr 41
		.amdhsa_next_free_sgpr 16
		.amdhsa_reserve_vcc 1
		.amdhsa_float_round_mode_32 0
		.amdhsa_float_round_mode_16_64 0
		.amdhsa_float_denorm_mode_32 3
		.amdhsa_float_denorm_mode_16_64 3
		.amdhsa_dx10_clamp 1
		.amdhsa_ieee_mode 1
		.amdhsa_fp16_overflow 0
		.amdhsa_workgroup_processor_mode 1
		.amdhsa_memory_ordered 1
		.amdhsa_forward_progress 0
		.amdhsa_shared_vgpr_count 0
		.amdhsa_exception_fp_ieee_invalid_op 0
		.amdhsa_exception_fp_denorm_src 0
		.amdhsa_exception_fp_ieee_div_zero 0
		.amdhsa_exception_fp_ieee_overflow 0
		.amdhsa_exception_fp_ieee_underflow 0
		.amdhsa_exception_fp_ieee_inexact 0
		.amdhsa_exception_int_div_zero 0
	.end_amdhsa_kernel
	.section	.text._ZL13mul_mat_vec_qIN3c104HalfELi256ELi8E11block_iq2_sLi1EXadL_ZL18vec_dot_iq2_s_q8_1PKvPK10block_q8_1RKiEEEvS4_S4_PT_iii,"axG",@progbits,_ZL13mul_mat_vec_qIN3c104HalfELi256ELi8E11block_iq2_sLi1EXadL_ZL18vec_dot_iq2_s_q8_1PKvPK10block_q8_1RKiEEEvS4_S4_PT_iii,comdat
.Lfunc_end94:
	.size	_ZL13mul_mat_vec_qIN3c104HalfELi256ELi8E11block_iq2_sLi1EXadL_ZL18vec_dot_iq2_s_q8_1PKvPK10block_q8_1RKiEEEvS4_S4_PT_iii, .Lfunc_end94-_ZL13mul_mat_vec_qIN3c104HalfELi256ELi8E11block_iq2_sLi1EXadL_ZL18vec_dot_iq2_s_q8_1PKvPK10block_q8_1RKiEEEvS4_S4_PT_iii
                                        ; -- End function
	.section	.AMDGPU.csdata,"",@progbits
; Kernel info:
; codeLenInByte = 2204
; NumSgprs: 18
; NumVgprs: 41
; ScratchSize: 0
; MemoryBound: 0
; FloatMode: 240
; IeeeMode: 1
; LDSByteSize: 0 bytes/workgroup (compile time only)
; SGPRBlocks: 2
; VGPRBlocks: 5
; NumSGPRsForWavesPerEU: 18
; NumVGPRsForWavesPerEU: 41
; Occupancy: 16
; WaveLimiterHint : 0
; COMPUTE_PGM_RSRC2:SCRATCH_EN: 0
; COMPUTE_PGM_RSRC2:USER_SGPR: 14
; COMPUTE_PGM_RSRC2:TRAP_HANDLER: 0
; COMPUTE_PGM_RSRC2:TGID_X_EN: 1
; COMPUTE_PGM_RSRC2:TGID_Y_EN: 1
; COMPUTE_PGM_RSRC2:TGID_Z_EN: 0
; COMPUTE_PGM_RSRC2:TIDIG_COMP_CNT: 1
	.section	.text._ZL13mul_mat_vec_qIN3c104HalfELi256ELi8E12block_iq4_xsLi1EXadL_ZL19vec_dot_iq4_xs_q8_1PKvPK10block_q8_1RKiEEEvS4_S4_PT_iii,"axG",@progbits,_ZL13mul_mat_vec_qIN3c104HalfELi256ELi8E12block_iq4_xsLi1EXadL_ZL19vec_dot_iq4_xs_q8_1PKvPK10block_q8_1RKiEEEvS4_S4_PT_iii,comdat
	.globl	_ZL13mul_mat_vec_qIN3c104HalfELi256ELi8E12block_iq4_xsLi1EXadL_ZL19vec_dot_iq4_xs_q8_1PKvPK10block_q8_1RKiEEEvS4_S4_PT_iii ; -- Begin function _ZL13mul_mat_vec_qIN3c104HalfELi256ELi8E12block_iq4_xsLi1EXadL_ZL19vec_dot_iq4_xs_q8_1PKvPK10block_q8_1RKiEEEvS4_S4_PT_iii
	.p2align	8
	.type	_ZL13mul_mat_vec_qIN3c104HalfELi256ELi8E12block_iq4_xsLi1EXadL_ZL19vec_dot_iq4_xs_q8_1PKvPK10block_q8_1RKiEEEvS4_S4_PT_iii,@function
_ZL13mul_mat_vec_qIN3c104HalfELi256ELi8E12block_iq4_xsLi1EXadL_ZL19vec_dot_iq4_xs_q8_1PKvPK10block_q8_1RKiEEEvS4_S4_PT_iii: ; @_ZL13mul_mat_vec_qIN3c104HalfELi256ELi8E12block_iq4_xsLi1EXadL_ZL19vec_dot_iq4_xs_q8_1PKvPK10block_q8_1RKiEEEvS4_S4_PT_iii
; %bb.0:
	s_clause 0x1
	s_load_b32 s2, s[0:1], 0x34
	s_load_b128 s[4:7], s[0:1], 0x18
	v_bfe_u32 v3, v0, 10, 10
	s_waitcnt lgkmcnt(0)
	s_lshr_b32 s2, s2, 16
	s_cmp_lt_u32 s15, s6
	s_delay_alu instid0(VALU_DEP_1) | instskip(SKIP_1) | instid1(VALU_DEP_1)
	v_mad_u64_u32 v[1:2], null, s14, s2, v[3:4]
	s_cselect_b32 s2, -1, 0
	v_cmp_gt_u32_e32 vcc_lo, s5, v1
	s_and_b32 s2, s2, vcc_lo
	s_delay_alu instid0(SALU_CYCLE_1)
	s_and_saveexec_b32 s3, s2
	s_cbranch_execz .LBB95_9
; %bb.1:
	s_load_b64 s[6:7], s[0:1], 0x10
	v_dual_mov_b32 v11, 0 :: v_dual_and_b32 v0, 0x3ff, v0
	s_ashr_i32 s2, s4, 31
	s_mov_b32 s8, exec_lo
	s_lshr_b32 s2, s2, 24
	s_delay_alu instid0(VALU_DEP_1) | instskip(SKIP_1) | instid1(SALU_CYCLE_1)
	v_lshrrev_b32_e32 v10, 3, v0
	s_add_i32 s2, s4, s2
	s_ashr_i32 s9, s2, 8
	s_delay_alu instid0(VALU_DEP_1) | instid1(SALU_CYCLE_1)
	v_cmpx_gt_u32_e64 s9, v10
	s_cbranch_execz .LBB95_7
; %bb.2:
	s_load_b128 s[0:3], s[0:1], 0x0
	v_dual_mov_b32 v11, 0 :: v_dual_and_b32 v4, 7, v0
	v_lshlrev_b32_e32 v2, 2, v0
	s_addk_i32 s4, 0x1ff
	v_mul_lo_u32 v12, v1, s9
	s_ashr_i32 s10, s4, 31
	v_lshlrev_b32_e32 v15, 1, v4
	v_and_b32_e32 v14, 4, v2
	v_lshlrev_b32_e32 v2, 4, v4
	s_lshr_b32 s10, s10, 23
	v_bfe_u32 v13, v0, 1, 2
	s_add_i32 s4, s4, s10
	v_add_nc_u32_e32 v17, v10, v12
	s_ashr_i32 s4, s4, 9
	s_delay_alu instid0(SALU_CYCLE_1) | instskip(NEXT) | instid1(SALU_CYCLE_1)
	s_mul_i32 s4, s15, s4
	s_lshl_b32 s4, s4, 4
	s_getpc_b64 s[12:13]
	s_add_u32 s12, s12, _ZL13kvalues_iq4nl@rel32@lo+4
	s_addc_u32 s13, s13, _ZL13kvalues_iq4nl@rel32@hi+12
	s_waitcnt lgkmcnt(0)
	v_add_co_u32 v5, s10, v2, s0
	s_delay_alu instid0(VALU_DEP_1) | instskip(SKIP_1) | instid1(VALU_DEP_3)
	v_add_co_ci_u32_e64 v6, null, 0, s1, s10
	v_mad_u64_u32 v[2:3], null, v4, 36, s[2:3]
	v_add_co_u32 v4, vcc_lo, v5, 8
	v_lshl_add_u32 v16, v10, 3, s4
	s_delay_alu instid0(VALU_DEP_4)
	v_add_co_ci_u32_e32 v5, vcc_lo, 0, v6, vcc_lo
	s_mov_b32 s10, 0
.LBB95_3:                               ; =>This Loop Header: Depth=1
                                        ;     Child Loop BB95_4 Depth 2
	v_dual_mov_b32 v21, 0 :: v_dual_add_nc_u32 v8, v10, v12
	v_lshl_add_u32 v18, v10, 3, s4
	s_mov_b64 s[2:3], 0
	s_delay_alu instid0(VALU_DEP_2) | instskip(NEXT) | instid1(VALU_DEP_2)
	v_mad_i64_i32 v[6:7], null, 0x88, v8, s[0:1]
	v_mad_i64_i32 v[8:9], null, v18, 36, v[2:3]
	s_delay_alu instid0(VALU_DEP_2) | instskip(NEXT) | instid1(VALU_DEP_3)
	v_add_co_u32 v19, vcc_lo, v6, v13
	v_add_co_ci_u32_e32 v20, vcc_lo, 0, v7, vcc_lo
	s_clause 0x1
	global_load_b32 v18, v[6:7], off
	global_load_u8 v22, v[19:20], off offset:4
	global_load_b32 v19, v[8:9], off
	v_mad_i64_i32 v[6:7], null, v16, 36, v[2:3]
	v_mad_i64_i32 v[8:9], null, 0x88, v17, v[4:5]
	v_mov_b32_e32 v20, 0
.LBB95_4:                               ;   Parent Loop BB95_3 Depth=1
                                        ; =>  This Inner Loop Header: Depth=2
	s_delay_alu instid0(VALU_DEP_2) | instskip(NEXT) | instid1(VALU_DEP_3)
	v_add_co_u32 v23, vcc_lo, v8, s2
	v_add_co_ci_u32_e32 v24, vcc_lo, s3, v9, vcc_lo
	global_load_b32 v23, v[23:24], off
	s_waitcnt vmcnt(0)
	v_bfe_u32 v27, v23, 12, 4
	v_bfe_u32 v26, v23, 8, 4
	;; [unrolled: 1-line block ×4, first 2 shown]
	v_and_b32_e32 v25, 15, v23
	v_lshrrev_b32_e32 v30, 28, v23
	v_bfe_u32 v24, v23, 24, 4
	v_bfe_u32 v23, v23, 4, 4
	s_clause 0x7
	global_load_i8 v27, v27, s[12:13]
	global_load_i8 v26, v26, s[12:13]
	;; [unrolled: 1-line block ×8, first 2 shown]
	v_add_co_u32 v23, vcc_lo, v6, s2
	v_add_co_ci_u32_e32 v24, vcc_lo, s3, v7, vcc_lo
	s_clause 0x1
	global_load_b32 v33, v[23:24], off offset:4
	global_load_b32 v23, v[23:24], off offset:20
	s_add_u32 s2, s2, 4
	s_addc_u32 s3, s3, 0
	s_cmp_lg_u32 s2, 16
	s_waitcnt vmcnt(4)
	v_perm_b32 v24, v26, v25, 0xc0c0400
	s_waitcnt vmcnt(3)
	v_perm_b32 v25, v31, v28, 0x4000c0c
	;; [unrolled: 2-line block ×3, first 2 shown]
	v_perm_b32 v27, v30, v29, 0x4000c0c
	s_delay_alu instid0(VALU_DEP_3) | instskip(NEXT) | instid1(VALU_DEP_2)
	v_or_b32_e32 v24, v25, v24
	v_or_b32_e32 v25, v27, v26
	s_waitcnt vmcnt(1)
	s_delay_alu instid0(VALU_DEP_2) | instskip(SKIP_1) | instid1(VALU_DEP_2)
	v_dot4_i32_iu8 v21, v33, v24, v21 neg_lo:[1,1,0]
	s_waitcnt vmcnt(0)
	v_dot4_i32_iu8 v20, v23, v25, v20 neg_lo:[1,1,0]
	s_cbranch_scc1 .LBB95_4
; %bb.5:                                ;   in Loop: Header=BB95_3 Depth=1
	v_lshrrev_b32_e32 v6, 16, v18
	v_cvt_f32_f16_e32 v8, v19
	v_and_b32_e32 v7, 0xff, v22
	v_add_nc_u32_e32 v16, 32, v16
	v_add_nc_u32_e32 v17, 4, v17
	v_lshrrev_b32_e32 v6, v15, v6
	s_delay_alu instid0(VALU_DEP_4) | instskip(NEXT) | instid1(VALU_DEP_2)
	v_bfe_u32 v7, v7, v14, 4
	v_lshlrev_b32_e32 v6, 4, v6
	s_delay_alu instid0(VALU_DEP_1) | instskip(SKIP_1) | instid1(VALU_DEP_2)
	v_and_or_b32 v6, v6, 48, v7
	v_cvt_f32_f16_e32 v7, v18
	v_subrev_nc_u32_e32 v6, 32, v6
	s_delay_alu instid0(VALU_DEP_1) | instskip(NEXT) | instid1(VALU_DEP_1)
	v_cvt_f32_i32_e32 v6, v6
	v_dual_mul_f32 v6, v7, v6 :: v_dual_add_nc_u32 v9, v20, v21
	s_delay_alu instid0(VALU_DEP_1) | instskip(NEXT) | instid1(VALU_DEP_2)
	v_cvt_f32_i32_e32 v7, v9
	v_mul_f32_e32 v6, v6, v8
	s_delay_alu instid0(VALU_DEP_1) | instskip(NEXT) | instid1(VALU_DEP_1)
	v_dual_fmac_f32 v11, v6, v7 :: v_dual_add_nc_u32 v10, 4, v10
	v_cmp_le_u32_e32 vcc_lo, s9, v10
	s_or_b32 s10, vcc_lo, s10
	s_delay_alu instid0(SALU_CYCLE_1)
	s_and_not1_b32 exec_lo, exec_lo, s10
	s_cbranch_execnz .LBB95_3
; %bb.6:
	s_or_b32 exec_lo, exec_lo, s10
.LBB95_7:
	s_delay_alu instid0(SALU_CYCLE_1) | instskip(SKIP_1) | instid1(VALU_DEP_1)
	s_or_b32 exec_lo, exec_lo, s8
	v_mbcnt_lo_u32_b32 v2, -1, 0
	v_xor_b32_e32 v3, 16, v2
	v_xor_b32_e32 v4, 8, v2
	;; [unrolled: 1-line block ×3, first 2 shown]
	s_delay_alu instid0(VALU_DEP_3) | instskip(SKIP_1) | instid1(VALU_DEP_4)
	v_cmp_gt_i32_e32 vcc_lo, 32, v3
	v_cndmask_b32_e32 v3, v2, v3, vcc_lo
	v_cmp_gt_i32_e32 vcc_lo, 32, v4
	v_cndmask_b32_e32 v4, v2, v4, vcc_lo
	v_cmp_gt_i32_e32 vcc_lo, 32, v5
	s_delay_alu instid0(VALU_DEP_2)
	v_lshlrev_b32_e32 v4, 2, v4
	v_lshlrev_b32_e32 v3, 2, v3
	v_cndmask_b32_e32 v5, v2, v5, vcc_lo
	ds_bpermute_b32 v3, v3, v11
	v_lshlrev_b32_e32 v5, 2, v5
	s_waitcnt lgkmcnt(0)
	v_add_f32_e32 v3, v11, v3
	ds_bpermute_b32 v4, v4, v3
	s_waitcnt lgkmcnt(0)
	v_add_f32_e32 v3, v3, v4
	ds_bpermute_b32 v4, v5, v3
	v_xor_b32_e32 v5, 2, v2
	s_delay_alu instid0(VALU_DEP_1) | instskip(SKIP_1) | instid1(VALU_DEP_1)
	v_cmp_gt_i32_e32 vcc_lo, 32, v5
	v_cndmask_b32_e32 v5, v2, v5, vcc_lo
	v_lshlrev_b32_e32 v5, 2, v5
	s_waitcnt lgkmcnt(0)
	v_add_f32_e32 v3, v3, v4
	ds_bpermute_b32 v4, v5, v3
	v_xor_b32_e32 v5, 1, v2
	s_delay_alu instid0(VALU_DEP_1) | instskip(SKIP_3) | instid1(VALU_DEP_2)
	v_cmp_gt_i32_e32 vcc_lo, 32, v5
	v_cndmask_b32_e32 v5, v2, v5, vcc_lo
	v_cmp_eq_u32_e32 vcc_lo, 0, v0
	s_waitcnt lgkmcnt(0)
	v_dual_add_f32 v2, v3, v4 :: v_dual_lshlrev_b32 v3, 2, v5
	ds_bpermute_b32 v3, v3, v2
	s_and_b32 exec_lo, exec_lo, vcc_lo
	s_cbranch_execz .LBB95_9
; %bb.8:
	v_mad_u64_u32 v[4:5], null, s15, s5, v[1:2]
	s_waitcnt lgkmcnt(0)
	v_dual_mov_b32 v5, 0 :: v_dual_add_f32 v2, v2, v3
	s_delay_alu instid0(VALU_DEP_1) | instskip(NEXT) | instid1(VALU_DEP_2)
	v_cvt_f16_f32_e32 v2, v2
	v_lshlrev_b64 v[0:1], 1, v[4:5]
	s_delay_alu instid0(VALU_DEP_1) | instskip(NEXT) | instid1(VALU_DEP_2)
	v_add_co_u32 v0, vcc_lo, s6, v0
	v_add_co_ci_u32_e32 v1, vcc_lo, s7, v1, vcc_lo
	global_store_b16 v[0:1], v2, off
.LBB95_9:
	s_nop 0
	s_sendmsg sendmsg(MSG_DEALLOC_VGPRS)
	s_endpgm
	.section	.rodata,"a",@progbits
	.p2align	6, 0x0
	.amdhsa_kernel _ZL13mul_mat_vec_qIN3c104HalfELi256ELi8E12block_iq4_xsLi1EXadL_ZL19vec_dot_iq4_xs_q8_1PKvPK10block_q8_1RKiEEEvS4_S4_PT_iii
		.amdhsa_group_segment_fixed_size 0
		.amdhsa_private_segment_fixed_size 0
		.amdhsa_kernarg_size 296
		.amdhsa_user_sgpr_count 14
		.amdhsa_user_sgpr_dispatch_ptr 0
		.amdhsa_user_sgpr_queue_ptr 0
		.amdhsa_user_sgpr_kernarg_segment_ptr 1
		.amdhsa_user_sgpr_dispatch_id 0
		.amdhsa_user_sgpr_private_segment_size 0
		.amdhsa_wavefront_size32 1
		.amdhsa_uses_dynamic_stack 0
		.amdhsa_enable_private_segment 0
		.amdhsa_system_sgpr_workgroup_id_x 1
		.amdhsa_system_sgpr_workgroup_id_y 1
		.amdhsa_system_sgpr_workgroup_id_z 0
		.amdhsa_system_sgpr_workgroup_info 0
		.amdhsa_system_vgpr_workitem_id 1
		.amdhsa_next_free_vgpr 34
		.amdhsa_next_free_sgpr 16
		.amdhsa_reserve_vcc 1
		.amdhsa_float_round_mode_32 0
		.amdhsa_float_round_mode_16_64 0
		.amdhsa_float_denorm_mode_32 3
		.amdhsa_float_denorm_mode_16_64 3
		.amdhsa_dx10_clamp 1
		.amdhsa_ieee_mode 1
		.amdhsa_fp16_overflow 0
		.amdhsa_workgroup_processor_mode 1
		.amdhsa_memory_ordered 1
		.amdhsa_forward_progress 0
		.amdhsa_shared_vgpr_count 0
		.amdhsa_exception_fp_ieee_invalid_op 0
		.amdhsa_exception_fp_denorm_src 0
		.amdhsa_exception_fp_ieee_div_zero 0
		.amdhsa_exception_fp_ieee_overflow 0
		.amdhsa_exception_fp_ieee_underflow 0
		.amdhsa_exception_fp_ieee_inexact 0
		.amdhsa_exception_int_div_zero 0
	.end_amdhsa_kernel
	.section	.text._ZL13mul_mat_vec_qIN3c104HalfELi256ELi8E12block_iq4_xsLi1EXadL_ZL19vec_dot_iq4_xs_q8_1PKvPK10block_q8_1RKiEEEvS4_S4_PT_iii,"axG",@progbits,_ZL13mul_mat_vec_qIN3c104HalfELi256ELi8E12block_iq4_xsLi1EXadL_ZL19vec_dot_iq4_xs_q8_1PKvPK10block_q8_1RKiEEEvS4_S4_PT_iii,comdat
.Lfunc_end95:
	.size	_ZL13mul_mat_vec_qIN3c104HalfELi256ELi8E12block_iq4_xsLi1EXadL_ZL19vec_dot_iq4_xs_q8_1PKvPK10block_q8_1RKiEEEvS4_S4_PT_iii, .Lfunc_end95-_ZL13mul_mat_vec_qIN3c104HalfELi256ELi8E12block_iq4_xsLi1EXadL_ZL19vec_dot_iq4_xs_q8_1PKvPK10block_q8_1RKiEEEvS4_S4_PT_iii
                                        ; -- End function
	.section	.AMDGPU.csdata,"",@progbits
; Kernel info:
; codeLenInByte = 1112
; NumSgprs: 18
; NumVgprs: 34
; ScratchSize: 0
; MemoryBound: 0
; FloatMode: 240
; IeeeMode: 1
; LDSByteSize: 0 bytes/workgroup (compile time only)
; SGPRBlocks: 2
; VGPRBlocks: 4
; NumSGPRsForWavesPerEU: 18
; NumVGPRsForWavesPerEU: 34
; Occupancy: 16
; WaveLimiterHint : 0
; COMPUTE_PGM_RSRC2:SCRATCH_EN: 0
; COMPUTE_PGM_RSRC2:USER_SGPR: 14
; COMPUTE_PGM_RSRC2:TRAP_HANDLER: 0
; COMPUTE_PGM_RSRC2:TGID_X_EN: 1
; COMPUTE_PGM_RSRC2:TGID_Y_EN: 1
; COMPUTE_PGM_RSRC2:TGID_Z_EN: 0
; COMPUTE_PGM_RSRC2:TIDIG_COMP_CNT: 1
	.section	.text._ZL13mul_mat_vec_qIN3c104HalfELi256ELi8E11block_iq1_mLi1EXadL_ZL18vec_dot_iq1_m_q8_1PKvPK10block_q8_1RKiEEEvS4_S4_PT_iii,"axG",@progbits,_ZL13mul_mat_vec_qIN3c104HalfELi256ELi8E11block_iq1_mLi1EXadL_ZL18vec_dot_iq1_m_q8_1PKvPK10block_q8_1RKiEEEvS4_S4_PT_iii,comdat
	.globl	_ZL13mul_mat_vec_qIN3c104HalfELi256ELi8E11block_iq1_mLi1EXadL_ZL18vec_dot_iq1_m_q8_1PKvPK10block_q8_1RKiEEEvS4_S4_PT_iii ; -- Begin function _ZL13mul_mat_vec_qIN3c104HalfELi256ELi8E11block_iq1_mLi1EXadL_ZL18vec_dot_iq1_m_q8_1PKvPK10block_q8_1RKiEEEvS4_S4_PT_iii
	.p2align	8
	.type	_ZL13mul_mat_vec_qIN3c104HalfELi256ELi8E11block_iq1_mLi1EXadL_ZL18vec_dot_iq1_m_q8_1PKvPK10block_q8_1RKiEEEvS4_S4_PT_iii,@function
_ZL13mul_mat_vec_qIN3c104HalfELi256ELi8E11block_iq1_mLi1EXadL_ZL18vec_dot_iq1_m_q8_1PKvPK10block_q8_1RKiEEEvS4_S4_PT_iii: ; @_ZL13mul_mat_vec_qIN3c104HalfELi256ELi8E11block_iq1_mLi1EXadL_ZL18vec_dot_iq1_m_q8_1PKvPK10block_q8_1RKiEEEvS4_S4_PT_iii
; %bb.0:
	s_clause 0x1
	s_load_b32 s2, s[0:1], 0x34
	s_load_b128 s[4:7], s[0:1], 0x18
	v_bfe_u32 v3, v0, 10, 10
	s_waitcnt lgkmcnt(0)
	s_lshr_b32 s2, s2, 16
	s_cmp_lt_u32 s15, s6
	s_delay_alu instid0(VALU_DEP_1) | instskip(SKIP_1) | instid1(VALU_DEP_1)
	v_mad_u64_u32 v[1:2], null, s14, s2, v[3:4]
	s_cselect_b32 s2, -1, 0
	v_cmp_gt_u32_e32 vcc_lo, s5, v1
	s_and_b32 s2, s2, vcc_lo
	s_delay_alu instid0(SALU_CYCLE_1)
	s_and_saveexec_b32 s3, s2
	s_cbranch_execz .LBB96_7
; %bb.1:
	s_load_b64 s[6:7], s[0:1], 0x10
	v_and_b32_e32 v0, 0x3ff, v0
	s_ashr_i32 s2, s4, 31
	v_mov_b32_e32 v2, 0
	s_lshr_b32 s2, s2, 24
	s_mov_b32 s10, exec_lo
	v_lshrrev_b32_e32 v3, 3, v0
	s_add_i32 s2, s4, s2
	s_delay_alu instid0(SALU_CYCLE_1)
	s_ashr_i32 s11, s2, 8
	s_delay_alu instid0(VALU_DEP_1) | instid1(SALU_CYCLE_1)
	v_cmpx_gt_u32_e64 s11, v3
	s_cbranch_execz .LBB96_5
; %bb.2:
	s_load_b128 s[0:3], s[0:1], 0x0
	s_addk_i32 s4, 0x1ff
	v_and_b32_e32 v7, 1, v0
	s_ashr_i32 s8, s4, 31
	v_dual_mov_b32 v2, 0 :: v_dual_and_b32 v5, 7, v0
	s_lshr_b32 s8, s8, 23
	v_lshlrev_b32_e32 v8, 3, v3
	s_add_i32 s4, s4, s8
	v_bfe_u32 v10, v0, 1, 2
	v_cmp_eq_u32_e32 vcc_lo, 1, v7
	s_ashr_i32 s4, s4, 9
	v_mul_lo_u32 v4, v1, s11
	s_mul_i32 s4, s15, s4
	v_lshlrev_b32_e32 v6, 1, v5
	v_cndmask_b32_e64 v7, 0, 6, vcc_lo
	v_lshl_add_u32 v8, s4, 4, v8
	v_lshlrev_b32_e32 v9, 2, v5
	v_lshlrev_b32_e32 v10, 1, v10
	s_mov_b32 s4, 0
	s_mov_b32 s12, 0xbd000000
	s_getpc_b64 s[8:9]
	s_add_u32 s8, s8, _ZL13iq1s_grid_gpu@rel32@lo+4
	s_addc_u32 s9, s9, _ZL13iq1s_grid_gpu@rel32@hi+12
.LBB96_3:                               ; =>This Inner Loop Header: Depth=1
	v_add_nc_u32_e32 v11, v4, v3
	v_add_nc_u32_e32 v3, 4, v3
	s_waitcnt lgkmcnt(0)
	s_delay_alu instid0(VALU_DEP_2) | instskip(NEXT) | instid1(VALU_DEP_1)
	v_mad_i64_i32 v[19:20], null, v11, 56, s[0:1]
	v_add_co_u32 v11, vcc_lo, v19, v9
	s_delay_alu instid0(VALU_DEP_2)
	v_add_co_ci_u32_e32 v12, vcc_lo, 0, v20, vcc_lo
	v_add_co_u32 v13, vcc_lo, v19, v6
	v_add_co_ci_u32_e32 v14, vcc_lo, 0, v20, vcc_lo
	v_add_co_u32 v21, vcc_lo, v19, v10
	s_clause 0x1
	global_load_b32 v23, v[11:12], off
	global_load_u16 v24, v[13:14], off offset:32
	v_mad_i64_i32 v[11:12], null, v8, 36, s[2:3]
	v_add_co_ci_u32_e32 v22, vcc_lo, 0, v20, vcc_lo
	v_cmp_le_u32_e32 vcc_lo, s11, v3
	v_add_nc_u32_e32 v8, 32, v8
	s_delay_alu instid0(VALU_DEP_4)
	v_mad_u64_u32 v[15:16], null, v5, 36, v[11:12]
	s_or_b32 s4, vcc_lo, s4
	s_clause 0x2
	global_load_b128 v[11:14], v[15:16], off
	global_load_b32 v25, v[15:16], off offset:32
	global_load_b128 v[15:18], v[15:16], off offset:16
	global_load_b64 v[19:20], v[19:20], off offset:48
	s_waitcnt vmcnt(5)
	v_and_b32_e32 v28, 0xff, v23
	s_waitcnt vmcnt(4)
	v_lshrrev_b16 v27, 8, v24
	v_lshlrev_b32_e32 v29, 8, v24
	v_bfe_u32 v30, v23, 8, 8
	v_lshlrev_b32_e32 v31, 4, v24
	v_and_b32_e32 v53, 8, v24
	v_and_b32_e32 v27, 0xffff, v27
	v_lshrrev_b32_e32 v26, 24, v23
	v_bfe_u32 v23, v23, 16, 8
	v_and_or_b32 v28, 0x700, v29, v28
	v_and_or_b32 v29, 0x700, v31, v30
	v_cvt_f32_ubyte0_e32 v53, v53
	v_lshlrev_b32_e32 v30, 8, v27
	v_lshlrev_b32_e32 v31, 4, v27
	;; [unrolled: 1-line block ×4, first 2 shown]
	v_fmaak_f32 v53, s12, v53, 0xbf600000
	v_and_or_b32 v23, 0x700, v30, v23
	v_and_or_b32 v26, 0x700, v31, v26
	s_clause 0x1
	global_load_b32 v28, v28, s[8:9]
	global_load_b32 v29, v29, s[8:9]
	s_waitcnt vmcnt(5)
	v_bfe_i32 v30, v12, 8, 8
	v_bfe_i32 v35, v14, 0, 8
	v_lshlrev_b32_e32 v23, 3, v23
	v_lshlrev_b32_e32 v26, 3, v26
	v_bfe_i32 v36, v14, 8, 8
	s_clause 0x1
	global_load_b32 v23, v23, s[8:9]
	global_load_b32 v26, v26, s[8:9]
	global_load_u16 v21, v[21:22], off offset:48
	v_bfe_i32 v22, v12, 0, 8
	s_waitcnt vmcnt(6)
	v_bfe_i32 v41, v16, 0, 8
	v_bfe_i32 v42, v16, 8, 8
	;; [unrolled: 1-line block ×5, first 2 shown]
	v_ashrrev_i32_e32 v12, 24, v12
	v_bfe_i32 v37, v14, 16, 8
	v_ashrrev_i32_e32 v14, 24, v14
	v_bfe_i32 v43, v16, 16, 8
	;; [unrolled: 2-line block ×3, first 2 shown]
	v_ashrrev_i32_e32 v18, 24, v18
	s_waitcnt vmcnt(5)
	v_lshrrev_b16 v55, 12, v19
	v_lshrrev_b32_e32 v19, 24, v19
	v_add_nc_u32_e32 v56, v22, v30
	v_add_nc_u32_e32 v57, v35, v36
	;; [unrolled: 1-line block ×3, first 2 shown]
	v_cvt_f32_f16_e32 v11, v11
	v_add_nc_u32_e32 v58, v41, v42
	v_bfe_i32 v32, v13, 0, 8
	v_bfe_i32 v33, v13, 8, 8
	;; [unrolled: 1-line block ×8, first 2 shown]
	v_lshrrev_b32_e32 v54, 16, v20
	v_lshrrev_b16 v20, 4, v20
	v_and_b32_e32 v19, 0xf0, v19
	v_add3_u32 v56, v56, v31, v12
	v_add3_u32 v57, v57, v37, v14
	v_add3_u32 v58, v58, v43, v16
	v_add3_u32 v59, v59, v49, v18
	v_and_b32_e32 v61, 8, v27
	v_bfe_i32 v34, v13, 16, 8
	v_ashrrev_i32_e32 v13, 24, v13
	v_bfe_i32 v40, v15, 16, 8
	v_ashrrev_i32_e32 v15, 24, v15
	;; [unrolled: 2-line block ×4, first 2 shown]
	v_and_b32_e32 v20, 0xf00, v20
	v_or_b32_e32 v19, v19, v55
	v_add3_u32 v56, v56, v32, v33
	v_add3_u32 v57, v57, v38, v39
	;; [unrolled: 1-line block ×4, first 2 shown]
	v_or_b32_e32 v19, v19, v20
	v_add3_u32 v20, v56, v34, v13
	v_add3_u32 v56, v57, v40, v15
	;; [unrolled: 1-line block ×4, first 2 shown]
	v_lshrrev_b32_e32 v24, 4, v24
	v_cvt_f32_i32_e32 v20, v20
	v_and_b32_e32 v54, 0xfffff000, v54
	v_cvt_f32_i32_e32 v57, v57
	v_cvt_f32_i32_e32 v58, v58
	s_waitcnt vmcnt(4)
	v_bfe_u32 v62, v28, 8, 4
	v_bfe_u32 v63, v28, 16, 4
	;; [unrolled: 1-line block ×5, first 2 shown]
	s_waitcnt vmcnt(3)
	v_and_b32_e32 v68, 15, v29
	v_bfe_u32 v69, v29, 8, 4
	v_bfe_u32 v70, v29, 16, 4
	v_bfe_u32 v72, v29, 4, 4
	s_waitcnt vmcnt(0)
	v_lshrrev_b32_e32 v21, v7, v21
	v_mul_i32_i24_e32 v31, v63, v31
	v_bfe_u32 v63, v23, 4, 4
	v_mul_i32_i24_e32 v30, v62, v30
	v_mul_i32_i24_e32 v12, v64, v12
	v_lshlrev_b32_e32 v60, 1, v21
	v_bfe_u32 v62, v23, 24, 4
	v_bfe_u32 v64, v23, 12, 4
	v_mul_i32_i24_e32 v33, v66, v33
	v_bfe_u32 v71, v29, 24, 4
	v_and_or_b32 v55, v60, 14, 1
	v_cvt_f32_ubyte0_e32 v60, v61
	v_and_b32_e32 v61, 15, v28
	v_mul_i32_i24_e32 v16, v62, v16
	v_mul_i32_i24_e32 v45, v64, v45
	v_bfe_u32 v73, v29, 12, 4
	v_fmaak_f32 v59, s12, v60, 0xbf600000
	v_bfe_u32 v60, v28, 20, 4
	v_lshrrev_b32_e32 v28, 28, v28
	v_mul_i32_i24_e32 v22, v22, v61
	v_bfe_u32 v61, v23, 16, 4
	v_lshrrev_b32_e32 v21, 2, v21
	v_mul_i32_i24_e32 v34, v60, v34
	v_mul_i32_i24_e32 v13, v28, v13
	;; [unrolled: 1-line block ×6, first 2 shown]
	v_and_b32_e32 v38, 15, v23
	v_bfe_u32 v60, v23, 8, 4
	v_mad_i32_i24 v22, v32, v65, v22
	v_mul_i32_i24_e32 v43, v61, v43
	v_bfe_u32 v32, v23, 20, 4
	v_mul_i32_i24_e32 v38, v41, v38
	v_mul_i32_i24_e32 v42, v60, v42
	v_lshrrev_b32_e32 v23, 28, v23
	v_add3_u32 v22, v22, v30, v31
	v_and_b32_e32 v65, 15, v26
	v_mad_i32_i24 v38, v44, v63, v38
	v_mul_i32_i24_e32 v30, v32, v46
	v_mul_i32_i24_e32 v17, v23, v17
	v_add3_u32 v12, v22, v12, v33
	v_bfe_u32 v44, v26, 8, 4
	v_add3_u32 v38, v38, v42, v43
	v_bfe_u32 v42, v26, 4, 4
	v_bfe_u32 v60, v26, 16, 4
	v_mul_i32_i24_e32 v31, v47, v65
	v_add3_u32 v12, v12, v34, v13
	v_add3_u32 v16, v38, v16, v45
	v_mul_i32_i24_e32 v32, v50, v42
	v_bfe_u32 v23, v26, 24, 4
	v_mul_i32_i24_e32 v22, v44, v48
	v_add3_u32 v12, v12, v28, v37
	v_add3_u32 v16, v16, v30, v17
	v_bfe_u32 v17, v26, 12, 4
	v_mul_i32_i24_e32 v30, v60, v49
	v_bfe_u32 v67, v29, 20, 4
	v_lshrrev_b32_e32 v29, 28, v29
	v_add3_u32 v13, v16, v31, v32
	v_mul_i32_i24_e32 v14, v71, v14
	v_mul_i32_i24_e32 v18, v23, v18
	;; [unrolled: 1-line block ×3, first 2 shown]
	v_add3_u32 v12, v12, v35, v36
	v_add3_u32 v13, v13, v22, v30
	v_mul_i32_i24_e32 v22, v73, v39
	v_and_or_b32 v21, v21, 14, 1
	v_mul_i32_i24_e32 v15, v29, v15
	v_bfe_u32 v41, v26, 20, 4
	v_add3_u32 v13, v13, v18, v17
	v_mul_i32_i24_e32 v18, v67, v40
	v_add3_u32 v12, v12, v14, v22
	v_lshrrev_b32_e32 v16, 28, v26
	v_mul_i32_i24_e32 v23, v41, v52
	v_cvt_f32_i32_e32 v14, v56
	v_fma_f32 v17, v59, v57, 0
	v_add3_u32 v12, v12, v18, v15
	v_cvt_f32_ubyte0_e32 v15, v21
	v_and_b32_e32 v24, 8, v24
	v_mul_i32_i24_e32 v16, v16, v25
	v_or_b32_e32 v18, v19, v54
	v_cvt_f32_i32_e32 v12, v12
	s_delay_alu instid0(VALU_DEP_4) | instskip(NEXT) | instid1(VALU_DEP_4)
	v_cvt_f32_ubyte0_e32 v24, v24
	v_add3_u32 v13, v13, v23, v16
	v_fma_f32 v16, v53, v20, 0
	s_delay_alu instid0(VALU_DEP_3) | instskip(NEXT) | instid1(VALU_DEP_3)
	v_fmaak_f32 v24, s12, v24, 0xbf600000
	v_cvt_f32_i32_e32 v13, v13
	s_delay_alu instid0(VALU_DEP_2) | instskip(SKIP_1) | instid1(VALU_DEP_2)
	v_fmac_f32_e32 v16, v24, v14
	v_cvt_f32_ubyte0_e32 v14, v55
	v_add_f32_e32 v12, v16, v12
	v_lshrrev_b32_e32 v27, 4, v27
	s_delay_alu instid0(VALU_DEP_1) | instskip(NEXT) | instid1(VALU_DEP_1)
	v_and_b32_e32 v27, 8, v27
	v_cvt_f32_ubyte0_e32 v27, v27
	s_delay_alu instid0(VALU_DEP_1) | instskip(NEXT) | instid1(VALU_DEP_1)
	v_fmaak_f32 v27, s12, v27, 0xbf600000
	v_fmac_f32_e32 v17, v27, v58
	s_delay_alu instid0(VALU_DEP_1) | instskip(SKIP_1) | instid1(VALU_DEP_2)
	v_add_f32_e32 v13, v17, v13
	v_cvt_f32_f16_e32 v17, v18
	v_mul_f32_e32 v13, v13, v15
	s_delay_alu instid0(VALU_DEP_2) | instskip(NEXT) | instid1(VALU_DEP_2)
	v_mul_f32_e32 v11, v11, v17
	v_fmac_f32_e32 v13, v12, v14
	s_delay_alu instid0(VALU_DEP_1)
	v_fmac_f32_e32 v2, v11, v13
	s_and_not1_b32 exec_lo, exec_lo, s4
	s_cbranch_execnz .LBB96_3
; %bb.4:
	s_or_b32 exec_lo, exec_lo, s4
.LBB96_5:
	s_delay_alu instid0(SALU_CYCLE_1) | instskip(SKIP_1) | instid1(VALU_DEP_1)
	s_or_b32 exec_lo, exec_lo, s10
	v_mbcnt_lo_u32_b32 v3, -1, 0
	v_xor_b32_e32 v4, 16, v3
	v_xor_b32_e32 v5, 8, v3
	s_delay_alu instid0(VALU_DEP_2) | instskip(SKIP_1) | instid1(VALU_DEP_3)
	v_cmp_gt_i32_e32 vcc_lo, 32, v4
	v_cndmask_b32_e32 v4, v3, v4, vcc_lo
	v_cmp_gt_i32_e32 vcc_lo, 32, v5
	v_cndmask_b32_e32 v5, v3, v5, vcc_lo
	s_delay_alu instid0(VALU_DEP_1) | instskip(NEXT) | instid1(VALU_DEP_4)
	v_lshlrev_b32_e32 v5, 2, v5
	v_lshlrev_b32_e32 v4, 2, v4
	ds_bpermute_b32 v4, v4, v2
	s_waitcnt lgkmcnt(0)
	v_add_f32_e32 v2, v2, v4
	ds_bpermute_b32 v4, v5, v2
	v_xor_b32_e32 v5, 4, v3
	s_delay_alu instid0(VALU_DEP_1) | instskip(SKIP_2) | instid1(VALU_DEP_1)
	v_cmp_gt_i32_e32 vcc_lo, 32, v5
	v_cndmask_b32_e32 v5, v3, v5, vcc_lo
	s_waitcnt lgkmcnt(0)
	v_dual_add_f32 v2, v2, v4 :: v_dual_lshlrev_b32 v5, 2, v5
	ds_bpermute_b32 v4, v5, v2
	v_xor_b32_e32 v5, 2, v3
	s_delay_alu instid0(VALU_DEP_1) | instskip(SKIP_2) | instid1(VALU_DEP_1)
	v_cmp_gt_i32_e32 vcc_lo, 32, v5
	s_waitcnt lgkmcnt(0)
	v_dual_cndmask_b32 v5, v3, v5 :: v_dual_add_f32 v2, v2, v4
	v_lshlrev_b32_e32 v5, 2, v5
	ds_bpermute_b32 v4, v5, v2
	v_xor_b32_e32 v5, 1, v3
	s_delay_alu instid0(VALU_DEP_1) | instskip(SKIP_3) | instid1(VALU_DEP_2)
	v_cmp_gt_i32_e32 vcc_lo, 32, v5
	v_cndmask_b32_e32 v3, v3, v5, vcc_lo
	v_cmp_eq_u32_e32 vcc_lo, 0, v0
	s_waitcnt lgkmcnt(0)
	v_dual_add_f32 v2, v2, v4 :: v_dual_lshlrev_b32 v3, 2, v3
	ds_bpermute_b32 v3, v3, v2
	s_and_b32 exec_lo, exec_lo, vcc_lo
	s_cbranch_execz .LBB96_7
; %bb.6:
	v_mad_u64_u32 v[4:5], null, s15, s5, v[1:2]
	s_waitcnt lgkmcnt(0)
	v_dual_mov_b32 v5, 0 :: v_dual_add_f32 v2, v2, v3
	s_delay_alu instid0(VALU_DEP_1) | instskip(NEXT) | instid1(VALU_DEP_2)
	v_cvt_f16_f32_e32 v2, v2
	v_lshlrev_b64 v[0:1], 1, v[4:5]
	s_delay_alu instid0(VALU_DEP_1) | instskip(NEXT) | instid1(VALU_DEP_2)
	v_add_co_u32 v0, vcc_lo, s6, v0
	v_add_co_ci_u32_e32 v1, vcc_lo, s7, v1, vcc_lo
	global_store_b16 v[0:1], v2, off
.LBB96_7:
	s_nop 0
	s_sendmsg sendmsg(MSG_DEALLOC_VGPRS)
	s_endpgm
	.section	.rodata,"a",@progbits
	.p2align	6, 0x0
	.amdhsa_kernel _ZL13mul_mat_vec_qIN3c104HalfELi256ELi8E11block_iq1_mLi1EXadL_ZL18vec_dot_iq1_m_q8_1PKvPK10block_q8_1RKiEEEvS4_S4_PT_iii
		.amdhsa_group_segment_fixed_size 0
		.amdhsa_private_segment_fixed_size 0
		.amdhsa_kernarg_size 296
		.amdhsa_user_sgpr_count 14
		.amdhsa_user_sgpr_dispatch_ptr 0
		.amdhsa_user_sgpr_queue_ptr 0
		.amdhsa_user_sgpr_kernarg_segment_ptr 1
		.amdhsa_user_sgpr_dispatch_id 0
		.amdhsa_user_sgpr_private_segment_size 0
		.amdhsa_wavefront_size32 1
		.amdhsa_uses_dynamic_stack 0
		.amdhsa_enable_private_segment 0
		.amdhsa_system_sgpr_workgroup_id_x 1
		.amdhsa_system_sgpr_workgroup_id_y 1
		.amdhsa_system_sgpr_workgroup_id_z 0
		.amdhsa_system_sgpr_workgroup_info 0
		.amdhsa_system_vgpr_workitem_id 1
		.amdhsa_next_free_vgpr 74
		.amdhsa_next_free_sgpr 16
		.amdhsa_reserve_vcc 1
		.amdhsa_float_round_mode_32 0
		.amdhsa_float_round_mode_16_64 0
		.amdhsa_float_denorm_mode_32 3
		.amdhsa_float_denorm_mode_16_64 3
		.amdhsa_dx10_clamp 1
		.amdhsa_ieee_mode 1
		.amdhsa_fp16_overflow 0
		.amdhsa_workgroup_processor_mode 1
		.amdhsa_memory_ordered 1
		.amdhsa_forward_progress 0
		.amdhsa_shared_vgpr_count 0
		.amdhsa_exception_fp_ieee_invalid_op 0
		.amdhsa_exception_fp_denorm_src 0
		.amdhsa_exception_fp_ieee_div_zero 0
		.amdhsa_exception_fp_ieee_overflow 0
		.amdhsa_exception_fp_ieee_underflow 0
		.amdhsa_exception_fp_ieee_inexact 0
		.amdhsa_exception_int_div_zero 0
	.end_amdhsa_kernel
	.section	.text._ZL13mul_mat_vec_qIN3c104HalfELi256ELi8E11block_iq1_mLi1EXadL_ZL18vec_dot_iq1_m_q8_1PKvPK10block_q8_1RKiEEEvS4_S4_PT_iii,"axG",@progbits,_ZL13mul_mat_vec_qIN3c104HalfELi256ELi8E11block_iq1_mLi1EXadL_ZL18vec_dot_iq1_m_q8_1PKvPK10block_q8_1RKiEEEvS4_S4_PT_iii,comdat
.Lfunc_end96:
	.size	_ZL13mul_mat_vec_qIN3c104HalfELi256ELi8E11block_iq1_mLi1EXadL_ZL18vec_dot_iq1_m_q8_1PKvPK10block_q8_1RKiEEEvS4_S4_PT_iii, .Lfunc_end96-_ZL13mul_mat_vec_qIN3c104HalfELi256ELi8E11block_iq1_mLi1EXadL_ZL18vec_dot_iq1_m_q8_1PKvPK10block_q8_1RKiEEEvS4_S4_PT_iii
                                        ; -- End function
	.section	.AMDGPU.csdata,"",@progbits
; Kernel info:
; codeLenInByte = 1996
; NumSgprs: 18
; NumVgprs: 74
; ScratchSize: 0
; MemoryBound: 0
; FloatMode: 240
; IeeeMode: 1
; LDSByteSize: 0 bytes/workgroup (compile time only)
; SGPRBlocks: 2
; VGPRBlocks: 9
; NumSGPRsForWavesPerEU: 18
; NumVGPRsForWavesPerEU: 74
; Occupancy: 16
; WaveLimiterHint : 0
; COMPUTE_PGM_RSRC2:SCRATCH_EN: 0
; COMPUTE_PGM_RSRC2:USER_SGPR: 14
; COMPUTE_PGM_RSRC2:TRAP_HANDLER: 0
; COMPUTE_PGM_RSRC2:TGID_X_EN: 1
; COMPUTE_PGM_RSRC2:TGID_Y_EN: 1
; COMPUTE_PGM_RSRC2:TGID_Z_EN: 0
; COMPUTE_PGM_RSRC2:TIDIG_COMP_CNT: 1
	.section	.text._ZL13quantize_q8_1IN3c108BFloat16EEvPKT_Pvii,"axG",@progbits,_ZL13quantize_q8_1IN3c108BFloat16EEvPKT_Pvii,comdat
	.globl	_ZL13quantize_q8_1IN3c108BFloat16EEvPKT_Pvii ; -- Begin function _ZL13quantize_q8_1IN3c108BFloat16EEvPKT_Pvii
	.p2align	8
	.type	_ZL13quantize_q8_1IN3c108BFloat16EEvPKT_Pvii,@function
_ZL13quantize_q8_1IN3c108BFloat16EEvPKT_Pvii: ; @_ZL13quantize_q8_1IN3c108BFloat16EEvPKT_Pvii
; %bb.0:
	s_clause 0x1
	s_load_b32 s6, s[0:1], 0x24
	s_load_b64 s[2:3], s[0:1], 0x10
	v_and_b32_e32 v3, 0x3ff, v0
	s_add_u32 s4, s0, 24
	s_addc_u32 s5, s1, 0
	s_waitcnt lgkmcnt(0)
	s_and_b32 s6, s6, 0xffff
	s_delay_alu instid0(SALU_CYCLE_1) | instskip(SKIP_1) | instid1(VALU_DEP_1)
	v_mad_u64_u32 v[1:2], null, s14, s6, v[3:4]
	s_mov_b32 s6, exec_lo
	v_cmpx_gt_u32_e64 s3, v1
	s_cbranch_execz .LBB97_7
; %bb.1:
	s_load_b32 s4, s[4:5], 0xc
	v_bfe_u32 v0, v0, 10, 10
	s_waitcnt lgkmcnt(0)
	s_lshr_b32 s4, s4, 16
	s_delay_alu instid0(VALU_DEP_1) | instid1(SALU_CYCLE_1)
	v_mad_u64_u32 v[2:3], null, s15, s4, v[0:1]
	v_dual_mov_b32 v3, 0 :: v_dual_mov_b32 v0, 0
	s_mov_b32 s4, exec_lo
	v_cmpx_gt_u32_e64 s2, v1
	s_cbranch_execz .LBB97_3
; %bb.2:
	s_load_b64 s[6:7], s[0:1], 0x0
	s_delay_alu instid0(VALU_DEP_3) | instskip(SKIP_1) | instid1(VALU_DEP_1)
	v_mad_u64_u32 v[4:5], null, v2, s2, v[1:2]
	v_mov_b32_e32 v5, 0
	v_lshlrev_b64 v[4:5], 1, v[4:5]
	s_waitcnt lgkmcnt(0)
	s_delay_alu instid0(VALU_DEP_1) | instskip(NEXT) | instid1(VALU_DEP_2)
	v_add_co_u32 v4, vcc_lo, s6, v4
	v_add_co_ci_u32_e32 v5, vcc_lo, s7, v5, vcc_lo
	global_load_u16 v0, v[4:5], off
	s_waitcnt vmcnt(0)
	v_lshlrev_b32_e32 v0, 16, v0
.LBB97_3:
	s_or_b32 exec_lo, exec_lo, s4
	v_mbcnt_lo_u32_b32 v4, -1, 0
	s_delay_alu instid0(VALU_DEP_2)
	v_max_f32_e64 v8, |v0|, |v0|
	s_load_b64 s[0:1], s[0:1], 0x8
	s_mov_b32 s2, exec_lo
	v_and_b32_e32 v6, 0x7fffffff, v0
	v_xor_b32_e32 v5, 16, v4
	v_xor_b32_e32 v7, 8, v4
	;; [unrolled: 1-line block ×5, first 2 shown]
	v_cmp_gt_i32_e32 vcc_lo, 32, v5
	v_cndmask_b32_e32 v5, v4, v5, vcc_lo
	v_cmp_gt_i32_e32 vcc_lo, 32, v7
	s_delay_alu instid0(VALU_DEP_2)
	v_lshlrev_b32_e32 v5, 2, v5
	ds_bpermute_b32 v6, v5, v6
	s_waitcnt lgkmcnt(0)
	v_max_f32_e32 v6, v6, v6
	ds_bpermute_b32 v5, v5, v0
	v_max_f32_e32 v6, v8, v6
	v_cndmask_b32_e32 v7, v4, v7, vcc_lo
	v_cmp_gt_i32_e32 vcc_lo, 32, v9
	s_delay_alu instid0(VALU_DEP_2)
	v_lshlrev_b32_e32 v7, 2, v7
	v_cndmask_b32_e32 v9, v4, v9, vcc_lo
	v_cmp_gt_i32_e32 vcc_lo, 32, v10
	v_cndmask_b32_e32 v10, v4, v10, vcc_lo
	v_cmp_gt_i32_e32 vcc_lo, 32, v11
	s_waitcnt lgkmcnt(0)
	v_add_f32_e32 v5, v0, v5
	v_cndmask_b32_e32 v4, v4, v11, vcc_lo
	s_delay_alu instid0(VALU_DEP_1)
	v_lshlrev_b32_e32 v11, 2, v4
	v_lshlrev_b32_e32 v10, 2, v10
	;; [unrolled: 1-line block ×3, first 2 shown]
	ds_bpermute_b32 v8, v7, v6
	s_waitcnt lgkmcnt(0)
	v_max_f32_e32 v8, v8, v8
	ds_bpermute_b32 v7, v7, v5
	v_max_f32_e32 v6, v6, v8
	ds_bpermute_b32 v8, v9, v6
	s_waitcnt lgkmcnt(1)
	v_add_f32_e32 v5, v5, v7
	ds_bpermute_b32 v7, v9, v5
	s_waitcnt lgkmcnt(1)
	v_max_f32_e32 v8, v8, v8
	s_delay_alu instid0(VALU_DEP_1) | instskip(SKIP_3) | instid1(VALU_DEP_1)
	v_max_f32_e32 v6, v6, v8
	ds_bpermute_b32 v8, v10, v6
	s_waitcnt lgkmcnt(0)
	v_max_f32_e32 v8, v8, v8
	v_max_f32_e32 v4, v6, v8
	ds_bpermute_b32 v6, v11, v4
	s_waitcnt lgkmcnt(0)
	v_max_f32_e32 v6, v6, v6
	s_delay_alu instid0(VALU_DEP_1) | instskip(SKIP_1) | instid1(VALU_DEP_2)
	v_max_f32_e32 v8, v4, v6
	v_add_f32_e32 v4, v5, v7
	v_div_scale_f32 v6, null, 0x42fe0000, 0x42fe0000, v8
	ds_bpermute_b32 v5, v10, v4
	v_div_scale_f32 v10, vcc_lo, v8, 0x42fe0000, v8
	v_rcp_f32_e32 v9, v6
	s_waitcnt_depctr 0xfff
	v_fma_f32 v7, -v6, v9, 1.0
	s_delay_alu instid0(VALU_DEP_1) | instskip(SKIP_2) | instid1(VALU_DEP_2)
	v_fmac_f32_e32 v9, v7, v9
	s_waitcnt lgkmcnt(0)
	v_add_f32_e32 v4, v4, v5
	v_mul_f32_e32 v7, v10, v9
	ds_bpermute_b32 v5, v11, v4
	v_fma_f32 v12, -v6, v7, v10
	s_delay_alu instid0(VALU_DEP_1) | instskip(NEXT) | instid1(VALU_DEP_1)
	v_fmac_f32_e32 v7, v12, v9
	v_fma_f32 v6, -v6, v7, v10
	s_delay_alu instid0(VALU_DEP_1) | instskip(NEXT) | instid1(VALU_DEP_1)
	v_div_fmas_f32 v6, v6, v9, v7
	v_div_fixup_f32 v6, v6, 0x42fe0000, v8
	v_cmpx_neq_f32_e32 0, v8
	s_cbranch_execz .LBB97_5
; %bb.4:
	s_delay_alu instid0(VALU_DEP_2) | instskip(SKIP_1) | instid1(VALU_DEP_2)
	v_div_scale_f32 v3, null, v6, v6, v0
	v_div_scale_f32 v9, vcc_lo, v0, v6, v0
	v_rcp_f32_e32 v7, v3
	s_waitcnt_depctr 0xfff
	v_fma_f32 v8, -v3, v7, 1.0
	s_delay_alu instid0(VALU_DEP_1) | instskip(NEXT) | instid1(VALU_DEP_1)
	v_fmac_f32_e32 v7, v8, v7
	v_mul_f32_e32 v8, v9, v7
	s_delay_alu instid0(VALU_DEP_1) | instskip(NEXT) | instid1(VALU_DEP_1)
	v_fma_f32 v10, -v3, v8, v9
	v_fmac_f32_e32 v8, v10, v7
	s_delay_alu instid0(VALU_DEP_1) | instskip(NEXT) | instid1(VALU_DEP_1)
	v_fma_f32 v3, -v3, v8, v9
	v_div_fmas_f32 v3, v3, v7, v8
	s_delay_alu instid0(VALU_DEP_1) | instskip(NEXT) | instid1(VALU_DEP_1)
	v_div_fixup_f32 v0, v3, v6, v0
	v_trunc_f32_e32 v3, v0
	s_delay_alu instid0(VALU_DEP_1) | instskip(NEXT) | instid1(VALU_DEP_1)
	v_sub_f32_e32 v7, v0, v3
	v_cmp_ge_f32_e64 s4, |v7|, 0.5
	s_delay_alu instid0(VALU_DEP_1) | instskip(NEXT) | instid1(VALU_DEP_1)
	v_cndmask_b32_e64 v7, 0, 1.0, s4
	v_bfi_b32 v0, 0x7fffffff, v7, v0
	s_delay_alu instid0(VALU_DEP_1) | instskip(NEXT) | instid1(VALU_DEP_1)
	v_add_f32_e32 v0, v3, v0
	v_cvt_i32_f32_e32 v3, v0
.LBB97_5:
	s_or_b32 exec_lo, exec_lo, s2
	v_mad_u64_u32 v[7:8], null, v2, s3, v[1:2]
	s_delay_alu instid0(VALU_DEP_1) | instskip(NEXT) | instid1(VALU_DEP_1)
	v_ashrrev_i32_e32 v0, 31, v7
	v_lshrrev_b32_e32 v0, 27, v0
	s_delay_alu instid0(VALU_DEP_1) | instskip(NEXT) | instid1(VALU_DEP_1)
	v_add_nc_u32_e32 v0, v7, v0
	v_and_b32_e32 v1, 0xffffffe0, v0
	v_ashrrev_i32_e32 v2, 5, v0
	s_delay_alu instid0(VALU_DEP_2) | instskip(NEXT) | instid1(VALU_DEP_2)
	v_sub_nc_u32_e32 v9, v7, v1
	v_mad_i64_i32 v[0:1], null, v2, 36, s[0:1]
	s_delay_alu instid0(VALU_DEP_2) | instskip(NEXT) | instid1(VALU_DEP_2)
	v_ashrrev_i32_e32 v2, 31, v9
	v_add_co_u32 v7, vcc_lo, v0, v9
	s_delay_alu instid0(VALU_DEP_2)
	v_add_co_ci_u32_e32 v8, vcc_lo, v1, v2, vcc_lo
	v_cmp_gt_i32_e32 vcc_lo, 1, v9
	global_store_b8 v[7:8], v3, off offset:4
	s_and_b32 exec_lo, exec_lo, vcc_lo
	s_cbranch_execz .LBB97_7
; %bb.6:
	s_waitcnt lgkmcnt(0)
	v_add_f32_e32 v2, v4, v5
	v_cvt_f16_f32_e32 v3, v6
	s_delay_alu instid0(VALU_DEP_2) | instskip(NEXT) | instid1(VALU_DEP_1)
	v_cvt_f16_f32_e32 v2, v2
	v_pack_b32_f16 v2, v3, v2
	global_store_b32 v[0:1], v2, off
.LBB97_7:
	s_nop 0
	s_sendmsg sendmsg(MSG_DEALLOC_VGPRS)
	s_endpgm
	.section	.rodata,"a",@progbits
	.p2align	6, 0x0
	.amdhsa_kernel _ZL13quantize_q8_1IN3c108BFloat16EEvPKT_Pvii
		.amdhsa_group_segment_fixed_size 0
		.amdhsa_private_segment_fixed_size 0
		.amdhsa_kernarg_size 280
		.amdhsa_user_sgpr_count 14
		.amdhsa_user_sgpr_dispatch_ptr 0
		.amdhsa_user_sgpr_queue_ptr 0
		.amdhsa_user_sgpr_kernarg_segment_ptr 1
		.amdhsa_user_sgpr_dispatch_id 0
		.amdhsa_user_sgpr_private_segment_size 0
		.amdhsa_wavefront_size32 1
		.amdhsa_uses_dynamic_stack 0
		.amdhsa_enable_private_segment 0
		.amdhsa_system_sgpr_workgroup_id_x 1
		.amdhsa_system_sgpr_workgroup_id_y 1
		.amdhsa_system_sgpr_workgroup_id_z 0
		.amdhsa_system_sgpr_workgroup_info 0
		.amdhsa_system_vgpr_workitem_id 1
		.amdhsa_next_free_vgpr 13
		.amdhsa_next_free_sgpr 16
		.amdhsa_reserve_vcc 1
		.amdhsa_float_round_mode_32 0
		.amdhsa_float_round_mode_16_64 0
		.amdhsa_float_denorm_mode_32 3
		.amdhsa_float_denorm_mode_16_64 3
		.amdhsa_dx10_clamp 1
		.amdhsa_ieee_mode 1
		.amdhsa_fp16_overflow 0
		.amdhsa_workgroup_processor_mode 1
		.amdhsa_memory_ordered 1
		.amdhsa_forward_progress 0
		.amdhsa_shared_vgpr_count 0
		.amdhsa_exception_fp_ieee_invalid_op 0
		.amdhsa_exception_fp_denorm_src 0
		.amdhsa_exception_fp_ieee_div_zero 0
		.amdhsa_exception_fp_ieee_overflow 0
		.amdhsa_exception_fp_ieee_underflow 0
		.amdhsa_exception_fp_ieee_inexact 0
		.amdhsa_exception_int_div_zero 0
	.end_amdhsa_kernel
	.section	.text._ZL13quantize_q8_1IN3c108BFloat16EEvPKT_Pvii,"axG",@progbits,_ZL13quantize_q8_1IN3c108BFloat16EEvPKT_Pvii,comdat
.Lfunc_end97:
	.size	_ZL13quantize_q8_1IN3c108BFloat16EEvPKT_Pvii, .Lfunc_end97-_ZL13quantize_q8_1IN3c108BFloat16EEvPKT_Pvii
                                        ; -- End function
	.section	.AMDGPU.csdata,"",@progbits
; Kernel info:
; codeLenInByte = 928
; NumSgprs: 18
; NumVgprs: 13
; ScratchSize: 0
; MemoryBound: 0
; FloatMode: 240
; IeeeMode: 1
; LDSByteSize: 0 bytes/workgroup (compile time only)
; SGPRBlocks: 2
; VGPRBlocks: 1
; NumSGPRsForWavesPerEU: 18
; NumVGPRsForWavesPerEU: 13
; Occupancy: 16
; WaveLimiterHint : 0
; COMPUTE_PGM_RSRC2:SCRATCH_EN: 0
; COMPUTE_PGM_RSRC2:USER_SGPR: 14
; COMPUTE_PGM_RSRC2:TRAP_HANDLER: 0
; COMPUTE_PGM_RSRC2:TGID_X_EN: 1
; COMPUTE_PGM_RSRC2:TGID_Y_EN: 1
; COMPUTE_PGM_RSRC2:TGID_Z_EN: 0
; COMPUTE_PGM_RSRC2:TIDIG_COMP_CNT: 1
	.section	.text._ZL13mul_mat_vec_qIN3c108BFloat16ELi32ELi4E10block_q4_0Li2EXadL_ZL17vec_dot_q4_0_q8_1PKvPK10block_q8_1RKiEEEvS4_S4_PT_iii,"axG",@progbits,_ZL13mul_mat_vec_qIN3c108BFloat16ELi32ELi4E10block_q4_0Li2EXadL_ZL17vec_dot_q4_0_q8_1PKvPK10block_q8_1RKiEEEvS4_S4_PT_iii,comdat
	.globl	_ZL13mul_mat_vec_qIN3c108BFloat16ELi32ELi4E10block_q4_0Li2EXadL_ZL17vec_dot_q4_0_q8_1PKvPK10block_q8_1RKiEEEvS4_S4_PT_iii ; -- Begin function _ZL13mul_mat_vec_qIN3c108BFloat16ELi32ELi4E10block_q4_0Li2EXadL_ZL17vec_dot_q4_0_q8_1PKvPK10block_q8_1RKiEEEvS4_S4_PT_iii
	.p2align	8
	.type	_ZL13mul_mat_vec_qIN3c108BFloat16ELi32ELi4E10block_q4_0Li2EXadL_ZL17vec_dot_q4_0_q8_1PKvPK10block_q8_1RKiEEEvS4_S4_PT_iii,@function
_ZL13mul_mat_vec_qIN3c108BFloat16ELi32ELi4E10block_q4_0Li2EXadL_ZL17vec_dot_q4_0_q8_1PKvPK10block_q8_1RKiEEEvS4_S4_PT_iii: ; @_ZL13mul_mat_vec_qIN3c108BFloat16ELi32ELi4E10block_q4_0Li2EXadL_ZL17vec_dot_q4_0_q8_1PKvPK10block_q8_1RKiEEEvS4_S4_PT_iii
; %bb.0:
	s_clause 0x1
	s_load_b32 s2, s[0:1], 0x34
	s_load_b128 s[4:7], s[0:1], 0x18
	v_bfe_u32 v3, v0, 10, 10
	s_waitcnt lgkmcnt(0)
	s_lshr_b32 s2, s2, 16
	s_cmp_lt_u32 s15, s6
	s_delay_alu instid0(VALU_DEP_1) | instskip(SKIP_1) | instid1(VALU_DEP_1)
	v_mad_u64_u32 v[1:2], null, s14, s2, v[3:4]
	s_cselect_b32 s2, -1, 0
	v_cmp_gt_u32_e32 vcc_lo, s5, v1
	s_and_b32 s2, s2, vcc_lo
	s_delay_alu instid0(SALU_CYCLE_1)
	s_and_saveexec_b32 s3, s2
	s_cbranch_execz .LBB98_7
; %bb.1:
	s_load_b64 s[6:7], s[0:1], 0x10
	v_and_b32_e32 v0, 0x3ff, v0
	s_ashr_i32 s2, s4, 31
	v_mov_b32_e32 v2, 0
	s_lshr_b32 s2, s2, 27
	s_mov_b32 s8, exec_lo
	v_lshrrev_b32_e32 v3, 1, v0
	s_add_i32 s2, s4, s2
	s_delay_alu instid0(SALU_CYCLE_1)
	s_ashr_i32 s9, s2, 5
	s_delay_alu instid0(VALU_DEP_1) | instid1(SALU_CYCLE_1)
	v_cmpx_gt_u32_e64 s9, v3
	s_cbranch_execz .LBB98_5
; %bb.2:
	s_load_b128 s[0:3], s[0:1], 0x0
	s_addk_i32 s4, 0x1ff
	v_lshlrev_b32_e32 v2, 3, v0
	s_ashr_i32 s10, s4, 31
	v_mul_lo_u32 v4, v1, s9
	s_lshr_b32 s10, s10, 23
	s_delay_alu instid0(SALU_CYCLE_1) | instskip(SKIP_4) | instid1(SALU_CYCLE_1)
	s_add_i32 s4, s4, s10
	v_dual_mov_b32 v2, 0 :: v_dual_and_b32 v5, 8, v2
	s_ashr_i32 s4, s4, 9
	s_mov_b32 s10, 0
	s_mul_i32 s4, s15, s4
	s_lshl_b32 s4, s4, 4
.LBB98_3:                               ; =>This Inner Loop Header: Depth=1
	v_add_nc_u32_e32 v8, v4, v3
	v_add_nc_u32_e32 v10, s4, v3
	;; [unrolled: 1-line block ×3, first 2 shown]
	s_waitcnt lgkmcnt(0)
	s_delay_alu instid0(VALU_DEP_3) | instskip(NEXT) | instid1(VALU_DEP_3)
	v_mad_i64_i32 v[6:7], null, v8, 18, s[0:1]
	v_mad_i64_i32 v[8:9], null, v10, 36, s[2:3]
	s_delay_alu instid0(VALU_DEP_2) | instskip(NEXT) | instid1(VALU_DEP_3)
	v_add_co_u32 v10, vcc_lo, v6, v5
	v_add_co_ci_u32_e32 v11, vcc_lo, 0, v7, vcc_lo
	s_delay_alu instid0(VALU_DEP_3) | instskip(NEXT) | instid1(VALU_DEP_4)
	v_add_co_u32 v12, vcc_lo, v8, v5
	v_add_co_ci_u32_e32 v13, vcc_lo, 0, v9, vcc_lo
	v_cmp_le_u32_e32 vcc_lo, s9, v3
	global_load_b64 v[10:11], v[10:11], off offset:2
	s_clause 0x2
	global_load_b64 v[14:15], v[12:13], off offset:4
	global_load_b64 v[12:13], v[12:13], off offset:20
	global_load_b32 v8, v[8:9], off
	global_load_u16 v6, v[6:7], off
	s_or_b32 s10, vcc_lo, s10
	s_waitcnt vmcnt(4)
	v_and_b32_e32 v9, 15, v10
	s_waitcnt vmcnt(3)
	v_bfe_i32 v16, v14, 0, 8
	v_bfe_u32 v17, v10, 8, 4
	v_bfe_i32 v18, v14, 8, 8
	v_bfe_u32 v22, v10, 4, 4
	s_waitcnt vmcnt(2)
	v_bfe_i32 v23, v12, 0, 8
	v_and_b32_e32 v28, 15, v11
	v_bfe_i32 v29, v15, 0, 8
	v_mul_i32_i24_e32 v9, v16, v9
	v_bfe_u32 v19, v10, 16, 4
	v_bfe_i32 v20, v14, 16, 8
	v_bfe_u32 v21, v10, 24, 4
	v_ashrrev_i32_e32 v14, 24, v14
	v_mul_i32_i24_e32 v17, v17, v18
	v_mul_i32_i24_e32 v18, v29, v28
	v_mad_i32_i24 v9, v22, v23, v9
	v_bfe_u32 v7, v10, 20, 4
	v_bfe_u32 v24, v10, 12, 4
	v_bfe_i32 v25, v12, 8, 8
	v_bfe_i32 v26, v12, 16, 8
	v_mul_i32_i24_e32 v19, v19, v20
	v_mul_i32_i24_e32 v14, v21, v14
	v_add3_u32 v9, v9, v18, v17
	v_lshrrev_b32_e32 v10, 28, v10
	v_ashrrev_i32_e32 v12, 24, v12
	v_bfe_u32 v17, v11, 4, 4
	v_bfe_i32 v18, v13, 0, 8
	v_mul_i32_i24_e32 v20, v24, v25
	v_mul_i32_i24_e32 v7, v7, v26
	v_add3_u32 v9, v9, v19, v14
	v_bfe_u32 v30, v11, 8, 4
	v_bfe_i32 v16, v15, 8, 8
	v_bfe_u32 v31, v11, 16, 4
	v_bfe_i32 v22, v15, 16, 8
	v_mul_i32_i24_e32 v10, v10, v12
	v_mul_i32_i24_e32 v12, v17, v18
	v_add3_u32 v7, v9, v20, v7
	v_bfe_u32 v23, v11, 24, 4
	v_ashrrev_i32_e32 v14, 24, v15
	v_bfe_u32 v15, v11, 12, 4
	v_bfe_i32 v9, v13, 8, 8
	v_mul_i32_i24_e32 v16, v30, v16
	v_mul_i32_i24_e32 v18, v31, v22
	v_add3_u32 v7, v7, v10, v12
	v_bfe_u32 v27, v11, 20, 4
	v_bfe_i32 v17, v13, 16, 8
	v_lshrrev_b32_e32 v10, 28, v11
	v_ashrrev_i32_e32 v11, 24, v13
	v_mul_i32_i24_e32 v12, v23, v14
	v_mul_i32_i24_e32 v9, v15, v9
	v_add3_u32 v7, v7, v16, v18
	s_waitcnt vmcnt(1)
	v_lshrrev_b32_e32 v13, 16, v8
	v_mul_i32_i24_e32 v14, v27, v17
	v_mul_i32_i24_e32 v10, v10, v11
	v_add3_u32 v7, v7, v12, v9
	s_delay_alu instid0(VALU_DEP_4) | instskip(NEXT) | instid1(VALU_DEP_2)
	v_cvt_f32_f16_e32 v9, v13
	v_add3_u32 v7, v7, v14, v10
	s_delay_alu instid0(VALU_DEP_2) | instskip(NEXT) | instid1(VALU_DEP_2)
	v_mul_f32_e32 v9, -4.0, v9
	v_cvt_f32_i32_e32 v7, v7
	s_delay_alu instid0(VALU_DEP_1) | instskip(SKIP_1) | instid1(VALU_DEP_1)
	v_fma_mix_f32 v7, v8, v7, v9 op_sel_hi:[1,0,0]
	s_waitcnt vmcnt(0)
	v_fma_mix_f32 v2, v7, v6, v2 op_sel_hi:[0,1,0]
	s_and_not1_b32 exec_lo, exec_lo, s10
	s_cbranch_execnz .LBB98_3
; %bb.4:
	s_or_b32 exec_lo, exec_lo, s10
.LBB98_5:
	s_delay_alu instid0(SALU_CYCLE_1) | instskip(SKIP_1) | instid1(VALU_DEP_1)
	s_or_b32 exec_lo, exec_lo, s8
	v_mbcnt_lo_u32_b32 v3, -1, 0
	v_xor_b32_e32 v4, 16, v3
	v_xor_b32_e32 v5, 8, v3
	s_delay_alu instid0(VALU_DEP_2) | instskip(SKIP_1) | instid1(VALU_DEP_3)
	v_cmp_gt_i32_e32 vcc_lo, 32, v4
	v_cndmask_b32_e32 v4, v3, v4, vcc_lo
	v_cmp_gt_i32_e32 vcc_lo, 32, v5
	v_cndmask_b32_e32 v5, v3, v5, vcc_lo
	s_delay_alu instid0(VALU_DEP_1) | instskip(NEXT) | instid1(VALU_DEP_4)
	v_lshlrev_b32_e32 v5, 2, v5
	v_lshlrev_b32_e32 v4, 2, v4
	ds_bpermute_b32 v4, v4, v2
	s_waitcnt lgkmcnt(0)
	v_add_f32_e32 v2, v2, v4
	ds_bpermute_b32 v4, v5, v2
	v_xor_b32_e32 v5, 4, v3
	s_delay_alu instid0(VALU_DEP_1) | instskip(SKIP_2) | instid1(VALU_DEP_1)
	v_cmp_gt_i32_e32 vcc_lo, 32, v5
	v_cndmask_b32_e32 v5, v3, v5, vcc_lo
	s_waitcnt lgkmcnt(0)
	v_dual_add_f32 v2, v2, v4 :: v_dual_lshlrev_b32 v5, 2, v5
	ds_bpermute_b32 v4, v5, v2
	v_xor_b32_e32 v5, 2, v3
	s_delay_alu instid0(VALU_DEP_1) | instskip(SKIP_2) | instid1(VALU_DEP_1)
	v_cmp_gt_i32_e32 vcc_lo, 32, v5
	s_waitcnt lgkmcnt(0)
	v_dual_cndmask_b32 v5, v3, v5 :: v_dual_add_f32 v2, v2, v4
	v_lshlrev_b32_e32 v5, 2, v5
	ds_bpermute_b32 v4, v5, v2
	v_xor_b32_e32 v5, 1, v3
	s_delay_alu instid0(VALU_DEP_1) | instskip(SKIP_3) | instid1(VALU_DEP_2)
	v_cmp_gt_i32_e32 vcc_lo, 32, v5
	v_cndmask_b32_e32 v3, v3, v5, vcc_lo
	v_cmp_eq_u32_e32 vcc_lo, 0, v0
	s_waitcnt lgkmcnt(0)
	v_dual_add_f32 v2, v2, v4 :: v_dual_lshlrev_b32 v3, 2, v3
	ds_bpermute_b32 v3, v3, v2
	s_and_b32 exec_lo, exec_lo, vcc_lo
	s_cbranch_execz .LBB98_7
; %bb.6:
	s_waitcnt lgkmcnt(0)
	v_add_f32_e32 v4, v2, v3
	v_mad_u64_u32 v[2:3], null, s15, s5, v[1:2]
	v_mov_b32_e32 v3, 0
	s_delay_alu instid0(VALU_DEP_3) | instskip(SKIP_1) | instid1(VALU_DEP_2)
	v_bfe_u32 v0, v4, 16, 1
	v_cmp_o_f32_e32 vcc_lo, v4, v4
	v_add3_u32 v0, v4, v0, 0x7fff
	s_delay_alu instid0(VALU_DEP_1) | instskip(SKIP_1) | instid1(VALU_DEP_2)
	v_lshrrev_b32_e32 v5, 16, v0
	v_lshlrev_b64 v[0:1], 1, v[2:3]
	v_cndmask_b32_e32 v2, 0x7fc0, v5, vcc_lo
	s_delay_alu instid0(VALU_DEP_2) | instskip(NEXT) | instid1(VALU_DEP_3)
	v_add_co_u32 v0, vcc_lo, s6, v0
	v_add_co_ci_u32_e32 v1, vcc_lo, s7, v1, vcc_lo
	global_store_b16 v[0:1], v2, off
.LBB98_7:
	s_nop 0
	s_sendmsg sendmsg(MSG_DEALLOC_VGPRS)
	s_endpgm
	.section	.rodata,"a",@progbits
	.p2align	6, 0x0
	.amdhsa_kernel _ZL13mul_mat_vec_qIN3c108BFloat16ELi32ELi4E10block_q4_0Li2EXadL_ZL17vec_dot_q4_0_q8_1PKvPK10block_q8_1RKiEEEvS4_S4_PT_iii
		.amdhsa_group_segment_fixed_size 0
		.amdhsa_private_segment_fixed_size 0
		.amdhsa_kernarg_size 296
		.amdhsa_user_sgpr_count 14
		.amdhsa_user_sgpr_dispatch_ptr 0
		.amdhsa_user_sgpr_queue_ptr 0
		.amdhsa_user_sgpr_kernarg_segment_ptr 1
		.amdhsa_user_sgpr_dispatch_id 0
		.amdhsa_user_sgpr_private_segment_size 0
		.amdhsa_wavefront_size32 1
		.amdhsa_uses_dynamic_stack 0
		.amdhsa_enable_private_segment 0
		.amdhsa_system_sgpr_workgroup_id_x 1
		.amdhsa_system_sgpr_workgroup_id_y 1
		.amdhsa_system_sgpr_workgroup_id_z 0
		.amdhsa_system_sgpr_workgroup_info 0
		.amdhsa_system_vgpr_workitem_id 1
		.amdhsa_next_free_vgpr 32
		.amdhsa_next_free_sgpr 16
		.amdhsa_reserve_vcc 1
		.amdhsa_float_round_mode_32 0
		.amdhsa_float_round_mode_16_64 0
		.amdhsa_float_denorm_mode_32 3
		.amdhsa_float_denorm_mode_16_64 3
		.amdhsa_dx10_clamp 1
		.amdhsa_ieee_mode 1
		.amdhsa_fp16_overflow 0
		.amdhsa_workgroup_processor_mode 1
		.amdhsa_memory_ordered 1
		.amdhsa_forward_progress 0
		.amdhsa_shared_vgpr_count 0
		.amdhsa_exception_fp_ieee_invalid_op 0
		.amdhsa_exception_fp_denorm_src 0
		.amdhsa_exception_fp_ieee_div_zero 0
		.amdhsa_exception_fp_ieee_overflow 0
		.amdhsa_exception_fp_ieee_underflow 0
		.amdhsa_exception_fp_ieee_inexact 0
		.amdhsa_exception_int_div_zero 0
	.end_amdhsa_kernel
	.section	.text._ZL13mul_mat_vec_qIN3c108BFloat16ELi32ELi4E10block_q4_0Li2EXadL_ZL17vec_dot_q4_0_q8_1PKvPK10block_q8_1RKiEEEvS4_S4_PT_iii,"axG",@progbits,_ZL13mul_mat_vec_qIN3c108BFloat16ELi32ELi4E10block_q4_0Li2EXadL_ZL17vec_dot_q4_0_q8_1PKvPK10block_q8_1RKiEEEvS4_S4_PT_iii,comdat
.Lfunc_end98:
	.size	_ZL13mul_mat_vec_qIN3c108BFloat16ELi32ELi4E10block_q4_0Li2EXadL_ZL17vec_dot_q4_0_q8_1PKvPK10block_q8_1RKiEEEvS4_S4_PT_iii, .Lfunc_end98-_ZL13mul_mat_vec_qIN3c108BFloat16ELi32ELi4E10block_q4_0Li2EXadL_ZL17vec_dot_q4_0_q8_1PKvPK10block_q8_1RKiEEEvS4_S4_PT_iii
                                        ; -- End function
	.section	.AMDGPU.csdata,"",@progbits
; Kernel info:
; codeLenInByte = 1056
; NumSgprs: 18
; NumVgprs: 32
; ScratchSize: 0
; MemoryBound: 0
; FloatMode: 240
; IeeeMode: 1
; LDSByteSize: 0 bytes/workgroup (compile time only)
; SGPRBlocks: 2
; VGPRBlocks: 3
; NumSGPRsForWavesPerEU: 18
; NumVGPRsForWavesPerEU: 32
; Occupancy: 16
; WaveLimiterHint : 0
; COMPUTE_PGM_RSRC2:SCRATCH_EN: 0
; COMPUTE_PGM_RSRC2:USER_SGPR: 14
; COMPUTE_PGM_RSRC2:TRAP_HANDLER: 0
; COMPUTE_PGM_RSRC2:TGID_X_EN: 1
; COMPUTE_PGM_RSRC2:TGID_Y_EN: 1
; COMPUTE_PGM_RSRC2:TGID_Z_EN: 0
; COMPUTE_PGM_RSRC2:TIDIG_COMP_CNT: 1
	.section	.text._ZL13mul_mat_vec_qIN3c108BFloat16ELi32ELi4E10block_q4_1Li2EXadL_ZL17vec_dot_q4_1_q8_1PKvPK10block_q8_1RKiEEEvS4_S4_PT_iii,"axG",@progbits,_ZL13mul_mat_vec_qIN3c108BFloat16ELi32ELi4E10block_q4_1Li2EXadL_ZL17vec_dot_q4_1_q8_1PKvPK10block_q8_1RKiEEEvS4_S4_PT_iii,comdat
	.globl	_ZL13mul_mat_vec_qIN3c108BFloat16ELi32ELi4E10block_q4_1Li2EXadL_ZL17vec_dot_q4_1_q8_1PKvPK10block_q8_1RKiEEEvS4_S4_PT_iii ; -- Begin function _ZL13mul_mat_vec_qIN3c108BFloat16ELi32ELi4E10block_q4_1Li2EXadL_ZL17vec_dot_q4_1_q8_1PKvPK10block_q8_1RKiEEEvS4_S4_PT_iii
	.p2align	8
	.type	_ZL13mul_mat_vec_qIN3c108BFloat16ELi32ELi4E10block_q4_1Li2EXadL_ZL17vec_dot_q4_1_q8_1PKvPK10block_q8_1RKiEEEvS4_S4_PT_iii,@function
_ZL13mul_mat_vec_qIN3c108BFloat16ELi32ELi4E10block_q4_1Li2EXadL_ZL17vec_dot_q4_1_q8_1PKvPK10block_q8_1RKiEEEvS4_S4_PT_iii: ; @_ZL13mul_mat_vec_qIN3c108BFloat16ELi32ELi4E10block_q4_1Li2EXadL_ZL17vec_dot_q4_1_q8_1PKvPK10block_q8_1RKiEEEvS4_S4_PT_iii
; %bb.0:
	s_clause 0x1
	s_load_b32 s2, s[0:1], 0x34
	s_load_b128 s[4:7], s[0:1], 0x18
	v_bfe_u32 v3, v0, 10, 10
	s_waitcnt lgkmcnt(0)
	s_lshr_b32 s2, s2, 16
	s_cmp_lt_u32 s15, s6
	s_delay_alu instid0(VALU_DEP_1) | instskip(SKIP_1) | instid1(VALU_DEP_1)
	v_mad_u64_u32 v[1:2], null, s14, s2, v[3:4]
	s_cselect_b32 s2, -1, 0
	v_cmp_gt_u32_e32 vcc_lo, s5, v1
	s_and_b32 s2, s2, vcc_lo
	s_delay_alu instid0(SALU_CYCLE_1)
	s_and_saveexec_b32 s3, s2
	s_cbranch_execz .LBB99_7
; %bb.1:
	s_load_b64 s[6:7], s[0:1], 0x10
	v_and_b32_e32 v0, 0x3ff, v0
	s_ashr_i32 s2, s4, 31
	v_mov_b32_e32 v2, 0
	s_lshr_b32 s2, s2, 27
	s_mov_b32 s8, exec_lo
	v_lshrrev_b32_e32 v3, 1, v0
	s_add_i32 s2, s4, s2
	s_delay_alu instid0(SALU_CYCLE_1)
	s_ashr_i32 s9, s2, 5
	s_delay_alu instid0(VALU_DEP_1) | instid1(SALU_CYCLE_1)
	v_cmpx_gt_u32_e64 s9, v3
	s_cbranch_execz .LBB99_5
; %bb.2:
	s_load_b128 s[0:3], s[0:1], 0x0
	s_addk_i32 s4, 0x1ff
	v_lshlrev_b32_e32 v2, 3, v0
	s_ashr_i32 s10, s4, 31
	v_mul_lo_u32 v4, v1, s9
	s_lshr_b32 s10, s10, 23
	s_mov_b32 s11, 0.5
	s_add_i32 s4, s4, s10
	v_dual_mov_b32 v2, 0 :: v_dual_and_b32 v5, 8, v2
	s_ashr_i32 s4, s4, 9
	s_mov_b32 s10, 0
	s_mul_i32 s4, s15, s4
	s_delay_alu instid0(SALU_CYCLE_1)
	s_lshl_b32 s4, s4, 4
.LBB99_3:                               ; =>This Inner Loop Header: Depth=1
	v_add_nc_u32_e32 v8, v4, v3
	v_add_nc_u32_e32 v10, s4, v3
	;; [unrolled: 1-line block ×3, first 2 shown]
	s_waitcnt lgkmcnt(0)
	s_delay_alu instid0(VALU_DEP_3) | instskip(NEXT) | instid1(VALU_DEP_3)
	v_mad_i64_i32 v[6:7], null, v8, 20, s[0:1]
	v_mad_i64_i32 v[8:9], null, v10, 36, s[2:3]
	s_delay_alu instid0(VALU_DEP_2) | instskip(NEXT) | instid1(VALU_DEP_3)
	v_add_co_u32 v10, vcc_lo, v6, v5
	v_add_co_ci_u32_e32 v11, vcc_lo, 0, v7, vcc_lo
	s_delay_alu instid0(VALU_DEP_3) | instskip(NEXT) | instid1(VALU_DEP_4)
	v_add_co_u32 v12, vcc_lo, v8, v5
	v_add_co_ci_u32_e32 v13, vcc_lo, 0, v9, vcc_lo
	v_cmp_le_u32_e32 vcc_lo, s9, v3
	global_load_b64 v[10:11], v[10:11], off offset:4
	s_clause 0x1
	global_load_b64 v[14:15], v[12:13], off offset:4
	global_load_b64 v[12:13], v[12:13], off offset:20
	global_load_b32 v6, v[6:7], off
	global_load_b32 v7, v[8:9], off
	s_or_b32 s10, vcc_lo, s10
	s_waitcnt vmcnt(4)
	v_and_b32_e32 v9, 15, v10
	s_waitcnt vmcnt(3)
	v_bfe_i32 v16, v14, 0, 8
	v_bfe_u32 v17, v10, 8, 4
	v_bfe_i32 v18, v14, 8, 8
	v_bfe_u32 v19, v10, 16, 4
	;; [unrolled: 2-line block ×3, first 2 shown]
	s_waitcnt vmcnt(2)
	v_bfe_i32 v23, v12, 0, 8
	v_mul_i32_i24_e32 v9, v16, v9
	v_bfe_u32 v21, v10, 24, 4
	v_ashrrev_i32_e32 v14, 24, v14
	v_bfe_u32 v24, v10, 12, 4
	v_bfe_i32 v25, v12, 8, 8
	v_mul_i32_i24_e32 v17, v18, v17
	v_mul_i32_i24_e32 v18, v20, v19
	v_mad_i32_i24 v9, v23, v22, v9
	v_bfe_u32 v8, v10, 20, 4
	v_bfe_i32 v26, v12, 16, 8
	v_lshrrev_b32_e32 v10, 28, v10
	v_ashrrev_i32_e32 v12, 24, v12
	v_mul_i32_i24_e32 v14, v14, v21
	v_mul_i32_i24_e32 v21, v24, v25
	v_add3_u32 v9, v9, v17, v18
	v_and_b32_e32 v28, 15, v11
	v_bfe_i32 v29, v15, 0, 8
	v_bfe_u32 v17, v11, 4, 4
	v_bfe_i32 v18, v13, 0, 8
	v_mul_i32_i24_e32 v8, v8, v26
	v_mul_i32_i24_e32 v10, v10, v12
	v_add3_u32 v9, v9, v14, v21
	v_bfe_u32 v30, v11, 8, 4
	v_bfe_i32 v16, v15, 8, 8
	v_bfe_u32 v31, v11, 16, 4
	v_bfe_i32 v19, v15, 16, 8
	v_ashrrev_i32_e32 v12, 24, v15
	v_mul_i32_i24_e32 v15, v29, v28
	v_mul_i32_i24_e32 v17, v18, v17
	v_add3_u32 v8, v9, v8, v10
	v_bfe_u32 v20, v11, 24, 4
	v_bfe_u32 v14, v11, 12, 4
	v_bfe_i32 v9, v13, 8, 8
	v_mul_i32_i24_e32 v16, v16, v30
	v_mul_i32_i24_e32 v18, v19, v31
	v_add3_u32 v8, v8, v15, v17
	v_bfe_u32 v27, v11, 20, 4
	v_bfe_i32 v10, v13, 16, 8
	v_lshrrev_b32_e32 v11, 28, v11
	v_ashrrev_i32_e32 v13, 24, v13
	v_mul_i32_i24_e32 v12, v12, v20
	v_mul_i32_i24_e32 v9, v14, v9
	v_add3_u32 v8, v8, v16, v18
	v_mul_i32_i24_e32 v10, v27, v10
	v_mul_i32_i24_e32 v11, v11, v13
	s_waitcnt vmcnt(0)
	v_pk_mul_f16 v6, v6, v7
	v_add3_u32 v8, v8, v12, v9
	s_delay_alu instid0(VALU_DEP_1) | instskip(NEXT) | instid1(VALU_DEP_3)
	v_add3_u32 v7, v8, v10, v11
	v_cvt_f32_f16_e32 v8, v6
	s_delay_alu instid0(VALU_DEP_2) | instskip(NEXT) | instid1(VALU_DEP_1)
	v_cvt_f32_i32_e32 v7, v7
	v_mul_f32_e32 v7, v8, v7
	s_delay_alu instid0(VALU_DEP_1) | instskip(NEXT) | instid1(VALU_DEP_1)
	v_fma_mix_f32 v6, v6, s11, v7 op_sel:[1,0,0] op_sel_hi:[1,0,0]
	v_add_f32_e32 v2, v2, v6
	s_and_not1_b32 exec_lo, exec_lo, s10
	s_cbranch_execnz .LBB99_3
; %bb.4:
	s_or_b32 exec_lo, exec_lo, s10
.LBB99_5:
	s_delay_alu instid0(SALU_CYCLE_1) | instskip(SKIP_1) | instid1(VALU_DEP_1)
	s_or_b32 exec_lo, exec_lo, s8
	v_mbcnt_lo_u32_b32 v3, -1, 0
	v_xor_b32_e32 v4, 16, v3
	v_xor_b32_e32 v5, 8, v3
	s_delay_alu instid0(VALU_DEP_2) | instskip(SKIP_1) | instid1(VALU_DEP_3)
	v_cmp_gt_i32_e32 vcc_lo, 32, v4
	v_cndmask_b32_e32 v4, v3, v4, vcc_lo
	v_cmp_gt_i32_e32 vcc_lo, 32, v5
	v_cndmask_b32_e32 v5, v3, v5, vcc_lo
	s_delay_alu instid0(VALU_DEP_1) | instskip(NEXT) | instid1(VALU_DEP_4)
	v_lshlrev_b32_e32 v5, 2, v5
	v_lshlrev_b32_e32 v4, 2, v4
	ds_bpermute_b32 v4, v4, v2
	s_waitcnt lgkmcnt(0)
	v_add_f32_e32 v2, v2, v4
	ds_bpermute_b32 v4, v5, v2
	v_xor_b32_e32 v5, 4, v3
	s_delay_alu instid0(VALU_DEP_1) | instskip(SKIP_2) | instid1(VALU_DEP_1)
	v_cmp_gt_i32_e32 vcc_lo, 32, v5
	v_cndmask_b32_e32 v5, v3, v5, vcc_lo
	s_waitcnt lgkmcnt(0)
	v_dual_add_f32 v2, v2, v4 :: v_dual_lshlrev_b32 v5, 2, v5
	ds_bpermute_b32 v4, v5, v2
	v_xor_b32_e32 v5, 2, v3
	s_delay_alu instid0(VALU_DEP_1) | instskip(SKIP_2) | instid1(VALU_DEP_1)
	v_cmp_gt_i32_e32 vcc_lo, 32, v5
	s_waitcnt lgkmcnt(0)
	v_dual_cndmask_b32 v5, v3, v5 :: v_dual_add_f32 v2, v2, v4
	v_lshlrev_b32_e32 v5, 2, v5
	ds_bpermute_b32 v4, v5, v2
	v_xor_b32_e32 v5, 1, v3
	s_delay_alu instid0(VALU_DEP_1) | instskip(SKIP_3) | instid1(VALU_DEP_2)
	v_cmp_gt_i32_e32 vcc_lo, 32, v5
	v_cndmask_b32_e32 v3, v3, v5, vcc_lo
	v_cmp_eq_u32_e32 vcc_lo, 0, v0
	s_waitcnt lgkmcnt(0)
	v_dual_add_f32 v2, v2, v4 :: v_dual_lshlrev_b32 v3, 2, v3
	ds_bpermute_b32 v3, v3, v2
	s_and_b32 exec_lo, exec_lo, vcc_lo
	s_cbranch_execz .LBB99_7
; %bb.6:
	s_waitcnt lgkmcnt(0)
	v_add_f32_e32 v4, v2, v3
	v_mad_u64_u32 v[2:3], null, s15, s5, v[1:2]
	v_mov_b32_e32 v3, 0
	s_delay_alu instid0(VALU_DEP_3) | instskip(SKIP_1) | instid1(VALU_DEP_2)
	v_bfe_u32 v0, v4, 16, 1
	v_cmp_o_f32_e32 vcc_lo, v4, v4
	v_add3_u32 v0, v4, v0, 0x7fff
	s_delay_alu instid0(VALU_DEP_1) | instskip(SKIP_1) | instid1(VALU_DEP_2)
	v_lshrrev_b32_e32 v5, 16, v0
	v_lshlrev_b64 v[0:1], 1, v[2:3]
	v_cndmask_b32_e32 v2, 0x7fc0, v5, vcc_lo
	s_delay_alu instid0(VALU_DEP_2) | instskip(NEXT) | instid1(VALU_DEP_3)
	v_add_co_u32 v0, vcc_lo, s6, v0
	v_add_co_ci_u32_e32 v1, vcc_lo, s7, v1, vcc_lo
	global_store_b16 v[0:1], v2, off
.LBB99_7:
	s_nop 0
	s_sendmsg sendmsg(MSG_DEALLOC_VGPRS)
	s_endpgm
	.section	.rodata,"a",@progbits
	.p2align	6, 0x0
	.amdhsa_kernel _ZL13mul_mat_vec_qIN3c108BFloat16ELi32ELi4E10block_q4_1Li2EXadL_ZL17vec_dot_q4_1_q8_1PKvPK10block_q8_1RKiEEEvS4_S4_PT_iii
		.amdhsa_group_segment_fixed_size 0
		.amdhsa_private_segment_fixed_size 0
		.amdhsa_kernarg_size 296
		.amdhsa_user_sgpr_count 14
		.amdhsa_user_sgpr_dispatch_ptr 0
		.amdhsa_user_sgpr_queue_ptr 0
		.amdhsa_user_sgpr_kernarg_segment_ptr 1
		.amdhsa_user_sgpr_dispatch_id 0
		.amdhsa_user_sgpr_private_segment_size 0
		.amdhsa_wavefront_size32 1
		.amdhsa_uses_dynamic_stack 0
		.amdhsa_enable_private_segment 0
		.amdhsa_system_sgpr_workgroup_id_x 1
		.amdhsa_system_sgpr_workgroup_id_y 1
		.amdhsa_system_sgpr_workgroup_id_z 0
		.amdhsa_system_sgpr_workgroup_info 0
		.amdhsa_system_vgpr_workitem_id 1
		.amdhsa_next_free_vgpr 32
		.amdhsa_next_free_sgpr 16
		.amdhsa_reserve_vcc 1
		.amdhsa_float_round_mode_32 0
		.amdhsa_float_round_mode_16_64 0
		.amdhsa_float_denorm_mode_32 3
		.amdhsa_float_denorm_mode_16_64 3
		.amdhsa_dx10_clamp 1
		.amdhsa_ieee_mode 1
		.amdhsa_fp16_overflow 0
		.amdhsa_workgroup_processor_mode 1
		.amdhsa_memory_ordered 1
		.amdhsa_forward_progress 0
		.amdhsa_shared_vgpr_count 0
		.amdhsa_exception_fp_ieee_invalid_op 0
		.amdhsa_exception_fp_denorm_src 0
		.amdhsa_exception_fp_ieee_div_zero 0
		.amdhsa_exception_fp_ieee_overflow 0
		.amdhsa_exception_fp_ieee_underflow 0
		.amdhsa_exception_fp_ieee_inexact 0
		.amdhsa_exception_int_div_zero 0
	.end_amdhsa_kernel
	.section	.text._ZL13mul_mat_vec_qIN3c108BFloat16ELi32ELi4E10block_q4_1Li2EXadL_ZL17vec_dot_q4_1_q8_1PKvPK10block_q8_1RKiEEEvS4_S4_PT_iii,"axG",@progbits,_ZL13mul_mat_vec_qIN3c108BFloat16ELi32ELi4E10block_q4_1Li2EXadL_ZL17vec_dot_q4_1_q8_1PKvPK10block_q8_1RKiEEEvS4_S4_PT_iii,comdat
.Lfunc_end99:
	.size	_ZL13mul_mat_vec_qIN3c108BFloat16ELi32ELi4E10block_q4_1Li2EXadL_ZL17vec_dot_q4_1_q8_1PKvPK10block_q8_1RKiEEEvS4_S4_PT_iii, .Lfunc_end99-_ZL13mul_mat_vec_qIN3c108BFloat16ELi32ELi4E10block_q4_1Li2EXadL_ZL17vec_dot_q4_1_q8_1PKvPK10block_q8_1RKiEEEvS4_S4_PT_iii
                                        ; -- End function
	.section	.AMDGPU.csdata,"",@progbits
; Kernel info:
; codeLenInByte = 1056
; NumSgprs: 18
; NumVgprs: 32
; ScratchSize: 0
; MemoryBound: 0
; FloatMode: 240
; IeeeMode: 1
; LDSByteSize: 0 bytes/workgroup (compile time only)
; SGPRBlocks: 2
; VGPRBlocks: 3
; NumSGPRsForWavesPerEU: 18
; NumVGPRsForWavesPerEU: 32
; Occupancy: 16
; WaveLimiterHint : 0
; COMPUTE_PGM_RSRC2:SCRATCH_EN: 0
; COMPUTE_PGM_RSRC2:USER_SGPR: 14
; COMPUTE_PGM_RSRC2:TRAP_HANDLER: 0
; COMPUTE_PGM_RSRC2:TGID_X_EN: 1
; COMPUTE_PGM_RSRC2:TGID_Y_EN: 1
; COMPUTE_PGM_RSRC2:TGID_Z_EN: 0
; COMPUTE_PGM_RSRC2:TIDIG_COMP_CNT: 1
	.section	.text._ZL13mul_mat_vec_qIN3c108BFloat16ELi32ELi4E10block_q5_0Li2EXadL_ZL17vec_dot_q5_0_q8_1PKvPK10block_q8_1RKiEEEvS4_S4_PT_iii,"axG",@progbits,_ZL13mul_mat_vec_qIN3c108BFloat16ELi32ELi4E10block_q5_0Li2EXadL_ZL17vec_dot_q5_0_q8_1PKvPK10block_q8_1RKiEEEvS4_S4_PT_iii,comdat
	.globl	_ZL13mul_mat_vec_qIN3c108BFloat16ELi32ELi4E10block_q5_0Li2EXadL_ZL17vec_dot_q5_0_q8_1PKvPK10block_q8_1RKiEEEvS4_S4_PT_iii ; -- Begin function _ZL13mul_mat_vec_qIN3c108BFloat16ELi32ELi4E10block_q5_0Li2EXadL_ZL17vec_dot_q5_0_q8_1PKvPK10block_q8_1RKiEEEvS4_S4_PT_iii
	.p2align	8
	.type	_ZL13mul_mat_vec_qIN3c108BFloat16ELi32ELi4E10block_q5_0Li2EXadL_ZL17vec_dot_q5_0_q8_1PKvPK10block_q8_1RKiEEEvS4_S4_PT_iii,@function
_ZL13mul_mat_vec_qIN3c108BFloat16ELi32ELi4E10block_q5_0Li2EXadL_ZL17vec_dot_q5_0_q8_1PKvPK10block_q8_1RKiEEEvS4_S4_PT_iii: ; @_ZL13mul_mat_vec_qIN3c108BFloat16ELi32ELi4E10block_q5_0Li2EXadL_ZL17vec_dot_q5_0_q8_1PKvPK10block_q8_1RKiEEEvS4_S4_PT_iii
; %bb.0:
	s_clause 0x1
	s_load_b32 s2, s[0:1], 0x34
	s_load_b128 s[4:7], s[0:1], 0x18
	v_bfe_u32 v3, v0, 10, 10
	s_waitcnt lgkmcnt(0)
	s_lshr_b32 s2, s2, 16
	s_cmp_lt_u32 s15, s6
	s_delay_alu instid0(VALU_DEP_1) | instskip(SKIP_1) | instid1(VALU_DEP_1)
	v_mad_u64_u32 v[1:2], null, s14, s2, v[3:4]
	s_cselect_b32 s2, -1, 0
	v_cmp_gt_u32_e32 vcc_lo, s5, v1
	s_and_b32 s2, s2, vcc_lo
	s_delay_alu instid0(SALU_CYCLE_1)
	s_and_saveexec_b32 s3, s2
	s_cbranch_execz .LBB100_7
; %bb.1:
	s_load_b64 s[6:7], s[0:1], 0x10
	v_dual_mov_b32 v3, 0 :: v_dual_and_b32 v0, 0x3ff, v0
	s_ashr_i32 s2, s4, 31
	s_mov_b32 s8, exec_lo
	s_lshr_b32 s2, s2, 27
	s_delay_alu instid0(VALU_DEP_1) | instskip(SKIP_1) | instid1(SALU_CYCLE_1)
	v_lshrrev_b32_e32 v2, 1, v0
	s_add_i32 s2, s4, s2
	s_ashr_i32 s9, s2, 5
	s_delay_alu instid0(VALU_DEP_1) | instid1(SALU_CYCLE_1)
	v_cmpx_gt_u32_e64 s9, v2
	s_cbranch_execz .LBB100_5
; %bb.2:
	s_load_b128 s[0:3], s[0:1], 0x0
	v_lshlrev_b32_e32 v3, 3, v0
	s_addk_i32 s4, 0x1ff
	v_mul_lo_u32 v5, v1, s9
	s_ashr_i32 s10, s4, 31
	s_delay_alu instid0(SALU_CYCLE_1) | instskip(SKIP_2) | instid1(SALU_CYCLE_1)
	s_lshr_b32 s10, s10, 23
	v_dual_mov_b32 v3, 0 :: v_dual_and_b32 v4, 8, v3
	s_add_i32 s4, s4, s10
	s_ashr_i32 s4, s4, 9
	s_delay_alu instid0(VALU_DEP_1) | instskip(SKIP_1) | instid1(SALU_CYCLE_1)
	v_or_b32_e32 v6, 4, v4
	s_mul_i32 s4, s15, s4
	s_lshl_b32 s10, s4, 4
	s_mov_b32 s4, 0
.LBB100_3:                              ; =>This Inner Loop Header: Depth=1
	v_add_nc_u32_e32 v9, v5, v2
	v_add_nc_u32_e32 v11, s10, v2
	;; [unrolled: 1-line block ×3, first 2 shown]
	s_waitcnt lgkmcnt(0)
	s_delay_alu instid0(VALU_DEP_3) | instskip(NEXT) | instid1(VALU_DEP_3)
	v_mad_i64_i32 v[7:8], null, v9, 22, s[0:1]
	v_mad_i64_i32 v[9:10], null, v11, 36, s[2:3]
	s_clause 0x1
	global_load_b32 v15, v[7:8], off
	global_load_u16 v16, v[7:8], off offset:4
	v_add_co_u32 v7, vcc_lo, v7, v4
	v_add_co_ci_u32_e32 v8, vcc_lo, 0, v8, vcc_lo
	v_add_co_u32 v11, vcc_lo, v9, v4
	v_add_co_ci_u32_e32 v12, vcc_lo, 0, v10, vcc_lo
	global_load_b32 v17, v[7:8], off offset:6
	global_load_b64 v[13:14], v[11:12], off offset:4
	global_load_b32 v18, v[7:8], off offset:10
	s_clause 0x1
	global_load_b64 v[7:8], v[11:12], off offset:20
	global_load_b32 v9, v[9:10], off
	v_cmp_le_u32_e32 vcc_lo, s9, v2
	s_or_b32 s4, vcc_lo, s4
	s_waitcnt vmcnt(5)
	v_perm_b32 v10, v15, v16, 0x1000706
	s_delay_alu instid0(VALU_DEP_1)
	v_ashrrev_i32_e32 v11, v4, v10
	v_ashrrev_i32_e32 v10, v6, v10
	s_waitcnt vmcnt(4)
	v_and_b32_e32 v12, 0xf0f0f0f, v17
	v_lshrrev_b32_e32 v17, 4, v17
	s_waitcnt vmcnt(2)
	v_and_b32_e32 v24, 0xf0f0f0f, v18
	v_lshlrev_b32_e32 v34, 25, v11
	v_lshlrev_b32_e32 v32, 11, v11
	v_lshl_or_b32 v31, v11, 4, v12
	v_lshlrev_b32_e32 v33, 18, v11
	v_lshrrev_b32_e32 v35, 12, v11
	v_lshrrev_b32_e32 v36, 5, v11
	v_lshlrev_b32_e32 v37, 2, v11
	v_lshlrev_b32_e32 v11, 9, v11
	v_and_b32_e32 v34, 0x10000000, v34
	v_and_b32_e32 v17, 0xf0f0f0f, v17
	;; [unrolled: 1-line block ×3, first 2 shown]
	v_bfe_i32 v16, v13, 0, 8
	v_and_b32_e32 v11, 0x10000000, v11
	v_and_or_b32 v33, 0x100000, v33, v34
	v_lshl_or_b32 v38, v10, 4, v24
	v_and_b32_e32 v31, 31, v31
	v_and_or_b32 v35, v35, 16, v17
	v_and_b32_e32 v36, 0x1000, v36
	v_and_or_b32 v11, 0x100000, v37, v11
	v_or3_b32 v12, v33, v32, v12
	v_bfe_i32 v19, v13, 8, 8
	s_waitcnt vmcnt(1)
	v_bfe_i32 v21, v7, 0, 8
	v_bfe_i32 v25, v14, 0, 8
	v_lshrrev_b32_e32 v18, 4, v18
	v_lshlrev_b32_e32 v41, 25, v10
	v_and_b32_e32 v38, 31, v38
	v_mul_i32_i24_e32 v16, v31, v16
	v_and_b32_e32 v31, 31, v35
	v_or3_b32 v11, v11, v36, v17
	v_bfe_u32 v17, v12, 8, 5
	v_bfe_i32 v20, v13, 16, 8
	v_ashrrev_i32_e32 v13, 24, v13
	v_lshlrev_b32_e32 v39, 11, v10
	v_lshlrev_b32_e32 v40, 18, v10
	v_and_b32_e32 v18, 0xf0f0f0f, v18
	v_lshrrev_b32_e32 v42, 12, v10
	v_lshrrev_b32_e32 v43, 5, v10
	v_lshlrev_b32_e32 v44, 2, v10
	v_lshlrev_b32_e32 v10, 9, v10
	v_and_b32_e32 v41, 0x10000000, v41
	v_mul_i32_i24_e32 v25, v38, v25
	v_mad_i32_i24 v16, v31, v21, v16
	v_bfe_u32 v21, v12, 16, 5
	v_lshrrev_b32_e32 v12, 24, v12
	v_mul_i32_i24_e32 v17, v17, v19
	v_bfe_i32 v22, v7, 8, 8
	v_bfe_i32 v23, v7, 16, 8
	v_and_b32_e32 v39, 0x1000, v39
	v_and_or_b32 v42, v42, 16, v18
	v_and_b32_e32 v10, 0x10000000, v10
	v_and_or_b32 v34, 0x100000, v40, v41
	v_bfe_u32 v19, v11, 8, 5
	v_bfe_u32 v31, v11, 16, 5
	v_mul_i32_i24_e32 v20, v21, v20
	v_mul_i32_i24_e32 v12, v12, v13
	v_add3_u32 v13, v16, v25, v17
	v_ashrrev_i32_e32 v7, 24, v7
	v_bfe_i32 v28, v8, 0, 8
	v_and_b32_e32 v43, 0x1000, v43
	v_and_or_b32 v10, 0x100000, v44, v10
	v_and_b32_e32 v32, 31, v42
	v_or3_b32 v24, v34, v39, v24
	v_lshrrev_b32_e32 v11, 24, v11
	v_mul_i32_i24_e32 v16, v19, v22
	v_mul_i32_i24_e32 v17, v31, v23
	v_add3_u32 v12, v13, v20, v12
	v_bfe_i32 v26, v14, 8, 8
	v_bfe_i32 v27, v14, 16, 8
	v_or3_b32 v10, v10, v43, v18
	v_mul_i32_i24_e32 v13, v32, v28
	v_bfe_u32 v18, v24, 8, 5
	v_bfe_u32 v19, v24, 16, 5
	v_mul_i32_i24_e32 v7, v11, v7
	v_add3_u32 v11, v12, v16, v17
	v_ashrrev_i32_e32 v14, 24, v14
	v_bfe_i32 v29, v8, 8, 8
	v_lshrrev_b32_e32 v12, 24, v24
	v_bfe_u32 v16, v10, 8, 5
	v_mul_i32_i24_e32 v17, v18, v26
	v_mul_i32_i24_e32 v18, v19, v27
	v_add3_u32 v7, v11, v7, v13
	v_bfe_i32 v30, v8, 16, 8
	v_ashrrev_i32_e32 v8, 24, v8
	v_bfe_u32 v11, v10, 16, 5
	v_lshrrev_b32_e32 v10, 24, v10
	v_mul_i32_i24_e32 v12, v12, v14
	v_mul_i32_i24_e32 v13, v16, v29
	v_add3_u32 v7, v7, v17, v18
	s_waitcnt vmcnt(0)
	v_lshrrev_b32_e32 v14, 16, v9
	v_mul_i32_i24_e32 v11, v11, v30
	v_mul_i32_i24_e32 v8, v10, v8
	v_add3_u32 v7, v7, v12, v13
	s_delay_alu instid0(VALU_DEP_4) | instskip(NEXT) | instid1(VALU_DEP_2)
	v_cvt_f32_f16_e32 v10, v14
	v_add3_u32 v7, v7, v11, v8
	s_delay_alu instid0(VALU_DEP_2) | instskip(NEXT) | instid1(VALU_DEP_2)
	v_mul_f32_e32 v8, 0xc1000000, v10
	v_cvt_f32_i32_e32 v7, v7
	s_delay_alu instid0(VALU_DEP_1) | instskip(NEXT) | instid1(VALU_DEP_1)
	v_fma_mix_f32 v7, v9, v7, v8 op_sel_hi:[1,0,0]
	v_fma_mix_f32 v3, v7, v15, v3 op_sel_hi:[0,1,0]
	s_and_not1_b32 exec_lo, exec_lo, s4
	s_cbranch_execnz .LBB100_3
; %bb.4:
	s_or_b32 exec_lo, exec_lo, s4
.LBB100_5:
	s_delay_alu instid0(SALU_CYCLE_1) | instskip(SKIP_1) | instid1(VALU_DEP_1)
	s_or_b32 exec_lo, exec_lo, s8
	v_mbcnt_lo_u32_b32 v2, -1, 0
	v_xor_b32_e32 v4, 16, v2
	v_xor_b32_e32 v5, 8, v2
	s_delay_alu instid0(VALU_DEP_2) | instskip(SKIP_1) | instid1(VALU_DEP_3)
	v_cmp_gt_i32_e32 vcc_lo, 32, v4
	v_cndmask_b32_e32 v4, v2, v4, vcc_lo
	v_cmp_gt_i32_e32 vcc_lo, 32, v5
	v_cndmask_b32_e32 v5, v2, v5, vcc_lo
	s_delay_alu instid0(VALU_DEP_1) | instskip(NEXT) | instid1(VALU_DEP_4)
	v_lshlrev_b32_e32 v5, 2, v5
	v_lshlrev_b32_e32 v4, 2, v4
	ds_bpermute_b32 v4, v4, v3
	s_waitcnt lgkmcnt(0)
	v_add_f32_e32 v3, v3, v4
	ds_bpermute_b32 v4, v5, v3
	v_xor_b32_e32 v5, 4, v2
	s_delay_alu instid0(VALU_DEP_1) | instskip(SKIP_1) | instid1(VALU_DEP_1)
	v_cmp_gt_i32_e32 vcc_lo, 32, v5
	v_cndmask_b32_e32 v5, v2, v5, vcc_lo
	v_lshlrev_b32_e32 v5, 2, v5
	s_waitcnt lgkmcnt(0)
	v_add_f32_e32 v3, v3, v4
	ds_bpermute_b32 v4, v5, v3
	v_xor_b32_e32 v5, 2, v2
	s_delay_alu instid0(VALU_DEP_1) | instskip(SKIP_1) | instid1(VALU_DEP_1)
	v_cmp_gt_i32_e32 vcc_lo, 32, v5
	v_cndmask_b32_e32 v5, v2, v5, vcc_lo
	v_lshlrev_b32_e32 v5, 2, v5
	s_waitcnt lgkmcnt(0)
	v_add_f32_e32 v3, v3, v4
	ds_bpermute_b32 v4, v5, v3
	v_xor_b32_e32 v5, 1, v2
	s_delay_alu instid0(VALU_DEP_1) | instskip(SKIP_3) | instid1(VALU_DEP_2)
	v_cmp_gt_i32_e32 vcc_lo, 32, v5
	v_cndmask_b32_e32 v5, v2, v5, vcc_lo
	v_cmp_eq_u32_e32 vcc_lo, 0, v0
	s_waitcnt lgkmcnt(0)
	v_dual_add_f32 v2, v3, v4 :: v_dual_lshlrev_b32 v3, 2, v5
	ds_bpermute_b32 v3, v3, v2
	s_and_b32 exec_lo, exec_lo, vcc_lo
	s_cbranch_execz .LBB100_7
; %bb.6:
	s_waitcnt lgkmcnt(0)
	v_add_f32_e32 v4, v2, v3
	v_mad_u64_u32 v[2:3], null, s15, s5, v[1:2]
	v_mov_b32_e32 v3, 0
	s_delay_alu instid0(VALU_DEP_3) | instskip(SKIP_1) | instid1(VALU_DEP_2)
	v_bfe_u32 v0, v4, 16, 1
	v_cmp_o_f32_e32 vcc_lo, v4, v4
	v_add3_u32 v0, v4, v0, 0x7fff
	s_delay_alu instid0(VALU_DEP_1) | instskip(SKIP_1) | instid1(VALU_DEP_2)
	v_lshrrev_b32_e32 v5, 16, v0
	v_lshlrev_b64 v[0:1], 1, v[2:3]
	v_cndmask_b32_e32 v2, 0x7fc0, v5, vcc_lo
	s_delay_alu instid0(VALU_DEP_2) | instskip(NEXT) | instid1(VALU_DEP_3)
	v_add_co_u32 v0, vcc_lo, s6, v0
	v_add_co_ci_u32_e32 v1, vcc_lo, s7, v1, vcc_lo
	global_store_b16 v[0:1], v2, off
.LBB100_7:
	s_nop 0
	s_sendmsg sendmsg(MSG_DEALLOC_VGPRS)
	s_endpgm
	.section	.rodata,"a",@progbits
	.p2align	6, 0x0
	.amdhsa_kernel _ZL13mul_mat_vec_qIN3c108BFloat16ELi32ELi4E10block_q5_0Li2EXadL_ZL17vec_dot_q5_0_q8_1PKvPK10block_q8_1RKiEEEvS4_S4_PT_iii
		.amdhsa_group_segment_fixed_size 0
		.amdhsa_private_segment_fixed_size 0
		.amdhsa_kernarg_size 296
		.amdhsa_user_sgpr_count 14
		.amdhsa_user_sgpr_dispatch_ptr 0
		.amdhsa_user_sgpr_queue_ptr 0
		.amdhsa_user_sgpr_kernarg_segment_ptr 1
		.amdhsa_user_sgpr_dispatch_id 0
		.amdhsa_user_sgpr_private_segment_size 0
		.amdhsa_wavefront_size32 1
		.amdhsa_uses_dynamic_stack 0
		.amdhsa_enable_private_segment 0
		.amdhsa_system_sgpr_workgroup_id_x 1
		.amdhsa_system_sgpr_workgroup_id_y 1
		.amdhsa_system_sgpr_workgroup_id_z 0
		.amdhsa_system_sgpr_workgroup_info 0
		.amdhsa_system_vgpr_workitem_id 1
		.amdhsa_next_free_vgpr 45
		.amdhsa_next_free_sgpr 16
		.amdhsa_reserve_vcc 1
		.amdhsa_float_round_mode_32 0
		.amdhsa_float_round_mode_16_64 0
		.amdhsa_float_denorm_mode_32 3
		.amdhsa_float_denorm_mode_16_64 3
		.amdhsa_dx10_clamp 1
		.amdhsa_ieee_mode 1
		.amdhsa_fp16_overflow 0
		.amdhsa_workgroup_processor_mode 1
		.amdhsa_memory_ordered 1
		.amdhsa_forward_progress 0
		.amdhsa_shared_vgpr_count 0
		.amdhsa_exception_fp_ieee_invalid_op 0
		.amdhsa_exception_fp_denorm_src 0
		.amdhsa_exception_fp_ieee_div_zero 0
		.amdhsa_exception_fp_ieee_overflow 0
		.amdhsa_exception_fp_ieee_underflow 0
		.amdhsa_exception_fp_ieee_inexact 0
		.amdhsa_exception_int_div_zero 0
	.end_amdhsa_kernel
	.section	.text._ZL13mul_mat_vec_qIN3c108BFloat16ELi32ELi4E10block_q5_0Li2EXadL_ZL17vec_dot_q5_0_q8_1PKvPK10block_q8_1RKiEEEvS4_S4_PT_iii,"axG",@progbits,_ZL13mul_mat_vec_qIN3c108BFloat16ELi32ELi4E10block_q5_0Li2EXadL_ZL17vec_dot_q5_0_q8_1PKvPK10block_q8_1RKiEEEvS4_S4_PT_iii,comdat
.Lfunc_end100:
	.size	_ZL13mul_mat_vec_qIN3c108BFloat16ELi32ELi4E10block_q5_0Li2EXadL_ZL17vec_dot_q5_0_q8_1PKvPK10block_q8_1RKiEEEvS4_S4_PT_iii, .Lfunc_end100-_ZL13mul_mat_vec_qIN3c108BFloat16ELi32ELi4E10block_q5_0Li2EXadL_ZL17vec_dot_q5_0_q8_1PKvPK10block_q8_1RKiEEEvS4_S4_PT_iii
                                        ; -- End function
	.section	.AMDGPU.csdata,"",@progbits
; Kernel info:
; codeLenInByte = 1360
; NumSgprs: 18
; NumVgprs: 45
; ScratchSize: 0
; MemoryBound: 0
; FloatMode: 240
; IeeeMode: 1
; LDSByteSize: 0 bytes/workgroup (compile time only)
; SGPRBlocks: 2
; VGPRBlocks: 5
; NumSGPRsForWavesPerEU: 18
; NumVGPRsForWavesPerEU: 45
; Occupancy: 16
; WaveLimiterHint : 0
; COMPUTE_PGM_RSRC2:SCRATCH_EN: 0
; COMPUTE_PGM_RSRC2:USER_SGPR: 14
; COMPUTE_PGM_RSRC2:TRAP_HANDLER: 0
; COMPUTE_PGM_RSRC2:TGID_X_EN: 1
; COMPUTE_PGM_RSRC2:TGID_Y_EN: 1
; COMPUTE_PGM_RSRC2:TGID_Z_EN: 0
; COMPUTE_PGM_RSRC2:TIDIG_COMP_CNT: 1
	.section	.text._ZL13mul_mat_vec_qIN3c108BFloat16ELi32ELi4E10block_q5_1Li2EXadL_ZL17vec_dot_q5_1_q8_1PKvPK10block_q8_1RKiEEEvS4_S4_PT_iii,"axG",@progbits,_ZL13mul_mat_vec_qIN3c108BFloat16ELi32ELi4E10block_q5_1Li2EXadL_ZL17vec_dot_q5_1_q8_1PKvPK10block_q8_1RKiEEEvS4_S4_PT_iii,comdat
	.globl	_ZL13mul_mat_vec_qIN3c108BFloat16ELi32ELi4E10block_q5_1Li2EXadL_ZL17vec_dot_q5_1_q8_1PKvPK10block_q8_1RKiEEEvS4_S4_PT_iii ; -- Begin function _ZL13mul_mat_vec_qIN3c108BFloat16ELi32ELi4E10block_q5_1Li2EXadL_ZL17vec_dot_q5_1_q8_1PKvPK10block_q8_1RKiEEEvS4_S4_PT_iii
	.p2align	8
	.type	_ZL13mul_mat_vec_qIN3c108BFloat16ELi32ELi4E10block_q5_1Li2EXadL_ZL17vec_dot_q5_1_q8_1PKvPK10block_q8_1RKiEEEvS4_S4_PT_iii,@function
_ZL13mul_mat_vec_qIN3c108BFloat16ELi32ELi4E10block_q5_1Li2EXadL_ZL17vec_dot_q5_1_q8_1PKvPK10block_q8_1RKiEEEvS4_S4_PT_iii: ; @_ZL13mul_mat_vec_qIN3c108BFloat16ELi32ELi4E10block_q5_1Li2EXadL_ZL17vec_dot_q5_1_q8_1PKvPK10block_q8_1RKiEEEvS4_S4_PT_iii
; %bb.0:
	s_clause 0x1
	s_load_b32 s2, s[0:1], 0x34
	s_load_b128 s[4:7], s[0:1], 0x18
	v_bfe_u32 v3, v0, 10, 10
	s_waitcnt lgkmcnt(0)
	s_lshr_b32 s2, s2, 16
	s_cmp_lt_u32 s15, s6
	s_delay_alu instid0(VALU_DEP_1) | instskip(SKIP_1) | instid1(VALU_DEP_1)
	v_mad_u64_u32 v[1:2], null, s14, s2, v[3:4]
	s_cselect_b32 s2, -1, 0
	v_cmp_gt_u32_e32 vcc_lo, s5, v1
	s_and_b32 s2, s2, vcc_lo
	s_delay_alu instid0(SALU_CYCLE_1)
	s_and_saveexec_b32 s3, s2
	s_cbranch_execz .LBB101_7
; %bb.1:
	s_load_b64 s[6:7], s[0:1], 0x10
	v_dual_mov_b32 v3, 0 :: v_dual_and_b32 v0, 0x3ff, v0
	s_ashr_i32 s2, s4, 31
	s_mov_b32 s8, exec_lo
	s_lshr_b32 s2, s2, 27
	s_delay_alu instid0(VALU_DEP_1) | instskip(SKIP_1) | instid1(SALU_CYCLE_1)
	v_lshrrev_b32_e32 v2, 1, v0
	s_add_i32 s2, s4, s2
	s_ashr_i32 s9, s2, 5
	s_delay_alu instid0(VALU_DEP_1) | instid1(SALU_CYCLE_1)
	v_cmpx_gt_u32_e64 s9, v2
	s_cbranch_execz .LBB101_5
; %bb.2:
	s_load_b128 s[0:3], s[0:1], 0x0
	v_lshlrev_b32_e32 v3, 3, v0
	s_addk_i32 s4, 0x1ff
	v_mul_lo_u32 v5, v1, s9
	s_ashr_i32 s10, s4, 31
	s_mov_b32 s11, 0.5
	s_lshr_b32 s10, s10, 23
	v_dual_mov_b32 v3, 0 :: v_dual_and_b32 v4, 8, v3
	s_add_i32 s4, s4, s10
	s_delay_alu instid0(SALU_CYCLE_1) | instskip(NEXT) | instid1(VALU_DEP_1)
	s_ashr_i32 s4, s4, 9
	v_or_b32_e32 v6, 4, v4
	s_mul_i32 s4, s15, s4
	s_delay_alu instid0(SALU_CYCLE_1)
	s_lshl_b32 s10, s4, 4
	s_mov_b32 s4, 0
.LBB101_3:                              ; =>This Inner Loop Header: Depth=1
	v_add_nc_u32_e32 v9, v5, v2
	v_add_nc_u32_e32 v11, s10, v2
	;; [unrolled: 1-line block ×3, first 2 shown]
	s_waitcnt lgkmcnt(0)
	s_delay_alu instid0(VALU_DEP_3) | instskip(NEXT) | instid1(VALU_DEP_3)
	v_mad_i64_i32 v[7:8], null, v9, 24, s[0:1]
	v_mad_i64_i32 v[9:10], null, v11, 36, s[2:3]
	global_load_b64 v[11:12], v[7:8], off
	v_add_co_u32 v7, vcc_lo, v7, v4
	v_add_co_ci_u32_e32 v8, vcc_lo, 0, v8, vcc_lo
	v_add_co_u32 v13, vcc_lo, v9, v4
	v_add_co_ci_u32_e32 v14, vcc_lo, 0, v10, vcc_lo
	global_load_b64 v[7:8], v[7:8], off offset:8
	s_clause 0x2
	global_load_b64 v[15:16], v[13:14], off offset:4
	global_load_b64 v[13:14], v[13:14], off offset:20
	global_load_b32 v9, v[9:10], off
	v_cmp_le_u32_e32 vcc_lo, s9, v2
	s_or_b32 s4, vcc_lo, s4
	s_waitcnt vmcnt(4)
	v_ashrrev_i32_e32 v10, v4, v12
	v_ashrrev_i32_e32 v12, v6, v12
	s_delay_alu instid0(VALU_DEP_2)
	v_lshlrev_b32_e32 v20, 25, v10
	v_lshlrev_b32_e32 v27, 9, v10
	;; [unrolled: 1-line block ×3, first 2 shown]
	s_waitcnt vmcnt(3)
	v_and_b32_e32 v17, 0xf0f0f0f, v7
	v_lshrrev_b32_e32 v7, 4, v7
	v_and_b32_e32 v31, 0xf0f0f0f, v8
	v_lshrrev_b32_e32 v8, 4, v8
	v_lshlrev_b32_e32 v19, 18, v10
	v_lshrrev_b32_e32 v24, 12, v10
	v_lshrrev_b32_e32 v25, 5, v10
	v_lshlrev_b32_e32 v26, 2, v10
	v_lshrrev_b32_e32 v38, 12, v12
	v_lshl_or_b32 v10, v10, 4, v17
	v_and_b32_e32 v20, 0x10000000, v20
	v_and_b32_e32 v7, 0xf0f0f0f, v7
	;; [unrolled: 1-line block ×4, first 2 shown]
	s_waitcnt vmcnt(2)
	v_bfe_i32 v21, v15, 0, 8
	v_lshlrev_b32_e32 v32, 11, v12
	v_lshlrev_b32_e32 v33, 18, v12
	;; [unrolled: 1-line block ×3, first 2 shown]
	v_lshrrev_b32_e32 v39, 5, v12
	v_lshlrev_b32_e32 v40, 2, v12
	v_lshlrev_b32_e32 v41, 9, v12
	v_and_b32_e32 v18, 0x1000, v18
	v_lshl_or_b32 v12, v12, 4, v31
	v_and_or_b32 v19, 0x100000, v19, v20
	v_and_b32_e32 v10, 31, v10
	v_and_or_b32 v20, v24, 16, v7
	v_and_or_b32 v24, 0x100000, v26, v27
	;; [unrolled: 1-line block ×3, first 2 shown]
	s_waitcnt vmcnt(1)
	v_bfe_i32 v28, v13, 0, 8
	v_bfe_i32 v35, v16, 0, 8
	;; [unrolled: 1-line block ×3, first 2 shown]
	v_and_b32_e32 v25, 0x1000, v25
	v_and_b32_e32 v12, 31, v12
	v_or3_b32 v17, v19, v18, v17
	v_mul_i32_i24_e32 v10, v10, v21
	v_and_b32_e32 v18, 31, v20
	v_and_b32_e32 v20, 31, v27
	v_bfe_i32 v22, v15, 8, 8
	v_bfe_i32 v23, v15, 16, 8
	v_and_b32_e32 v34, 0x10000000, v34
	v_or3_b32 v7, v24, v25, v7
	v_mul_i32_i24_e32 v12, v12, v35
	v_bfe_u32 v21, v17, 8, 5
	v_bfe_u32 v24, v17, 16, 5
	v_mul_i32_i24_e32 v20, v20, v42
	v_mad_i32_i24 v10, v18, v28, v10
	v_ashrrev_i32_e32 v15, 24, v15
	v_bfe_i32 v29, v13, 8, 8
	v_and_b32_e32 v32, 0x1000, v32
	v_and_b32_e32 v41, 0x10000000, v41
	v_and_or_b32 v26, 0x100000, v33, v34
	v_lshrrev_b32_e32 v17, 24, v17
	v_bfe_u32 v18, v7, 8, 5
	v_mul_i32_i24_e32 v21, v21, v22
	v_mul_i32_i24_e32 v22, v24, v23
	v_add3_u32 v10, v10, v12, v20
	v_bfe_i32 v30, v13, 16, 8
	v_ashrrev_i32_e32 v13, 24, v13
	v_and_b32_e32 v39, 0x1000, v39
	v_and_or_b32 v33, 0x100000, v40, v41
	v_or3_b32 v19, v26, v32, v31
	v_bfe_u32 v12, v7, 16, 5
	v_lshrrev_b32_e32 v7, 24, v7
	v_mul_i32_i24_e32 v15, v17, v15
	v_mul_i32_i24_e32 v17, v18, v29
	v_add3_u32 v10, v10, v21, v22
	v_bfe_i32 v36, v16, 8, 8
	v_bfe_i32 v37, v16, 16, 8
	v_or3_b32 v8, v33, v39, v8
	v_bfe_u32 v18, v19, 8, 5
	v_bfe_u32 v20, v19, 16, 5
	v_mul_i32_i24_e32 v12, v12, v30
	v_mul_i32_i24_e32 v7, v7, v13
	v_add3_u32 v10, v10, v15, v17
	v_ashrrev_i32_e32 v16, 24, v16
	v_bfe_i32 v43, v14, 8, 8
	v_lshrrev_b32_e32 v13, 24, v19
	v_bfe_u32 v15, v8, 8, 5
	v_mul_i32_i24_e32 v17, v18, v36
	v_mul_i32_i24_e32 v18, v20, v37
	v_add3_u32 v7, v10, v12, v7
	v_bfe_i32 v44, v14, 16, 8
	v_ashrrev_i32_e32 v14, 24, v14
	v_bfe_u32 v10, v8, 16, 5
	v_lshrrev_b32_e32 v8, 24, v8
	v_mul_i32_i24_e32 v12, v13, v16
	v_mul_i32_i24_e32 v13, v15, v43
	v_add3_u32 v7, v7, v17, v18
	v_mul_i32_i24_e32 v10, v10, v44
	v_mul_i32_i24_e32 v8, v8, v14
	s_waitcnt vmcnt(0)
	v_pk_mul_f16 v9, v11, v9
	v_add3_u32 v7, v7, v12, v13
	s_delay_alu instid0(VALU_DEP_1) | instskip(NEXT) | instid1(VALU_DEP_3)
	v_add3_u32 v7, v7, v10, v8
	v_cvt_f32_f16_e32 v8, v9
	s_delay_alu instid0(VALU_DEP_2) | instskip(NEXT) | instid1(VALU_DEP_1)
	v_cvt_f32_i32_e32 v7, v7
	v_mul_f32_e32 v7, v8, v7
	s_delay_alu instid0(VALU_DEP_1) | instskip(NEXT) | instid1(VALU_DEP_1)
	v_fma_mix_f32 v7, v9, s11, v7 op_sel:[1,0,0] op_sel_hi:[1,0,0]
	v_add_f32_e32 v3, v3, v7
	s_and_not1_b32 exec_lo, exec_lo, s4
	s_cbranch_execnz .LBB101_3
; %bb.4:
	s_or_b32 exec_lo, exec_lo, s4
.LBB101_5:
	s_delay_alu instid0(SALU_CYCLE_1) | instskip(SKIP_1) | instid1(VALU_DEP_1)
	s_or_b32 exec_lo, exec_lo, s8
	v_mbcnt_lo_u32_b32 v2, -1, 0
	v_xor_b32_e32 v4, 16, v2
	v_xor_b32_e32 v5, 8, v2
	s_delay_alu instid0(VALU_DEP_2) | instskip(SKIP_1) | instid1(VALU_DEP_3)
	v_cmp_gt_i32_e32 vcc_lo, 32, v4
	v_cndmask_b32_e32 v4, v2, v4, vcc_lo
	v_cmp_gt_i32_e32 vcc_lo, 32, v5
	v_cndmask_b32_e32 v5, v2, v5, vcc_lo
	s_delay_alu instid0(VALU_DEP_1) | instskip(NEXT) | instid1(VALU_DEP_4)
	v_lshlrev_b32_e32 v5, 2, v5
	v_lshlrev_b32_e32 v4, 2, v4
	ds_bpermute_b32 v4, v4, v3
	s_waitcnt lgkmcnt(0)
	v_add_f32_e32 v3, v3, v4
	ds_bpermute_b32 v4, v5, v3
	v_xor_b32_e32 v5, 4, v2
	s_delay_alu instid0(VALU_DEP_1) | instskip(SKIP_1) | instid1(VALU_DEP_1)
	v_cmp_gt_i32_e32 vcc_lo, 32, v5
	v_cndmask_b32_e32 v5, v2, v5, vcc_lo
	v_lshlrev_b32_e32 v5, 2, v5
	s_waitcnt lgkmcnt(0)
	v_add_f32_e32 v3, v3, v4
	ds_bpermute_b32 v4, v5, v3
	v_xor_b32_e32 v5, 2, v2
	s_delay_alu instid0(VALU_DEP_1) | instskip(SKIP_1) | instid1(VALU_DEP_1)
	v_cmp_gt_i32_e32 vcc_lo, 32, v5
	v_cndmask_b32_e32 v5, v2, v5, vcc_lo
	v_lshlrev_b32_e32 v5, 2, v5
	s_waitcnt lgkmcnt(0)
	v_add_f32_e32 v3, v3, v4
	ds_bpermute_b32 v4, v5, v3
	v_xor_b32_e32 v5, 1, v2
	s_delay_alu instid0(VALU_DEP_1) | instskip(SKIP_3) | instid1(VALU_DEP_2)
	v_cmp_gt_i32_e32 vcc_lo, 32, v5
	v_cndmask_b32_e32 v5, v2, v5, vcc_lo
	v_cmp_eq_u32_e32 vcc_lo, 0, v0
	s_waitcnt lgkmcnt(0)
	v_dual_add_f32 v2, v3, v4 :: v_dual_lshlrev_b32 v3, 2, v5
	ds_bpermute_b32 v3, v3, v2
	s_and_b32 exec_lo, exec_lo, vcc_lo
	s_cbranch_execz .LBB101_7
; %bb.6:
	s_waitcnt lgkmcnt(0)
	v_add_f32_e32 v4, v2, v3
	v_mad_u64_u32 v[2:3], null, s15, s5, v[1:2]
	v_mov_b32_e32 v3, 0
	s_delay_alu instid0(VALU_DEP_3) | instskip(SKIP_1) | instid1(VALU_DEP_2)
	v_bfe_u32 v0, v4, 16, 1
	v_cmp_o_f32_e32 vcc_lo, v4, v4
	v_add3_u32 v0, v4, v0, 0x7fff
	s_delay_alu instid0(VALU_DEP_1) | instskip(SKIP_1) | instid1(VALU_DEP_2)
	v_lshrrev_b32_e32 v5, 16, v0
	v_lshlrev_b64 v[0:1], 1, v[2:3]
	v_cndmask_b32_e32 v2, 0x7fc0, v5, vcc_lo
	s_delay_alu instid0(VALU_DEP_2) | instskip(NEXT) | instid1(VALU_DEP_3)
	v_add_co_u32 v0, vcc_lo, s6, v0
	v_add_co_ci_u32_e32 v1, vcc_lo, s7, v1, vcc_lo
	global_store_b16 v[0:1], v2, off
.LBB101_7:
	s_nop 0
	s_sendmsg sendmsg(MSG_DEALLOC_VGPRS)
	s_endpgm
	.section	.rodata,"a",@progbits
	.p2align	6, 0x0
	.amdhsa_kernel _ZL13mul_mat_vec_qIN3c108BFloat16ELi32ELi4E10block_q5_1Li2EXadL_ZL17vec_dot_q5_1_q8_1PKvPK10block_q8_1RKiEEEvS4_S4_PT_iii
		.amdhsa_group_segment_fixed_size 0
		.amdhsa_private_segment_fixed_size 0
		.amdhsa_kernarg_size 296
		.amdhsa_user_sgpr_count 14
		.amdhsa_user_sgpr_dispatch_ptr 0
		.amdhsa_user_sgpr_queue_ptr 0
		.amdhsa_user_sgpr_kernarg_segment_ptr 1
		.amdhsa_user_sgpr_dispatch_id 0
		.amdhsa_user_sgpr_private_segment_size 0
		.amdhsa_wavefront_size32 1
		.amdhsa_uses_dynamic_stack 0
		.amdhsa_enable_private_segment 0
		.amdhsa_system_sgpr_workgroup_id_x 1
		.amdhsa_system_sgpr_workgroup_id_y 1
		.amdhsa_system_sgpr_workgroup_id_z 0
		.amdhsa_system_sgpr_workgroup_info 0
		.amdhsa_system_vgpr_workitem_id 1
		.amdhsa_next_free_vgpr 45
		.amdhsa_next_free_sgpr 16
		.amdhsa_reserve_vcc 1
		.amdhsa_float_round_mode_32 0
		.amdhsa_float_round_mode_16_64 0
		.amdhsa_float_denorm_mode_32 3
		.amdhsa_float_denorm_mode_16_64 3
		.amdhsa_dx10_clamp 1
		.amdhsa_ieee_mode 1
		.amdhsa_fp16_overflow 0
		.amdhsa_workgroup_processor_mode 1
		.amdhsa_memory_ordered 1
		.amdhsa_forward_progress 0
		.amdhsa_shared_vgpr_count 0
		.amdhsa_exception_fp_ieee_invalid_op 0
		.amdhsa_exception_fp_denorm_src 0
		.amdhsa_exception_fp_ieee_div_zero 0
		.amdhsa_exception_fp_ieee_overflow 0
		.amdhsa_exception_fp_ieee_underflow 0
		.amdhsa_exception_fp_ieee_inexact 0
		.amdhsa_exception_int_div_zero 0
	.end_amdhsa_kernel
	.section	.text._ZL13mul_mat_vec_qIN3c108BFloat16ELi32ELi4E10block_q5_1Li2EXadL_ZL17vec_dot_q5_1_q8_1PKvPK10block_q8_1RKiEEEvS4_S4_PT_iii,"axG",@progbits,_ZL13mul_mat_vec_qIN3c108BFloat16ELi32ELi4E10block_q5_1Li2EXadL_ZL17vec_dot_q5_1_q8_1PKvPK10block_q8_1RKiEEEvS4_S4_PT_iii,comdat
.Lfunc_end101:
	.size	_ZL13mul_mat_vec_qIN3c108BFloat16ELi32ELi4E10block_q5_1Li2EXadL_ZL17vec_dot_q5_1_q8_1PKvPK10block_q8_1RKiEEEvS4_S4_PT_iii, .Lfunc_end101-_ZL13mul_mat_vec_qIN3c108BFloat16ELi32ELi4E10block_q5_1Li2EXadL_ZL17vec_dot_q5_1_q8_1PKvPK10block_q8_1RKiEEEvS4_S4_PT_iii
                                        ; -- End function
	.section	.AMDGPU.csdata,"",@progbits
; Kernel info:
; codeLenInByte = 1328
; NumSgprs: 18
; NumVgprs: 45
; ScratchSize: 0
; MemoryBound: 0
; FloatMode: 240
; IeeeMode: 1
; LDSByteSize: 0 bytes/workgroup (compile time only)
; SGPRBlocks: 2
; VGPRBlocks: 5
; NumSGPRsForWavesPerEU: 18
; NumVGPRsForWavesPerEU: 45
; Occupancy: 16
; WaveLimiterHint : 0
; COMPUTE_PGM_RSRC2:SCRATCH_EN: 0
; COMPUTE_PGM_RSRC2:USER_SGPR: 14
; COMPUTE_PGM_RSRC2:TRAP_HANDLER: 0
; COMPUTE_PGM_RSRC2:TGID_X_EN: 1
; COMPUTE_PGM_RSRC2:TGID_Y_EN: 1
; COMPUTE_PGM_RSRC2:TGID_Z_EN: 0
; COMPUTE_PGM_RSRC2:TIDIG_COMP_CNT: 1
	.section	.text._ZL13mul_mat_vec_qIN3c108BFloat16ELi32ELi8E10block_q8_0Li2EXadL_ZL17vec_dot_q8_0_q8_1PKvPK10block_q8_1RKiEEEvS4_S4_PT_iii,"axG",@progbits,_ZL13mul_mat_vec_qIN3c108BFloat16ELi32ELi8E10block_q8_0Li2EXadL_ZL17vec_dot_q8_0_q8_1PKvPK10block_q8_1RKiEEEvS4_S4_PT_iii,comdat
	.globl	_ZL13mul_mat_vec_qIN3c108BFloat16ELi32ELi8E10block_q8_0Li2EXadL_ZL17vec_dot_q8_0_q8_1PKvPK10block_q8_1RKiEEEvS4_S4_PT_iii ; -- Begin function _ZL13mul_mat_vec_qIN3c108BFloat16ELi32ELi8E10block_q8_0Li2EXadL_ZL17vec_dot_q8_0_q8_1PKvPK10block_q8_1RKiEEEvS4_S4_PT_iii
	.p2align	8
	.type	_ZL13mul_mat_vec_qIN3c108BFloat16ELi32ELi8E10block_q8_0Li2EXadL_ZL17vec_dot_q8_0_q8_1PKvPK10block_q8_1RKiEEEvS4_S4_PT_iii,@function
_ZL13mul_mat_vec_qIN3c108BFloat16ELi32ELi8E10block_q8_0Li2EXadL_ZL17vec_dot_q8_0_q8_1PKvPK10block_q8_1RKiEEEvS4_S4_PT_iii: ; @_ZL13mul_mat_vec_qIN3c108BFloat16ELi32ELi8E10block_q8_0Li2EXadL_ZL17vec_dot_q8_0_q8_1PKvPK10block_q8_1RKiEEEvS4_S4_PT_iii
; %bb.0:
	s_clause 0x1
	s_load_b32 s2, s[0:1], 0x34
	s_load_b128 s[4:7], s[0:1], 0x18
	v_bfe_u32 v3, v0, 10, 10
	s_waitcnt lgkmcnt(0)
	s_lshr_b32 s2, s2, 16
	s_cmp_lt_u32 s15, s6
	s_delay_alu instid0(VALU_DEP_1) | instskip(SKIP_1) | instid1(VALU_DEP_1)
	v_mad_u64_u32 v[1:2], null, s14, s2, v[3:4]
	s_cselect_b32 s2, -1, 0
	v_cmp_gt_u32_e32 vcc_lo, s5, v1
	s_and_b32 s2, s2, vcc_lo
	s_delay_alu instid0(SALU_CYCLE_1)
	s_and_saveexec_b32 s3, s2
	s_cbranch_execz .LBB102_7
; %bb.1:
	s_load_b64 s[6:7], s[0:1], 0x10
	v_and_b32_e32 v0, 0x3ff, v0
	s_ashr_i32 s2, s4, 31
	v_mov_b32_e32 v2, 0
	s_lshr_b32 s2, s2, 27
	s_mov_b32 s8, exec_lo
	v_lshrrev_b32_e32 v3, 2, v0
	s_add_i32 s2, s4, s2
	s_delay_alu instid0(SALU_CYCLE_1)
	s_ashr_i32 s9, s2, 5
	s_delay_alu instid0(VALU_DEP_1) | instid1(SALU_CYCLE_1)
	v_cmpx_gt_u32_e64 s9, v3
	s_cbranch_execz .LBB102_5
; %bb.2:
	s_load_b128 s[0:3], s[0:1], 0x0
	s_addk_i32 s4, 0x1ff
	v_lshlrev_b32_e32 v2, 3, v0
	s_ashr_i32 s10, s4, 31
	v_mul_lo_u32 v4, v1, s9
	s_lshr_b32 s10, s10, 23
	s_delay_alu instid0(SALU_CYCLE_1) | instskip(SKIP_4) | instid1(SALU_CYCLE_1)
	s_add_i32 s4, s4, s10
	v_dual_mov_b32 v2, 0 :: v_dual_and_b32 v5, 24, v2
	s_ashr_i32 s4, s4, 9
	s_mov_b32 s10, 0
	s_mul_i32 s4, s15, s4
	s_lshl_b32 s4, s4, 4
	s_set_inst_prefetch_distance 0x1
	.p2align	6
.LBB102_3:                              ; =>This Inner Loop Header: Depth=1
	v_add_nc_u32_e32 v8, v4, v3
	v_add_nc_u32_e32 v10, s4, v3
	;; [unrolled: 1-line block ×3, first 2 shown]
	s_waitcnt lgkmcnt(0)
	s_delay_alu instid0(VALU_DEP_3) | instskip(NEXT) | instid1(VALU_DEP_3)
	v_mad_i64_i32 v[6:7], null, v8, 34, s[0:1]
	v_mad_i64_i32 v[8:9], null, v10, 36, s[2:3]
	s_delay_alu instid0(VALU_DEP_2) | instskip(NEXT) | instid1(VALU_DEP_3)
	v_add_co_u32 v10, vcc_lo, v6, v5
	v_add_co_ci_u32_e32 v11, vcc_lo, 0, v7, vcc_lo
	s_delay_alu instid0(VALU_DEP_3) | instskip(NEXT) | instid1(VALU_DEP_4)
	v_add_co_u32 v12, vcc_lo, v8, v5
	v_add_co_ci_u32_e32 v13, vcc_lo, 0, v9, vcc_lo
	v_cmp_le_u32_e32 vcc_lo, s9, v3
	global_load_b64 v[10:11], v[10:11], off offset:2
	global_load_b64 v[12:13], v[12:13], off offset:4
	global_load_u16 v6, v[6:7], off
	global_load_b32 v7, v[8:9], off
	s_or_b32 s10, vcc_lo, s10
	s_waitcnt vmcnt(2)
	v_perm_b32 v8, v12, v11, 0x6050004
	v_perm_b32 v9, v10, v13, 0x6050004
	;; [unrolled: 1-line block ×4, first 2 shown]
	s_waitcnt vmcnt(1)
	v_cvt_f32_f16_e32 v6, v6
	s_waitcnt vmcnt(0)
	v_cvt_f32_f16_e32 v7, v7
	v_dot4_i32_iu8 v8, v9, v8, 0 neg_lo:[1,1,0]
	s_delay_alu instid0(VALU_DEP_2) | instskip(NEXT) | instid1(VALU_DEP_2)
	v_mul_f32_e32 v6, v6, v7
	v_dot4_i32_iu8 v8, v10, v12, v8 neg_lo:[1,1,0]
	s_delay_alu instid0(VALU_DEP_1) | instskip(NEXT) | instid1(VALU_DEP_1)
	v_cvt_f32_i32_e32 v7, v8
	v_fmac_f32_e32 v2, v6, v7
	s_and_not1_b32 exec_lo, exec_lo, s10
	s_cbranch_execnz .LBB102_3
; %bb.4:
	s_set_inst_prefetch_distance 0x2
	s_or_b32 exec_lo, exec_lo, s10
.LBB102_5:
	s_delay_alu instid0(SALU_CYCLE_1) | instskip(SKIP_1) | instid1(VALU_DEP_1)
	s_or_b32 exec_lo, exec_lo, s8
	v_mbcnt_lo_u32_b32 v3, -1, 0
	v_xor_b32_e32 v4, 16, v3
	v_xor_b32_e32 v5, 8, v3
	s_delay_alu instid0(VALU_DEP_2) | instskip(SKIP_1) | instid1(VALU_DEP_3)
	v_cmp_gt_i32_e32 vcc_lo, 32, v4
	v_cndmask_b32_e32 v4, v3, v4, vcc_lo
	v_cmp_gt_i32_e32 vcc_lo, 32, v5
	v_cndmask_b32_e32 v5, v3, v5, vcc_lo
	s_delay_alu instid0(VALU_DEP_1) | instskip(NEXT) | instid1(VALU_DEP_4)
	v_lshlrev_b32_e32 v5, 2, v5
	v_lshlrev_b32_e32 v4, 2, v4
	ds_bpermute_b32 v4, v4, v2
	s_waitcnt lgkmcnt(0)
	v_add_f32_e32 v2, v2, v4
	ds_bpermute_b32 v4, v5, v2
	v_xor_b32_e32 v5, 4, v3
	s_delay_alu instid0(VALU_DEP_1) | instskip(SKIP_2) | instid1(VALU_DEP_1)
	v_cmp_gt_i32_e32 vcc_lo, 32, v5
	v_cndmask_b32_e32 v5, v3, v5, vcc_lo
	s_waitcnt lgkmcnt(0)
	v_dual_add_f32 v2, v2, v4 :: v_dual_lshlrev_b32 v5, 2, v5
	ds_bpermute_b32 v4, v5, v2
	v_xor_b32_e32 v5, 2, v3
	s_delay_alu instid0(VALU_DEP_1) | instskip(SKIP_2) | instid1(VALU_DEP_1)
	v_cmp_gt_i32_e32 vcc_lo, 32, v5
	s_waitcnt lgkmcnt(0)
	v_dual_cndmask_b32 v5, v3, v5 :: v_dual_add_f32 v2, v2, v4
	v_lshlrev_b32_e32 v5, 2, v5
	ds_bpermute_b32 v4, v5, v2
	v_xor_b32_e32 v5, 1, v3
	s_delay_alu instid0(VALU_DEP_1) | instskip(SKIP_3) | instid1(VALU_DEP_2)
	v_cmp_gt_i32_e32 vcc_lo, 32, v5
	v_cndmask_b32_e32 v3, v3, v5, vcc_lo
	v_cmp_eq_u32_e32 vcc_lo, 0, v0
	s_waitcnt lgkmcnt(0)
	v_dual_add_f32 v2, v2, v4 :: v_dual_lshlrev_b32 v3, 2, v3
	ds_bpermute_b32 v3, v3, v2
	s_and_b32 exec_lo, exec_lo, vcc_lo
	s_cbranch_execz .LBB102_7
; %bb.6:
	s_waitcnt lgkmcnt(0)
	v_add_f32_e32 v4, v2, v3
	v_mad_u64_u32 v[2:3], null, s15, s5, v[1:2]
	v_mov_b32_e32 v3, 0
	s_delay_alu instid0(VALU_DEP_3) | instskip(SKIP_1) | instid1(VALU_DEP_2)
	v_bfe_u32 v0, v4, 16, 1
	v_cmp_o_f32_e32 vcc_lo, v4, v4
	v_add3_u32 v0, v4, v0, 0x7fff
	s_delay_alu instid0(VALU_DEP_1) | instskip(SKIP_1) | instid1(VALU_DEP_2)
	v_lshrrev_b32_e32 v5, 16, v0
	v_lshlrev_b64 v[0:1], 1, v[2:3]
	v_cndmask_b32_e32 v2, 0x7fc0, v5, vcc_lo
	s_delay_alu instid0(VALU_DEP_2) | instskip(NEXT) | instid1(VALU_DEP_3)
	v_add_co_u32 v0, vcc_lo, s6, v0
	v_add_co_ci_u32_e32 v1, vcc_lo, s7, v1, vcc_lo
	global_store_b16 v[0:1], v2, off
.LBB102_7:
	s_nop 0
	s_sendmsg sendmsg(MSG_DEALLOC_VGPRS)
	s_endpgm
	.section	.rodata,"a",@progbits
	.p2align	6, 0x0
	.amdhsa_kernel _ZL13mul_mat_vec_qIN3c108BFloat16ELi32ELi8E10block_q8_0Li2EXadL_ZL17vec_dot_q8_0_q8_1PKvPK10block_q8_1RKiEEEvS4_S4_PT_iii
		.amdhsa_group_segment_fixed_size 0
		.amdhsa_private_segment_fixed_size 0
		.amdhsa_kernarg_size 296
		.amdhsa_user_sgpr_count 14
		.amdhsa_user_sgpr_dispatch_ptr 0
		.amdhsa_user_sgpr_queue_ptr 0
		.amdhsa_user_sgpr_kernarg_segment_ptr 1
		.amdhsa_user_sgpr_dispatch_id 0
		.amdhsa_user_sgpr_private_segment_size 0
		.amdhsa_wavefront_size32 1
		.amdhsa_uses_dynamic_stack 0
		.amdhsa_enable_private_segment 0
		.amdhsa_system_sgpr_workgroup_id_x 1
		.amdhsa_system_sgpr_workgroup_id_y 1
		.amdhsa_system_sgpr_workgroup_id_z 0
		.amdhsa_system_sgpr_workgroup_info 0
		.amdhsa_system_vgpr_workitem_id 1
		.amdhsa_next_free_vgpr 14
		.amdhsa_next_free_sgpr 16
		.amdhsa_reserve_vcc 1
		.amdhsa_float_round_mode_32 0
		.amdhsa_float_round_mode_16_64 0
		.amdhsa_float_denorm_mode_32 3
		.amdhsa_float_denorm_mode_16_64 3
		.amdhsa_dx10_clamp 1
		.amdhsa_ieee_mode 1
		.amdhsa_fp16_overflow 0
		.amdhsa_workgroup_processor_mode 1
		.amdhsa_memory_ordered 1
		.amdhsa_forward_progress 0
		.amdhsa_shared_vgpr_count 0
		.amdhsa_exception_fp_ieee_invalid_op 0
		.amdhsa_exception_fp_denorm_src 0
		.amdhsa_exception_fp_ieee_div_zero 0
		.amdhsa_exception_fp_ieee_overflow 0
		.amdhsa_exception_fp_ieee_underflow 0
		.amdhsa_exception_fp_ieee_inexact 0
		.amdhsa_exception_int_div_zero 0
	.end_amdhsa_kernel
	.section	.text._ZL13mul_mat_vec_qIN3c108BFloat16ELi32ELi8E10block_q8_0Li2EXadL_ZL17vec_dot_q8_0_q8_1PKvPK10block_q8_1RKiEEEvS4_S4_PT_iii,"axG",@progbits,_ZL13mul_mat_vec_qIN3c108BFloat16ELi32ELi8E10block_q8_0Li2EXadL_ZL17vec_dot_q8_0_q8_1PKvPK10block_q8_1RKiEEEvS4_S4_PT_iii,comdat
.Lfunc_end102:
	.size	_ZL13mul_mat_vec_qIN3c108BFloat16ELi32ELi8E10block_q8_0Li2EXadL_ZL17vec_dot_q8_0_q8_1PKvPK10block_q8_1RKiEEEvS4_S4_PT_iii, .Lfunc_end102-_ZL13mul_mat_vec_qIN3c108BFloat16ELi32ELi8E10block_q8_0Li2EXadL_ZL17vec_dot_q8_0_q8_1PKvPK10block_q8_1RKiEEEvS4_S4_PT_iii
                                        ; -- End function
	.section	.AMDGPU.csdata,"",@progbits
; Kernel info:
; codeLenInByte = 744
; NumSgprs: 18
; NumVgprs: 14
; ScratchSize: 0
; MemoryBound: 0
; FloatMode: 240
; IeeeMode: 1
; LDSByteSize: 0 bytes/workgroup (compile time only)
; SGPRBlocks: 2
; VGPRBlocks: 1
; NumSGPRsForWavesPerEU: 18
; NumVGPRsForWavesPerEU: 14
; Occupancy: 16
; WaveLimiterHint : 0
; COMPUTE_PGM_RSRC2:SCRATCH_EN: 0
; COMPUTE_PGM_RSRC2:USER_SGPR: 14
; COMPUTE_PGM_RSRC2:TRAP_HANDLER: 0
; COMPUTE_PGM_RSRC2:TGID_X_EN: 1
; COMPUTE_PGM_RSRC2:TGID_Y_EN: 1
; COMPUTE_PGM_RSRC2:TGID_Z_EN: 0
; COMPUTE_PGM_RSRC2:TIDIG_COMP_CNT: 1
	.section	.text._ZL13mul_mat_vec_qIN3c108BFloat16ELi256ELi16E10block_q2_KLi1EXadL_ZL17vec_dot_q2_K_q8_1PKvPK10block_q8_1RKiEEEvS4_S4_PT_iii,"axG",@progbits,_ZL13mul_mat_vec_qIN3c108BFloat16ELi256ELi16E10block_q2_KLi1EXadL_ZL17vec_dot_q2_K_q8_1PKvPK10block_q8_1RKiEEEvS4_S4_PT_iii,comdat
	.globl	_ZL13mul_mat_vec_qIN3c108BFloat16ELi256ELi16E10block_q2_KLi1EXadL_ZL17vec_dot_q2_K_q8_1PKvPK10block_q8_1RKiEEEvS4_S4_PT_iii ; -- Begin function _ZL13mul_mat_vec_qIN3c108BFloat16ELi256ELi16E10block_q2_KLi1EXadL_ZL17vec_dot_q2_K_q8_1PKvPK10block_q8_1RKiEEEvS4_S4_PT_iii
	.p2align	8
	.type	_ZL13mul_mat_vec_qIN3c108BFloat16ELi256ELi16E10block_q2_KLi1EXadL_ZL17vec_dot_q2_K_q8_1PKvPK10block_q8_1RKiEEEvS4_S4_PT_iii,@function
_ZL13mul_mat_vec_qIN3c108BFloat16ELi256ELi16E10block_q2_KLi1EXadL_ZL17vec_dot_q2_K_q8_1PKvPK10block_q8_1RKiEEEvS4_S4_PT_iii: ; @_ZL13mul_mat_vec_qIN3c108BFloat16ELi256ELi16E10block_q2_KLi1EXadL_ZL17vec_dot_q2_K_q8_1PKvPK10block_q8_1RKiEEEvS4_S4_PT_iii
; %bb.0:
	s_clause 0x1
	s_load_b32 s2, s[0:1], 0x34
	s_load_b128 s[4:7], s[0:1], 0x18
	v_bfe_u32 v3, v0, 10, 10
	s_waitcnt lgkmcnt(0)
	s_lshr_b32 s2, s2, 16
	s_cmp_lt_u32 s15, s6
	s_delay_alu instid0(VALU_DEP_1) | instskip(SKIP_1) | instid1(VALU_DEP_1)
	v_mad_u64_u32 v[1:2], null, s14, s2, v[3:4]
	s_cselect_b32 s2, -1, 0
	v_cmp_gt_u32_e32 vcc_lo, s5, v1
	s_and_b32 s2, s2, vcc_lo
	s_delay_alu instid0(SALU_CYCLE_1)
	s_and_saveexec_b32 s3, s2
	s_cbranch_execz .LBB103_7
; %bb.1:
	s_load_b64 s[6:7], s[0:1], 0x10
	v_dual_mov_b32 v3, 0 :: v_dual_and_b32 v0, 0x3ff, v0
	s_ashr_i32 s2, s4, 31
	s_mov_b32 s8, exec_lo
	s_lshr_b32 s2, s2, 24
	s_delay_alu instid0(VALU_DEP_1) | instskip(SKIP_1) | instid1(SALU_CYCLE_1)
	v_lshrrev_b32_e32 v8, 4, v0
	s_add_i32 s2, s4, s2
	s_ashr_i32 s9, s2, 8
	s_delay_alu instid0(VALU_DEP_1) | instid1(SALU_CYCLE_1)
	v_cmpx_gt_u32_e64 s9, v8
	s_cbranch_execz .LBB103_5
; %bb.2:
	v_dual_mov_b32 v3, 0 :: v_dual_and_b32 v4, 15, v0
	s_load_b128 s[0:3], s[0:1], 0x0
	s_addk_i32 s4, 0x1ff
	v_lshlrev_b32_e32 v12, 3, v8
	s_delay_alu instid0(VALU_DEP_2)
	v_add_nc_u32_e32 v2, -8, v4
	v_cmp_gt_u32_e32 vcc_lo, 8, v4
	s_ashr_i32 s10, s4, 31
	v_lshlrev_b32_e32 v10, 2, v4
	s_lshr_b32 s10, s10, 23
	v_mul_lo_u32 v9, v1, s9
	v_cndmask_b32_e32 v2, v2, v4, vcc_lo
	v_cmp_lt_u32_e32 vcc_lo, 7, v4
	s_add_i32 s4, s4, s10
	s_delay_alu instid0(SALU_CYCLE_1) | instskip(NEXT) | instid1(VALU_DEP_2)
	s_ashr_i32 s4, s4, 9
	v_sub_nc_u32_e32 v4, v4, v2
	v_cndmask_b32_e64 v5, 0, 1, vcc_lo
	v_cmp_lt_u32_e32 vcc_lo, 3, v2
	s_mul_i32 s4, s15, s4
	s_delay_alu instid0(SALU_CYCLE_1) | instskip(NEXT) | instid1(VALU_DEP_3)
	v_lshl_add_u32 v12, s4, 4, v12
	v_lshlrev_b32_e32 v6, 2, v5
	v_add_co_ci_u32_e32 v11, vcc_lo, 0, v4, vcc_lo
	s_waitcnt lgkmcnt(0)
	s_delay_alu instid0(VALU_DEP_2) | instskip(SKIP_1) | instid1(VALU_DEP_3)
	v_mad_u64_u32 v[4:5], null, v6, 36, s[2:3]
	v_lshlrev_b64 v[6:7], 2, v[2:3]
	v_ashrrev_i32_e32 v2, 31, v11
	s_mov_b32 s2, 0
.LBB103_3:                              ; =>This Inner Loop Header: Depth=1
	s_delay_alu instid0(VALU_DEP_3)
	v_mad_i64_i32 v[13:14], null, v12, 36, v[4:5]
	v_add_nc_u32_e32 v17, v9, v8
	v_add_nc_u32_e32 v8, 2, v8
	v_add_nc_u32_e32 v12, 16, v12
	s_clause 0x2
	global_load_b32 v27, v[13:14], off
	global_load_b32 v28, v[13:14], off offset:36
	global_load_b32 v29, v[13:14], off offset:72
	v_mad_i64_i32 v[15:16], null, 0x54, v17, s[0:1]
	v_add_co_u32 v17, vcc_lo, v13, v6
	v_add_co_ci_u32_e32 v18, vcc_lo, v14, v7, vcc_lo
	v_add_co_u32 v21, vcc_lo, v13, 36
	v_add_co_ci_u32_e32 v22, vcc_lo, 0, v14, vcc_lo
	;; [unrolled: 2-line block ×5, first 2 shown]
	global_load_b32 v30, v[17:18], off offset:4
	v_add_co_u32 v17, vcc_lo, v21, v6
	v_add_co_ci_u32_e32 v18, vcc_lo, v22, v7, vcc_lo
	v_add_co_u32 v21, vcc_lo, v23, v6
	v_add_co_ci_u32_e32 v22, vcc_lo, v24, v7, vcc_lo
	;; [unrolled: 2-line block ×4, first 2 shown]
	s_clause 0x1
	global_load_b32 v19, v[19:20], off offset:16
	global_load_u8 v20, v[25:26], off
	global_load_b32 v17, v[17:18], off offset:4
	global_load_u8 v18, v[25:26], off offset:2
	global_load_b32 v21, v[21:22], off offset:4
	global_load_u8 v22, v[25:26], off offset:4
	global_load_b32 v23, v[23:24], off offset:4
	s_clause 0x1
	global_load_u8 v24, v[25:26], off offset:6
	global_load_b32 v15, v[15:16], off offset:80
	global_load_b32 v13, v[13:14], off offset:108
	v_cmp_le_u32_e32 vcc_lo, s9, v8
	s_or_b32 s2, vcc_lo, s2
	s_waitcnt vmcnt(10)
	v_bfe_i32 v25, v30, 16, 8
	v_ashrrev_i32_e32 v26, 24, v30
	v_bfe_i32 v14, v30, 0, 8
	v_bfe_i32 v16, v30, 8, 8
	v_perm_b32 v30, v30, v30, 0xc0c0201
	s_waitcnt vmcnt(9)
	v_bfe_u32 v33, v19, 16, 2
	v_bfe_u32 v34, v19, 24, 2
	s_waitcnt vmcnt(8)
	v_and_b32_e32 v35, 15, v20
	v_lshrrev_b32_e32 v20, 4, v20
	v_and_b32_e32 v31, 3, v19
	v_ashrrev_i32_e32 v36, 2, v19
	v_ashrrev_i32_e32 v42, 4, v19
	s_waitcnt vmcnt(6)
	v_and_b32_e32 v41, 15, v18
	v_lshrrev_b32_e32 v18, 4, v18
	v_mul_i32_i24_e32 v25, v25, v33
	v_mul_i32_i24_e32 v33, v26, v34
	v_mul_lo_u32 v34, 0x1010101, v20
	v_bfe_u32 v32, v19, 8, 2
	v_bfe_i32 v37, v17, 0, 8
	s_waitcnt vmcnt(5)
	v_bfe_i32 v45, v21, 16, 8
	v_ashrrev_i32_e32 v19, 6, v19
	v_mul_i32_i24_e32 v31, v14, v31
	v_mul_i32_i24_e32 v14, v20, v14
	v_and_b32_e32 v20, 3, v36
	v_bfe_u32 v59, v42, 16, 2
	s_waitcnt vmcnt(4)
	v_and_b32_e32 v47, 15, v22
	v_lshrrev_b32_e32 v22, 4, v22
	v_mul_lo_u32 v56, 0x1010101, v18
	v_ashrrev_i32_e32 v40, 24, v17
	v_bfe_i32 v43, v21, 0, 8
	s_waitcnt vmcnt(3)
	v_bfe_i32 v50, v23, 16, 8
	v_bfe_u32 v54, v36, 8, 2
	v_bfe_u32 v55, v36, 16, 2
	;; [unrolled: 1-line block ×3, first 2 shown]
	v_mul_i32_i24_e32 v18, v18, v37
	v_and_b32_e32 v57, 3, v42
	v_bfe_u32 v63, v19, 16, 2
	v_mul_i32_i24_e32 v20, v37, v20
	v_mul_i32_i24_e32 v37, v45, v59
	v_lshrrev_b32_e32 v45, 24, v34
	v_perm_b32 v34, v34, v34, 0xc0c0201
	v_bfe_i32 v38, v17, 8, 8
	v_bfe_i32 v39, v17, 16, 8
	s_waitcnt vmcnt(2)
	v_and_b32_e32 v52, 15, v24
	v_lshrrev_b32_e32 v24, 4, v24
	v_mul_lo_u32 v60, 0x1010101, v22
	v_mad_i32_i24 v16, v16, v32, v31
	v_perm_b32 v17, v17, v17, 0xc0c0201
	v_ashrrev_i32_e32 v46, 24, v21
	v_bfe_i32 v48, v23, 0, 8
	v_bfe_u32 v58, v42, 8, 2
	v_bfe_u32 v42, v42, 24, 2
	v_mul_i32_i24_e32 v22, v22, v43
	v_and_b32_e32 v61, 3, v19
	v_mul_i32_i24_e32 v32, v40, v36
	v_mul_i32_i24_e32 v36, v43, v57
	;; [unrolled: 1-line block ×3, first 2 shown]
	v_perm_b32 v50, v56, v56, 0xc0c0201
	v_dot4_i32_iu8 v14, v34, v30, v14 neg_lo:[1,1,0]
	v_bfe_i32 v44, v21, 8, 8
	v_mul_lo_u32 v64, 0x1010101, v24
	v_mul_i32_i24_e32 v31, v39, v55
	v_add3_u32 v16, v16, v25, v33
	v_mad_i32_i24 v20, v38, v54, v20
	v_perm_b32 v21, v21, v21, 0xc0c0201
	v_mul_i32_i24_e32 v24, v24, v48
	v_mul_i32_i24_e32 v39, v46, v42
	;; [unrolled: 1-line block ×3, first 2 shown]
	v_lshrrev_b32_e32 v48, 24, v56
	v_perm_b32 v56, v60, v60, 0xc0c0201
	v_dot4_i32_iu8 v17, v50, v17, v18 neg_lo:[1,1,0]
	v_mad_i32_i24 v14, v45, v26, v14
	v_bfe_i32 v49, v23, 8, 8
	v_ashrrev_i32_e32 v51, 24, v23
	v_bfe_u32 v62, v19, 8, 2
	v_bfe_u32 v19, v19, 24, 2
	v_mad_i32_i24 v25, v44, v58, v36
	v_mul_lo_u32 v16, v35, v16
	v_add3_u32 v20, v20, v31, v32
	v_perm_b32 v23, v23, v23, 0xc0c0201
	v_lshrrev_b32_e32 v55, 24, v60
	v_perm_b32 v59, v64, v64, 0xc0c0201
	v_dot4_i32_iu8 v18, v56, v21, v22 neg_lo:[1,1,0]
	v_mad_i32_i24 v17, v48, v40, v17
	v_cvt_f32_i32_e32 v14, v14
	v_mul_i32_i24_e32 v19, v51, v19
	v_mad_i32_i24 v33, v49, v62, v42
	v_add3_u32 v22, v25, v37, v39
	v_mul_lo_u32 v20, v41, v20
	v_lshrrev_b32_e32 v57, 24, v64
	v_dot4_i32_iu8 v21, v59, v23, v24 neg_lo:[1,1,0]
	v_mad_i32_i24 v18, v55, v46, v18
	v_cvt_f32_i32_e32 v16, v16
	v_cvt_f32_i32_e32 v17, v17
	v_fma_mix_f32 v14, v27, v14, 0 op_sel_hi:[1,0,0]
	v_add3_u32 v19, v33, v43, v19
	v_mul_lo_u32 v22, v47, v22
	v_mad_i32_i24 v21, v57, v51, v21
	v_cvt_f32_i32_e32 v18, v18
	v_fma_mix_f32 v16, v27, v16, 0 op_sel_hi:[1,0,0]
	v_cvt_f32_i32_e32 v20, v20
	v_fma_mix_f32 v14, v28, v17, v14 op_sel_hi:[1,0,0]
	v_mul_lo_u32 v17, v52, v19
	s_waitcnt vmcnt(1)
	v_lshrrev_b32_e32 v53, 16, v15
	v_cvt_f32_i32_e32 v19, v21
	v_cvt_f32_i32_e32 v21, v22
	v_fma_mix_f32 v16, v28, v20, v16 op_sel_hi:[1,0,0]
	v_fma_mix_f32 v14, v29, v18, v14 op_sel_hi:[1,0,0]
	v_cvt_f32_f16_e32 v18, v53
	v_cvt_f32_i32_e32 v17, v17
	s_delay_alu instid0(VALU_DEP_4) | instskip(SKIP_2) | instid1(VALU_DEP_2)
	v_fma_mix_f32 v16, v29, v21, v16 op_sel_hi:[1,0,0]
	s_waitcnt vmcnt(0)
	v_fma_mix_f32 v14, v13, v19, v14 op_sel_hi:[1,0,0]
	v_fma_mix_f32 v13, v13, v17, v16 op_sel_hi:[1,0,0]
	s_delay_alu instid0(VALU_DEP_2) | instskip(NEXT) | instid1(VALU_DEP_1)
	v_mul_f32_e32 v14, v14, v18
	v_fma_mix_f32 v13, v13, v15, -v14 op_sel_hi:[0,1,0]
	s_delay_alu instid0(VALU_DEP_1)
	v_add_f32_e32 v3, v3, v13
	s_and_not1_b32 exec_lo, exec_lo, s2
	s_cbranch_execnz .LBB103_3
; %bb.4:
	s_or_b32 exec_lo, exec_lo, s2
.LBB103_5:
	s_delay_alu instid0(SALU_CYCLE_1) | instskip(SKIP_1) | instid1(VALU_DEP_1)
	s_or_b32 exec_lo, exec_lo, s8
	v_mbcnt_lo_u32_b32 v2, -1, 0
	v_xor_b32_e32 v4, 16, v2
	v_xor_b32_e32 v5, 8, v2
	s_delay_alu instid0(VALU_DEP_2) | instskip(SKIP_1) | instid1(VALU_DEP_3)
	v_cmp_gt_i32_e32 vcc_lo, 32, v4
	v_cndmask_b32_e32 v4, v2, v4, vcc_lo
	v_cmp_gt_i32_e32 vcc_lo, 32, v5
	v_cndmask_b32_e32 v5, v2, v5, vcc_lo
	s_delay_alu instid0(VALU_DEP_1) | instskip(NEXT) | instid1(VALU_DEP_4)
	v_lshlrev_b32_e32 v5, 2, v5
	v_lshlrev_b32_e32 v4, 2, v4
	ds_bpermute_b32 v4, v4, v3
	s_waitcnt lgkmcnt(0)
	v_add_f32_e32 v3, v3, v4
	ds_bpermute_b32 v4, v5, v3
	v_xor_b32_e32 v5, 4, v2
	s_delay_alu instid0(VALU_DEP_1) | instskip(SKIP_1) | instid1(VALU_DEP_1)
	v_cmp_gt_i32_e32 vcc_lo, 32, v5
	v_cndmask_b32_e32 v5, v2, v5, vcc_lo
	v_lshlrev_b32_e32 v5, 2, v5
	s_waitcnt lgkmcnt(0)
	v_add_f32_e32 v3, v3, v4
	ds_bpermute_b32 v4, v5, v3
	v_xor_b32_e32 v5, 2, v2
	s_delay_alu instid0(VALU_DEP_1) | instskip(SKIP_1) | instid1(VALU_DEP_1)
	v_cmp_gt_i32_e32 vcc_lo, 32, v5
	v_cndmask_b32_e32 v5, v2, v5, vcc_lo
	v_lshlrev_b32_e32 v5, 2, v5
	s_waitcnt lgkmcnt(0)
	v_add_f32_e32 v3, v3, v4
	ds_bpermute_b32 v4, v5, v3
	v_xor_b32_e32 v5, 1, v2
	s_delay_alu instid0(VALU_DEP_1) | instskip(SKIP_3) | instid1(VALU_DEP_2)
	v_cmp_gt_i32_e32 vcc_lo, 32, v5
	v_cndmask_b32_e32 v5, v2, v5, vcc_lo
	v_cmp_eq_u32_e32 vcc_lo, 0, v0
	s_waitcnt lgkmcnt(0)
	v_dual_add_f32 v2, v3, v4 :: v_dual_lshlrev_b32 v3, 2, v5
	ds_bpermute_b32 v3, v3, v2
	s_and_b32 exec_lo, exec_lo, vcc_lo
	s_cbranch_execz .LBB103_7
; %bb.6:
	s_waitcnt lgkmcnt(0)
	v_add_f32_e32 v4, v2, v3
	v_mad_u64_u32 v[2:3], null, s15, s5, v[1:2]
	v_mov_b32_e32 v3, 0
	s_delay_alu instid0(VALU_DEP_3) | instskip(SKIP_1) | instid1(VALU_DEP_2)
	v_bfe_u32 v0, v4, 16, 1
	v_cmp_o_f32_e32 vcc_lo, v4, v4
	v_add3_u32 v0, v4, v0, 0x7fff
	s_delay_alu instid0(VALU_DEP_1) | instskip(SKIP_1) | instid1(VALU_DEP_2)
	v_lshrrev_b32_e32 v5, 16, v0
	v_lshlrev_b64 v[0:1], 1, v[2:3]
	v_cndmask_b32_e32 v2, 0x7fc0, v5, vcc_lo
	s_delay_alu instid0(VALU_DEP_2) | instskip(NEXT) | instid1(VALU_DEP_3)
	v_add_co_u32 v0, vcc_lo, s6, v0
	v_add_co_ci_u32_e32 v1, vcc_lo, s7, v1, vcc_lo
	global_store_b16 v[0:1], v2, off
.LBB103_7:
	s_nop 0
	s_sendmsg sendmsg(MSG_DEALLOC_VGPRS)
	s_endpgm
	.section	.rodata,"a",@progbits
	.p2align	6, 0x0
	.amdhsa_kernel _ZL13mul_mat_vec_qIN3c108BFloat16ELi256ELi16E10block_q2_KLi1EXadL_ZL17vec_dot_q2_K_q8_1PKvPK10block_q8_1RKiEEEvS4_S4_PT_iii
		.amdhsa_group_segment_fixed_size 0
		.amdhsa_private_segment_fixed_size 0
		.amdhsa_kernarg_size 296
		.amdhsa_user_sgpr_count 14
		.amdhsa_user_sgpr_dispatch_ptr 0
		.amdhsa_user_sgpr_queue_ptr 0
		.amdhsa_user_sgpr_kernarg_segment_ptr 1
		.amdhsa_user_sgpr_dispatch_id 0
		.amdhsa_user_sgpr_private_segment_size 0
		.amdhsa_wavefront_size32 1
		.amdhsa_uses_dynamic_stack 0
		.amdhsa_enable_private_segment 0
		.amdhsa_system_sgpr_workgroup_id_x 1
		.amdhsa_system_sgpr_workgroup_id_y 1
		.amdhsa_system_sgpr_workgroup_id_z 0
		.amdhsa_system_sgpr_workgroup_info 0
		.amdhsa_system_vgpr_workitem_id 1
		.amdhsa_next_free_vgpr 65
		.amdhsa_next_free_sgpr 16
		.amdhsa_reserve_vcc 1
		.amdhsa_float_round_mode_32 0
		.amdhsa_float_round_mode_16_64 0
		.amdhsa_float_denorm_mode_32 3
		.amdhsa_float_denorm_mode_16_64 3
		.amdhsa_dx10_clamp 1
		.amdhsa_ieee_mode 1
		.amdhsa_fp16_overflow 0
		.amdhsa_workgroup_processor_mode 1
		.amdhsa_memory_ordered 1
		.amdhsa_forward_progress 0
		.amdhsa_shared_vgpr_count 0
		.amdhsa_exception_fp_ieee_invalid_op 0
		.amdhsa_exception_fp_denorm_src 0
		.amdhsa_exception_fp_ieee_div_zero 0
		.amdhsa_exception_fp_ieee_overflow 0
		.amdhsa_exception_fp_ieee_underflow 0
		.amdhsa_exception_fp_ieee_inexact 0
		.amdhsa_exception_int_div_zero 0
	.end_amdhsa_kernel
	.section	.text._ZL13mul_mat_vec_qIN3c108BFloat16ELi256ELi16E10block_q2_KLi1EXadL_ZL17vec_dot_q2_K_q8_1PKvPK10block_q8_1RKiEEEvS4_S4_PT_iii,"axG",@progbits,_ZL13mul_mat_vec_qIN3c108BFloat16ELi256ELi16E10block_q2_KLi1EXadL_ZL17vec_dot_q2_K_q8_1PKvPK10block_q8_1RKiEEEvS4_S4_PT_iii,comdat
.Lfunc_end103:
	.size	_ZL13mul_mat_vec_qIN3c108BFloat16ELi256ELi16E10block_q2_KLi1EXadL_ZL17vec_dot_q2_K_q8_1PKvPK10block_q8_1RKiEEEvS4_S4_PT_iii, .Lfunc_end103-_ZL13mul_mat_vec_qIN3c108BFloat16ELi256ELi16E10block_q2_KLi1EXadL_ZL17vec_dot_q2_K_q8_1PKvPK10block_q8_1RKiEEEvS4_S4_PT_iii
                                        ; -- End function
	.section	.AMDGPU.csdata,"",@progbits
; Kernel info:
; codeLenInByte = 1716
; NumSgprs: 18
; NumVgprs: 65
; ScratchSize: 0
; MemoryBound: 0
; FloatMode: 240
; IeeeMode: 1
; LDSByteSize: 0 bytes/workgroup (compile time only)
; SGPRBlocks: 2
; VGPRBlocks: 8
; NumSGPRsForWavesPerEU: 18
; NumVGPRsForWavesPerEU: 65
; Occupancy: 16
; WaveLimiterHint : 0
; COMPUTE_PGM_RSRC2:SCRATCH_EN: 0
; COMPUTE_PGM_RSRC2:USER_SGPR: 14
; COMPUTE_PGM_RSRC2:TRAP_HANDLER: 0
; COMPUTE_PGM_RSRC2:TGID_X_EN: 1
; COMPUTE_PGM_RSRC2:TGID_Y_EN: 1
; COMPUTE_PGM_RSRC2:TGID_Z_EN: 0
; COMPUTE_PGM_RSRC2:TIDIG_COMP_CNT: 1
	.section	.text._ZL13mul_mat_vec_qIN3c108BFloat16ELi256ELi16E10block_q3_KLi1EXadL_ZL17vec_dot_q3_K_q8_1PKvPK10block_q8_1RKiEEEvS4_S4_PT_iii,"axG",@progbits,_ZL13mul_mat_vec_qIN3c108BFloat16ELi256ELi16E10block_q3_KLi1EXadL_ZL17vec_dot_q3_K_q8_1PKvPK10block_q8_1RKiEEEvS4_S4_PT_iii,comdat
	.globl	_ZL13mul_mat_vec_qIN3c108BFloat16ELi256ELi16E10block_q3_KLi1EXadL_ZL17vec_dot_q3_K_q8_1PKvPK10block_q8_1RKiEEEvS4_S4_PT_iii ; -- Begin function _ZL13mul_mat_vec_qIN3c108BFloat16ELi256ELi16E10block_q3_KLi1EXadL_ZL17vec_dot_q3_K_q8_1PKvPK10block_q8_1RKiEEEvS4_S4_PT_iii
	.p2align	8
	.type	_ZL13mul_mat_vec_qIN3c108BFloat16ELi256ELi16E10block_q3_KLi1EXadL_ZL17vec_dot_q3_K_q8_1PKvPK10block_q8_1RKiEEEvS4_S4_PT_iii,@function
_ZL13mul_mat_vec_qIN3c108BFloat16ELi256ELi16E10block_q3_KLi1EXadL_ZL17vec_dot_q3_K_q8_1PKvPK10block_q8_1RKiEEEvS4_S4_PT_iii: ; @_ZL13mul_mat_vec_qIN3c108BFloat16ELi256ELi16E10block_q3_KLi1EXadL_ZL17vec_dot_q3_K_q8_1PKvPK10block_q8_1RKiEEEvS4_S4_PT_iii
; %bb.0:
	s_clause 0x1
	s_load_b32 s2, s[0:1], 0x34
	s_load_b128 s[4:7], s[0:1], 0x18
	v_bfe_u32 v3, v0, 10, 10
	s_waitcnt lgkmcnt(0)
	s_lshr_b32 s2, s2, 16
	s_cmp_lt_u32 s15, s6
	s_delay_alu instid0(VALU_DEP_1) | instskip(SKIP_1) | instid1(VALU_DEP_1)
	v_mad_u64_u32 v[1:2], null, s14, s2, v[3:4]
	s_cselect_b32 s2, -1, 0
	v_cmp_gt_u32_e32 vcc_lo, s5, v1
	s_and_b32 s2, s2, vcc_lo
	s_delay_alu instid0(SALU_CYCLE_1)
	s_and_saveexec_b32 s3, s2
	s_cbranch_execz .LBB104_7
; %bb.1:
	s_load_b64 s[6:7], s[0:1], 0x10
	v_dual_mov_b32 v3, 0 :: v_dual_and_b32 v0, 0x3ff, v0
	s_ashr_i32 s2, s4, 31
	s_mov_b32 s8, exec_lo
	s_lshr_b32 s2, s2, 24
	s_delay_alu instid0(VALU_DEP_1) | instskip(SKIP_1) | instid1(SALU_CYCLE_1)
	v_lshrrev_b32_e32 v8, 4, v0
	s_add_i32 s2, s4, s2
	s_ashr_i32 s9, s2, 8
	s_delay_alu instid0(VALU_DEP_1) | instid1(SALU_CYCLE_1)
	v_cmpx_gt_u32_e64 s9, v8
	s_cbranch_execz .LBB104_5
; %bb.2:
	v_and_b32_e32 v4, 15, v0
	s_load_b128 s[0:3], s[0:1], 0x0
	s_addk_i32 s4, 0x1ff
	v_lshlrev_b32_e32 v35, 3, v8
	s_ashr_i32 s10, s4, 31
	v_add_nc_u32_e32 v2, -8, v4
	v_cmp_gt_u32_e32 vcc_lo, 8, v4
	s_lshr_b32 s10, s10, 23
	v_mul_lo_u32 v9, v1, s9
	s_add_i32 s4, s4, s10
	v_cndmask_b32_e32 v2, v2, v4, vcc_lo
	s_ashr_i32 s4, s4, 9
	s_delay_alu instid0(SALU_CYCLE_1) | instskip(NEXT) | instid1(VALU_DEP_1)
	s_mul_i32 s4, s15, s4
	v_sub_nc_u32_e32 v3, v4, v2
	v_cmp_lt_u32_e32 vcc_lo, 3, v2
	v_lshl_add_u32 v35, s4, 4, v35
	s_delay_alu instid0(VALU_DEP_3) | instskip(SKIP_3) | instid1(VALU_DEP_4)
	v_add_co_ci_u32_e32 v6, vcc_lo, 0, v3, vcc_lo
	v_mov_b32_e32 v3, 0
	v_cmp_lt_u32_e32 vcc_lo, 7, v4
	v_lshlrev_b32_e32 v10, 2, v4
	v_bfe_i32 v7, v6, 0, 8
	v_add_nc_u16 v20, v6, 2
	v_add_nc_u16 v26, v6, 4
	v_cndmask_b32_e64 v5, 0, 1, vcc_lo
	v_add_nc_u16 v29, v6, 6
	v_lshrrev_b16 v4, 7, v7
	v_bfe_i32 v7, v20, 0, 8
	v_bfe_i32 v12, v26, 0, 8
	v_lshlrev_b32_e32 v11, 2, v5
	v_bfe_i32 v23, v29, 0, 8
	v_and_b32_e32 v13, 0xff, v4
	v_lshrrev_b16 v7, 7, v7
	v_lshlrev_b64 v[4:5], 2, v[2:3]
	v_lshrrev_b16 v2, 7, v12
	v_lshrrev_b16 v23, 7, v23
	;; [unrolled: 1-line block ×4, first 2 shown]
	v_and_b32_e32 v7, 0xff, v7
	v_and_b32_e32 v21, 0xff, v2
	;; [unrolled: 1-line block ×3, first 2 shown]
	v_add_nc_u16 v2, v6, v12
	v_add_nc_u16 v12, v6, v13
	v_lshrrev_b16 v13, 5, v7
	v_lshrrev_b16 v7, 6, v7
	;; [unrolled: 1-line block ×3, first 2 shown]
	v_bfe_i32 v15, v2, 0, 8
	v_and_b32_e32 v2, 0xf8, v2
	v_bfe_i32 v16, v12, 0, 8
	v_and_b32_e32 v12, 0xfc, v12
	v_add_nc_u16 v13, v20, v13
	v_add_nc_u16 v7, v20, v7
	;; [unrolled: 1-line block ×3, first 2 shown]
	v_lshrrev_b16 v14, 3, v15
	v_sub_nc_u16 v2, v6, v2
	v_ashrrev_i16 v15, 2, v16
	v_sub_nc_u16 v6, v6, v12
	v_bfe_i32 v12, v13, 0, 8
	v_bfe_i32 v16, v7, 0, 8
	v_and_b32_e32 v13, 0xf8, v13
	v_bfe_i32 v17, v15, 0, 16
	v_and_b32_e32 v7, 0xfc, v7
	v_lshrrev_b16 v15, 3, v12
	v_bfe_i32 v12, v6, 0, 8
	v_ashrrev_i16 v6, 2, v16
	v_bfe_i32 v24, v22, 0, 8
	v_lshrrev_b16 v21, 6, v21
	v_sub_nc_u16 v18, v20, v13
	v_sub_nc_u16 v7, v20, v7
	v_bfe_i32 v6, v6, 0, 16
	v_lshrrev_b16 v25, 5, v28
	v_add_nc_u16 v27, v26, v21
	v_lshrrev_b16 v28, 6, v28
	v_bfe_i32 v21, v7, 0, 8
	v_lshlrev_b32_e32 v20, 1, v6
	v_lshrrev_b16 v6, 3, v24
	v_bfe_i32 v7, v27, 0, 8
	v_and_b32_e32 v22, 0xf8, v22
	v_and_b32_e32 v27, 0xfc, v27
	v_add_nc_u16 v28, v29, v28
	v_and_b32_e32 v6, 0xff, v6
	v_and_b32_e32 v14, 0xff, v14
	v_sub_nc_u16 v22, v26, v22
	v_sub_nc_u16 v27, v26, v27
	v_and_b32_e32 v31, 0xfc, v28
	v_lshlrev_b32_e32 v24, 2, v6
	v_lshrrev_b16 v6, 2, v7
	v_add_nc_u16 v7, v29, v25
	v_bfe_i32 v2, v2, 0, 8
	v_sub_nc_u16 v32, v29, v31
	v_lshlrev_b32_e32 v13, 2, v14
	v_and_b32_e32 v6, 0xff, v6
	v_bfe_i32 v30, v7, 0, 8
	v_and_b32_e32 v7, 0xf8, v7
	v_and_b32_e32 v19, 0xff, v15
	v_bfe_i32 v14, v18, 0, 8
	v_lshlrev_b32_e32 v26, 1, v6
	v_lshrrev_b16 v6, 3, v30
	v_sub_nc_u16 v7, v29, v7
	v_bfe_i32 v30, v28, 0, 8
	v_bfe_i32 v22, v22, 0, 8
	;; [unrolled: 1-line block ×3, first 2 shown]
	v_and_b32_e32 v6, 0xff, v6
	v_bfe_i32 v28, v7, 0, 8
	v_lshrrev_b16 v7, 2, v30
	v_bfe_i32 v32, v32, 0, 8
	v_ashrrev_i32_e32 v15, 31, v2
	v_lshlrev_b32_e32 v30, 2, v6
	v_lshlrev_b32_e32 v16, 1, v17
	v_and_b32_e32 v33, 0xff, v7
	s_waitcnt lgkmcnt(0)
	v_mad_u64_u32 v[6:7], null, v11, 36, s[2:3]
	v_ashrrev_i32_e32 v17, 31, v12
	v_lshlrev_b32_e32 v18, 2, v19
	v_ashrrev_i32_e32 v19, 31, v14
	v_ashrrev_i32_e32 v23, 31, v21
	;; [unrolled: 1-line block ×5, first 2 shown]
	v_lshlrev_b32_e32 v33, 1, v33
	v_ashrrev_i32_e32 v34, 31, v32
	s_mov_b32 s2, 0
.LBB104_3:                              ; =>This Inner Loop Header: Depth=1
	v_mad_i64_i32 v[36:37], null, v35, 36, v[6:7]
	v_add_nc_u32_e32 v40, v9, v8
	v_add_nc_u32_e32 v8, 2, v8
	;; [unrolled: 1-line block ×3, first 2 shown]
	s_delay_alu instid0(VALU_DEP_3)
	v_mad_i64_i32 v[38:39], null, 0x6e, v40, s[0:1]
	v_add_co_u32 v40, vcc_lo, v36, v4
	v_add_co_ci_u32_e32 v41, vcc_lo, v37, v5, vcc_lo
	v_add_co_u32 v46, vcc_lo, v36, 36
	v_add_co_ci_u32_e32 v47, vcc_lo, 0, v37, vcc_lo
	v_add_co_u32 v48, vcc_lo, 0x48, v36
	v_add_co_ci_u32_e32 v49, vcc_lo, 0, v37, vcc_lo
	v_add_co_u32 v62, vcc_lo, 0x6c, v36
	v_add_co_ci_u32_e32 v63, vcc_lo, 0, v37, vcc_lo
	v_add_co_u32 v42, vcc_lo, v38, v10
	v_add_co_ci_u32_e32 v43, vcc_lo, 0, v39, vcc_lo
	v_add_co_u32 v44, vcc_lo, v38, v4
	v_add_co_ci_u32_e32 v45, vcc_lo, v39, v5, vcc_lo
	global_load_b32 v65, v[40:41], off offset:4
	v_add_co_u32 v40, vcc_lo, v46, v4
	v_add_co_ci_u32_e32 v41, vcc_lo, v47, v5, vcc_lo
	v_add_co_u32 v46, vcc_lo, v48, v4
	v_add_co_ci_u32_e32 v47, vcc_lo, v49, v5, vcc_lo
	;; [unrolled: 2-line block ×9, first 2 shown]
	global_load_u16 v64, v[38:39], off offset:108
	v_add_co_u32 v38, vcc_lo, v38, v32
	v_add_co_ci_u32_e32 v39, vcc_lo, v39, v34, vcc_lo
	s_clause 0x5
	global_load_b32 v44, v[44:45], off
	global_load_u8 v45, v[48:49], off offset:96
	global_load_u8 v48, v[50:51], off offset:104
	global_load_b32 v42, v[42:43], off offset:32
	global_load_u8 v43, v[52:53], off offset:96
	global_load_u8 v49, v[54:55], off offset:104
	global_load_b32 v40, v[40:41], off offset:4
	s_clause 0x3
	global_load_u8 v41, v[56:57], off offset:96
	global_load_u8 v50, v[58:59], off offset:104
	;; [unrolled: 1-line block ×4, first 2 shown]
	global_load_b32 v46, v[46:47], off offset:4
	v_add_co_u32 v38, vcc_lo, v62, v4
	v_add_co_ci_u32_e32 v39, vcc_lo, v63, v5, vcc_lo
	s_clause 0x4
	global_load_b32 v38, v[38:39], off offset:4
	global_load_b32 v39, v[36:37], off
	global_load_b32 v47, v[36:37], off offset:36
	global_load_b32 v53, v[36:37], off offset:72
	;; [unrolled: 1-line block ×3, first 2 shown]
	v_cmp_le_u32_e32 vcc_lo, s9, v8
	s_or_b32 s2, vcc_lo, s2
	s_waitcnt vmcnt(18)
	v_perm_b32 v37, v65, v65, 0x30201
	s_waitcnt vmcnt(16)
	v_ashrrev_i32_e32 v44, v11, v44
	s_waitcnt vmcnt(15)
	v_bfe_u32 v45, v45, v13, 4
	s_waitcnt vmcnt(14)
	v_lshrrev_b32_e32 v48, v16, v48
	s_waitcnt vmcnt(13)
	v_lshrrev_b32_e32 v57, 4, v42
	v_and_b32_e32 v54, 0x3030303, v42
	v_not_b32_e32 v44, v44
	s_waitcnt vmcnt(11)
	v_lshrrev_b32_e32 v49, v20, v49
	v_lshlrev_b32_e32 v48, 4, v48
	s_waitcnt vmcnt(8)
	v_lshrrev_b32_e32 v50, v26, v50
	v_lshrrev_b32_e32 v56, 2, v42
	v_bfe_u32 v41, v41, v24, 4
	s_waitcnt vmcnt(6)
	v_lshrrev_b32_e32 v52, v33, v52
	v_and_or_b32 v45, v48, 48, v45
	v_lshlrev_b32_e32 v48, 2, v44
	v_lshrrev_b32_e32 v58, 6, v42
	v_lshlrev_b32_e32 v50, 4, v50
	v_and_b32_e32 v62, 0x3030303, v57
	v_lshlrev_b32_e32 v65, 1, v44
	v_and_b32_e32 v67, 0x4040404, v44
	v_lshrrev_b32_e32 v44, 1, v44
	v_and_b32_e32 v48, 0x4040404, v48
	v_bfe_u32 v55, v42, 24, 2
	v_bfe_u32 v43, v43, v18, 4
	;; [unrolled: 1-line block ×3, first 2 shown]
	v_lshrrev_b16 v59, 8, v54
	v_lshrrev_b32_e32 v60, 16, v54
	v_lshlrev_b32_e32 v49, 4, v49
	v_and_b32_e32 v61, 0x3030303, v56
	v_bfe_u32 v57, v57, 24, 2
	v_lshlrev_b32_e32 v52, 4, v52
	v_and_b32_e32 v58, 0x3030303, v58
	v_and_or_b32 v41, v50, 48, v41
	v_lshrrev_b16 v50, 8, v62
	v_lshrrev_b32_e32 v66, 16, v62
	v_and_b32_e32 v65, 0x4040404, v65
	v_lshrrev_b16 v69, 8, v67
	v_lshrrev_b32_e32 v70, 16, v67
	v_lshrrev_b32_e32 v71, 24, v67
	v_sub_nc_u16 v62, v62, v67
	v_and_b32_e32 v44, 0x4040404, v44
	v_lshrrev_b16 v67, 8, v48
	v_lshrrev_b32_e32 v72, 16, v48
	v_lshrrev_b32_e32 v73, 24, v48
	v_bfe_u32 v56, v56, 24, 2
	v_and_or_b32 v43, v49, 48, v43
	v_lshrrev_b16 v49, 8, v61
	v_lshrrev_b32_e32 v63, 16, v61
	v_and_or_b32 v51, v52, 48, v51
	v_lshrrev_b16 v52, 8, v58
	v_lshrrev_b32_e32 v68, 16, v58
	v_sub_nc_u16 v48, v54, v48
	v_lshrrev_b16 v54, 8, v65
	v_lshrrev_b32_e32 v74, 16, v65
	v_lshrrev_b32_e32 v75, 24, v65
	v_sub_nc_u16 v61, v61, v65
	v_sub_nc_u16 v57, v57, v71
	;; [unrolled: 1-line block ×4, first 2 shown]
	v_lshrrev_b16 v69, 8, v44
	v_lshrrev_b32_e32 v70, 16, v44
	v_lshrrev_b32_e32 v71, 24, v44
	v_sub_nc_u16 v44, v58, v44
	v_sub_nc_u16 v55, v55, v73
	;; [unrolled: 1-line block ×4, first 2 shown]
	v_lshrrev_b32_e32 v42, 30, v42
	v_and_b32_e32 v60, 0xff, v48
	v_sub_nc_u16 v56, v56, v75
	v_sub_nc_u16 v63, v63, v74
	;; [unrolled: 1-line block ×3, first 2 shown]
	v_lshlrev_b16 v54, 8, v57
	v_and_b32_e32 v57, 0xff, v65
	v_sub_nc_u16 v52, v52, v69
	v_lshlrev_b16 v55, 8, v55
	v_and_b32_e32 v69, 0xff, v58
	v_lshlrev_b16 v59, 8, v59
	v_and_b32_e32 v67, 0xff, v61
	v_sub_nc_u16 v42, v42, v71
	v_lshlrev_b16 v56, 8, v56
	v_and_b32_e32 v71, 0xff, v63
	v_lshlrev_b16 v49, 8, v49
	v_or_b32_e32 v54, v57, v54
	v_or_b32_e32 v57, v60, v59
	;; [unrolled: 1-line block ×3, first 2 shown]
	v_and_b32_e32 v66, 0xff, v62
	v_lshlrev_b16 v50, 8, v50
	v_sub_nc_u16 v68, v68, v70
	v_or_b32_e32 v56, v71, v56
	v_or_b32_e32 v49, v67, v49
	v_perm_b32 v57, v58, v57, 0xc0c0401
	v_perm_b32 v48, v48, v55, 0x4010c0c
	v_and_b32_e32 v70, 0xff, v44
	v_or_b32_e32 v50, v66, v50
	v_lshlrev_b16 v42, 8, v42
	v_and_b32_e32 v59, 0xff, v68
	v_lshlrev_b16 v52, 8, v52
	v_perm_b32 v49, v63, v49, 0xc0c0401
	v_perm_b32 v55, v61, v56, 0x4010c0c
	v_or_b32_e32 v48, v48, v57
	v_perm_b32 v40, v40, v40, 0x30201
	v_subrev_nc_u32_e32 v45, 32, v45
	v_perm_b32 v50, v65, v50, 0xc0c0401
	v_perm_b32 v54, v62, v54, 0x4010c0c
	v_or_b32_e32 v52, v70, v52
	v_or_b32_e32 v42, v59, v42
	;; [unrolled: 1-line block ×3, first 2 shown]
	v_dot4_i32_iu8 v37, v48, v37, 0 neg_lo:[1,1,0]
	s_waitcnt vmcnt(5)
	v_perm_b32 v46, v46, v46, 0x30201
	v_subrev_nc_u32_e32 v43, 32, v43
	v_or_b32_e32 v48, v54, v50
	v_perm_b32 v44, v52, v44, 0xc0c0500
	v_perm_b32 v42, v42, v68, 0x5000c0c
	v_dot4_i32_iu8 v40, v49, v40, 0 neg_lo:[1,1,0]
	v_mul_lo_u32 v37, v45, v37
	v_subrev_nc_u32_e32 v41, 32, v41
	v_dot4_i32_iu8 v45, v48, v46, 0 neg_lo:[1,1,0]
	v_or_b32_e32 v42, v42, v44
	v_mul_lo_u32 v40, v43, v40
	v_subrev_nc_u32_e32 v43, 32, v51
	s_delay_alu instid0(VALU_DEP_4)
	v_mul_lo_u32 v41, v41, v45
	v_cvt_f32_i32_e32 v37, v37
	s_waitcnt vmcnt(4)
	v_dot4_i32_iu8 v38, v38, v42, 0 neg_lo:[1,1,0]
	v_cvt_f32_i32_e32 v40, v40
	s_waitcnt vmcnt(3)
	v_fma_mix_f32 v37, v39, v37, 0 op_sel_hi:[1,0,0]
	s_delay_alu instid0(VALU_DEP_3) | instskip(SKIP_2) | instid1(VALU_DEP_3)
	v_mul_lo_u32 v38, v43, v38
	v_cvt_f32_i32_e32 v39, v41
	s_waitcnt vmcnt(2)
	v_fma_mix_f32 v37, v47, v40, v37 op_sel_hi:[1,0,0]
	s_delay_alu instid0(VALU_DEP_3) | instskip(SKIP_1) | instid1(VALU_DEP_2)
	v_cvt_f32_i32_e32 v38, v38
	s_waitcnt vmcnt(1)
	v_fma_mix_f32 v37, v53, v39, v37 op_sel_hi:[1,0,0]
	s_waitcnt vmcnt(0)
	s_delay_alu instid0(VALU_DEP_1) | instskip(NEXT) | instid1(VALU_DEP_1)
	v_fma_mix_f32 v36, v36, v38, v37 op_sel_hi:[1,0,0]
	v_fma_mix_f32 v3, v36, v64, v3 op_sel_hi:[0,1,0]
	s_and_not1_b32 exec_lo, exec_lo, s2
	s_cbranch_execnz .LBB104_3
; %bb.4:
	s_or_b32 exec_lo, exec_lo, s2
.LBB104_5:
	s_delay_alu instid0(SALU_CYCLE_1) | instskip(SKIP_1) | instid1(VALU_DEP_1)
	s_or_b32 exec_lo, exec_lo, s8
	v_mbcnt_lo_u32_b32 v2, -1, 0
	v_xor_b32_e32 v4, 16, v2
	v_xor_b32_e32 v5, 8, v2
	s_delay_alu instid0(VALU_DEP_2) | instskip(SKIP_1) | instid1(VALU_DEP_3)
	v_cmp_gt_i32_e32 vcc_lo, 32, v4
	v_cndmask_b32_e32 v4, v2, v4, vcc_lo
	v_cmp_gt_i32_e32 vcc_lo, 32, v5
	v_cndmask_b32_e32 v5, v2, v5, vcc_lo
	s_delay_alu instid0(VALU_DEP_1) | instskip(NEXT) | instid1(VALU_DEP_4)
	v_lshlrev_b32_e32 v5, 2, v5
	v_lshlrev_b32_e32 v4, 2, v4
	ds_bpermute_b32 v4, v4, v3
	s_waitcnt lgkmcnt(0)
	v_add_f32_e32 v3, v3, v4
	ds_bpermute_b32 v4, v5, v3
	v_xor_b32_e32 v5, 4, v2
	s_delay_alu instid0(VALU_DEP_1) | instskip(SKIP_1) | instid1(VALU_DEP_1)
	v_cmp_gt_i32_e32 vcc_lo, 32, v5
	v_cndmask_b32_e32 v5, v2, v5, vcc_lo
	v_lshlrev_b32_e32 v5, 2, v5
	s_waitcnt lgkmcnt(0)
	v_add_f32_e32 v3, v3, v4
	ds_bpermute_b32 v4, v5, v3
	v_xor_b32_e32 v5, 2, v2
	s_delay_alu instid0(VALU_DEP_1) | instskip(SKIP_1) | instid1(VALU_DEP_1)
	v_cmp_gt_i32_e32 vcc_lo, 32, v5
	v_cndmask_b32_e32 v5, v2, v5, vcc_lo
	v_lshlrev_b32_e32 v5, 2, v5
	s_waitcnt lgkmcnt(0)
	v_add_f32_e32 v3, v3, v4
	ds_bpermute_b32 v4, v5, v3
	v_xor_b32_e32 v5, 1, v2
	s_delay_alu instid0(VALU_DEP_1) | instskip(SKIP_3) | instid1(VALU_DEP_2)
	v_cmp_gt_i32_e32 vcc_lo, 32, v5
	v_cndmask_b32_e32 v5, v2, v5, vcc_lo
	v_cmp_eq_u32_e32 vcc_lo, 0, v0
	s_waitcnt lgkmcnt(0)
	v_dual_add_f32 v2, v3, v4 :: v_dual_lshlrev_b32 v3, 2, v5
	ds_bpermute_b32 v3, v3, v2
	s_and_b32 exec_lo, exec_lo, vcc_lo
	s_cbranch_execz .LBB104_7
; %bb.6:
	s_waitcnt lgkmcnt(0)
	v_add_f32_e32 v4, v2, v3
	v_mad_u64_u32 v[2:3], null, s15, s5, v[1:2]
	v_mov_b32_e32 v3, 0
	s_delay_alu instid0(VALU_DEP_3) | instskip(SKIP_1) | instid1(VALU_DEP_2)
	v_bfe_u32 v0, v4, 16, 1
	v_cmp_o_f32_e32 vcc_lo, v4, v4
	v_add3_u32 v0, v4, v0, 0x7fff
	s_delay_alu instid0(VALU_DEP_1) | instskip(SKIP_1) | instid1(VALU_DEP_2)
	v_lshrrev_b32_e32 v5, 16, v0
	v_lshlrev_b64 v[0:1], 1, v[2:3]
	v_cndmask_b32_e32 v2, 0x7fc0, v5, vcc_lo
	s_delay_alu instid0(VALU_DEP_2) | instskip(NEXT) | instid1(VALU_DEP_3)
	v_add_co_u32 v0, vcc_lo, s6, v0
	v_add_co_ci_u32_e32 v1, vcc_lo, s7, v1, vcc_lo
	global_store_b16 v[0:1], v2, off
.LBB104_7:
	s_nop 0
	s_sendmsg sendmsg(MSG_DEALLOC_VGPRS)
	s_endpgm
	.section	.rodata,"a",@progbits
	.p2align	6, 0x0
	.amdhsa_kernel _ZL13mul_mat_vec_qIN3c108BFloat16ELi256ELi16E10block_q3_KLi1EXadL_ZL17vec_dot_q3_K_q8_1PKvPK10block_q8_1RKiEEEvS4_S4_PT_iii
		.amdhsa_group_segment_fixed_size 0
		.amdhsa_private_segment_fixed_size 0
		.amdhsa_kernarg_size 296
		.amdhsa_user_sgpr_count 14
		.amdhsa_user_sgpr_dispatch_ptr 0
		.amdhsa_user_sgpr_queue_ptr 0
		.amdhsa_user_sgpr_kernarg_segment_ptr 1
		.amdhsa_user_sgpr_dispatch_id 0
		.amdhsa_user_sgpr_private_segment_size 0
		.amdhsa_wavefront_size32 1
		.amdhsa_uses_dynamic_stack 0
		.amdhsa_enable_private_segment 0
		.amdhsa_system_sgpr_workgroup_id_x 1
		.amdhsa_system_sgpr_workgroup_id_y 1
		.amdhsa_system_sgpr_workgroup_id_z 0
		.amdhsa_system_sgpr_workgroup_info 0
		.amdhsa_system_vgpr_workitem_id 1
		.amdhsa_next_free_vgpr 76
		.amdhsa_next_free_sgpr 16
		.amdhsa_reserve_vcc 1
		.amdhsa_float_round_mode_32 0
		.amdhsa_float_round_mode_16_64 0
		.amdhsa_float_denorm_mode_32 3
		.amdhsa_float_denorm_mode_16_64 3
		.amdhsa_dx10_clamp 1
		.amdhsa_ieee_mode 1
		.amdhsa_fp16_overflow 0
		.amdhsa_workgroup_processor_mode 1
		.amdhsa_memory_ordered 1
		.amdhsa_forward_progress 0
		.amdhsa_shared_vgpr_count 0
		.amdhsa_exception_fp_ieee_invalid_op 0
		.amdhsa_exception_fp_denorm_src 0
		.amdhsa_exception_fp_ieee_div_zero 0
		.amdhsa_exception_fp_ieee_overflow 0
		.amdhsa_exception_fp_ieee_underflow 0
		.amdhsa_exception_fp_ieee_inexact 0
		.amdhsa_exception_int_div_zero 0
	.end_amdhsa_kernel
	.section	.text._ZL13mul_mat_vec_qIN3c108BFloat16ELi256ELi16E10block_q3_KLi1EXadL_ZL17vec_dot_q3_K_q8_1PKvPK10block_q8_1RKiEEEvS4_S4_PT_iii,"axG",@progbits,_ZL13mul_mat_vec_qIN3c108BFloat16ELi256ELi16E10block_q3_KLi1EXadL_ZL17vec_dot_q3_K_q8_1PKvPK10block_q8_1RKiEEEvS4_S4_PT_iii,comdat
.Lfunc_end104:
	.size	_ZL13mul_mat_vec_qIN3c108BFloat16ELi256ELi16E10block_q3_KLi1EXadL_ZL17vec_dot_q3_K_q8_1PKvPK10block_q8_1RKiEEEvS4_S4_PT_iii, .Lfunc_end104-_ZL13mul_mat_vec_qIN3c108BFloat16ELi256ELi16E10block_q3_KLi1EXadL_ZL17vec_dot_q3_K_q8_1PKvPK10block_q8_1RKiEEEvS4_S4_PT_iii
                                        ; -- End function
	.section	.AMDGPU.csdata,"",@progbits
; Kernel info:
; codeLenInByte = 2688
; NumSgprs: 18
; NumVgprs: 76
; ScratchSize: 0
; MemoryBound: 0
; FloatMode: 240
; IeeeMode: 1
; LDSByteSize: 0 bytes/workgroup (compile time only)
; SGPRBlocks: 2
; VGPRBlocks: 9
; NumSGPRsForWavesPerEU: 18
; NumVGPRsForWavesPerEU: 76
; Occupancy: 16
; WaveLimiterHint : 0
; COMPUTE_PGM_RSRC2:SCRATCH_EN: 0
; COMPUTE_PGM_RSRC2:USER_SGPR: 14
; COMPUTE_PGM_RSRC2:TRAP_HANDLER: 0
; COMPUTE_PGM_RSRC2:TGID_X_EN: 1
; COMPUTE_PGM_RSRC2:TGID_Y_EN: 1
; COMPUTE_PGM_RSRC2:TGID_Z_EN: 0
; COMPUTE_PGM_RSRC2:TIDIG_COMP_CNT: 1
	.section	.text._ZL13mul_mat_vec_qIN3c108BFloat16ELi256ELi32E10block_q4_KLi2EXadL_ZL17vec_dot_q4_K_q8_1PKvPK10block_q8_1RKiEEEvS4_S4_PT_iii,"axG",@progbits,_ZL13mul_mat_vec_qIN3c108BFloat16ELi256ELi32E10block_q4_KLi2EXadL_ZL17vec_dot_q4_K_q8_1PKvPK10block_q8_1RKiEEEvS4_S4_PT_iii,comdat
	.globl	_ZL13mul_mat_vec_qIN3c108BFloat16ELi256ELi32E10block_q4_KLi2EXadL_ZL17vec_dot_q4_K_q8_1PKvPK10block_q8_1RKiEEEvS4_S4_PT_iii ; -- Begin function _ZL13mul_mat_vec_qIN3c108BFloat16ELi256ELi32E10block_q4_KLi2EXadL_ZL17vec_dot_q4_K_q8_1PKvPK10block_q8_1RKiEEEvS4_S4_PT_iii
	.p2align	8
	.type	_ZL13mul_mat_vec_qIN3c108BFloat16ELi256ELi32E10block_q4_KLi2EXadL_ZL17vec_dot_q4_K_q8_1PKvPK10block_q8_1RKiEEEvS4_S4_PT_iii,@function
_ZL13mul_mat_vec_qIN3c108BFloat16ELi256ELi32E10block_q4_KLi2EXadL_ZL17vec_dot_q4_K_q8_1PKvPK10block_q8_1RKiEEEvS4_S4_PT_iii: ; @_ZL13mul_mat_vec_qIN3c108BFloat16ELi256ELi32E10block_q4_KLi2EXadL_ZL17vec_dot_q4_K_q8_1PKvPK10block_q8_1RKiEEEvS4_S4_PT_iii
; %bb.0:
	s_clause 0x1
	s_load_b32 s2, s[0:1], 0x34
	s_load_b128 s[4:7], s[0:1], 0x18
	v_bfe_u32 v3, v0, 10, 10
	s_waitcnt lgkmcnt(0)
	s_lshr_b32 s2, s2, 16
	s_cmp_lt_u32 s15, s6
	s_delay_alu instid0(VALU_DEP_1) | instskip(SKIP_1) | instid1(VALU_DEP_1)
	v_mad_u64_u32 v[1:2], null, s14, s2, v[3:4]
	s_cselect_b32 s2, -1, 0
	v_cmp_gt_u32_e32 vcc_lo, s5, v1
	s_and_b32 s2, s2, vcc_lo
	s_delay_alu instid0(SALU_CYCLE_1)
	s_and_saveexec_b32 s3, s2
	s_cbranch_execz .LBB105_11
; %bb.1:
	s_load_b64 s[2:3], s[0:1], 0x10
	v_dual_mov_b32 v9, 0 :: v_dual_and_b32 v0, 0x3ff, v0
	s_ashr_i32 s6, s4, 31
	s_delay_alu instid0(SALU_CYCLE_1) | instskip(NEXT) | instid1(VALU_DEP_1)
	s_lshr_b32 s6, s6, 24
	v_lshrrev_b32_e32 v8, 4, v0
	s_add_i32 s6, s4, s6
	s_delay_alu instid0(SALU_CYCLE_1) | instskip(SKIP_1) | instid1(VALU_DEP_1)
	s_ashr_i32 s7, s6, 8
	s_mov_b32 s6, exec_lo
	v_cmpx_gt_u32_e64 s7, v8
	s_cbranch_execz .LBB105_9
; %bb.2:
	s_load_b128 s[8:11], s[0:1], 0x0
	v_dual_mov_b32 v9, 0 :: v_dual_lshlrev_b32 v2, 1, v0
	s_addk_i32 s4, 0x1ff
	v_and_b32_e32 v5, 3, v0
	s_ashr_i32 s0, s4, 31
	s_delay_alu instid0(VALU_DEP_2)
	v_bfe_u32 v4, v2, 3, 2
	s_lshr_b32 s0, s0, 23
	v_and_b32_e32 v2, 30, v2
	s_add_i32 s4, s4, s0
	v_lshlrev_b32_e32 v7, 3, v8
	v_lshlrev_b32_e32 v6, 1, v4
	s_ashr_i32 s0, s4, 9
	v_mul_lo_u32 v10, v1, s7
	v_cmp_lt_u32_e32 vcc_lo, 15, v2
	s_mul_i32 s0, s15, s0
	v_lshlrev_b32_e32 v11, 5, v4
	v_lshlrev_b32_e32 v12, 2, v5
	v_lshl_add_u32 v13, s0, 4, v7
	v_lshlrev_b32_e32 v14, 1, v4
	s_waitcnt lgkmcnt(0)
	v_mad_u64_u32 v[2:3], null, v6, 36, s[10:11]
	v_lshlrev_b32_e32 v15, 2, v5
	s_mov_b32 s1, 0
	s_branch .LBB105_4
.LBB105_3:                              ;   in Loop: Header=BB105_4 Depth=1
	s_or_b32 exec_lo, exec_lo, s0
	v_mad_i64_i32 v[6:7], null, v13, 36, v[2:3]
	s_waitcnt vmcnt(1)
	v_and_b32_e32 v25, 15, v16
	v_bfe_u32 v26, v16, 8, 4
	v_bfe_u32 v27, v16, 16, 4
	;; [unrolled: 1-line block ×3, first 2 shown]
	v_ashrrev_i32_e32 v16, 4, v16
	s_waitcnt vmcnt(0)
	v_and_b32_e32 v29, 15, v17
	v_add_co_u32 v20, s0, v6, v15
	s_delay_alu instid0(VALU_DEP_1)
	v_add_co_ci_u32_e64 v21, s0, 0, v7, s0
	v_bfe_u32 v30, v17, 8, 4
	v_bfe_u32 v31, v17, 16, 4
	;; [unrolled: 1-line block ×3, first 2 shown]
	s_clause 0x3
	global_load_b32 v22, v[20:21], off offset:4
	global_load_b32 v23, v[20:21], off offset:20
	;; [unrolled: 1-line block ×4, first 2 shown]
	global_load_b32 v4, v[4:5], off
	s_clause 0x1
	global_load_b32 v5, v[6:7], off
	global_load_b32 v6, v[6:7], off offset:36
	v_ashrrev_i32_e32 v17, 4, v17
	v_and_b32_e32 v33, 15, v16
	v_bfe_u32 v34, v16, 8, 4
	v_bfe_u32 v35, v16, 16, 4
	v_lshrrev_b16 v7, 8, v18
	v_and_b32_e32 v36, 15, v17
	v_and_b32_e32 v18, 0xff, v18
	v_bfe_u32 v16, v16, 24, 4
	v_bfe_u32 v37, v17, 8, 4
	v_lshrrev_b16 v21, 8, v19
	v_and_b32_e32 v19, 0xff, v19
	v_and_b32_e32 v18, 0xffff, v18
	v_bfe_u32 v38, v17, 16, 4
	v_bfe_u32 v17, v17, 24, 4
	v_and_b32_e32 v7, 0xffff, v7
	v_and_b32_e32 v19, 0xffff, v19
	;; [unrolled: 1-line block ×3, first 2 shown]
	v_add_nc_u32_e32 v8, 2, v8
	v_add_nc_u32_e32 v13, 16, v13
	s_delay_alu instid0(VALU_DEP_2) | instskip(NEXT) | instid1(VALU_DEP_1)
	v_cmp_le_u32_e64 s0, s7, v8
	s_or_b32 s1, s0, s1
	s_waitcnt vmcnt(6)
	v_bfe_i32 v39, v22, 0, 8
	s_waitcnt vmcnt(5)
	v_bfe_i32 v42, v23, 0, 8
	v_bfe_i32 v40, v22, 8, 8
	;; [unrolled: 1-line block ×3, first 2 shown]
	s_waitcnt vmcnt(4)
	v_bfe_i32 v45, v24, 0, 8
	s_waitcnt vmcnt(3)
	v_bfe_i32 v48, v20, 0, 8
	v_mul_i32_i24_e32 v25, v39, v25
	v_add_nc_u32_e32 v39, v42, v39
	v_ashrrev_i32_e32 v22, 24, v22
	v_bfe_i32 v43, v23, 8, 8
	v_bfe_i32 v46, v24, 8, 8
	;; [unrolled: 1-line block ×3, first 2 shown]
	v_mul_i32_i24_e32 v26, v40, v26
	v_mul_i32_i24_e32 v27, v41, v27
	;; [unrolled: 1-line block ×3, first 2 shown]
	v_add_nc_u32_e32 v45, v48, v45
	v_mad_i32_i24 v25, v42, v29, v25
	v_add3_u32 v29, v39, v40, v41
	v_bfe_i32 v44, v23, 16, 8
	v_ashrrev_i32_e32 v23, 24, v23
	v_ashrrev_i32_e32 v24, 24, v24
	v_bfe_i32 v49, v20, 8, 8
	v_mul_i32_i24_e32 v28, v22, v28
	v_mul_i32_i24_e32 v30, v43, v30
	;; [unrolled: 1-line block ×4, first 2 shown]
	v_mad_i32_i24 v33, v48, v36, v33
	v_add3_u32 v36, v45, v46, v47
	v_add3_u32 v25, v25, v26, v27
	;; [unrolled: 1-line block ×3, first 2 shown]
	v_bfe_i32 v50, v20, 16, 8
	v_ashrrev_i32_e32 v20, 24, v20
	v_mul_i32_i24_e32 v31, v44, v31
	v_mul_i32_i24_e32 v32, v23, v32
	;; [unrolled: 1-line block ×4, first 2 shown]
	v_add3_u32 v27, v33, v34, v35
	v_add3_u32 v24, v36, v24, v49
	;; [unrolled: 1-line block ×4, first 2 shown]
	v_mul_i32_i24_e32 v26, v50, v38
	v_mul_i32_i24_e32 v17, v20, v17
	v_add3_u32 v16, v27, v16, v37
	v_add3_u32 v20, v24, v50, v20
	;; [unrolled: 1-line block ×3, first 2 shown]
	v_mul_lo_u32 v18, v22, v18
	s_delay_alu instid0(VALU_DEP_4) | instskip(NEXT) | instid1(VALU_DEP_4)
	v_add3_u32 v16, v16, v26, v17
	v_mul_lo_u32 v7, v20, v7
	s_delay_alu instid0(VALU_DEP_4) | instskip(SKIP_4) | instid1(VALU_DEP_3)
	v_mul_lo_u32 v17, v23, v19
	s_waitcnt vmcnt(2)
	v_lshrrev_b32_e32 v19, 16, v4
	v_mul_lo_u32 v16, v16, v21
	v_cvt_f32_i32_e32 v18, v18
	v_cvt_f32_f16_e32 v19, v19
	v_cvt_f32_i32_e32 v7, v7
	v_cvt_f32_i32_e32 v17, v17
	s_waitcnt vmcnt(1)
	v_fma_mix_f32 v18, v5, v18, 0 op_sel_hi:[1,0,0]
	v_cvt_f32_i32_e32 v16, v16
	s_delay_alu instid0(VALU_DEP_3) | instskip(SKIP_1) | instid1(VALU_DEP_3)
	v_fma_mix_f32 v5, v5, v17, 0 op_sel_hi:[1,0,0]
	s_waitcnt vmcnt(0)
	v_fma_mix_f32 v7, v6, v7, v18 op_sel_hi:[1,0,0]
	s_delay_alu instid0(VALU_DEP_2) | instskip(NEXT) | instid1(VALU_DEP_2)
	v_fma_mix_f32 v5, v6, v16, v5 op_sel_hi:[1,0,0]
	v_mul_f32_e32 v6, v7, v19
	s_delay_alu instid0(VALU_DEP_1) | instskip(NEXT) | instid1(VALU_DEP_1)
	v_fma_mix_f32 v4, v5, v4, -v6 op_sel_hi:[0,1,0]
	v_add_f32_e32 v9, v9, v4
	s_and_not1_b32 exec_lo, exec_lo, s1
	s_cbranch_execz .LBB105_8
.LBB105_4:                              ; =>This Inner Loop Header: Depth=1
	v_add_nc_u32_e32 v6, v10, v8
                                        ; implicit-def: $vgpr19
                                        ; implicit-def: $vgpr18
	s_delay_alu instid0(VALU_DEP_1) | instskip(NEXT) | instid1(VALU_DEP_1)
	v_mad_i64_i32 v[4:5], null, 0x90, v6, s[8:9]
	v_add_co_u32 v6, s0, v4, v11
	s_delay_alu instid0(VALU_DEP_1) | instskip(NEXT) | instid1(VALU_DEP_2)
	v_add_co_ci_u32_e64 v7, s0, 0, v5, s0
	v_add_co_u32 v6, s0, v6, v12
	s_delay_alu instid0(VALU_DEP_1) | instskip(SKIP_4) | instid1(VALU_DEP_1)
	v_add_co_ci_u32_e64 v7, s0, 0, v7, s0
	s_clause 0x1
	global_load_b32 v16, v[6:7], off offset:16
	global_load_b32 v17, v[6:7], off offset:32
	v_add_co_u32 v6, s0, v4, v14
	v_add_co_ci_u32_e64 v7, s0, 0, v5, s0
	s_and_saveexec_b32 s0, vcc_lo
	s_delay_alu instid0(SALU_CYCLE_1)
	s_xor_b32 s0, exec_lo, s0
	s_cbranch_execz .LBB105_6
; %bb.5:                                ;   in Loop: Header=BB105_4 Depth=1
	s_clause 0x2
	global_load_u16 v18, v[6:7], off
	global_load_u16 v19, v[6:7], off offset:8
	global_load_u16 v6, v[6:7], off offset:4
	s_waitcnt vmcnt(2)
	v_lshrrev_b16 v7, 2, v18
	s_waitcnt vmcnt(1)
	v_lshrrev_b16 v18, 4, v19
	;; [unrolled: 2-line block ×3, first 2 shown]
	v_and_b32_e32 v19, 0xf0f, v19
	v_and_b32_e32 v7, 0x3030, v7
	;; [unrolled: 1-line block ×3, first 2 shown]
	s_delay_alu instid0(VALU_DEP_4) | instskip(NEXT) | instid1(VALU_DEP_3)
	v_and_b32_e32 v6, 0x3030, v6
	v_or_b32_e32 v19, v7, v19
	s_delay_alu instid0(VALU_DEP_2)
	v_or_b32_e32 v18, v6, v18
                                        ; implicit-def: $vgpr6_vgpr7
.LBB105_6:                              ;   in Loop: Header=BB105_4 Depth=1
	s_and_not1_saveexec_b32 s0, s0
	s_cbranch_execz .LBB105_3
; %bb.7:                                ;   in Loop: Header=BB105_4 Depth=1
	s_clause 0x1
	global_load_u16 v18, v[6:7], off offset:4
	global_load_u16 v6, v[6:7], off offset:8
	s_waitcnt vmcnt(1)
	v_and_b32_e32 v19, 0x3f3f, v18
	s_waitcnt vmcnt(0)
	v_and_b32_e32 v18, 0x3f3f, v6
	s_branch .LBB105_3
.LBB105_8:
	s_or_b32 exec_lo, exec_lo, s1
.LBB105_9:
	s_delay_alu instid0(SALU_CYCLE_1) | instskip(SKIP_1) | instid1(VALU_DEP_1)
	s_or_b32 exec_lo, exec_lo, s6
	v_mbcnt_lo_u32_b32 v2, -1, 0
	v_xor_b32_e32 v3, 16, v2
	v_xor_b32_e32 v4, 8, v2
	;; [unrolled: 1-line block ×3, first 2 shown]
	s_delay_alu instid0(VALU_DEP_3) | instskip(SKIP_1) | instid1(VALU_DEP_4)
	v_cmp_gt_i32_e32 vcc_lo, 32, v3
	v_cndmask_b32_e32 v3, v2, v3, vcc_lo
	v_cmp_gt_i32_e32 vcc_lo, 32, v4
	v_cndmask_b32_e32 v4, v2, v4, vcc_lo
	v_cmp_gt_i32_e32 vcc_lo, 32, v5
	s_delay_alu instid0(VALU_DEP_2)
	v_lshlrev_b32_e32 v4, 2, v4
	v_lshlrev_b32_e32 v3, 2, v3
	v_cndmask_b32_e32 v5, v2, v5, vcc_lo
	ds_bpermute_b32 v3, v3, v9
	v_lshlrev_b32_e32 v5, 2, v5
	s_waitcnt lgkmcnt(0)
	v_add_f32_e32 v3, v9, v3
	ds_bpermute_b32 v4, v4, v3
	s_waitcnt lgkmcnt(0)
	v_add_f32_e32 v3, v3, v4
	ds_bpermute_b32 v4, v5, v3
	v_xor_b32_e32 v5, 2, v2
	s_delay_alu instid0(VALU_DEP_1) | instskip(SKIP_1) | instid1(VALU_DEP_1)
	v_cmp_gt_i32_e32 vcc_lo, 32, v5
	v_cndmask_b32_e32 v5, v2, v5, vcc_lo
	v_lshlrev_b32_e32 v5, 2, v5
	s_waitcnt lgkmcnt(0)
	v_add_f32_e32 v3, v3, v4
	ds_bpermute_b32 v4, v5, v3
	v_xor_b32_e32 v5, 1, v2
	s_delay_alu instid0(VALU_DEP_1) | instskip(SKIP_3) | instid1(VALU_DEP_2)
	v_cmp_gt_i32_e32 vcc_lo, 32, v5
	v_cndmask_b32_e32 v5, v2, v5, vcc_lo
	v_cmp_eq_u32_e32 vcc_lo, 0, v0
	s_waitcnt lgkmcnt(0)
	v_dual_add_f32 v2, v3, v4 :: v_dual_lshlrev_b32 v3, 2, v5
	ds_bpermute_b32 v3, v3, v2
	s_and_b32 exec_lo, exec_lo, vcc_lo
	s_cbranch_execz .LBB105_11
; %bb.10:
	s_waitcnt lgkmcnt(0)
	v_add_f32_e32 v4, v2, v3
	v_mad_u64_u32 v[2:3], null, s15, s5, v[1:2]
	v_mov_b32_e32 v3, 0
	s_delay_alu instid0(VALU_DEP_3) | instskip(SKIP_1) | instid1(VALU_DEP_2)
	v_bfe_u32 v0, v4, 16, 1
	v_cmp_o_f32_e32 vcc_lo, v4, v4
	v_add3_u32 v0, v4, v0, 0x7fff
	s_delay_alu instid0(VALU_DEP_1) | instskip(SKIP_1) | instid1(VALU_DEP_2)
	v_lshrrev_b32_e32 v5, 16, v0
	v_lshlrev_b64 v[0:1], 1, v[2:3]
	v_cndmask_b32_e32 v2, 0x7fc0, v5, vcc_lo
	s_delay_alu instid0(VALU_DEP_2) | instskip(NEXT) | instid1(VALU_DEP_3)
	v_add_co_u32 v0, vcc_lo, s2, v0
	v_add_co_ci_u32_e32 v1, vcc_lo, s3, v1, vcc_lo
	global_store_b16 v[0:1], v2, off
.LBB105_11:
	s_nop 0
	s_sendmsg sendmsg(MSG_DEALLOC_VGPRS)
	s_endpgm
	.section	.rodata,"a",@progbits
	.p2align	6, 0x0
	.amdhsa_kernel _ZL13mul_mat_vec_qIN3c108BFloat16ELi256ELi32E10block_q4_KLi2EXadL_ZL17vec_dot_q4_K_q8_1PKvPK10block_q8_1RKiEEEvS4_S4_PT_iii
		.amdhsa_group_segment_fixed_size 0
		.amdhsa_private_segment_fixed_size 0
		.amdhsa_kernarg_size 296
		.amdhsa_user_sgpr_count 14
		.amdhsa_user_sgpr_dispatch_ptr 0
		.amdhsa_user_sgpr_queue_ptr 0
		.amdhsa_user_sgpr_kernarg_segment_ptr 1
		.amdhsa_user_sgpr_dispatch_id 0
		.amdhsa_user_sgpr_private_segment_size 0
		.amdhsa_wavefront_size32 1
		.amdhsa_uses_dynamic_stack 0
		.amdhsa_enable_private_segment 0
		.amdhsa_system_sgpr_workgroup_id_x 1
		.amdhsa_system_sgpr_workgroup_id_y 1
		.amdhsa_system_sgpr_workgroup_id_z 0
		.amdhsa_system_sgpr_workgroup_info 0
		.amdhsa_system_vgpr_workitem_id 1
		.amdhsa_next_free_vgpr 51
		.amdhsa_next_free_sgpr 16
		.amdhsa_reserve_vcc 1
		.amdhsa_float_round_mode_32 0
		.amdhsa_float_round_mode_16_64 0
		.amdhsa_float_denorm_mode_32 3
		.amdhsa_float_denorm_mode_16_64 3
		.amdhsa_dx10_clamp 1
		.amdhsa_ieee_mode 1
		.amdhsa_fp16_overflow 0
		.amdhsa_workgroup_processor_mode 1
		.amdhsa_memory_ordered 1
		.amdhsa_forward_progress 0
		.amdhsa_shared_vgpr_count 0
		.amdhsa_exception_fp_ieee_invalid_op 0
		.amdhsa_exception_fp_denorm_src 0
		.amdhsa_exception_fp_ieee_div_zero 0
		.amdhsa_exception_fp_ieee_overflow 0
		.amdhsa_exception_fp_ieee_underflow 0
		.amdhsa_exception_fp_ieee_inexact 0
		.amdhsa_exception_int_div_zero 0
	.end_amdhsa_kernel
	.section	.text._ZL13mul_mat_vec_qIN3c108BFloat16ELi256ELi32E10block_q4_KLi2EXadL_ZL17vec_dot_q4_K_q8_1PKvPK10block_q8_1RKiEEEvS4_S4_PT_iii,"axG",@progbits,_ZL13mul_mat_vec_qIN3c108BFloat16ELi256ELi32E10block_q4_KLi2EXadL_ZL17vec_dot_q4_K_q8_1PKvPK10block_q8_1RKiEEEvS4_S4_PT_iii,comdat
.Lfunc_end105:
	.size	_ZL13mul_mat_vec_qIN3c108BFloat16ELi256ELi32E10block_q4_KLi2EXadL_ZL17vec_dot_q4_K_q8_1PKvPK10block_q8_1RKiEEEvS4_S4_PT_iii, .Lfunc_end105-_ZL13mul_mat_vec_qIN3c108BFloat16ELi256ELi32E10block_q4_KLi2EXadL_ZL17vec_dot_q4_K_q8_1PKvPK10block_q8_1RKiEEEvS4_S4_PT_iii
                                        ; -- End function
	.section	.AMDGPU.csdata,"",@progbits
; Kernel info:
; codeLenInByte = 1612
; NumSgprs: 18
; NumVgprs: 51
; ScratchSize: 0
; MemoryBound: 0
; FloatMode: 240
; IeeeMode: 1
; LDSByteSize: 0 bytes/workgroup (compile time only)
; SGPRBlocks: 2
; VGPRBlocks: 6
; NumSGPRsForWavesPerEU: 18
; NumVGPRsForWavesPerEU: 51
; Occupancy: 16
; WaveLimiterHint : 0
; COMPUTE_PGM_RSRC2:SCRATCH_EN: 0
; COMPUTE_PGM_RSRC2:USER_SGPR: 14
; COMPUTE_PGM_RSRC2:TRAP_HANDLER: 0
; COMPUTE_PGM_RSRC2:TGID_X_EN: 1
; COMPUTE_PGM_RSRC2:TGID_Y_EN: 1
; COMPUTE_PGM_RSRC2:TGID_Z_EN: 0
; COMPUTE_PGM_RSRC2:TIDIG_COMP_CNT: 1
	.section	.text._ZL13mul_mat_vec_qIN3c108BFloat16ELi256ELi32E10block_q5_KLi2EXadL_ZL17vec_dot_q5_K_q8_1PKvPK10block_q8_1RKiEEEvS4_S4_PT_iii,"axG",@progbits,_ZL13mul_mat_vec_qIN3c108BFloat16ELi256ELi32E10block_q5_KLi2EXadL_ZL17vec_dot_q5_K_q8_1PKvPK10block_q8_1RKiEEEvS4_S4_PT_iii,comdat
	.globl	_ZL13mul_mat_vec_qIN3c108BFloat16ELi256ELi32E10block_q5_KLi2EXadL_ZL17vec_dot_q5_K_q8_1PKvPK10block_q8_1RKiEEEvS4_S4_PT_iii ; -- Begin function _ZL13mul_mat_vec_qIN3c108BFloat16ELi256ELi32E10block_q5_KLi2EXadL_ZL17vec_dot_q5_K_q8_1PKvPK10block_q8_1RKiEEEvS4_S4_PT_iii
	.p2align	8
	.type	_ZL13mul_mat_vec_qIN3c108BFloat16ELi256ELi32E10block_q5_KLi2EXadL_ZL17vec_dot_q5_K_q8_1PKvPK10block_q8_1RKiEEEvS4_S4_PT_iii,@function
_ZL13mul_mat_vec_qIN3c108BFloat16ELi256ELi32E10block_q5_KLi2EXadL_ZL17vec_dot_q5_K_q8_1PKvPK10block_q8_1RKiEEEvS4_S4_PT_iii: ; @_ZL13mul_mat_vec_qIN3c108BFloat16ELi256ELi32E10block_q5_KLi2EXadL_ZL17vec_dot_q5_K_q8_1PKvPK10block_q8_1RKiEEEvS4_S4_PT_iii
; %bb.0:
	s_clause 0x1
	s_load_b32 s2, s[0:1], 0x34
	s_load_b128 s[4:7], s[0:1], 0x18
	v_bfe_u32 v3, v0, 10, 10
	s_waitcnt lgkmcnt(0)
	s_lshr_b32 s2, s2, 16
	s_cmp_lt_u32 s15, s6
	s_delay_alu instid0(VALU_DEP_1) | instskip(SKIP_1) | instid1(VALU_DEP_1)
	v_mad_u64_u32 v[1:2], null, s14, s2, v[3:4]
	s_cselect_b32 s2, -1, 0
	v_cmp_gt_u32_e32 vcc_lo, s5, v1
	s_and_b32 s2, s2, vcc_lo
	s_delay_alu instid0(SALU_CYCLE_1)
	s_and_saveexec_b32 s3, s2
	s_cbranch_execz .LBB106_11
; %bb.1:
	s_load_b64 s[2:3], s[0:1], 0x10
	v_dual_mov_b32 v9, 0 :: v_dual_and_b32 v0, 0x3ff, v0
	s_ashr_i32 s6, s4, 31
	s_delay_alu instid0(SALU_CYCLE_1) | instskip(NEXT) | instid1(VALU_DEP_1)
	s_lshr_b32 s6, s6, 24
	v_lshrrev_b32_e32 v8, 4, v0
	s_add_i32 s6, s4, s6
	s_delay_alu instid0(SALU_CYCLE_1) | instskip(SKIP_1) | instid1(VALU_DEP_1)
	s_ashr_i32 s7, s6, 8
	s_mov_b32 s6, exec_lo
	v_cmpx_gt_u32_e64 s7, v8
	s_cbranch_execz .LBB106_9
; %bb.2:
	s_load_b128 s[8:11], s[0:1], 0x0
	v_dual_mov_b32 v9, 0 :: v_dual_lshlrev_b32 v2, 1, v0
	s_addk_i32 s4, 0x1ff
	v_and_b32_e32 v5, 3, v0
	s_ashr_i32 s0, s4, 31
	s_delay_alu instid0(VALU_DEP_2)
	v_bfe_u32 v4, v2, 3, 2
	s_lshr_b32 s0, s0, 23
	v_and_b32_e32 v2, 30, v2
	s_add_i32 s4, s4, s0
	v_lshlrev_b32_e32 v6, 3, v8
	v_lshlrev_b32_e32 v12, 1, v4
	s_ashr_i32 s0, s4, 9
	v_mul_lo_u32 v10, v1, s7
	v_cmp_lt_u32_e32 vcc_lo, 15, v2
	s_mul_i32 s0, s15, s0
	v_lshlrev_b32_e32 v11, 5, v4
	v_lshlrev_b32_e32 v13, 2, v5
	v_lshl_add_u32 v14, s0, 4, v6
	v_lshlrev_b32_e32 v15, 1, v4
	s_waitcnt lgkmcnt(0)
	v_mad_u64_u32 v[2:3], null, v12, 36, s[10:11]
	v_lshlrev_b32_e32 v16, 2, v5
	s_mov_b32 s1, 0
	s_branch .LBB106_4
.LBB106_3:                              ;   in Loop: Header=BB106_4 Depth=1
	s_or_b32 exec_lo, exec_lo, s0
	v_mad_i64_i32 v[6:7], null, v14, 36, v[2:3]
	s_waitcnt vmcnt(3)
	v_ashrrev_i32_e32 v21, v12, v21
	s_waitcnt vmcnt(0)
	v_ashrrev_i32_e32 v22, v12, v22
	v_and_b32_e32 v28, 0xf0f0f0f, v18
	v_lshrrev_b32_e32 v18, 4, v18
	v_and_b32_e32 v29, 0xf0f0f0f, v17
	v_lshlrev_b32_e32 v30, 4, v21
	v_add_co_u32 v23, s0, v6, v16
	s_delay_alu instid0(VALU_DEP_1)
	v_add_co_ci_u32_e64 v24, s0, 0, v7, s0
	v_lshrrev_b32_e32 v17, 4, v17
	v_lshlrev_b32_e32 v31, 4, v22
	v_and_b32_e32 v18, 0xf0f0f0f, v18
	s_clause 0x3
	global_load_b32 v25, v[23:24], off offset:20
	global_load_b32 v26, v[23:24], off offset:4
	;; [unrolled: 1-line block ×4, first 2 shown]
	global_load_b32 v4, v[4:5], off
	s_clause 0x1
	global_load_b32 v5, v[6:7], off
	global_load_b32 v6, v[6:7], off offset:36
	v_lshlrev_b32_e32 v21, 3, v21
	v_and_or_b32 v28, 0x10101010, v30, v28
	v_and_b32_e32 v17, 0xf0f0f0f, v17
	v_lshlrev_b32_e32 v22, 3, v22
	v_and_or_b32 v29, 0x10101010, v31, v29
	v_and_or_b32 v18, 0x10101010, v21, v18
	v_and_b32_e32 v31, 31, v28
	v_bfe_u32 v32, v28, 8, 5
	v_and_or_b32 v17, 0x10101010, v22, v17
	v_and_b32_e32 v21, 31, v29
	v_bfe_u32 v33, v28, 16, 5
	v_and_b32_e32 v37, 31, v18
	v_bfe_u32 v22, v29, 8, 5
	v_lshrrev_b32_e32 v28, 24, v28
	v_and_b32_e32 v34, 31, v17
	v_bfe_u32 v38, v18, 8, 5
	v_bfe_u32 v39, v18, 16, 5
	v_lshrrev_b16 v7, 8, v19
	v_and_b32_e32 v19, 0xff, v19
	v_bfe_u32 v30, v29, 16, 5
	v_lshrrev_b32_e32 v29, 24, v29
	v_bfe_u32 v35, v17, 8, 5
	v_lshrrev_b32_e32 v18, 24, v18
	v_lshrrev_b16 v24, 8, v20
	v_and_b32_e32 v20, 0xff, v20
	v_and_b32_e32 v19, 0xffff, v19
	v_bfe_u32 v36, v17, 16, 5
	v_lshrrev_b32_e32 v17, 24, v17
	v_and_b32_e32 v7, 0xffff, v7
	v_and_b32_e32 v20, 0xffff, v20
	v_add_nc_u32_e32 v8, 2, v8
	v_add_nc_u32_e32 v14, 16, v14
	s_delay_alu instid0(VALU_DEP_2) | instskip(NEXT) | instid1(VALU_DEP_1)
	v_cmp_le_u32_e64 s0, s7, v8
	s_or_b32 s1, s0, s1
	s_waitcnt vmcnt(6)
	v_bfe_i32 v40, v25, 0, 8
	s_waitcnt vmcnt(5)
	v_bfe_i32 v43, v26, 0, 8
	v_bfe_i32 v44, v26, 8, 8
	;; [unrolled: 1-line block ×3, first 2 shown]
	s_waitcnt vmcnt(4)
	v_bfe_i32 v46, v27, 0, 8
	s_waitcnt vmcnt(3)
	v_bfe_i32 v49, v23, 0, 8
	v_mul_i32_i24_e32 v31, v43, v31
	v_add_nc_u32_e32 v43, v40, v43
	v_bfe_i32 v41, v25, 8, 8
	v_ashrrev_i32_e32 v26, 24, v26
	v_bfe_i32 v50, v23, 8, 8
	v_bfe_i32 v51, v23, 16, 8
	v_mul_i32_i24_e32 v32, v44, v32
	v_mul_i32_i24_e32 v33, v45, v33
	;; [unrolled: 1-line block ×3, first 2 shown]
	v_add_nc_u32_e32 v49, v46, v49
	v_mad_i32_i24 v21, v40, v21, v31
	v_add3_u32 v31, v43, v44, v45
	v_bfe_i32 v42, v25, 16, 8
	v_ashrrev_i32_e32 v25, 24, v25
	v_bfe_i32 v47, v27, 8, 8
	v_ashrrev_i32_e32 v23, 24, v23
	v_mul_i32_i24_e32 v22, v41, v22
	v_mul_i32_i24_e32 v28, v26, v28
	;; [unrolled: 1-line block ×4, first 2 shown]
	v_mad_i32_i24 v34, v46, v34, v37
	v_add3_u32 v37, v49, v50, v51
	v_add3_u32 v21, v21, v32, v33
	v_add3_u32 v26, v31, v26, v41
	v_bfe_i32 v48, v27, 16, 8
	v_ashrrev_i32_e32 v27, 24, v27
	v_mul_i32_i24_e32 v30, v42, v30
	v_mul_i32_i24_e32 v29, v25, v29
	;; [unrolled: 1-line block ×4, first 2 shown]
	v_add3_u32 v31, v34, v38, v39
	v_add3_u32 v23, v37, v23, v47
	v_add3_u32 v21, v21, v28, v22
	v_add3_u32 v22, v26, v42, v25
	v_mul_i32_i24_e32 v36, v48, v36
	v_mul_i32_i24_e32 v17, v27, v17
	v_add3_u32 v18, v31, v18, v35
	v_add3_u32 v23, v23, v48, v27
	;; [unrolled: 1-line block ×3, first 2 shown]
	v_mul_lo_u32 v19, v22, v19
	v_and_b32_e32 v22, 0xffff, v24
	v_add3_u32 v17, v18, v36, v17
	v_mul_lo_u32 v7, v23, v7
	v_mul_lo_u32 v18, v21, v20
	s_waitcnt vmcnt(2)
	v_lshrrev_b32_e32 v20, 16, v4
	v_mul_lo_u32 v17, v17, v22
	v_cvt_f32_i32_e32 v19, v19
	s_delay_alu instid0(VALU_DEP_3)
	v_cvt_f32_f16_e32 v20, v20
	v_cvt_f32_i32_e32 v7, v7
	v_cvt_f32_i32_e32 v18, v18
	s_waitcnt vmcnt(1)
	v_fma_mix_f32 v19, v5, v19, 0 op_sel_hi:[1,0,0]
	v_cvt_f32_i32_e32 v17, v17
	s_delay_alu instid0(VALU_DEP_3) | instskip(SKIP_1) | instid1(VALU_DEP_3)
	v_fma_mix_f32 v5, v5, v18, 0 op_sel_hi:[1,0,0]
	s_waitcnt vmcnt(0)
	v_fma_mix_f32 v7, v6, v7, v19 op_sel_hi:[1,0,0]
	s_delay_alu instid0(VALU_DEP_2) | instskip(NEXT) | instid1(VALU_DEP_2)
	v_fma_mix_f32 v5, v6, v17, v5 op_sel_hi:[1,0,0]
	v_mul_f32_e32 v6, v7, v20
	s_delay_alu instid0(VALU_DEP_1) | instskip(NEXT) | instid1(VALU_DEP_1)
	v_fma_mix_f32 v4, v5, v4, -v6 op_sel_hi:[0,1,0]
	v_add_f32_e32 v9, v9, v4
	s_and_not1_b32 exec_lo, exec_lo, s1
	s_cbranch_execz .LBB106_8
.LBB106_4:                              ; =>This Inner Loop Header: Depth=1
	v_add_nc_u32_e32 v6, v10, v8
                                        ; implicit-def: $vgpr20
	s_delay_alu instid0(VALU_DEP_1) | instskip(NEXT) | instid1(VALU_DEP_1)
	v_mad_i64_i32 v[4:5], null, 0xb0, v6, s[8:9]
	v_add_co_u32 v6, s0, v4, v13
	s_delay_alu instid0(VALU_DEP_1) | instskip(NEXT) | instid1(VALU_DEP_2)
	v_add_co_ci_u32_e64 v7, s0, 0, v5, s0
	v_add_co_u32 v18, s0, v6, v11
	s_delay_alu instid0(VALU_DEP_1)
	v_add_co_ci_u32_e64 v19, s0, 0, v7, s0
	s_clause 0x3
	global_load_b32 v21, v[6:7], off offset:16
	global_load_b32 v17, v[18:19], off offset:64
	;; [unrolled: 1-line block ×4, first 2 shown]
	v_add_co_u32 v6, s0, v4, v15
	s_delay_alu instid0(VALU_DEP_1) | instskip(SKIP_1) | instid1(SALU_CYCLE_1)
	v_add_co_ci_u32_e64 v7, s0, 0, v5, s0
                                        ; implicit-def: $vgpr19
	s_and_saveexec_b32 s0, vcc_lo
	s_xor_b32 s0, exec_lo, s0
	s_cbranch_execz .LBB106_6
; %bb.5:                                ;   in Loop: Header=BB106_4 Depth=1
	s_clause 0x2
	global_load_u16 v19, v[6:7], off
	global_load_u16 v20, v[6:7], off offset:8
	global_load_u16 v6, v[6:7], off offset:4
	s_waitcnt vmcnt(2)
	v_lshrrev_b16 v7, 2, v19
	s_waitcnt vmcnt(1)
	v_lshrrev_b16 v19, 4, v20
	;; [unrolled: 2-line block ×3, first 2 shown]
	v_and_b32_e32 v20, 0xf0f, v20
	v_and_b32_e32 v7, 0x3030, v7
	;; [unrolled: 1-line block ×3, first 2 shown]
	s_delay_alu instid0(VALU_DEP_4) | instskip(NEXT) | instid1(VALU_DEP_3)
	v_and_b32_e32 v6, 0x3030, v6
	v_or_b32_e32 v20, v7, v20
	s_delay_alu instid0(VALU_DEP_2)
	v_or_b32_e32 v19, v6, v19
                                        ; implicit-def: $vgpr6_vgpr7
.LBB106_6:                              ;   in Loop: Header=BB106_4 Depth=1
	s_and_not1_saveexec_b32 s0, s0
	s_cbranch_execz .LBB106_3
; %bb.7:                                ;   in Loop: Header=BB106_4 Depth=1
	s_clause 0x1
	global_load_u16 v19, v[6:7], off offset:4
	global_load_u16 v6, v[6:7], off offset:8
	s_waitcnt vmcnt(1)
	v_and_b32_e32 v20, 0x3f3f, v19
	s_waitcnt vmcnt(0)
	v_and_b32_e32 v19, 0x3f3f, v6
	s_branch .LBB106_3
.LBB106_8:
	s_or_b32 exec_lo, exec_lo, s1
.LBB106_9:
	s_delay_alu instid0(SALU_CYCLE_1) | instskip(SKIP_1) | instid1(VALU_DEP_1)
	s_or_b32 exec_lo, exec_lo, s6
	v_mbcnt_lo_u32_b32 v2, -1, 0
	v_xor_b32_e32 v3, 16, v2
	v_xor_b32_e32 v4, 8, v2
	;; [unrolled: 1-line block ×3, first 2 shown]
	s_delay_alu instid0(VALU_DEP_3) | instskip(SKIP_1) | instid1(VALU_DEP_4)
	v_cmp_gt_i32_e32 vcc_lo, 32, v3
	v_cndmask_b32_e32 v3, v2, v3, vcc_lo
	v_cmp_gt_i32_e32 vcc_lo, 32, v4
	v_cndmask_b32_e32 v4, v2, v4, vcc_lo
	v_cmp_gt_i32_e32 vcc_lo, 32, v5
	s_delay_alu instid0(VALU_DEP_2)
	v_lshlrev_b32_e32 v4, 2, v4
	v_lshlrev_b32_e32 v3, 2, v3
	v_cndmask_b32_e32 v5, v2, v5, vcc_lo
	ds_bpermute_b32 v3, v3, v9
	v_lshlrev_b32_e32 v5, 2, v5
	s_waitcnt lgkmcnt(0)
	v_add_f32_e32 v3, v9, v3
	ds_bpermute_b32 v4, v4, v3
	s_waitcnt lgkmcnt(0)
	v_add_f32_e32 v3, v3, v4
	ds_bpermute_b32 v4, v5, v3
	v_xor_b32_e32 v5, 2, v2
	s_delay_alu instid0(VALU_DEP_1) | instskip(SKIP_1) | instid1(VALU_DEP_1)
	v_cmp_gt_i32_e32 vcc_lo, 32, v5
	v_cndmask_b32_e32 v5, v2, v5, vcc_lo
	v_lshlrev_b32_e32 v5, 2, v5
	s_waitcnt lgkmcnt(0)
	v_add_f32_e32 v3, v3, v4
	ds_bpermute_b32 v4, v5, v3
	v_xor_b32_e32 v5, 1, v2
	s_delay_alu instid0(VALU_DEP_1) | instskip(SKIP_3) | instid1(VALU_DEP_2)
	v_cmp_gt_i32_e32 vcc_lo, 32, v5
	v_cndmask_b32_e32 v5, v2, v5, vcc_lo
	v_cmp_eq_u32_e32 vcc_lo, 0, v0
	s_waitcnt lgkmcnt(0)
	v_dual_add_f32 v2, v3, v4 :: v_dual_lshlrev_b32 v3, 2, v5
	ds_bpermute_b32 v3, v3, v2
	s_and_b32 exec_lo, exec_lo, vcc_lo
	s_cbranch_execz .LBB106_11
; %bb.10:
	s_waitcnt lgkmcnt(0)
	v_add_f32_e32 v4, v2, v3
	v_mad_u64_u32 v[2:3], null, s15, s5, v[1:2]
	v_mov_b32_e32 v3, 0
	s_delay_alu instid0(VALU_DEP_3) | instskip(SKIP_1) | instid1(VALU_DEP_2)
	v_bfe_u32 v0, v4, 16, 1
	v_cmp_o_f32_e32 vcc_lo, v4, v4
	v_add3_u32 v0, v4, v0, 0x7fff
	s_delay_alu instid0(VALU_DEP_1) | instskip(SKIP_1) | instid1(VALU_DEP_2)
	v_lshrrev_b32_e32 v5, 16, v0
	v_lshlrev_b64 v[0:1], 1, v[2:3]
	v_cndmask_b32_e32 v2, 0x7fc0, v5, vcc_lo
	s_delay_alu instid0(VALU_DEP_2) | instskip(NEXT) | instid1(VALU_DEP_3)
	v_add_co_u32 v0, vcc_lo, s2, v0
	v_add_co_ci_u32_e32 v1, vcc_lo, s3, v1, vcc_lo
	global_store_b16 v[0:1], v2, off
.LBB106_11:
	s_nop 0
	s_sendmsg sendmsg(MSG_DEALLOC_VGPRS)
	s_endpgm
	.section	.rodata,"a",@progbits
	.p2align	6, 0x0
	.amdhsa_kernel _ZL13mul_mat_vec_qIN3c108BFloat16ELi256ELi32E10block_q5_KLi2EXadL_ZL17vec_dot_q5_K_q8_1PKvPK10block_q8_1RKiEEEvS4_S4_PT_iii
		.amdhsa_group_segment_fixed_size 0
		.amdhsa_private_segment_fixed_size 0
		.amdhsa_kernarg_size 296
		.amdhsa_user_sgpr_count 14
		.amdhsa_user_sgpr_dispatch_ptr 0
		.amdhsa_user_sgpr_queue_ptr 0
		.amdhsa_user_sgpr_kernarg_segment_ptr 1
		.amdhsa_user_sgpr_dispatch_id 0
		.amdhsa_user_sgpr_private_segment_size 0
		.amdhsa_wavefront_size32 1
		.amdhsa_uses_dynamic_stack 0
		.amdhsa_enable_private_segment 0
		.amdhsa_system_sgpr_workgroup_id_x 1
		.amdhsa_system_sgpr_workgroup_id_y 1
		.amdhsa_system_sgpr_workgroup_id_z 0
		.amdhsa_system_sgpr_workgroup_info 0
		.amdhsa_system_vgpr_workitem_id 1
		.amdhsa_next_free_vgpr 52
		.amdhsa_next_free_sgpr 16
		.amdhsa_reserve_vcc 1
		.amdhsa_float_round_mode_32 0
		.amdhsa_float_round_mode_16_64 0
		.amdhsa_float_denorm_mode_32 3
		.amdhsa_float_denorm_mode_16_64 3
		.amdhsa_dx10_clamp 1
		.amdhsa_ieee_mode 1
		.amdhsa_fp16_overflow 0
		.amdhsa_workgroup_processor_mode 1
		.amdhsa_memory_ordered 1
		.amdhsa_forward_progress 0
		.amdhsa_shared_vgpr_count 0
		.amdhsa_exception_fp_ieee_invalid_op 0
		.amdhsa_exception_fp_denorm_src 0
		.amdhsa_exception_fp_ieee_div_zero 0
		.amdhsa_exception_fp_ieee_overflow 0
		.amdhsa_exception_fp_ieee_underflow 0
		.amdhsa_exception_fp_ieee_inexact 0
		.amdhsa_exception_int_div_zero 0
	.end_amdhsa_kernel
	.section	.text._ZL13mul_mat_vec_qIN3c108BFloat16ELi256ELi32E10block_q5_KLi2EXadL_ZL17vec_dot_q5_K_q8_1PKvPK10block_q8_1RKiEEEvS4_S4_PT_iii,"axG",@progbits,_ZL13mul_mat_vec_qIN3c108BFloat16ELi256ELi32E10block_q5_KLi2EXadL_ZL17vec_dot_q5_K_q8_1PKvPK10block_q8_1RKiEEEvS4_S4_PT_iii,comdat
.Lfunc_end106:
	.size	_ZL13mul_mat_vec_qIN3c108BFloat16ELi256ELi32E10block_q5_KLi2EXadL_ZL17vec_dot_q5_K_q8_1PKvPK10block_q8_1RKiEEEvS4_S4_PT_iii, .Lfunc_end106-_ZL13mul_mat_vec_qIN3c108BFloat16ELi256ELi32E10block_q5_KLi2EXadL_ZL17vec_dot_q5_K_q8_1PKvPK10block_q8_1RKiEEEvS4_S4_PT_iii
                                        ; -- End function
	.section	.AMDGPU.csdata,"",@progbits
; Kernel info:
; codeLenInByte = 1712
; NumSgprs: 18
; NumVgprs: 52
; ScratchSize: 0
; MemoryBound: 0
; FloatMode: 240
; IeeeMode: 1
; LDSByteSize: 0 bytes/workgroup (compile time only)
; SGPRBlocks: 2
; VGPRBlocks: 6
; NumSGPRsForWavesPerEU: 18
; NumVGPRsForWavesPerEU: 52
; Occupancy: 16
; WaveLimiterHint : 0
; COMPUTE_PGM_RSRC2:SCRATCH_EN: 0
; COMPUTE_PGM_RSRC2:USER_SGPR: 14
; COMPUTE_PGM_RSRC2:TRAP_HANDLER: 0
; COMPUTE_PGM_RSRC2:TGID_X_EN: 1
; COMPUTE_PGM_RSRC2:TGID_Y_EN: 1
; COMPUTE_PGM_RSRC2:TGID_Z_EN: 0
; COMPUTE_PGM_RSRC2:TIDIG_COMP_CNT: 1
	.section	.text._ZL13mul_mat_vec_qIN3c108BFloat16ELi256ELi32E10block_q6_KLi1EXadL_ZL17vec_dot_q6_K_q8_1PKvPK10block_q8_1RKiEEEvS4_S4_PT_iii,"axG",@progbits,_ZL13mul_mat_vec_qIN3c108BFloat16ELi256ELi32E10block_q6_KLi1EXadL_ZL17vec_dot_q6_K_q8_1PKvPK10block_q8_1RKiEEEvS4_S4_PT_iii,comdat
	.globl	_ZL13mul_mat_vec_qIN3c108BFloat16ELi256ELi32E10block_q6_KLi1EXadL_ZL17vec_dot_q6_K_q8_1PKvPK10block_q8_1RKiEEEvS4_S4_PT_iii ; -- Begin function _ZL13mul_mat_vec_qIN3c108BFloat16ELi256ELi32E10block_q6_KLi1EXadL_ZL17vec_dot_q6_K_q8_1PKvPK10block_q8_1RKiEEEvS4_S4_PT_iii
	.p2align	8
	.type	_ZL13mul_mat_vec_qIN3c108BFloat16ELi256ELi32E10block_q6_KLi1EXadL_ZL17vec_dot_q6_K_q8_1PKvPK10block_q8_1RKiEEEvS4_S4_PT_iii,@function
_ZL13mul_mat_vec_qIN3c108BFloat16ELi256ELi32E10block_q6_KLi1EXadL_ZL17vec_dot_q6_K_q8_1PKvPK10block_q8_1RKiEEEvS4_S4_PT_iii: ; @_ZL13mul_mat_vec_qIN3c108BFloat16ELi256ELi32E10block_q6_KLi1EXadL_ZL17vec_dot_q6_K_q8_1PKvPK10block_q8_1RKiEEEvS4_S4_PT_iii
; %bb.0:
	s_clause 0x1
	s_load_b32 s2, s[0:1], 0x34
	s_load_b128 s[4:7], s[0:1], 0x18
	v_bfe_u32 v3, v0, 10, 10
	s_waitcnt lgkmcnt(0)
	s_lshr_b32 s2, s2, 16
	s_cmp_lt_u32 s15, s6
	s_delay_alu instid0(VALU_DEP_1) | instskip(SKIP_1) | instid1(VALU_DEP_1)
	v_mad_u64_u32 v[1:2], null, s14, s2, v[3:4]
	s_cselect_b32 s2, -1, 0
	v_cmp_gt_u32_e32 vcc_lo, s5, v1
	s_and_b32 s2, s2, vcc_lo
	s_delay_alu instid0(SALU_CYCLE_1)
	s_and_saveexec_b32 s3, s2
	s_cbranch_execz .LBB107_7
; %bb.1:
	s_load_b64 s[6:7], s[0:1], 0x10
	v_dual_mov_b32 v5, 0 :: v_dual_and_b32 v0, 0x3ff, v0
	s_ashr_i32 s2, s4, 31
	s_mov_b32 s8, exec_lo
	s_lshr_b32 s2, s2, 24
	s_delay_alu instid0(VALU_DEP_1) | instskip(SKIP_1) | instid1(SALU_CYCLE_1)
	v_lshrrev_b32_e32 v4, 5, v0
	s_add_i32 s2, s4, s2
	s_ashr_i32 s9, s2, 8
	s_delay_alu instid0(VALU_DEP_1) | instid1(SALU_CYCLE_1)
	v_cmpx_gt_u32_e64 s9, v4
	s_cbranch_execz .LBB107_5
; %bb.2:
	v_dual_mov_b32 v5, 0 :: v_dual_and_b32 v2, 31, v0
	s_load_b128 s[0:3], s[0:1], 0x0
	v_and_b32_e32 v9, 7, v0
	s_addk_i32 s4, 0x1ff
	s_delay_alu instid0(VALU_DEP_2)
	v_add_nc_u32_e32 v3, 0xf0, v2
	v_cmp_gt_u32_e32 vcc_lo, 16, v2
	s_ashr_i32 s10, s4, 31
	v_lshlrev_b32_e32 v14, 3, v4
	s_lshr_b32 s10, s10, 23
	v_mul_lo_u32 v6, v1, s9
	v_cndmask_b32_e32 v3, v3, v2, vcc_lo
	v_cmp_lt_u32_e32 vcc_lo, 15, v2
	s_add_i32 s4, s4, s10
	s_delay_alu instid0(SALU_CYCLE_1) | instskip(NEXT) | instid1(VALU_DEP_2)
	s_ashr_i32 s4, s4, 9
	v_and_b32_e32 v7, 0xf8, v3
	v_cndmask_b32_e64 v8, 0, 1, vcc_lo
	s_mul_i32 s4, s15, s4
	s_delay_alu instid0(VALU_DEP_2) | instskip(NEXT) | instid1(VALU_DEP_2)
	v_cmp_ne_u32_e32 vcc_lo, 0, v7
	v_lshlrev_b32_e32 v11, 3, v8
	v_lshlrev_b32_e32 v7, 2, v2
	v_cndmask_b32_e64 v10, 0, 1, vcc_lo
	s_delay_alu instid0(VALU_DEP_3) | instskip(SKIP_1) | instid1(VALU_DEP_3)
	v_or_b32_e32 v12, v11, v9
	v_lshlrev_b32_e32 v9, 2, v9
	v_lshl_or_b32 v13, v8, 2, v10
	s_delay_alu instid0(VALU_DEP_3) | instskip(SKIP_4) | instid1(VALU_DEP_3)
	v_lshlrev_b32_e32 v8, 2, v12
	v_bfe_u32 v12, v3, 2, 6
	v_lshlrev_b32_e32 v10, 1, v10
	s_waitcnt lgkmcnt(0)
	v_mad_u64_u32 v[2:3], null, v13, 36, s[2:3]
	v_add_nc_u32_e32 v11, v12, v11
	v_lshl_add_u32 v12, s4, 4, v14
	s_mov_b32 s2, 0
.LBB107_3:                              ; =>This Inner Loop Header: Depth=1
	v_add_nc_u32_e32 v17, v6, v4
	s_delay_alu instid0(VALU_DEP_2) | instskip(SKIP_2) | instid1(VALU_DEP_4)
	v_mad_i64_i32 v[13:14], null, v12, 36, v[2:3]
	v_add_nc_u32_e32 v4, 1, v4
	v_add_nc_u32_e32 v12, 8, v12
	v_mad_i64_i32 v[15:16], null, 0xd2, v17, s[0:1]
	s_delay_alu instid0(VALU_DEP_4) | instskip(SKIP_1) | instid1(VALU_DEP_3)
	v_add_co_u32 v17, vcc_lo, v13, v9
	v_add_co_ci_u32_e32 v18, vcc_lo, 0, v14, vcc_lo
	v_add_co_u32 v19, vcc_lo, v15, v8
	s_delay_alu instid0(VALU_DEP_4)
	v_add_co_ci_u32_e32 v20, vcc_lo, 0, v16, vcc_lo
	v_add_co_u32 v21, vcc_lo, v15, v7
	v_add_co_ci_u32_e32 v22, vcc_lo, 0, v16, vcc_lo
	global_load_b32 v23, v[17:18], off offset:4
	s_clause 0x1
	global_load_b32 v19, v[19:20], off offset:128
	global_load_b32 v20, v[21:22], off
	global_load_b32 v21, v[17:18], off offset:76
	v_add_co_u32 v17, vcc_lo, v15, v11
	v_add_co_ci_u32_e32 v18, vcc_lo, 0, v16, vcc_lo
	v_cmp_le_u32_e32 vcc_lo, s9, v4
	s_clause 0x1
	global_load_i8 v22, v[17:18], off offset:192
	global_load_i8 v17, v[17:18], off offset:196
	s_clause 0x1
	global_load_b32 v18, v[13:14], off
	global_load_b32 v13, v[13:14], off offset:72
	global_load_u16 v14, v[15:16], off offset:208
	s_or_b32 s2, vcc_lo, s2
	s_waitcnt vmcnt(8)
	v_bfe_i32 v16, v23, 8, 8
	s_waitcnt vmcnt(7)
	v_ashrrev_i32_e32 v19, v10, v19
	s_waitcnt vmcnt(6)
	v_and_b32_e32 v28, 0xf0f0f0f, v20
	v_lshrrev_b32_e32 v20, 4, v20
	v_bfe_i32 v15, v23, 0, 8
	v_bfe_i32 v24, v23, 16, 8
	v_lshlrev_b32_e32 v29, 4, v19
	v_and_b32_e32 v19, 0x30303030, v19
	v_ashrrev_i32_e32 v23, 24, v23
	s_waitcnt vmcnt(5)
	v_bfe_i32 v26, v21, 8, 8
	v_bfe_i32 v25, v21, 0, 8
	v_and_or_b32 v28, 0x30303030, v29, v28
	v_and_or_b32 v19, 0xf0f0f0f, v20, v19
	v_bfe_i32 v27, v21, 16, 8
	v_ashrrev_i32_e32 v21, 24, v21
	s_delay_alu instid0(VALU_DEP_4)
	v_lshrrev_b32_e32 v20, 16, v28
	v_and_b32_e32 v29, 0x3f00, v28
	v_lshlrev_b16 v28, 8, v28
	v_lshrrev_b32_e32 v30, 16, v19
	v_and_b32_e32 v31, 0x3f00, v19
	v_lshlrev_b16 v19, 8, v19
	v_and_b32_e32 v32, 0x3f00, v20
	v_add_nc_u16 v28, v28, 0xe000
	v_lshlrev_b16 v20, 8, v20
	v_and_b32_e32 v33, 0x3f00, v30
	v_add_nc_u16 v19, v19, 0xe000
	v_lshlrev_b16 v30, 8, v30
	v_lshrrev_b16 v28, 8, v28
	v_add_nc_u16 v20, v20, 0xe000
	s_delay_alu instid0(VALU_DEP_4) | instskip(NEXT) | instid1(VALU_DEP_4)
	v_lshrrev_b16 v19, 8, v19
	v_add_nc_u16 v30, v30, 0xe000
	s_delay_alu instid0(VALU_DEP_4) | instskip(NEXT) | instid1(VALU_DEP_4)
	v_or_b32_e32 v28, v29, v28
	v_lshrrev_b16 v20, 8, v20
	s_delay_alu instid0(VALU_DEP_4) | instskip(NEXT) | instid1(VALU_DEP_4)
	v_or_b32_e32 v19, v31, v19
	v_lshrrev_b16 v29, 8, v30
	s_delay_alu instid0(VALU_DEP_4) | instskip(NEXT) | instid1(VALU_DEP_4)
	v_add_nc_u16 v28, v28, 0xe000
	v_or_b32_e32 v20, v32, v20
	s_delay_alu instid0(VALU_DEP_4) | instskip(NEXT) | instid1(VALU_DEP_4)
	v_add_nc_u16 v19, v19, 0xe000
	v_or_b32_e32 v29, v33, v29
	s_delay_alu instid0(VALU_DEP_4) | instskip(NEXT) | instid1(VALU_DEP_4)
	v_and_b32_e32 v28, 0xffff, v28
	v_add_nc_u16 v20, v20, 0xe000
	s_delay_alu instid0(VALU_DEP_4) | instskip(NEXT) | instid1(VALU_DEP_4)
	v_and_b32_e32 v19, 0xffff, v19
	v_add_nc_u16 v29, v29, 0xe000
	s_delay_alu instid0(VALU_DEP_4)
	v_bfe_i32 v30, v28, 0, 8
	v_bfe_i32 v28, v28, 8, 8
	;; [unrolled: 1-line block ×6, first 2 shown]
	v_mul_i32_i24_e32 v16, v28, v16
	v_bfe_i32 v33, v29, 0, 8
	v_bfe_i32 v28, v29, 8, 8
	v_mul_i32_i24_e32 v15, v30, v15
	v_mul_i32_i24_e32 v20, v20, v23
	;; [unrolled: 1-line block ×3, first 2 shown]
	v_mad_i32_i24 v16, v31, v24, v16
	v_mul_i32_i24_e32 v23, v32, v25
	v_mul_i32_i24_e32 v21, v28, v21
	s_delay_alu instid0(VALU_DEP_4) | instskip(NEXT) | instid1(VALU_DEP_4)
	v_mad_i32_i24 v19, v33, v27, v19
	v_add3_u32 v15, v16, v20, v15
	s_delay_alu instid0(VALU_DEP_2) | instskip(SKIP_1) | instid1(VALU_DEP_2)
	v_add3_u32 v16, v19, v21, v23
	s_waitcnt vmcnt(4)
	v_mul_lo_u32 v15, v15, v22
	s_waitcnt vmcnt(3)
	s_delay_alu instid0(VALU_DEP_2) | instskip(NEXT) | instid1(VALU_DEP_2)
	v_mul_lo_u32 v16, v16, v17
	v_cvt_f32_i32_e32 v15, v15
	s_delay_alu instid0(VALU_DEP_2) | instskip(SKIP_1) | instid1(VALU_DEP_2)
	v_cvt_f32_i32_e32 v16, v16
	s_waitcnt vmcnt(2)
	v_fma_mix_f32 v15, v18, v15, 0 op_sel_hi:[1,0,0]
	s_waitcnt vmcnt(1)
	s_delay_alu instid0(VALU_DEP_1) | instskip(SKIP_1) | instid1(VALU_DEP_1)
	v_fma_mix_f32 v13, v13, v16, v15 op_sel_hi:[1,0,0]
	s_waitcnt vmcnt(0)
	v_fma_mix_f32 v5, v13, v14, v5 op_sel_hi:[0,1,0]
	s_and_not1_b32 exec_lo, exec_lo, s2
	s_cbranch_execnz .LBB107_3
; %bb.4:
	s_or_b32 exec_lo, exec_lo, s2
.LBB107_5:
	s_delay_alu instid0(SALU_CYCLE_1) | instskip(SKIP_1) | instid1(VALU_DEP_1)
	s_or_b32 exec_lo, exec_lo, s8
	v_mbcnt_lo_u32_b32 v2, -1, 0
	v_xor_b32_e32 v3, 16, v2
	v_xor_b32_e32 v4, 8, v2
	s_delay_alu instid0(VALU_DEP_2) | instskip(SKIP_1) | instid1(VALU_DEP_3)
	v_cmp_gt_i32_e32 vcc_lo, 32, v3
	v_cndmask_b32_e32 v3, v2, v3, vcc_lo
	v_cmp_gt_i32_e32 vcc_lo, 32, v4
	v_cndmask_b32_e32 v4, v2, v4, vcc_lo
	s_delay_alu instid0(VALU_DEP_1) | instskip(NEXT) | instid1(VALU_DEP_4)
	v_lshlrev_b32_e32 v4, 2, v4
	v_lshlrev_b32_e32 v3, 2, v3
	ds_bpermute_b32 v3, v3, v5
	s_waitcnt lgkmcnt(0)
	v_add_f32_e32 v3, v5, v3
	v_xor_b32_e32 v5, 4, v2
	ds_bpermute_b32 v4, v4, v3
	v_cmp_gt_i32_e32 vcc_lo, 32, v5
	v_cndmask_b32_e32 v5, v2, v5, vcc_lo
	s_delay_alu instid0(VALU_DEP_1) | instskip(SKIP_4) | instid1(VALU_DEP_1)
	v_lshlrev_b32_e32 v5, 2, v5
	s_waitcnt lgkmcnt(0)
	v_add_f32_e32 v3, v3, v4
	ds_bpermute_b32 v4, v5, v3
	v_xor_b32_e32 v5, 2, v2
	v_cmp_gt_i32_e32 vcc_lo, 32, v5
	v_cndmask_b32_e32 v5, v2, v5, vcc_lo
	s_delay_alu instid0(VALU_DEP_1) | instskip(SKIP_4) | instid1(VALU_DEP_1)
	v_lshlrev_b32_e32 v5, 2, v5
	s_waitcnt lgkmcnt(0)
	v_add_f32_e32 v3, v3, v4
	ds_bpermute_b32 v4, v5, v3
	v_xor_b32_e32 v5, 1, v2
	v_cmp_gt_i32_e32 vcc_lo, 32, v5
	v_cndmask_b32_e32 v5, v2, v5, vcc_lo
	v_cmp_eq_u32_e32 vcc_lo, 0, v0
	s_waitcnt lgkmcnt(0)
	s_delay_alu instid0(VALU_DEP_2)
	v_dual_add_f32 v2, v3, v4 :: v_dual_lshlrev_b32 v3, 2, v5
	ds_bpermute_b32 v3, v3, v2
	s_and_b32 exec_lo, exec_lo, vcc_lo
	s_cbranch_execz .LBB107_7
; %bb.6:
	s_waitcnt lgkmcnt(0)
	v_add_f32_e32 v4, v2, v3
	v_mad_u64_u32 v[2:3], null, s15, s5, v[1:2]
	v_mov_b32_e32 v3, 0
	s_delay_alu instid0(VALU_DEP_3) | instskip(SKIP_1) | instid1(VALU_DEP_2)
	v_bfe_u32 v0, v4, 16, 1
	v_cmp_o_f32_e32 vcc_lo, v4, v4
	v_add3_u32 v0, v4, v0, 0x7fff
	s_delay_alu instid0(VALU_DEP_1) | instskip(SKIP_1) | instid1(VALU_DEP_2)
	v_lshrrev_b32_e32 v5, 16, v0
	v_lshlrev_b64 v[0:1], 1, v[2:3]
	v_cndmask_b32_e32 v2, 0x7fc0, v5, vcc_lo
	s_delay_alu instid0(VALU_DEP_2) | instskip(NEXT) | instid1(VALU_DEP_3)
	v_add_co_u32 v0, vcc_lo, s6, v0
	v_add_co_ci_u32_e32 v1, vcc_lo, s7, v1, vcc_lo
	global_store_b16 v[0:1], v2, off
.LBB107_7:
	s_nop 0
	s_sendmsg sendmsg(MSG_DEALLOC_VGPRS)
	s_endpgm
	.section	.rodata,"a",@progbits
	.p2align	6, 0x0
	.amdhsa_kernel _ZL13mul_mat_vec_qIN3c108BFloat16ELi256ELi32E10block_q6_KLi1EXadL_ZL17vec_dot_q6_K_q8_1PKvPK10block_q8_1RKiEEEvS4_S4_PT_iii
		.amdhsa_group_segment_fixed_size 0
		.amdhsa_private_segment_fixed_size 0
		.amdhsa_kernarg_size 296
		.amdhsa_user_sgpr_count 14
		.amdhsa_user_sgpr_dispatch_ptr 0
		.amdhsa_user_sgpr_queue_ptr 0
		.amdhsa_user_sgpr_kernarg_segment_ptr 1
		.amdhsa_user_sgpr_dispatch_id 0
		.amdhsa_user_sgpr_private_segment_size 0
		.amdhsa_wavefront_size32 1
		.amdhsa_uses_dynamic_stack 0
		.amdhsa_enable_private_segment 0
		.amdhsa_system_sgpr_workgroup_id_x 1
		.amdhsa_system_sgpr_workgroup_id_y 1
		.amdhsa_system_sgpr_workgroup_id_z 0
		.amdhsa_system_sgpr_workgroup_info 0
		.amdhsa_system_vgpr_workitem_id 1
		.amdhsa_next_free_vgpr 34
		.amdhsa_next_free_sgpr 16
		.amdhsa_reserve_vcc 1
		.amdhsa_float_round_mode_32 0
		.amdhsa_float_round_mode_16_64 0
		.amdhsa_float_denorm_mode_32 3
		.amdhsa_float_denorm_mode_16_64 3
		.amdhsa_dx10_clamp 1
		.amdhsa_ieee_mode 1
		.amdhsa_fp16_overflow 0
		.amdhsa_workgroup_processor_mode 1
		.amdhsa_memory_ordered 1
		.amdhsa_forward_progress 0
		.amdhsa_shared_vgpr_count 0
		.amdhsa_exception_fp_ieee_invalid_op 0
		.amdhsa_exception_fp_denorm_src 0
		.amdhsa_exception_fp_ieee_div_zero 0
		.amdhsa_exception_fp_ieee_overflow 0
		.amdhsa_exception_fp_ieee_underflow 0
		.amdhsa_exception_fp_ieee_inexact 0
		.amdhsa_exception_int_div_zero 0
	.end_amdhsa_kernel
	.section	.text._ZL13mul_mat_vec_qIN3c108BFloat16ELi256ELi32E10block_q6_KLi1EXadL_ZL17vec_dot_q6_K_q8_1PKvPK10block_q8_1RKiEEEvS4_S4_PT_iii,"axG",@progbits,_ZL13mul_mat_vec_qIN3c108BFloat16ELi256ELi32E10block_q6_KLi1EXadL_ZL17vec_dot_q6_K_q8_1PKvPK10block_q8_1RKiEEEvS4_S4_PT_iii,comdat
.Lfunc_end107:
	.size	_ZL13mul_mat_vec_qIN3c108BFloat16ELi256ELi32E10block_q6_KLi1EXadL_ZL17vec_dot_q6_K_q8_1PKvPK10block_q8_1RKiEEEvS4_S4_PT_iii, .Lfunc_end107-_ZL13mul_mat_vec_qIN3c108BFloat16ELi256ELi32E10block_q6_KLi1EXadL_ZL17vec_dot_q6_K_q8_1PKvPK10block_q8_1RKiEEEvS4_S4_PT_iii
                                        ; -- End function
	.section	.AMDGPU.csdata,"",@progbits
; Kernel info:
; codeLenInByte = 1436
; NumSgprs: 18
; NumVgprs: 34
; ScratchSize: 0
; MemoryBound: 0
; FloatMode: 240
; IeeeMode: 1
; LDSByteSize: 0 bytes/workgroup (compile time only)
; SGPRBlocks: 2
; VGPRBlocks: 4
; NumSGPRsForWavesPerEU: 18
; NumVGPRsForWavesPerEU: 34
; Occupancy: 16
; WaveLimiterHint : 0
; COMPUTE_PGM_RSRC2:SCRATCH_EN: 0
; COMPUTE_PGM_RSRC2:USER_SGPR: 14
; COMPUTE_PGM_RSRC2:TRAP_HANDLER: 0
; COMPUTE_PGM_RSRC2:TGID_X_EN: 1
; COMPUTE_PGM_RSRC2:TGID_Y_EN: 1
; COMPUTE_PGM_RSRC2:TGID_Z_EN: 0
; COMPUTE_PGM_RSRC2:TIDIG_COMP_CNT: 1
	.section	.text._ZL13mul_mat_vec_qIN3c108BFloat16ELi256ELi8E13block_iq2_xxsLi1EXadL_ZL20vec_dot_iq2_xxs_q8_1PKvPK10block_q8_1RKiEEEvS4_S4_PT_iii,"axG",@progbits,_ZL13mul_mat_vec_qIN3c108BFloat16ELi256ELi8E13block_iq2_xxsLi1EXadL_ZL20vec_dot_iq2_xxs_q8_1PKvPK10block_q8_1RKiEEEvS4_S4_PT_iii,comdat
	.globl	_ZL13mul_mat_vec_qIN3c108BFloat16ELi256ELi8E13block_iq2_xxsLi1EXadL_ZL20vec_dot_iq2_xxs_q8_1PKvPK10block_q8_1RKiEEEvS4_S4_PT_iii ; -- Begin function _ZL13mul_mat_vec_qIN3c108BFloat16ELi256ELi8E13block_iq2_xxsLi1EXadL_ZL20vec_dot_iq2_xxs_q8_1PKvPK10block_q8_1RKiEEEvS4_S4_PT_iii
	.p2align	8
	.type	_ZL13mul_mat_vec_qIN3c108BFloat16ELi256ELi8E13block_iq2_xxsLi1EXadL_ZL20vec_dot_iq2_xxs_q8_1PKvPK10block_q8_1RKiEEEvS4_S4_PT_iii,@function
_ZL13mul_mat_vec_qIN3c108BFloat16ELi256ELi8E13block_iq2_xxsLi1EXadL_ZL20vec_dot_iq2_xxs_q8_1PKvPK10block_q8_1RKiEEEvS4_S4_PT_iii: ; @_ZL13mul_mat_vec_qIN3c108BFloat16ELi256ELi8E13block_iq2_xxsLi1EXadL_ZL20vec_dot_iq2_xxs_q8_1PKvPK10block_q8_1RKiEEEvS4_S4_PT_iii
; %bb.0:
	s_clause 0x1
	s_load_b32 s2, s[0:1], 0x34
	s_load_b128 s[16:19], s[0:1], 0x18
	v_bfe_u32 v3, v0, 10, 10
	s_waitcnt lgkmcnt(0)
	s_lshr_b32 s2, s2, 16
	s_cmp_lt_u32 s15, s18
	s_delay_alu instid0(VALU_DEP_1) | instskip(SKIP_1) | instid1(VALU_DEP_1)
	v_mad_u64_u32 v[1:2], null, s14, s2, v[3:4]
	s_cselect_b32 s2, -1, 0
	v_cmp_gt_u32_e32 vcc_lo, s17, v1
	s_and_b32 s2, s2, vcc_lo
	s_delay_alu instid0(SALU_CYCLE_1)
	s_and_saveexec_b32 s3, s2
	s_cbranch_execz .LBB108_7
; %bb.1:
	s_load_b64 s[12:13], s[0:1], 0x10
	v_dual_mov_b32 v5, 0 :: v_dual_and_b32 v0, 0x3ff, v0
	s_ashr_i32 s2, s16, 31
	s_mov_b32 s11, exec_lo
	s_lshr_b32 s2, s2, 24
	s_delay_alu instid0(VALU_DEP_1) | instskip(SKIP_1) | instid1(SALU_CYCLE_1)
	v_lshrrev_b32_e32 v4, 3, v0
	s_add_i32 s2, s16, s2
	s_ashr_i32 s14, s2, 8
	s_delay_alu instid0(VALU_DEP_1) | instid1(SALU_CYCLE_1)
	v_cmpx_gt_u32_e64 s14, v4
	s_cbranch_execz .LBB108_5
; %bb.2:
	s_load_b128 s[20:23], s[0:1], 0x0
	s_add_i32 s0, s16, 0x1ff
	v_and_b32_e32 v5, 7, v0
	s_ashr_i32 s1, s0, 31
	v_lshlrev_b32_e32 v7, 3, v4
	s_lshr_b32 s1, s1, 23
	v_mul_lo_u32 v6, v1, s14
	s_add_i32 s0, s0, s1
	v_lshlrev_b32_e32 v8, 2, v5
	s_ashr_i32 s0, s0, 9
	s_mov_b32 s16, 0
	s_mul_i32 s0, s15, s0
	s_delay_alu instid0(SALU_CYCLE_1)
	v_lshl_add_u32 v7, s0, 4, v7
	s_waitcnt lgkmcnt(0)
	v_mad_u64_u32 v[2:3], null, v5, 36, s[22:23]
	v_dual_mov_b32 v5, 0 :: v_dual_lshlrev_b32 v8, 1, v8
.LBB108_3:                              ; =>This Inner Loop Header: Depth=1
	v_add_nc_u32_e32 v9, v6, v4
	s_delay_alu instid0(VALU_DEP_3)
	v_mad_i64_i32 v[19:20], null, v7, 36, v[2:3]
	s_getpc_b64 s[0:1]
	s_add_u32 s0, s0, _ZL11iq2xxs_grid@rel32@lo+4
	s_addc_u32 s1, s1, _ZL11iq2xxs_grid@rel32@hi+12
	s_getpc_b64 s[2:3]
	s_add_u32 s2, s2, _ZL12ksigns_iq2xs@rel32@lo+4
	s_addc_u32 s3, s3, _ZL12ksigns_iq2xs@rel32@hi+12
	v_mad_i64_i32 v[17:18], null, 0x42, v9, s[20:21]
	v_add_nc_u32_e32 v4, 4, v4
	v_add_nc_u32_e32 v7, 32, v7
	s_delay_alu instid0(VALU_DEP_3) | instskip(NEXT) | instid1(VALU_DEP_4)
	v_add_co_u32 v9, vcc_lo, v17, v8
	v_add_co_ci_u32_e32 v10, vcc_lo, 0, v18, vcc_lo
	s_clause 0x1
	global_load_b32 v27, v[9:10], off offset:6
	global_load_b32 v21, v[9:10], off offset:2
	s_clause 0x1
	global_load_b128 v[9:12], v[19:20], off offset:4
	global_load_b128 v[13:16], v[19:20], off offset:20
	global_load_u16 v28, v[17:18], off
	s_waitcnt vmcnt(2)
	v_bfe_i32 v37, v9, 8, 8
	v_and_b32_e32 v29, 0x7f, v27
	v_bfe_u32 v30, v27, 7, 7
	v_bfe_u32 v31, v27, 21, 7
	v_lshrrev_b32_e32 v22, 5, v21
	v_lshrrev_b32_e32 v23, 13, v21
	s_clause 0x2
	global_load_i8 v32, v29, s[2:3]
	global_load_i8 v33, v30, s[2:3]
	;; [unrolled: 1-line block ×3, first 2 shown]
	s_waitcnt vmcnt(3)
	v_cvt_f32_f16_e32 v28, v28
	v_and_b32_e32 v22, 0x7f8, v22
	v_and_b32_e32 v23, 0x7f8, v23
	v_bfe_i32 v39, v10, 0, 8
	v_bfe_i32 v38, v9, 16, 8
	;; [unrolled: 1-line block ×12, first 2 shown]
	v_ashrrev_i32_e32 v14, 24, v14
	v_bfe_i32 v41, v10, 16, 8
	v_ashrrev_i32_e32 v10, 24, v10
	v_bfe_i32 v42, v11, 0, 8
	v_bfe_i32 v43, v11, 8, 8
	v_bfe_i32 v44, v11, 16, 8
	v_ashrrev_i32_e32 v11, 24, v11
	v_bfe_i32 v45, v12, 0, 8
	v_bfe_i32 v46, v12, 8, 8
	;; [unrolled: 4-line block ×3, first 2 shown]
	v_bfe_i32 v50, v13, 16, 8
	v_ashrrev_i32_e32 v13, 24, v13
	v_ashrrev_i32_e32 v15, 24, v15
	;; [unrolled: 1-line block ×3, first 2 shown]
	s_waitcnt vmcnt(2)
	v_and_b32_e32 v60, 2, v32
	v_and_b32_e32 v62, 8, v32
	;; [unrolled: 1-line block ×5, first 2 shown]
	v_cmp_eq_u16_e32 vcc_lo, 0, v60
	v_and_b32_e32 v17, 0xffff0000, v27
	s_waitcnt vmcnt(1)
	v_and_b32_e32 v65, 1, v33
	v_and_b32_e32 v66, 2, v33
	;; [unrolled: 1-line block ×4, first 2 shown]
	v_and_or_b32 v17, 0xffff, v27, v17
	v_lshrrev_b32_e32 v27, 28, v27
	v_and_b32_e32 v93, 16, v33
	v_cmp_gt_i16_e64 s6, 0, v33
	v_cmp_eq_u16_e64 s4, 0, v68
	v_bfe_u32 v35, v17, 14, 7
	v_cvt_f32_ubyte0_e32 v27, v27
	v_and_b32_e32 v18, 0xff, v21
	v_lshrrev_b32_e32 v21, 21, v21
	s_delay_alu instid0(VALU_DEP_2) | instskip(NEXT) | instid1(VALU_DEP_1)
	v_dual_add_f32 v27, 0.5, v27 :: v_dual_lshlrev_b32 v18, 3, v18
	v_mul_f32_e32 v27, v27, v28
	s_delay_alu instid0(VALU_DEP_3)
	v_and_b32_e32 v25, 0x7f8, v21
	s_clause 0x3
	global_load_b64 v[17:18], v18, s[0:1]
	global_load_b64 v[21:22], v22, s[0:1]
	;; [unrolled: 1-line block ×4, first 2 shown]
	global_load_i8 v36, v35, s[2:3]
	global_load_u16 v19, v[19:20], off
	v_bfe_i32 v20, v9, 0, 8
	v_ashrrev_i32_e32 v9, 24, v9
	v_cmp_eq_u16_e64 s0, 0, v62
	v_cmp_eq_u16_e64 s1, 0, v64
	v_cmp_gt_i16_e64 s2, 0, v32
	v_cmp_eq_u16_e64 s3, 0, v66
	s_waitcnt vmcnt(5)
	v_bfe_u32 v72, v17, 8, 8
	v_and_b32_e32 v73, 0xff, v18
	v_lshrrev_b32_e32 v69, 24, v17
	v_and_b32_e32 v71, 0xff, v17
	v_bfe_u32 v17, v17, 16, 8
	s_waitcnt vmcnt(2)
	v_lshrrev_b32_e32 v87, 24, v25
	v_and_b32_e32 v89, 0xff, v25
	v_bfe_u32 v90, v25, 8, 8
	v_bfe_u32 v25, v25, 16, 8
	;; [unrolled: 1-line block ×3, first 2 shown]
	v_mul_i32_i24_e32 v37, v72, v37
	v_mul_i32_i24_e32 v39, v73, v39
	v_lshrrev_b32_e32 v82, 24, v24
	v_and_b32_e32 v85, 0xff, v24
	v_bfe_u32 v86, v24, 8, 8
	v_bfe_u32 v24, v24, 16, 8
	v_lshrrev_b32_e32 v88, 24, v26
	v_and_b32_e32 v91, 0xff, v26
	v_bfe_u32 v26, v26, 16, 8
	v_mul_i32_i24_e32 v20, v71, v20
	v_mul_i32_i24_e32 v17, v17, v38
	v_mul_i32_i24_e32 v25, v25, v56
	v_mul_i32_i24_e32 v56, v92, v58
	v_sub_nc_u32_e32 v58, 0, v37
	v_sub_nc_u32_e32 v62, 0, v39
	v_and_b32_e32 v28, 1, v32
	v_bfe_u32 v74, v18, 8, 8
	v_mul_i32_i24_e32 v9, v69, v9
	v_mul_i32_i24_e32 v24, v24, v53
	;; [unrolled: 1-line block ×6, first 2 shown]
	v_sub_nc_u32_e32 v57, 0, v20
	v_sub_nc_u32_e32 v59, 0, v17
	v_cmp_eq_u16_e64 s10, 0, v28
	v_cndmask_b32_e32 v28, v58, v37, vcc_lo
	v_cmp_eq_u16_e32 vcc_lo, 0, v61
	v_lshrrev_b32_e32 v70, 24, v18
	v_bfe_u32 v18, v18, 16, 8
	v_and_b32_e32 v77, 0xff, v21
	v_mul_i32_i24_e32 v40, v74, v40
	v_mul_i32_i24_e32 v14, v82, v14
	v_sub_nc_u32_e32 v60, 0, v9
	v_cndmask_b32_e64 v20, v57, v20, s10
	v_cndmask_b32_e32 v17, v59, v17, vcc_lo
	v_cmp_eq_u16_e32 vcc_lo, 0, v63
	v_bfe_u32 v78, v21, 8, 8
	v_mul_i32_i24_e32 v18, v18, v41
	v_mul_i32_i24_e32 v10, v70, v10
	;; [unrolled: 1-line block ×3, first 2 shown]
	v_cndmask_b32_e32 v39, v62, v39, vcc_lo
	v_sub_nc_u32_e32 v77, 0, v40
	v_cndmask_b32_e64 v9, v60, v9, s0
	v_add_nc_u32_e32 v20, v28, v20
	v_sub_nc_u32_e32 v28, 0, v14
	s_waitcnt vmcnt(1)
	v_cmp_gt_i16_e32 vcc_lo, 0, v36
	v_lshrrev_b32_e32 v75, 24, v21
	v_bfe_u32 v21, v21, 16, 8
	v_and_b32_e32 v79, 0xff, v22
	v_mul_i32_i24_e32 v43, v78, v43
	v_sub_nc_u32_e32 v64, 0, v18
	v_sub_nc_u32_e32 v78, 0, v10
	v_cndmask_b32_e64 v40, v77, v40, s1
	v_add3_u32 v9, v20, v17, v9
	v_cndmask_b32_e32 v14, v14, v28, vcc_lo
	v_cmp_gt_u32_e64 s0, 64, v29
	v_bfe_u32 v80, v22, 8, 8
	v_mul_i32_i24_e32 v21, v21, v44
	v_mul_i32_i24_e32 v11, v75, v11
	;; [unrolled: 1-line block ×3, first 2 shown]
	v_sub_nc_u32_e32 v32, 0, v42
	v_sub_nc_u32_e32 v79, 0, v43
	v_cndmask_b32_e64 v17, v64, v18, s0
	v_cndmask_b32_e64 v10, v10, v78, s2
	v_add3_u32 v9, v9, v39, v40
	v_cmp_eq_u16_e64 s0, 0, v65
	v_lshrrev_b32_e32 v76, 24, v22
	v_bfe_u32 v22, v22, 16, 8
	v_lshrrev_b32_e32 v81, 24, v23
	v_and_b32_e32 v71, 32, v33
	v_mul_i32_i24_e32 v45, v80, v46
	v_sub_nc_u32_e32 v66, 0, v21
	v_sub_nc_u32_e32 v80, 0, v11
	v_cndmask_b32_e64 v20, v32, v42, s0
	v_cndmask_b32_e64 v29, v79, v43, s3
	v_add3_u32 v9, v9, v17, v10
	v_cmp_eq_u16_e64 s0, 0, v67
	v_and_b32_e32 v83, 0xff, v23
	v_bfe_u32 v84, v23, 8, 8
	v_mul_i32_i24_e32 v22, v22, v47
	v_mul_i32_i24_e32 v12, v76, v12
	;; [unrolled: 1-line block ×3, first 2 shown]
	v_sub_nc_u32_e32 v68, 0, v44
	v_sub_nc_u32_e32 v81, 0, v45
	v_cmp_eq_u16_e64 s5, 0, v71
	v_cndmask_b32_e64 v17, v66, v21, s0
	v_cndmask_b32_e64 v11, v80, v11, s4
	v_add3_u32 v9, v9, v20, v29
	v_cmp_eq_u16_e64 s1, 0, v93
	v_bfe_u32 v23, v23, 16, 8
	v_mul_i32_i24_e32 v46, v83, v48
	v_and_b32_e32 v47, 1, v36
	v_mul_i32_i24_e32 v48, v84, v49
	v_and_b32_e32 v49, 2, v36
	v_sub_nc_u32_e32 v71, 0, v22
	v_sub_nc_u32_e32 v82, 0, v12
	v_cndmask_b32_e64 v20, v68, v44, s1
	v_cndmask_b32_e64 v21, v81, v45, s5
	v_add3_u32 v9, v9, v17, v11
	v_cmp_gt_u32_e64 s1, 64, v30
	v_mul_i32_i24_e32 v23, v23, v50
	v_and_b32_e32 v50, 4, v36
	v_and_b32_e32 v70, 8, v36
	v_sub_nc_u32_e32 v33, 0, v46
	v_sub_nc_u32_e32 v83, 0, v48
	v_cmp_eq_u16_e64 s7, 0, v49
	v_cndmask_b32_e64 v17, v71, v22, s1
	v_cndmask_b32_e64 v12, v12, v82, s6
	v_add3_u32 v9, v9, v20, v21
	v_cmp_eq_u16_e64 s1, 0, v47
	v_mul_i32_i24_e32 v51, v85, v51
	v_and_b32_e32 v75, 16, v36
	v_mul_i32_i24_e32 v52, v86, v52
	v_and_b32_e32 v76, 32, v36
	v_sub_nc_u32_e32 v49, 0, v23
	v_sub_nc_u32_e32 v84, 0, v13
	v_cmp_eq_u16_e64 s8, 0, v70
	v_cndmask_b32_e64 v21, v33, v46, s1
	v_cndmask_b32_e64 v22, v83, v48, s7
	v_add3_u32 v9, v9, v17, v12
	v_cmp_eq_u16_e64 s2, 0, v50
	v_sub_nc_u32_e32 v70, 0, v51
	v_sub_nc_u32_e32 v85, 0, v52
	v_cmp_eq_u16_e64 s9, 0, v76
	v_cndmask_b32_e64 v13, v84, v13, s8
	v_cndmask_b32_e64 v12, v49, v23, s2
	v_add3_u32 v9, v9, v21, v22
	v_cmp_eq_u16_e64 s2, 0, v75
	v_and_b32_e32 v72, 1, v34
	v_and_b32_e32 v38, 2, v34
	v_sub_nc_u32_e32 v37, 0, v24
	v_cndmask_b32_e64 v22, v85, v52, s9
	v_cndmask_b32_e64 v21, v70, v51, s2
	v_add3_u32 v9, v9, v12, v13
	v_cmp_gt_u32_e64 s2, 64, v35
	v_and_b32_e32 v69, 4, v34
	v_and_b32_e32 v73, 8, v34
	v_mul_i32_i24_e32 v15, v87, v15
	v_sub_nc_u32_e32 v18, 0, v53
	v_sub_nc_u32_e32 v10, 0, v54
	v_cmp_eq_u16_e64 s0, 0, v38
	v_cndmask_b32_e64 v13, v37, v24, s2
	v_add3_u32 v9, v9, v21, v22
	v_cmp_eq_u16_e64 s2, 0, v72
	v_and_b32_e32 v74, 16, v34
	v_and_b32_e32 v41, 32, v34
	v_sub_nc_u32_e32 v11, 0, v25
	v_sub_nc_u32_e32 v20, 0, v15
	v_cmp_eq_u16_e64 s1, 0, v73
	v_cndmask_b32_e64 v18, v18, v53, s2
	v_cndmask_b32_e64 v10, v10, v54, s0
	v_add3_u32 v9, v9, v13, v14
	v_cmp_eq_u16_e64 s0, 0, v69
	v_mul_i32_i24_e32 v16, v88, v16
	v_sub_nc_u32_e32 v17, 0, v55
	v_sub_nc_u32_e32 v12, 0, v56
	v_cmp_eq_u16_e32 vcc_lo, 0, v41
	v_cndmask_b32_e64 v11, v11, v25, s0
	v_cndmask_b32_e64 v14, v20, v15, s1
	v_add3_u32 v9, v9, v18, v10
	v_cmp_eq_u16_e64 s0, 0, v74
	v_sub_nc_u32_e32 v13, 0, v26
	v_sub_nc_u32_e32 v10, 0, v16
	v_cndmask_b32_e32 v12, v12, v56, vcc_lo
	v_add3_u32 v9, v9, v11, v14
	v_cndmask_b32_e64 v15, v17, v55, s0
	v_cmp_gt_i16_e32 vcc_lo, 0, v34
	v_cmp_gt_u32_e64 s0, 64, v31
	s_waitcnt vmcnt(0)
	v_cvt_f32_f16_e32 v19, v19
	v_add3_u32 v9, v9, v15, v12
	v_cndmask_b32_e32 v10, v16, v10, vcc_lo
	v_cndmask_b32_e64 v11, v13, v26, s0
	s_delay_alu instid0(VALU_DEP_4) | instskip(SKIP_1) | instid1(VALU_DEP_3)
	v_mul_f32_e32 v12, v27, v19
	v_cmp_le_u32_e32 vcc_lo, s14, v4
	v_add3_u32 v9, v9, v11, v10
	s_delay_alu instid0(VALU_DEP_3) | instskip(SKIP_1) | instid1(VALU_DEP_2)
	v_mul_f32_e32 v10, 0x3e800000, v12
	s_or_b32 s16, vcc_lo, s16
	v_cvt_f32_i32_e32 v9, v9
	s_delay_alu instid0(VALU_DEP_1)
	v_fmac_f32_e32 v5, v10, v9
	s_and_not1_b32 exec_lo, exec_lo, s16
	s_cbranch_execnz .LBB108_3
; %bb.4:
	s_or_b32 exec_lo, exec_lo, s16
.LBB108_5:
	s_delay_alu instid0(SALU_CYCLE_1) | instskip(SKIP_1) | instid1(VALU_DEP_1)
	s_or_b32 exec_lo, exec_lo, s11
	v_mbcnt_lo_u32_b32 v2, -1, 0
	v_xor_b32_e32 v3, 16, v2
	v_xor_b32_e32 v4, 8, v2
	s_delay_alu instid0(VALU_DEP_2) | instskip(SKIP_1) | instid1(VALU_DEP_3)
	v_cmp_gt_i32_e32 vcc_lo, 32, v3
	v_cndmask_b32_e32 v3, v2, v3, vcc_lo
	v_cmp_gt_i32_e32 vcc_lo, 32, v4
	v_cndmask_b32_e32 v4, v2, v4, vcc_lo
	s_delay_alu instid0(VALU_DEP_1) | instskip(NEXT) | instid1(VALU_DEP_4)
	v_lshlrev_b32_e32 v4, 2, v4
	v_lshlrev_b32_e32 v3, 2, v3
	ds_bpermute_b32 v3, v3, v5
	s_waitcnt lgkmcnt(0)
	v_add_f32_e32 v3, v5, v3
	v_xor_b32_e32 v5, 4, v2
	ds_bpermute_b32 v4, v4, v3
	v_cmp_gt_i32_e32 vcc_lo, 32, v5
	v_cndmask_b32_e32 v5, v2, v5, vcc_lo
	s_delay_alu instid0(VALU_DEP_1) | instskip(SKIP_4) | instid1(VALU_DEP_1)
	v_lshlrev_b32_e32 v5, 2, v5
	s_waitcnt lgkmcnt(0)
	v_add_f32_e32 v3, v3, v4
	ds_bpermute_b32 v4, v5, v3
	v_xor_b32_e32 v5, 2, v2
	v_cmp_gt_i32_e32 vcc_lo, 32, v5
	v_cndmask_b32_e32 v5, v2, v5, vcc_lo
	s_delay_alu instid0(VALU_DEP_1) | instskip(SKIP_4) | instid1(VALU_DEP_1)
	v_lshlrev_b32_e32 v5, 2, v5
	s_waitcnt lgkmcnt(0)
	v_add_f32_e32 v3, v3, v4
	ds_bpermute_b32 v4, v5, v3
	v_xor_b32_e32 v5, 1, v2
	v_cmp_gt_i32_e32 vcc_lo, 32, v5
	v_cndmask_b32_e32 v5, v2, v5, vcc_lo
	v_cmp_eq_u32_e32 vcc_lo, 0, v0
	s_waitcnt lgkmcnt(0)
	s_delay_alu instid0(VALU_DEP_2)
	v_dual_add_f32 v2, v3, v4 :: v_dual_lshlrev_b32 v3, 2, v5
	ds_bpermute_b32 v3, v3, v2
	s_and_b32 exec_lo, exec_lo, vcc_lo
	s_cbranch_execz .LBB108_7
; %bb.6:
	s_waitcnt lgkmcnt(0)
	v_add_f32_e32 v4, v2, v3
	v_mad_u64_u32 v[2:3], null, s15, s17, v[1:2]
	v_mov_b32_e32 v3, 0
	s_delay_alu instid0(VALU_DEP_3) | instskip(SKIP_1) | instid1(VALU_DEP_2)
	v_bfe_u32 v0, v4, 16, 1
	v_cmp_o_f32_e32 vcc_lo, v4, v4
	v_add3_u32 v0, v4, v0, 0x7fff
	s_delay_alu instid0(VALU_DEP_1) | instskip(SKIP_1) | instid1(VALU_DEP_2)
	v_lshrrev_b32_e32 v5, 16, v0
	v_lshlrev_b64 v[0:1], 1, v[2:3]
	v_cndmask_b32_e32 v2, 0x7fc0, v5, vcc_lo
	s_delay_alu instid0(VALU_DEP_2) | instskip(NEXT) | instid1(VALU_DEP_3)
	v_add_co_u32 v0, vcc_lo, s12, v0
	v_add_co_ci_u32_e32 v1, vcc_lo, s13, v1, vcc_lo
	global_store_b16 v[0:1], v2, off
.LBB108_7:
	s_nop 0
	s_sendmsg sendmsg(MSG_DEALLOC_VGPRS)
	s_endpgm
	.section	.rodata,"a",@progbits
	.p2align	6, 0x0
	.amdhsa_kernel _ZL13mul_mat_vec_qIN3c108BFloat16ELi256ELi8E13block_iq2_xxsLi1EXadL_ZL20vec_dot_iq2_xxs_q8_1PKvPK10block_q8_1RKiEEEvS4_S4_PT_iii
		.amdhsa_group_segment_fixed_size 0
		.amdhsa_private_segment_fixed_size 0
		.amdhsa_kernarg_size 296
		.amdhsa_user_sgpr_count 14
		.amdhsa_user_sgpr_dispatch_ptr 0
		.amdhsa_user_sgpr_queue_ptr 0
		.amdhsa_user_sgpr_kernarg_segment_ptr 1
		.amdhsa_user_sgpr_dispatch_id 0
		.amdhsa_user_sgpr_private_segment_size 0
		.amdhsa_wavefront_size32 1
		.amdhsa_uses_dynamic_stack 0
		.amdhsa_enable_private_segment 0
		.amdhsa_system_sgpr_workgroup_id_x 1
		.amdhsa_system_sgpr_workgroup_id_y 1
		.amdhsa_system_sgpr_workgroup_id_z 0
		.amdhsa_system_sgpr_workgroup_info 0
		.amdhsa_system_vgpr_workitem_id 1
		.amdhsa_next_free_vgpr 94
		.amdhsa_next_free_sgpr 24
		.amdhsa_reserve_vcc 1
		.amdhsa_float_round_mode_32 0
		.amdhsa_float_round_mode_16_64 0
		.amdhsa_float_denorm_mode_32 3
		.amdhsa_float_denorm_mode_16_64 3
		.amdhsa_dx10_clamp 1
		.amdhsa_ieee_mode 1
		.amdhsa_fp16_overflow 0
		.amdhsa_workgroup_processor_mode 1
		.amdhsa_memory_ordered 1
		.amdhsa_forward_progress 0
		.amdhsa_shared_vgpr_count 0
		.amdhsa_exception_fp_ieee_invalid_op 0
		.amdhsa_exception_fp_denorm_src 0
		.amdhsa_exception_fp_ieee_div_zero 0
		.amdhsa_exception_fp_ieee_overflow 0
		.amdhsa_exception_fp_ieee_underflow 0
		.amdhsa_exception_fp_ieee_inexact 0
		.amdhsa_exception_int_div_zero 0
	.end_amdhsa_kernel
	.section	.text._ZL13mul_mat_vec_qIN3c108BFloat16ELi256ELi8E13block_iq2_xxsLi1EXadL_ZL20vec_dot_iq2_xxs_q8_1PKvPK10block_q8_1RKiEEEvS4_S4_PT_iii,"axG",@progbits,_ZL13mul_mat_vec_qIN3c108BFloat16ELi256ELi8E13block_iq2_xxsLi1EXadL_ZL20vec_dot_iq2_xxs_q8_1PKvPK10block_q8_1RKiEEEvS4_S4_PT_iii,comdat
.Lfunc_end108:
	.size	_ZL13mul_mat_vec_qIN3c108BFloat16ELi256ELi8E13block_iq2_xxsLi1EXadL_ZL20vec_dot_iq2_xxs_q8_1PKvPK10block_q8_1RKiEEEvS4_S4_PT_iii, .Lfunc_end108-_ZL13mul_mat_vec_qIN3c108BFloat16ELi256ELi8E13block_iq2_xxsLi1EXadL_ZL20vec_dot_iq2_xxs_q8_1PKvPK10block_q8_1RKiEEEvS4_S4_PT_iii
                                        ; -- End function
	.section	.AMDGPU.csdata,"",@progbits
; Kernel info:
; codeLenInByte = 2364
; NumSgprs: 26
; NumVgprs: 94
; ScratchSize: 0
; MemoryBound: 0
; FloatMode: 240
; IeeeMode: 1
; LDSByteSize: 0 bytes/workgroup (compile time only)
; SGPRBlocks: 3
; VGPRBlocks: 11
; NumSGPRsForWavesPerEU: 26
; NumVGPRsForWavesPerEU: 94
; Occupancy: 16
; WaveLimiterHint : 0
; COMPUTE_PGM_RSRC2:SCRATCH_EN: 0
; COMPUTE_PGM_RSRC2:USER_SGPR: 14
; COMPUTE_PGM_RSRC2:TRAP_HANDLER: 0
; COMPUTE_PGM_RSRC2:TGID_X_EN: 1
; COMPUTE_PGM_RSRC2:TGID_Y_EN: 1
; COMPUTE_PGM_RSRC2:TGID_Z_EN: 0
; COMPUTE_PGM_RSRC2:TIDIG_COMP_CNT: 1
	.section	.text._ZL13mul_mat_vec_qIN3c108BFloat16ELi256ELi8E12block_iq2_xsLi1EXadL_ZL19vec_dot_iq2_xs_q8_1PKvPK10block_q8_1RKiEEEvS4_S4_PT_iii,"axG",@progbits,_ZL13mul_mat_vec_qIN3c108BFloat16ELi256ELi8E12block_iq2_xsLi1EXadL_ZL19vec_dot_iq2_xs_q8_1PKvPK10block_q8_1RKiEEEvS4_S4_PT_iii,comdat
	.globl	_ZL13mul_mat_vec_qIN3c108BFloat16ELi256ELi8E12block_iq2_xsLi1EXadL_ZL19vec_dot_iq2_xs_q8_1PKvPK10block_q8_1RKiEEEvS4_S4_PT_iii ; -- Begin function _ZL13mul_mat_vec_qIN3c108BFloat16ELi256ELi8E12block_iq2_xsLi1EXadL_ZL19vec_dot_iq2_xs_q8_1PKvPK10block_q8_1RKiEEEvS4_S4_PT_iii
	.p2align	8
	.type	_ZL13mul_mat_vec_qIN3c108BFloat16ELi256ELi8E12block_iq2_xsLi1EXadL_ZL19vec_dot_iq2_xs_q8_1PKvPK10block_q8_1RKiEEEvS4_S4_PT_iii,@function
_ZL13mul_mat_vec_qIN3c108BFloat16ELi256ELi8E12block_iq2_xsLi1EXadL_ZL19vec_dot_iq2_xs_q8_1PKvPK10block_q8_1RKiEEEvS4_S4_PT_iii: ; @_ZL13mul_mat_vec_qIN3c108BFloat16ELi256ELi8E12block_iq2_xsLi1EXadL_ZL19vec_dot_iq2_xs_q8_1PKvPK10block_q8_1RKiEEEvS4_S4_PT_iii
; %bb.0:
	s_clause 0x1
	s_load_b32 s2, s[0:1], 0x34
	s_load_b128 s[36:39], s[0:1], 0x18
	v_bfe_u32 v3, v0, 10, 10
	s_waitcnt lgkmcnt(0)
	s_lshr_b32 s2, s2, 16
	s_cmp_lt_u32 s15, s38
	s_delay_alu instid0(VALU_DEP_1) | instskip(SKIP_1) | instid1(VALU_DEP_1)
	v_mad_u64_u32 v[1:2], null, s14, s2, v[3:4]
	s_cselect_b32 s2, -1, 0
	v_cmp_gt_u32_e32 vcc_lo, s37, v1
	s_and_b32 s2, s2, vcc_lo
	s_delay_alu instid0(SALU_CYCLE_1)
	s_and_saveexec_b32 s3, s2
	s_cbranch_execz .LBB109_7
; %bb.1:
	s_load_b64 s[34:35], s[0:1], 0x10
	v_dual_mov_b32 v7, 0 :: v_dual_and_b32 v0, 0x3ff, v0
	s_ashr_i32 s2, s36, 31
	s_mov_b32 s31, exec_lo
	s_lshr_b32 s2, s2, 24
	s_delay_alu instid0(VALU_DEP_1) | instskip(SKIP_1) | instid1(SALU_CYCLE_1)
	v_lshrrev_b32_e32 v6, 3, v0
	s_add_i32 s2, s36, s2
	s_ashr_i32 s33, s2, 8
	s_delay_alu instid0(VALU_DEP_1) | instid1(SALU_CYCLE_1)
	v_cmpx_gt_u32_e64 s33, v6
	s_cbranch_execz .LBB109_5
; %bb.2:
	s_load_b128 s[40:43], s[0:1], 0x0
	s_add_i32 s0, s36, 0x1ff
	v_dual_mov_b32 v7, 0 :: v_dual_and_b32 v8, 7, v0
	s_ashr_i32 s1, s0, 31
	v_lshlrev_b32_e32 v4, 3, v6
	s_lshr_b32 s1, s1, 23
	s_delay_alu instid0(VALU_DEP_2)
	v_lshlrev_b32_e32 v5, 2, v8
	s_add_i32 s0, s0, s1
	v_mul_lo_u32 v9, v1, s33
	s_ashr_i32 s0, s0, 9
	s_mov_b32 s36, 0
	s_mul_i32 s0, s15, s0
	v_lshlrev_b32_e32 v11, 1, v5
	v_lshl_add_u32 v10, s0, 4, v4
	s_waitcnt lgkmcnt(0)
	v_mad_u64_u32 v[2:3], null, v8, 36, s[42:43]
.LBB109_3:                              ; =>This Inner Loop Header: Depth=1
	v_add_nc_u32_e32 v4, v9, v6
	s_delay_alu instid0(VALU_DEP_2)
	v_mad_i64_i32 v[22:23], null, v10, 36, v[2:3]
	s_getpc_b64 s[0:1]
	s_add_u32 s0, s0, _ZL10iq2xs_grid@rel32@lo+4
	s_addc_u32 s1, s1, _ZL10iq2xs_grid@rel32@hi+12
	s_getpc_b64 s[2:3]
	s_add_u32 s2, s2, _ZL12ksigns_iq2xs@rel32@lo+4
	s_addc_u32 s3, s3, _ZL12ksigns_iq2xs@rel32@hi+12
	v_mad_i64_i32 v[20:21], null, 0x4a, v4, s[40:41]
	v_add_nc_u32_e32 v6, 4, v6
	v_add_nc_u32_e32 v10, 32, v10
	s_delay_alu instid0(VALU_DEP_3) | instskip(NEXT) | instid1(VALU_DEP_4)
	v_add_co_u32 v4, vcc_lo, v20, v11
	v_add_co_ci_u32_e32 v5, vcc_lo, 0, v21, vcc_lo
	v_add_co_u32 v24, vcc_lo, v20, v8
	v_add_co_ci_u32_e32 v25, vcc_lo, 0, v21, vcc_lo
	global_load_b64 v[4:5], v[4:5], off offset:2
	s_clause 0x1
	global_load_b128 v[12:15], v[22:23], off offset:4
	global_load_b128 v[16:19], v[22:23], off offset:20
	s_clause 0x1
	global_load_u8 v30, v[24:25], off offset:66
	global_load_u16 v31, v[20:21], off
	s_waitcnt vmcnt(3)
	v_bfe_i32 v36, v12, 8, 8
	v_and_b32_e32 v20, 0x1ff, v4
	v_lshrrev_b32_e32 v24, 13, v4
	v_and_b32_e32 v26, 0x1ff, v5
	v_lshrrev_b32_e32 v28, 13, v5
	v_bfe_u32 v21, v4, 9, 7
	v_lshrrev_b32_e32 v25, 25, v4
	v_bfe_u32 v27, v5, 9, 7
	v_lshrrev_b32_e32 v29, 25, v5
	v_lshlrev_b32_e32 v20, 3, v20
	v_and_b32_e32 v24, 0xff8, v24
	v_lshlrev_b32_e32 v26, 3, v26
	v_and_b32_e32 v28, 0xff8, v28
	s_clause 0x3
	global_load_i8 v32, v21, s[2:3]
	global_load_i8 v33, v25, s[2:3]
	;; [unrolled: 1-line block ×4, first 2 shown]
	s_clause 0x3
	global_load_b64 v[20:21], v20, s[0:1]
	global_load_b64 v[24:25], v24, s[0:1]
	;; [unrolled: 1-line block ×4, first 2 shown]
	global_load_u16 v22, v[22:23], off
	v_bfe_i32 v38, v13, 0, 8
	v_bfe_i32 v39, v13, 8, 8
	s_waitcnt vmcnt(11)
	v_bfe_i32 v47, v16, 0, 8
	v_bfe_i32 v48, v16, 8, 8
	s_waitcnt vmcnt(10)
	v_lshrrev_b16 v59, 4, v30
	v_bfe_i32 v23, v12, 0, 8
	v_bfe_i32 v37, v12, 16, 8
	v_ashrrev_i32_e32 v12, 24, v12
	v_bfe_i32 v40, v13, 16, 8
	v_ashrrev_i32_e32 v13, 24, v13
	;; [unrolled: 2-line block ×3, first 2 shown]
	v_bfe_i32 v50, v17, 0, 8
	v_bfe_i32 v51, v17, 8, 8
	;; [unrolled: 1-line block ×4, first 2 shown]
	v_cvt_f32_ubyte0_e32 v59, v59
	v_bfe_i32 v41, v14, 0, 8
	v_bfe_i32 v42, v14, 8, 8
	;; [unrolled: 1-line block ×3, first 2 shown]
	v_ashrrev_i32_e32 v14, 24, v14
	v_bfe_i32 v44, v15, 0, 8
	v_bfe_i32 v45, v15, 8, 8
	;; [unrolled: 1-line block ×3, first 2 shown]
	v_ashrrev_i32_e32 v15, 24, v15
	v_bfe_i32 v55, v18, 16, 8
	v_bfe_i32 v52, v17, 16, 8
	v_ashrrev_i32_e32 v17, 24, v17
	v_bfe_i32 v54, v18, 8, 8
	v_bfe_i32 v57, v19, 8, 8
	;; [unrolled: 1-line block ×3, first 2 shown]
	v_lshrrev_b32_e32 v60, 16, v4
	v_cmp_gt_i16_e64 s4, 0, v4
	v_ashrrev_i32_e32 v18, 24, v18
	v_lshrrev_b32_e32 v61, 16, v5
	v_cmp_gt_i16_e64 s20, 0, v5
	v_ashrrev_i32_e32 v19, 24, v19
	v_and_b32_e32 v30, 15, v30
	s_delay_alu instid0(VALU_DEP_4)
	v_cmp_gt_i16_e64 s28, 0, v61
	s_waitcnt vmcnt(5)
	v_cmp_gt_i16_e64 s29, 0, v35
	s_waitcnt vmcnt(4)
	v_bfe_u32 v72, v20, 8, 8
	v_and_b32_e32 v73, 0xff, v21
	v_bfe_u32 v74, v21, 8, 8
	s_waitcnt vmcnt(2)
	v_and_b32_e32 v83, 0xff, v26
	v_bfe_u32 v84, v26, 8, 8
	v_and_b32_e32 v63, 2, v32
	v_and_b32_e32 v64, 4, v32
	;; [unrolled: 1-line block ×4, first 2 shown]
	v_lshrrev_b32_e32 v69, 24, v20
	v_lshrrev_b32_e32 v70, 24, v21
	v_and_b32_e32 v71, 0xff, v20
	v_bfe_u32 v20, v20, 16, 8
	v_bfe_u32 v21, v21, 16, 8
	v_lshrrev_b32_e32 v81, 24, v26
	v_bfe_u32 v26, v26, 16, 8
	v_and_b32_e32 v85, 0xff, v27
	v_bfe_u32 v86, v27, 8, 8
	s_waitcnt vmcnt(1)
	v_and_b32_e32 v89, 0xff, v28
	v_and_b32_e32 v91, 0xff, v29
	v_mul_i32_i24_e32 v36, v72, v36
	v_mul_i32_i24_e32 v38, v73, v38
	v_and_b32_e32 v73, 1, v34
	v_mul_i32_i24_e32 v39, v74, v39
	v_and_b32_e32 v74, 2, v34
	v_mul_i32_i24_e32 v47, v83, v47
	v_mul_i32_i24_e32 v48, v84, v48
	v_and_b32_e32 v62, 1, v32
	v_and_b32_e32 v68, 1, v33
	v_lshrrev_b32_e32 v75, 24, v24
	v_lshrrev_b32_e32 v76, 24, v25
	v_and_b32_e32 v77, 0xff, v24
	v_bfe_u32 v78, v24, 8, 8
	v_bfe_u32 v24, v24, 16, 8
	v_and_b32_e32 v79, 0xff, v25
	v_bfe_u32 v80, v25, 8, 8
	v_bfe_u32 v25, v25, 16, 8
	v_lshrrev_b32_e32 v87, 24, v28
	v_bfe_u32 v90, v28, 8, 8
	v_bfe_u32 v28, v28, 16, 8
	v_and_b32_e32 v93, 2, v33
	v_mul_i32_i24_e32 v23, v71, v23
	v_and_b32_e32 v71, 4, v33
	v_and_b32_e32 v72, 8, v33
	v_mul_i32_i24_e32 v20, v20, v37
	v_and_b32_e32 v37, 16, v33
	v_mul_i32_i24_e32 v12, v69, v12
	;; [unrolled: 2-line block ×5, first 2 shown]
	v_mul_i32_i24_e32 v16, v81, v16
	v_mul_i32_i24_e32 v49, v85, v50
	;; [unrolled: 1-line block ×5, first 2 shown]
	v_sub_nc_u32_e32 v56, 0, v36
	v_cmp_eq_u16_e32 vcc_lo, 0, v63
	v_cmp_eq_u16_e64 s0, 0, v64
	v_sub_nc_u32_e32 v63, 0, v38
	v_cmp_eq_u16_e64 s2, 0, v66
	v_sub_nc_u32_e32 v64, 0, v39
	v_cmp_eq_u16_e64 s3, 0, v67
	v_cmp_gt_i16_e64 s12, 0, v33
	v_sub_nc_u32_e32 v33, 0, v47
	v_cmp_eq_u16_e64 s13, 0, v73
	v_sub_nc_u32_e32 v73, 0, v48
	v_cmp_eq_u16_e64 s14, 0, v74
	s_waitcnt vmcnt(0)
	v_cvt_f32_f16_e32 v22, v22
	v_and_b32_e32 v65, 8, v32
	v_lshrrev_b32_e32 v82, 24, v27
	v_bfe_u32 v27, v27, 16, 8
	v_lshrrev_b32_e32 v88, 24, v29
	v_bfe_u32 v92, v29, 8, 8
	v_bfe_u32 v29, v29, 16, 8
	v_mul_i32_i24_e32 v41, v77, v41
	v_and_b32_e32 v77, 16, v34
	v_mul_i32_i24_e32 v42, v78, v42
	v_and_b32_e32 v78, 32, v34
	;; [unrolled: 2-line block ×8, first 2 shown]
	v_mul_i32_i24_e32 v28, v28, v55
	v_sub_nc_u32_e32 v55, 0, v23
	v_sub_nc_u32_e32 v4, 0, v13
	v_cmp_gt_i16_e64 s5, 0, v32
	v_sub_nc_u32_e32 v74, 0, v26
	v_cmp_eq_u16_e64 s16, 0, v40
	v_sub_nc_u32_e32 v40, 0, v16
	v_cmp_eq_u16_e64 s17, 0, v70
	v_cmp_eq_u16_e64 s30, 0, v62
	v_cndmask_b32_e32 v35, v56, v36, vcc_lo
	v_cndmask_b32_e64 v36, v63, v38, s2
	v_cndmask_b32_e64 v38, v64, v39, s3
	;; [unrolled: 1-line block ×4, first 2 shown]
	v_mul_i32_i24_e32 v27, v27, v52
	v_mul_i32_i24_e32 v17, v82, v17
	;; [unrolled: 1-line block ×5, first 2 shown]
	v_sub_nc_u32_e32 v57, 0, v20
	v_sub_nc_u32_e32 v58, 0, v12
	v_cmp_eq_u16_e64 s1, 0, v65
	v_sub_nc_u32_e32 v70, 0, v49
	v_cmp_eq_u16_e64 s18, 0, v77
	;; [unrolled: 2-line block ×3, first 2 shown]
	v_cndmask_b32_e64 v23, v55, v23, s30
	v_cndmask_b32_e64 v4, v13, v4, s5
	;; [unrolled: 1-line block ×4, first 2 shown]
	v_add_nc_u32_e32 v26, v39, v33
	v_sub_nc_u32_e32 v78, 0, v27
	v_sub_nc_u32_e32 v5, 0, v17
	v_cmp_gt_i16_e64 s21, 0, v34
	v_cndmask_b32_e64 v20, v57, v20, s0
	v_cndmask_b32_e64 v12, v58, v12, s1
	;; [unrolled: 1-line block ×4, first 2 shown]
	v_add_nc_u32_e32 v23, v35, v23
	v_add3_u32 v13, v26, v13, v16
	v_mul_i32_i24_e32 v18, v87, v18
	v_sub_nc_u32_e32 v65, 0, v21
	v_sub_nc_u32_e32 v34, 0, v51
	v_cmp_eq_u16_e64 s22, 0, v43
	v_sub_nc_u32_e32 v43, 0, v52
	v_cmp_eq_u16_e64 s23, 0, v75
	v_cndmask_b32_e64 v26, v27, v78, s20
	v_cndmask_b32_e64 v5, v17, v5, s21
	v_add3_u32 v12, v23, v20, v12
	v_add3_u32 v13, v13, v33, v39
	v_sub_nc_u32_e32 v32, 0, v41
	v_cmp_eq_u16_e64 s6, 0, v68
	v_sub_nc_u32_e32 v66, 0, v42
	v_cmp_eq_u16_e64 s7, 0, v93
	;; [unrolled: 2-line block ×5, first 2 shown]
	v_cndmask_b32_e64 v21, v21, v65, s4
	v_cndmask_b32_e64 v20, v34, v51, s22
	;; [unrolled: 1-line block ×3, first 2 shown]
	v_add3_u32 v12, v12, v36, v38
	v_add3_u32 v5, v13, v26, v5
	v_mul_i32_i24_e32 v19, v88, v19
	v_sub_nc_u32_e32 v67, 0, v24
	v_cmp_eq_u16_e64 s8, 0, v71
	v_sub_nc_u32_e32 v80, 0, v53
	v_cmp_eq_u16_e64 s26, 0, v46
	;; [unrolled: 2-line block ×3, first 2 shown]
	v_cndmask_b32_e64 v32, v32, v41, s6
	v_cndmask_b32_e64 v16, v66, v42, s7
	;; [unrolled: 1-line block ×5, first 2 shown]
	v_add3_u32 v4, v12, v21, v4
	v_add3_u32 v5, v5, v20, v23
	v_sub_nc_u32_e32 v71, 0, v44
	v_cmp_eq_u16_e64 s10, 0, v37
	v_sub_nc_u32_e32 v37, 0, v45
	v_cmp_eq_u16_e64 s11, 0, v69
	v_sub_nc_u32_e32 v76, 0, v29
	v_sub_nc_u32_e32 v61, 0, v19
	v_cndmask_b32_e64 v17, v67, v24, s8
	v_cndmask_b32_e64 v20, v80, v53, s26
	;; [unrolled: 1-line block ×3, first 2 shown]
	v_add3_u32 v4, v4, v32, v16
	v_add3_u32 v5, v5, v14, v18
	v_sub_nc_u32_e32 v69, 0, v25
	v_sub_nc_u32_e32 v72, 0, v15
	v_cndmask_b32_e64 v12, v71, v44, s10
	v_cndmask_b32_e64 v14, v37, v45, s11
	;; [unrolled: 1-line block ×4, first 2 shown]
	v_add3_u32 v4, v4, v17, v13
	v_add3_u32 v5, v5, v20, v21
	v_cmp_gt_i16_e32 vcc_lo, 0, v60
	v_cndmask_b32_e64 v15, v15, v72, s12
	s_delay_alu instid0(VALU_DEP_4) | instskip(NEXT) | instid1(VALU_DEP_4)
	v_add3_u32 v4, v4, v12, v14
	v_add3_u32 v5, v5, v16, v18
	v_cndmask_b32_e32 v13, v25, v69, vcc_lo
	v_cvt_f32_f16_e32 v12, v31
	v_cvt_f32_ubyte0_e32 v14, v30
	v_add_f32_e32 v16, 0.5, v59
	v_cvt_f32_i32_e32 v5, v5
	v_add3_u32 v4, v4, v13, v15
	v_mul_f32_e32 v12, v12, v22
	v_add_f32_e32 v13, 0.5, v14
	v_cmp_le_u32_e32 vcc_lo, s33, v6
	v_mul_f32_e32 v5, v16, v5
	v_cvt_f32_i32_e32 v4, v4
	v_mul_f32_e32 v12, 0x3e800000, v12
	s_or_b32 s36, vcc_lo, s36
	s_delay_alu instid0(VALU_DEP_2) | instskip(NEXT) | instid1(VALU_DEP_1)
	v_fmac_f32_e32 v5, v13, v4
	v_fmac_f32_e32 v7, v12, v5
	s_and_not1_b32 exec_lo, exec_lo, s36
	s_cbranch_execnz .LBB109_3
; %bb.4:
	s_or_b32 exec_lo, exec_lo, s36
.LBB109_5:
	s_delay_alu instid0(SALU_CYCLE_1) | instskip(SKIP_1) | instid1(VALU_DEP_1)
	s_or_b32 exec_lo, exec_lo, s31
	v_mbcnt_lo_u32_b32 v2, -1, 0
	v_xor_b32_e32 v3, 16, v2
	v_xor_b32_e32 v4, 8, v2
	;; [unrolled: 1-line block ×3, first 2 shown]
	s_delay_alu instid0(VALU_DEP_3) | instskip(SKIP_1) | instid1(VALU_DEP_4)
	v_cmp_gt_i32_e32 vcc_lo, 32, v3
	v_cndmask_b32_e32 v3, v2, v3, vcc_lo
	v_cmp_gt_i32_e32 vcc_lo, 32, v4
	v_cndmask_b32_e32 v4, v2, v4, vcc_lo
	v_cmp_gt_i32_e32 vcc_lo, 32, v5
	s_delay_alu instid0(VALU_DEP_2)
	v_lshlrev_b32_e32 v4, 2, v4
	v_lshlrev_b32_e32 v3, 2, v3
	v_cndmask_b32_e32 v5, v2, v5, vcc_lo
	ds_bpermute_b32 v3, v3, v7
	v_lshlrev_b32_e32 v5, 2, v5
	s_waitcnt lgkmcnt(0)
	v_add_f32_e32 v3, v7, v3
	ds_bpermute_b32 v4, v4, v3
	s_waitcnt lgkmcnt(0)
	v_add_f32_e32 v3, v3, v4
	ds_bpermute_b32 v4, v5, v3
	v_xor_b32_e32 v5, 2, v2
	s_delay_alu instid0(VALU_DEP_1) | instskip(SKIP_1) | instid1(VALU_DEP_1)
	v_cmp_gt_i32_e32 vcc_lo, 32, v5
	v_cndmask_b32_e32 v5, v2, v5, vcc_lo
	v_lshlrev_b32_e32 v5, 2, v5
	s_waitcnt lgkmcnt(0)
	v_add_f32_e32 v3, v3, v4
	ds_bpermute_b32 v4, v5, v3
	v_xor_b32_e32 v5, 1, v2
	s_delay_alu instid0(VALU_DEP_1) | instskip(SKIP_3) | instid1(VALU_DEP_2)
	v_cmp_gt_i32_e32 vcc_lo, 32, v5
	v_cndmask_b32_e32 v5, v2, v5, vcc_lo
	v_cmp_eq_u32_e32 vcc_lo, 0, v0
	s_waitcnt lgkmcnt(0)
	v_dual_add_f32 v2, v3, v4 :: v_dual_lshlrev_b32 v3, 2, v5
	ds_bpermute_b32 v3, v3, v2
	s_and_b32 exec_lo, exec_lo, vcc_lo
	s_cbranch_execz .LBB109_7
; %bb.6:
	s_waitcnt lgkmcnt(0)
	v_add_f32_e32 v4, v2, v3
	v_mad_u64_u32 v[2:3], null, s15, s37, v[1:2]
	v_mov_b32_e32 v3, 0
	s_delay_alu instid0(VALU_DEP_3) | instskip(SKIP_1) | instid1(VALU_DEP_2)
	v_bfe_u32 v0, v4, 16, 1
	v_cmp_o_f32_e32 vcc_lo, v4, v4
	v_add3_u32 v0, v4, v0, 0x7fff
	s_delay_alu instid0(VALU_DEP_1) | instskip(SKIP_1) | instid1(VALU_DEP_2)
	v_lshrrev_b32_e32 v5, 16, v0
	v_lshlrev_b64 v[0:1], 1, v[2:3]
	v_cndmask_b32_e32 v2, 0x7fc0, v5, vcc_lo
	s_delay_alu instid0(VALU_DEP_2) | instskip(NEXT) | instid1(VALU_DEP_3)
	v_add_co_u32 v0, vcc_lo, s34, v0
	v_add_co_ci_u32_e32 v1, vcc_lo, s35, v1, vcc_lo
	global_store_b16 v[0:1], v2, off
.LBB109_7:
	s_nop 0
	s_sendmsg sendmsg(MSG_DEALLOC_VGPRS)
	s_endpgm
	.section	.rodata,"a",@progbits
	.p2align	6, 0x0
	.amdhsa_kernel _ZL13mul_mat_vec_qIN3c108BFloat16ELi256ELi8E12block_iq2_xsLi1EXadL_ZL19vec_dot_iq2_xs_q8_1PKvPK10block_q8_1RKiEEEvS4_S4_PT_iii
		.amdhsa_group_segment_fixed_size 0
		.amdhsa_private_segment_fixed_size 0
		.amdhsa_kernarg_size 296
		.amdhsa_user_sgpr_count 14
		.amdhsa_user_sgpr_dispatch_ptr 0
		.amdhsa_user_sgpr_queue_ptr 0
		.amdhsa_user_sgpr_kernarg_segment_ptr 1
		.amdhsa_user_sgpr_dispatch_id 0
		.amdhsa_user_sgpr_private_segment_size 0
		.amdhsa_wavefront_size32 1
		.amdhsa_uses_dynamic_stack 0
		.amdhsa_enable_private_segment 0
		.amdhsa_system_sgpr_workgroup_id_x 1
		.amdhsa_system_sgpr_workgroup_id_y 1
		.amdhsa_system_sgpr_workgroup_id_z 0
		.amdhsa_system_sgpr_workgroup_info 0
		.amdhsa_system_vgpr_workitem_id 1
		.amdhsa_next_free_vgpr 94
		.amdhsa_next_free_sgpr 44
		.amdhsa_reserve_vcc 1
		.amdhsa_float_round_mode_32 0
		.amdhsa_float_round_mode_16_64 0
		.amdhsa_float_denorm_mode_32 3
		.amdhsa_float_denorm_mode_16_64 3
		.amdhsa_dx10_clamp 1
		.amdhsa_ieee_mode 1
		.amdhsa_fp16_overflow 0
		.amdhsa_workgroup_processor_mode 1
		.amdhsa_memory_ordered 1
		.amdhsa_forward_progress 0
		.amdhsa_shared_vgpr_count 0
		.amdhsa_exception_fp_ieee_invalid_op 0
		.amdhsa_exception_fp_denorm_src 0
		.amdhsa_exception_fp_ieee_div_zero 0
		.amdhsa_exception_fp_ieee_overflow 0
		.amdhsa_exception_fp_ieee_underflow 0
		.amdhsa_exception_fp_ieee_inexact 0
		.amdhsa_exception_int_div_zero 0
	.end_amdhsa_kernel
	.section	.text._ZL13mul_mat_vec_qIN3c108BFloat16ELi256ELi8E12block_iq2_xsLi1EXadL_ZL19vec_dot_iq2_xs_q8_1PKvPK10block_q8_1RKiEEEvS4_S4_PT_iii,"axG",@progbits,_ZL13mul_mat_vec_qIN3c108BFloat16ELi256ELi8E12block_iq2_xsLi1EXadL_ZL19vec_dot_iq2_xs_q8_1PKvPK10block_q8_1RKiEEEvS4_S4_PT_iii,comdat
.Lfunc_end109:
	.size	_ZL13mul_mat_vec_qIN3c108BFloat16ELi256ELi8E12block_iq2_xsLi1EXadL_ZL19vec_dot_iq2_xs_q8_1PKvPK10block_q8_1RKiEEEvS4_S4_PT_iii, .Lfunc_end109-_ZL13mul_mat_vec_qIN3c108BFloat16ELi256ELi8E12block_iq2_xsLi1EXadL_ZL19vec_dot_iq2_xs_q8_1PKvPK10block_q8_1RKiEEEvS4_S4_PT_iii
                                        ; -- End function
	.section	.AMDGPU.csdata,"",@progbits
; Kernel info:
; codeLenInByte = 2396
; NumSgprs: 46
; NumVgprs: 94
; ScratchSize: 0
; MemoryBound: 0
; FloatMode: 240
; IeeeMode: 1
; LDSByteSize: 0 bytes/workgroup (compile time only)
; SGPRBlocks: 5
; VGPRBlocks: 11
; NumSGPRsForWavesPerEU: 46
; NumVGPRsForWavesPerEU: 94
; Occupancy: 16
; WaveLimiterHint : 0
; COMPUTE_PGM_RSRC2:SCRATCH_EN: 0
; COMPUTE_PGM_RSRC2:USER_SGPR: 14
; COMPUTE_PGM_RSRC2:TRAP_HANDLER: 0
; COMPUTE_PGM_RSRC2:TGID_X_EN: 1
; COMPUTE_PGM_RSRC2:TGID_Y_EN: 1
; COMPUTE_PGM_RSRC2:TGID_Z_EN: 0
; COMPUTE_PGM_RSRC2:TIDIG_COMP_CNT: 1
	.section	.text._ZL13mul_mat_vec_qIN3c108BFloat16ELi256ELi8E13block_iq3_xxsLi1EXadL_ZL20vec_dot_iq3_xxs_q8_1PKvPK10block_q8_1RKiEEEvS4_S4_PT_iii,"axG",@progbits,_ZL13mul_mat_vec_qIN3c108BFloat16ELi256ELi8E13block_iq3_xxsLi1EXadL_ZL20vec_dot_iq3_xxs_q8_1PKvPK10block_q8_1RKiEEEvS4_S4_PT_iii,comdat
	.globl	_ZL13mul_mat_vec_qIN3c108BFloat16ELi256ELi8E13block_iq3_xxsLi1EXadL_ZL20vec_dot_iq3_xxs_q8_1PKvPK10block_q8_1RKiEEEvS4_S4_PT_iii ; -- Begin function _ZL13mul_mat_vec_qIN3c108BFloat16ELi256ELi8E13block_iq3_xxsLi1EXadL_ZL20vec_dot_iq3_xxs_q8_1PKvPK10block_q8_1RKiEEEvS4_S4_PT_iii
	.p2align	8
	.type	_ZL13mul_mat_vec_qIN3c108BFloat16ELi256ELi8E13block_iq3_xxsLi1EXadL_ZL20vec_dot_iq3_xxs_q8_1PKvPK10block_q8_1RKiEEEvS4_S4_PT_iii,@function
_ZL13mul_mat_vec_qIN3c108BFloat16ELi256ELi8E13block_iq3_xxsLi1EXadL_ZL20vec_dot_iq3_xxs_q8_1PKvPK10block_q8_1RKiEEEvS4_S4_PT_iii: ; @_ZL13mul_mat_vec_qIN3c108BFloat16ELi256ELi8E13block_iq3_xxsLi1EXadL_ZL20vec_dot_iq3_xxs_q8_1PKvPK10block_q8_1RKiEEEvS4_S4_PT_iii
; %bb.0:
	s_clause 0x1
	s_load_b32 s2, s[0:1], 0x34
	s_load_b128 s[4:7], s[0:1], 0x18
	v_bfe_u32 v3, v0, 10, 10
	s_waitcnt lgkmcnt(0)
	s_lshr_b32 s2, s2, 16
	s_cmp_lt_u32 s15, s6
	s_delay_alu instid0(VALU_DEP_1) | instskip(SKIP_1) | instid1(VALU_DEP_1)
	v_mad_u64_u32 v[1:2], null, s14, s2, v[3:4]
	s_cselect_b32 s2, -1, 0
	v_cmp_gt_u32_e32 vcc_lo, s5, v1
	s_and_b32 s2, s2, vcc_lo
	s_delay_alu instid0(SALU_CYCLE_1)
	s_and_saveexec_b32 s3, s2
	s_cbranch_execz .LBB110_9
; %bb.1:
	s_load_b64 s[6:7], s[0:1], 0x10
	v_dual_mov_b32 v15, 0 :: v_dual_and_b32 v0, 0x3ff, v0
	s_ashr_i32 s2, s4, 31
	s_mov_b32 s8, exec_lo
	s_lshr_b32 s2, s2, 24
	s_delay_alu instid0(VALU_DEP_1) | instskip(SKIP_1) | instid1(SALU_CYCLE_1)
	v_lshrrev_b32_e32 v14, 3, v0
	s_add_i32 s2, s4, s2
	s_ashr_i32 s9, s2, 8
	s_delay_alu instid0(VALU_DEP_1) | instid1(SALU_CYCLE_1)
	v_cmpx_gt_u32_e64 s9, v14
	s_cbranch_execz .LBB110_7
; %bb.2:
	s_load_b128 s[0:3], s[0:1], 0x0
	v_dual_mov_b32 v15, 0 :: v_dual_and_b32 v4, 7, v0
	s_addk_i32 s4, 0x1ff
	v_mul_lo_u32 v16, v1, s9
	s_ashr_i32 s10, s4, 31
	s_delay_alu instid0(VALU_DEP_2)
	v_lshlrev_b32_e32 v5, 3, v4
	s_lshr_b32 s10, s10, 23
	v_lshlrev_b32_e32 v8, 1, v4
	s_add_i32 s4, s4, s10
	s_mov_b32 s10, 0
	s_ashr_i32 s4, s4, 9
	v_add_nc_u32_e32 v17, v14, v16
	s_mul_i32 s4, s15, s4
	v_lshlrev_b32_e32 v19, 1, v8
	s_lshl_b32 s4, s4, 4
	s_getpc_b64 s[12:13]
	s_add_u32 s12, s12, _ZL11iq3xxs_grid@rel32@lo+4
	s_addc_u32 s13, s13, _ZL11iq3xxs_grid@rel32@hi+12
	v_lshl_add_u32 v18, v14, 3, s4
	s_getpc_b64 s[16:17]
	s_add_u32 s16, s16, _ZL8ksigns64@rel32@lo+4
	s_addc_u32 s17, s17, _ZL8ksigns64@rel32@hi+12
	s_waitcnt lgkmcnt(0)
	v_mad_u64_u32 v[2:3], null, v4, 36, s[2:3]
	v_add_co_u32 v4, s2, v5, s0
	s_delay_alu instid0(VALU_DEP_1) | instskip(NEXT) | instid1(VALU_DEP_2)
	v_add_co_ci_u32_e64 v5, null, 0, s1, s2
	v_add_co_u32 v4, vcc_lo, v4, 2
	s_delay_alu instid0(VALU_DEP_2)
	v_add_co_ci_u32_e32 v5, vcc_lo, 0, v5, vcc_lo
	v_add_co_u32 v6, vcc_lo, v2, 4
	v_add_co_ci_u32_e32 v7, vcc_lo, 0, v3, vcc_lo
.LBB110_3:                              ; =>This Loop Header: Depth=1
                                        ;     Child Loop BB110_4 Depth 2
	v_dual_mov_b32 v21, 0 :: v_dual_add_nc_u32 v10, v14, v16
	s_delay_alu instid0(VALU_DEP_4) | instskip(SKIP_1) | instid1(VALU_DEP_2)
	v_mad_i64_i32 v[12:13], null, 0x62, v17, v[4:5]
	s_mov_b64 s[2:3], 0
	v_mad_i64_i32 v[8:9], null, 0x62, v10, s[0:1]
	s_delay_alu instid0(VALU_DEP_1) | instskip(NEXT) | instid1(VALU_DEP_2)
	v_add_co_u32 v10, vcc_lo, v8, v19
	v_add_co_ci_u32_e32 v11, vcc_lo, 0, v9, vcc_lo
	global_load_b32 v20, v[10:11], off offset:66
	v_mad_i64_i32 v[10:11], null, v18, 36, v[6:7]
.LBB110_4:                              ;   Parent Loop BB110_3 Depth=1
                                        ; =>  This Inner Loop Header: Depth=2
	global_load_u16 v26, v[12:13], off
	s_waitcnt vmcnt(1)
	v_and_b32_e32 v24, 0x7f, v20
	v_add_co_u32 v22, vcc_lo, v10, s2
	v_add_co_ci_u32_e32 v23, vcc_lo, s3, v11, vcc_lo
	s_delay_alu instid0(VALU_DEP_3)
	v_lshlrev_b32_e32 v24, 3, v24
	v_add_co_u32 v12, vcc_lo, v12, 2
	v_lshrrev_b32_e32 v20, 7, v20
	v_add_co_ci_u32_e32 v13, vcc_lo, 0, v13, vcc_lo
	global_load_b64 v[24:25], v24, s[16:17]
	s_add_u32 s2, s2, 8
	s_addc_u32 s3, s3, 0
	s_cmp_lg_u32 s2, 32
	s_waitcnt vmcnt(1)
	v_lshrrev_b16 v27, 8, v26
	v_and_b32_e32 v26, 0xff, v26
	s_delay_alu instid0(VALU_DEP_2) | instskip(NEXT) | instid1(VALU_DEP_2)
	v_and_b32_e32 v27, 0xffff, v27
	v_lshlrev_b32_e32 v26, 2, v26
	s_delay_alu instid0(VALU_DEP_2)
	v_lshlrev_b32_e32 v27, 2, v27
	s_clause 0x1
	global_load_b32 v26, v26, s[12:13]
	global_load_b32 v27, v27, s[12:13]
	global_load_b64 v[22:23], v[22:23], off
	s_waitcnt vmcnt(3)
	v_and_b32_e32 v32, 0xff0000, v24
	v_and_b32_e32 v33, 0xff00, v24
	;; [unrolled: 1-line block ×6, first 2 shown]
	s_waitcnt vmcnt(2)
	v_xor_b32_e32 v26, v24, v26
	s_waitcnt vmcnt(1)
	v_xor_b32_e32 v27, v25, v27
	s_waitcnt vmcnt(0)
	v_bfe_i32 v28, v22, 0, 8
	v_bfe_i32 v29, v23, 0, 8
	v_perm_b32 v30, v22, v22, 0xc0c0201
	v_sub_nc_u32_e32 v32, v26, v32
	v_sub_nc_u32_e32 v33, v26, v33
	;; [unrolled: 1-line block ×5, first 2 shown]
	v_perm_b32 v22, v23, v22, 0x7060503
	v_perm_b32 v26, v32, v33, 0xc06010c
	v_sub_nc_u32_e32 v32, v27, v35
	v_sub_nc_u32_e32 v35, v27, v36
	v_bfe_i32 v24, v24, 0, 8
	v_bfe_i32 v25, v25, 0, 8
	v_sub_nc_u32_e32 v27, v27, v34
	v_perm_b32 v26, v26, v33, 0xc0c0601
	v_perm_b32 v32, v32, v35, 0xc06010c
	v_mul_i32_i24_e32 v24, v28, v24
	v_mul_i32_i24_e32 v25, v29, v25
	v_perm_b32 v28, v35, v31, 0xc0c0503
	s_delay_alu instid0(VALU_DEP_4) | instskip(NEXT) | instid1(VALU_DEP_3)
	v_perm_b32 v27, v27, v32, 0x7020c0c
	v_add3_u32 v21, v24, v21, v25
	s_delay_alu instid0(VALU_DEP_2) | instskip(NEXT) | instid1(VALU_DEP_2)
	v_or_b32_e32 v23, v27, v28
	v_dot4_i32_iu8 v21, v26, v30, v21 neg_lo:[1,1,0]
	s_delay_alu instid0(VALU_DEP_1)
	v_dot4_i32_iu8 v21, v23, v22, v21 neg_lo:[1,1,0]
	s_cbranch_scc1 .LBB110_4
; %bb.5:                                ;   in Loop: Header=BB110_3 Depth=1
	v_lshl_add_u32 v12, v14, 3, s4
	v_add_nc_u32_e32 v14, 4, v14
	v_add_nc_u32_e32 v18, 32, v18
	;; [unrolled: 1-line block ×3, first 2 shown]
	s_delay_alu instid0(VALU_DEP_4) | instskip(SKIP_4) | instid1(VALU_DEP_2)
	v_mad_i64_i32 v[10:11], null, v12, 36, v[2:3]
	global_load_u16 v8, v[8:9], off
	global_load_b32 v9, v[10:11], off
	v_cvt_f32_u32_e32 v10, v20
	v_cmp_le_u32_e32 vcc_lo, s9, v14
	v_add_f32_e32 v10, 0.5, v10
	s_or_b32 s10, vcc_lo, s10
	s_waitcnt vmcnt(1)
	v_cvt_f32_f16_e32 v8, v8
	s_waitcnt vmcnt(0)
	v_cvt_f32_f16_e32 v9, v9
	s_delay_alu instid0(VALU_DEP_2) | instskip(NEXT) | instid1(VALU_DEP_1)
	v_mul_f32_e32 v8, v10, v8
	v_mul_f32_e32 v8, v8, v9
	v_cvt_f32_i32_e32 v9, v21
	s_delay_alu instid0(VALU_DEP_2) | instskip(NEXT) | instid1(VALU_DEP_1)
	v_mul_f32_e32 v8, 0.5, v8
	v_fmac_f32_e32 v15, v8, v9
	s_and_not1_b32 exec_lo, exec_lo, s10
	s_cbranch_execnz .LBB110_3
; %bb.6:
	s_or_b32 exec_lo, exec_lo, s10
.LBB110_7:
	s_delay_alu instid0(SALU_CYCLE_1) | instskip(SKIP_1) | instid1(VALU_DEP_1)
	s_or_b32 exec_lo, exec_lo, s8
	v_mbcnt_lo_u32_b32 v2, -1, 0
	v_xor_b32_e32 v3, 16, v2
	v_xor_b32_e32 v4, 8, v2
	;; [unrolled: 1-line block ×3, first 2 shown]
	s_delay_alu instid0(VALU_DEP_3) | instskip(SKIP_1) | instid1(VALU_DEP_4)
	v_cmp_gt_i32_e32 vcc_lo, 32, v3
	v_cndmask_b32_e32 v3, v2, v3, vcc_lo
	v_cmp_gt_i32_e32 vcc_lo, 32, v4
	v_cndmask_b32_e32 v4, v2, v4, vcc_lo
	v_cmp_gt_i32_e32 vcc_lo, 32, v5
	s_delay_alu instid0(VALU_DEP_2)
	v_lshlrev_b32_e32 v4, 2, v4
	v_lshlrev_b32_e32 v3, 2, v3
	v_cndmask_b32_e32 v5, v2, v5, vcc_lo
	ds_bpermute_b32 v3, v3, v15
	v_lshlrev_b32_e32 v5, 2, v5
	s_waitcnt lgkmcnt(0)
	v_add_f32_e32 v3, v15, v3
	ds_bpermute_b32 v4, v4, v3
	s_waitcnt lgkmcnt(0)
	v_add_f32_e32 v3, v3, v4
	ds_bpermute_b32 v4, v5, v3
	v_xor_b32_e32 v5, 2, v2
	s_delay_alu instid0(VALU_DEP_1) | instskip(SKIP_1) | instid1(VALU_DEP_1)
	v_cmp_gt_i32_e32 vcc_lo, 32, v5
	v_cndmask_b32_e32 v5, v2, v5, vcc_lo
	v_lshlrev_b32_e32 v5, 2, v5
	s_waitcnt lgkmcnt(0)
	v_add_f32_e32 v3, v3, v4
	ds_bpermute_b32 v4, v5, v3
	v_xor_b32_e32 v5, 1, v2
	s_delay_alu instid0(VALU_DEP_1) | instskip(SKIP_3) | instid1(VALU_DEP_2)
	v_cmp_gt_i32_e32 vcc_lo, 32, v5
	v_cndmask_b32_e32 v5, v2, v5, vcc_lo
	v_cmp_eq_u32_e32 vcc_lo, 0, v0
	s_waitcnt lgkmcnt(0)
	v_dual_add_f32 v2, v3, v4 :: v_dual_lshlrev_b32 v3, 2, v5
	ds_bpermute_b32 v3, v3, v2
	s_and_b32 exec_lo, exec_lo, vcc_lo
	s_cbranch_execz .LBB110_9
; %bb.8:
	s_waitcnt lgkmcnt(0)
	v_add_f32_e32 v4, v2, v3
	v_mad_u64_u32 v[2:3], null, s15, s5, v[1:2]
	v_mov_b32_e32 v3, 0
	s_delay_alu instid0(VALU_DEP_3) | instskip(SKIP_1) | instid1(VALU_DEP_2)
	v_bfe_u32 v0, v4, 16, 1
	v_cmp_o_f32_e32 vcc_lo, v4, v4
	v_add3_u32 v0, v4, v0, 0x7fff
	s_delay_alu instid0(VALU_DEP_1) | instskip(SKIP_1) | instid1(VALU_DEP_2)
	v_lshrrev_b32_e32 v5, 16, v0
	v_lshlrev_b64 v[0:1], 1, v[2:3]
	v_cndmask_b32_e32 v2, 0x7fc0, v5, vcc_lo
	s_delay_alu instid0(VALU_DEP_2) | instskip(NEXT) | instid1(VALU_DEP_3)
	v_add_co_u32 v0, vcc_lo, s6, v0
	v_add_co_ci_u32_e32 v1, vcc_lo, s7, v1, vcc_lo
	global_store_b16 v[0:1], v2, off
.LBB110_9:
	s_nop 0
	s_sendmsg sendmsg(MSG_DEALLOC_VGPRS)
	s_endpgm
	.section	.rodata,"a",@progbits
	.p2align	6, 0x0
	.amdhsa_kernel _ZL13mul_mat_vec_qIN3c108BFloat16ELi256ELi8E13block_iq3_xxsLi1EXadL_ZL20vec_dot_iq3_xxs_q8_1PKvPK10block_q8_1RKiEEEvS4_S4_PT_iii
		.amdhsa_group_segment_fixed_size 0
		.amdhsa_private_segment_fixed_size 0
		.amdhsa_kernarg_size 296
		.amdhsa_user_sgpr_count 14
		.amdhsa_user_sgpr_dispatch_ptr 0
		.amdhsa_user_sgpr_queue_ptr 0
		.amdhsa_user_sgpr_kernarg_segment_ptr 1
		.amdhsa_user_sgpr_dispatch_id 0
		.amdhsa_user_sgpr_private_segment_size 0
		.amdhsa_wavefront_size32 1
		.amdhsa_uses_dynamic_stack 0
		.amdhsa_enable_private_segment 0
		.amdhsa_system_sgpr_workgroup_id_x 1
		.amdhsa_system_sgpr_workgroup_id_y 1
		.amdhsa_system_sgpr_workgroup_id_z 0
		.amdhsa_system_sgpr_workgroup_info 0
		.amdhsa_system_vgpr_workitem_id 1
		.amdhsa_next_free_vgpr 37
		.amdhsa_next_free_sgpr 18
		.amdhsa_reserve_vcc 1
		.amdhsa_float_round_mode_32 0
		.amdhsa_float_round_mode_16_64 0
		.amdhsa_float_denorm_mode_32 3
		.amdhsa_float_denorm_mode_16_64 3
		.amdhsa_dx10_clamp 1
		.amdhsa_ieee_mode 1
		.amdhsa_fp16_overflow 0
		.amdhsa_workgroup_processor_mode 1
		.amdhsa_memory_ordered 1
		.amdhsa_forward_progress 0
		.amdhsa_shared_vgpr_count 0
		.amdhsa_exception_fp_ieee_invalid_op 0
		.amdhsa_exception_fp_denorm_src 0
		.amdhsa_exception_fp_ieee_div_zero 0
		.amdhsa_exception_fp_ieee_overflow 0
		.amdhsa_exception_fp_ieee_underflow 0
		.amdhsa_exception_fp_ieee_inexact 0
		.amdhsa_exception_int_div_zero 0
	.end_amdhsa_kernel
	.section	.text._ZL13mul_mat_vec_qIN3c108BFloat16ELi256ELi8E13block_iq3_xxsLi1EXadL_ZL20vec_dot_iq3_xxs_q8_1PKvPK10block_q8_1RKiEEEvS4_S4_PT_iii,"axG",@progbits,_ZL13mul_mat_vec_qIN3c108BFloat16ELi256ELi8E13block_iq3_xxsLi1EXadL_ZL20vec_dot_iq3_xxs_q8_1PKvPK10block_q8_1RKiEEEvS4_S4_PT_iii,comdat
.Lfunc_end110:
	.size	_ZL13mul_mat_vec_qIN3c108BFloat16ELi256ELi8E13block_iq3_xxsLi1EXadL_ZL20vec_dot_iq3_xxs_q8_1PKvPK10block_q8_1RKiEEEvS4_S4_PT_iii, .Lfunc_end110-_ZL13mul_mat_vec_qIN3c108BFloat16ELi256ELi8E13block_iq3_xxsLi1EXadL_ZL20vec_dot_iq3_xxs_q8_1PKvPK10block_q8_1RKiEEEvS4_S4_PT_iii
                                        ; -- End function
	.section	.AMDGPU.csdata,"",@progbits
; Kernel info:
; codeLenInByte = 1240
; NumSgprs: 20
; NumVgprs: 37
; ScratchSize: 0
; MemoryBound: 0
; FloatMode: 240
; IeeeMode: 1
; LDSByteSize: 0 bytes/workgroup (compile time only)
; SGPRBlocks: 2
; VGPRBlocks: 4
; NumSGPRsForWavesPerEU: 20
; NumVGPRsForWavesPerEU: 37
; Occupancy: 16
; WaveLimiterHint : 0
; COMPUTE_PGM_RSRC2:SCRATCH_EN: 0
; COMPUTE_PGM_RSRC2:USER_SGPR: 14
; COMPUTE_PGM_RSRC2:TRAP_HANDLER: 0
; COMPUTE_PGM_RSRC2:TGID_X_EN: 1
; COMPUTE_PGM_RSRC2:TGID_Y_EN: 1
; COMPUTE_PGM_RSRC2:TGID_Z_EN: 0
; COMPUTE_PGM_RSRC2:TIDIG_COMP_CNT: 1
	.section	.text._ZL13mul_mat_vec_qIN3c108BFloat16ELi256ELi8E11block_iq1_sLi1EXadL_ZL18vec_dot_iq1_s_q8_1PKvPK10block_q8_1RKiEEEvS4_S4_PT_iii,"axG",@progbits,_ZL13mul_mat_vec_qIN3c108BFloat16ELi256ELi8E11block_iq1_sLi1EXadL_ZL18vec_dot_iq1_s_q8_1PKvPK10block_q8_1RKiEEEvS4_S4_PT_iii,comdat
	.globl	_ZL13mul_mat_vec_qIN3c108BFloat16ELi256ELi8E11block_iq1_sLi1EXadL_ZL18vec_dot_iq1_s_q8_1PKvPK10block_q8_1RKiEEEvS4_S4_PT_iii ; -- Begin function _ZL13mul_mat_vec_qIN3c108BFloat16ELi256ELi8E11block_iq1_sLi1EXadL_ZL18vec_dot_iq1_s_q8_1PKvPK10block_q8_1RKiEEEvS4_S4_PT_iii
	.p2align	8
	.type	_ZL13mul_mat_vec_qIN3c108BFloat16ELi256ELi8E11block_iq1_sLi1EXadL_ZL18vec_dot_iq1_s_q8_1PKvPK10block_q8_1RKiEEEvS4_S4_PT_iii,@function
_ZL13mul_mat_vec_qIN3c108BFloat16ELi256ELi8E11block_iq1_sLi1EXadL_ZL18vec_dot_iq1_s_q8_1PKvPK10block_q8_1RKiEEEvS4_S4_PT_iii: ; @_ZL13mul_mat_vec_qIN3c108BFloat16ELi256ELi8E11block_iq1_sLi1EXadL_ZL18vec_dot_iq1_s_q8_1PKvPK10block_q8_1RKiEEEvS4_S4_PT_iii
; %bb.0:
	s_clause 0x1
	s_load_b32 s2, s[0:1], 0x34
	s_load_b128 s[4:7], s[0:1], 0x18
	v_bfe_u32 v3, v0, 10, 10
	s_waitcnt lgkmcnt(0)
	s_lshr_b32 s2, s2, 16
	s_cmp_lt_u32 s15, s6
	s_delay_alu instid0(VALU_DEP_1) | instskip(SKIP_1) | instid1(VALU_DEP_1)
	v_mad_u64_u32 v[1:2], null, s14, s2, v[3:4]
	s_cselect_b32 s2, -1, 0
	v_cmp_gt_u32_e32 vcc_lo, s5, v1
	s_and_b32 s2, s2, vcc_lo
	s_delay_alu instid0(SALU_CYCLE_1)
	s_and_saveexec_b32 s3, s2
	s_cbranch_execz .LBB111_7
; %bb.1:
	s_load_b64 s[6:7], s[0:1], 0x10
	v_dual_mov_b32 v3, 0 :: v_dual_and_b32 v0, 0x3ff, v0
	s_ashr_i32 s2, s4, 31
	s_mov_b32 s10, exec_lo
	s_lshr_b32 s2, s2, 24
	s_delay_alu instid0(VALU_DEP_1) | instskip(SKIP_1) | instid1(SALU_CYCLE_1)
	v_lshrrev_b32_e32 v2, 3, v0
	s_add_i32 s2, s4, s2
	s_ashr_i32 s11, s2, 8
	s_delay_alu instid0(VALU_DEP_1) | instid1(SALU_CYCLE_1)
	v_cmpx_gt_u32_e64 s11, v2
	s_cbranch_execz .LBB111_5
; %bb.2:
	s_load_b128 s[0:3], s[0:1], 0x0
	s_addk_i32 s4, 0x1ff
	v_dual_mov_b32 v3, 0 :: v_dual_and_b32 v4, 7, v0
	s_ashr_i32 s8, s4, 31
	v_lshlrev_b32_e32 v6, 3, v2
	s_lshr_b32 s8, s8, 23
	s_delay_alu instid0(VALU_DEP_2)
	v_lshlrev_b32_e32 v7, 1, v4
	s_add_i32 s4, s4, s8
	v_mul_lo_u32 v5, v1, s11
	s_ashr_i32 s4, s4, 9
	v_lshlrev_b32_e32 v8, 1, v4
	s_mul_i32 s4, s15, s4
	v_lshlrev_b32_e32 v7, 1, v7
	v_lshl_add_u32 v6, s4, 4, v6
	s_mov_b32 s4, 0
	s_mov_b32 s12, 0xb7000000
	s_getpc_b64 s[8:9]
	s_add_u32 s8, s8, _ZL13iq1s_grid_gpu@rel32@lo+4
	s_addc_u32 s9, s9, _ZL13iq1s_grid_gpu@rel32@hi+12
.LBB111_3:                              ; =>This Inner Loop Header: Depth=1
	v_add_nc_u32_e32 v9, v5, v2
	v_add_nc_u32_e32 v2, 4, v2
	s_waitcnt lgkmcnt(0)
	s_delay_alu instid0(VALU_DEP_2) | instskip(NEXT) | instid1(VALU_DEP_1)
	v_mad_i64_i32 v[17:18], null, v9, 50, s[0:1]
	v_add_co_u32 v9, vcc_lo, v17, v7
	s_delay_alu instid0(VALU_DEP_2)
	v_add_co_ci_u32_e32 v10, vcc_lo, 0, v18, vcc_lo
	v_add_co_u32 v11, vcc_lo, v17, v8
	v_add_co_ci_u32_e32 v12, vcc_lo, 0, v18, vcc_lo
	v_cmp_le_u32_e32 vcc_lo, s11, v2
	s_clause 0x1
	global_load_b32 v21, v[9:10], off offset:2
	global_load_u16 v22, v[11:12], off offset:34
	v_mad_i64_i32 v[9:10], null, v6, 36, s[2:3]
	v_add_nc_u32_e32 v6, 32, v6
	s_or_b32 s4, vcc_lo, s4
	s_delay_alu instid0(VALU_DEP_2)
	v_mad_u64_u32 v[19:20], null, v4, 36, v[9:10]
	s_clause 0x1
	global_load_b128 v[9:12], v[19:20], off
	global_load_b128 v[13:16], v[19:20], off offset:16
	global_load_u16 v17, v[17:18], off
	global_load_b32 v19, v[19:20], off offset:32
	s_waitcnt vmcnt(5)
	v_and_b32_e32 v18, 0xff, v21
	s_waitcnt vmcnt(4)
	v_lshlrev_b32_e32 v23, 8, v22
	v_lshrrev_b16 v24, 8, v21
	v_lshlrev_b32_e32 v25, 5, v22
	v_bfe_u32 v20, v21, 16, 8
	v_lshrrev_b32_e32 v21, 24, v21
	v_and_or_b32 v18, 0x700, v23, v18
	v_and_b32_e32 v23, 0xffff, v24
	v_lshlrev_b32_e32 v24, 2, v22
	s_delay_alu instid0(VALU_DEP_3) | instskip(NEXT) | instid1(VALU_DEP_3)
	v_lshlrev_b32_e32 v18, 3, v18
	v_and_or_b32 v23, 0x700, v25, v23
	s_delay_alu instid0(VALU_DEP_3)
	v_and_or_b32 v20, 0x700, v24, v20
	v_lshrrev_b32_e32 v24, 1, v22
	global_load_b32 v18, v18, s[8:9]
	v_lshlrev_b32_e32 v23, 3, v23
	v_lshlrev_b32_e32 v20, 3, v20
	v_and_or_b32 v21, 0x700, v24, v21
	s_waitcnt vmcnt(4)
	v_bfe_i32 v24, v10, 0, 8
	v_bfe_i32 v25, v10, 8, 8
	s_clause 0x1
	global_load_b32 v23, v23, s[8:9]
	global_load_b32 v20, v20, s[8:9]
	v_lshlrev_b32_e32 v21, 3, v21
	v_bfe_i32 v26, v10, 16, 8
	v_bfe_i32 v27, v11, 0, 8
	v_ashrrev_i32_e32 v10, 24, v10
	v_bfe_i32 v28, v11, 8, 8
	global_load_b32 v21, v21, s[8:9]
	v_bfe_i32 v29, v11, 16, 8
	v_ashrrev_i32_e32 v11, 24, v11
	v_bfe_i32 v30, v12, 0, 8
	s_waitcnt vmcnt(6)
	v_bfe_i32 v33, v13, 0, 8
	v_bfe_i32 v31, v12, 8, 8
	;; [unrolled: 1-line block ×3, first 2 shown]
	v_ashrrev_i32_e32 v12, 24, v12
	v_bfe_i32 v34, v13, 8, 8
	v_bfe_i32 v35, v13, 16, 8
	v_ashrrev_i32_e32 v13, 24, v13
	v_bfe_i32 v36, v14, 0, 8
	v_bfe_i32 v39, v15, 0, 8
	;; [unrolled: 1-line block ×4, first 2 shown]
	v_ashrrev_i32_e32 v14, 24, v14
	v_bfe_i32 v40, v15, 8, 8
	v_bfe_i32 v41, v15, 16, 8
	v_ashrrev_i32_e32 v15, 24, v15
	v_bfe_i32 v42, v16, 0, 8
	s_waitcnt vmcnt(4)
	v_bfe_i32 v45, v19, 0, 8
	v_bfe_i32 v43, v16, 8, 8
	;; [unrolled: 1-line block ×3, first 2 shown]
	v_ashrrev_i32_e32 v16, 24, v16
	v_bfe_i32 v46, v19, 8, 8
	v_bfe_i32 v47, v19, 16, 8
	v_ashrrev_i32_e32 v19, 24, v19
	s_waitcnt vmcnt(3)
	v_and_b32_e32 v48, 15, v18
	v_bfe_u32 v49, v18, 8, 4
	v_bfe_u32 v50, v18, 16, 4
	;; [unrolled: 1-line block ×4, first 2 shown]
	v_mul_i32_i24_e32 v24, v24, v48
	v_bfe_u32 v48, v18, 24, 4
	v_mul_i32_i24_e32 v25, v49, v25
	v_mul_i32_i24_e32 v26, v50, v26
	;; [unrolled: 1-line block ×3, first 2 shown]
	v_mad_i32_i24 v24, v27, v51, v24
	v_bfe_u32 v27, v18, 20, 4
	v_lshrrev_b32_e32 v18, 28, v18
	v_mul_i32_i24_e32 v10, v48, v10
	s_delay_alu instid0(VALU_DEP_4) | instskip(NEXT) | instid1(VALU_DEP_4)
	v_add3_u32 v24, v24, v25, v26
	v_mul_i32_i24_e32 v25, v27, v29
	s_delay_alu instid0(VALU_DEP_4)
	v_mul_i32_i24_e32 v11, v18, v11
	s_waitcnt vmcnt(2)
	v_and_b32_e32 v18, 15, v23
	v_bfe_u32 v26, v23, 4, 4
	v_add3_u32 v10, v24, v10, v28
	v_bfe_u32 v24, v23, 8, 4
	v_bfe_u32 v27, v23, 16, 4
	v_mul_i32_i24_e32 v18, v30, v18
	v_mul_i32_i24_e32 v26, v33, v26
	v_add3_u32 v10, v10, v25, v11
	v_bfe_u32 v11, v23, 24, 4
	v_bfe_u32 v25, v23, 12, 4
	v_mul_i32_i24_e32 v24, v24, v31
	v_mul_i32_i24_e32 v27, v27, v32
	v_add3_u32 v10, v10, v18, v26
	v_bfe_u32 v18, v23, 20, 4
	v_lshrrev_b32_e32 v23, 28, v23
	v_mul_i32_i24_e32 v11, v11, v12
	v_mul_i32_i24_e32 v12, v25, v34
	v_add3_u32 v10, v10, v24, v27
	s_waitcnt vmcnt(1)
	v_and_b32_e32 v24, 15, v20
	v_bfe_u32 v25, v20, 4, 4
	v_mul_i32_i24_e32 v18, v18, v35
	v_mul_i32_i24_e32 v13, v23, v13
	v_add3_u32 v10, v10, v11, v12
	v_bfe_u32 v11, v20, 8, 4
	v_bfe_u32 v12, v20, 16, 4
	v_mul_i32_i24_e32 v23, v36, v24
	v_mul_i32_i24_e32 v24, v39, v25
	v_add3_u32 v10, v10, v18, v13
	v_bfe_u32 v13, v20, 24, 4
	v_bfe_u32 v18, v20, 12, 4
	v_mul_i32_i24_e32 v11, v11, v37
	v_mul_i32_i24_e32 v12, v12, v38
	v_add3_u32 v10, v10, v23, v24
	v_bfe_u32 v23, v20, 20, 4
	v_lshrrev_b32_e32 v20, 28, v20
	v_mul_i32_i24_e32 v13, v13, v14
	v_mul_i32_i24_e32 v14, v18, v40
	v_add3_u32 v10, v10, v11, v12
	s_waitcnt vmcnt(0)
	v_and_b32_e32 v11, 15, v21
	v_bfe_u32 v12, v21, 4, 4
	v_mul_i32_i24_e32 v18, v23, v41
	v_mul_i32_i24_e32 v15, v20, v15
	v_add3_u32 v10, v10, v13, v14
	v_bfe_u32 v13, v21, 8, 4
	v_bfe_u32 v14, v21, 16, 4
	v_mul_i32_i24_e32 v11, v42, v11
	v_mul_i32_i24_e32 v12, v45, v12
	v_add3_u32 v10, v10, v18, v15
	v_bfe_u32 v15, v21, 24, 4
	v_bfe_u32 v18, v21, 12, 4
	v_mul_i32_i24_e32 v13, v13, v43
	v_mul_i32_i24_e32 v14, v14, v44
	v_add3_u32 v10, v10, v11, v12
	v_bfe_u32 v11, v21, 20, 4
	v_lshrrev_b32_e32 v12, 28, v21
	v_mul_i32_i24_e32 v15, v15, v16
	v_mul_i32_i24_e32 v16, v18, v46
	v_add3_u32 v10, v10, v13, v14
	v_mul_i32_i24_e32 v11, v11, v47
	v_mul_i32_i24_e32 v12, v12, v19
	v_lshrrev_b32_e32 v13, 11, v22
	v_and_b32_e32 v14, 0x8000, v22
	v_add3_u32 v10, v10, v15, v16
	s_delay_alu instid0(VALU_DEP_1)
	v_add3_u32 v10, v10, v11, v12
	v_cvt_f32_f16_e32 v11, v9
	v_and_or_b32 v12, v13, 14, 1
	v_cvt_f32_u32_e32 v13, v14
	v_cvt_f32_f16_e32 v14, v17
	v_cvt_f32_i32_e32 v10, v10
	s_delay_alu instid0(VALU_DEP_4) | instskip(NEXT) | instid1(VALU_DEP_2)
	v_cvt_f32_ubyte0_e32 v12, v12
	v_dual_fmaak_f32 v13, s12, v13, 0xbf600000 :: v_dual_mul_f32 v10, v11, v10
	s_delay_alu instid0(VALU_DEP_2) | instskip(NEXT) | instid1(VALU_DEP_2)
	v_mul_f32_e32 v11, v12, v14
	v_fma_mix_f32 v9, v13, v9, v10 op_sel:[0,1,0] op_sel_hi:[0,1,0]
	s_delay_alu instid0(VALU_DEP_1)
	v_fmac_f32_e32 v3, v11, v9
	s_and_not1_b32 exec_lo, exec_lo, s4
	s_cbranch_execnz .LBB111_3
; %bb.4:
	s_or_b32 exec_lo, exec_lo, s4
.LBB111_5:
	s_delay_alu instid0(SALU_CYCLE_1) | instskip(SKIP_1) | instid1(VALU_DEP_1)
	s_or_b32 exec_lo, exec_lo, s10
	v_mbcnt_lo_u32_b32 v2, -1, 0
	v_xor_b32_e32 v4, 16, v2
	v_xor_b32_e32 v5, 8, v2
	s_delay_alu instid0(VALU_DEP_2) | instskip(SKIP_1) | instid1(VALU_DEP_3)
	v_cmp_gt_i32_e32 vcc_lo, 32, v4
	v_cndmask_b32_e32 v4, v2, v4, vcc_lo
	v_cmp_gt_i32_e32 vcc_lo, 32, v5
	v_cndmask_b32_e32 v5, v2, v5, vcc_lo
	s_delay_alu instid0(VALU_DEP_1) | instskip(NEXT) | instid1(VALU_DEP_4)
	v_lshlrev_b32_e32 v5, 2, v5
	v_lshlrev_b32_e32 v4, 2, v4
	ds_bpermute_b32 v4, v4, v3
	s_waitcnt lgkmcnt(0)
	v_add_f32_e32 v3, v3, v4
	ds_bpermute_b32 v4, v5, v3
	v_xor_b32_e32 v5, 4, v2
	s_delay_alu instid0(VALU_DEP_1) | instskip(SKIP_1) | instid1(VALU_DEP_1)
	v_cmp_gt_i32_e32 vcc_lo, 32, v5
	v_cndmask_b32_e32 v5, v2, v5, vcc_lo
	v_lshlrev_b32_e32 v5, 2, v5
	s_waitcnt lgkmcnt(0)
	v_add_f32_e32 v3, v3, v4
	ds_bpermute_b32 v4, v5, v3
	v_xor_b32_e32 v5, 2, v2
	s_delay_alu instid0(VALU_DEP_1) | instskip(SKIP_1) | instid1(VALU_DEP_1)
	v_cmp_gt_i32_e32 vcc_lo, 32, v5
	v_cndmask_b32_e32 v5, v2, v5, vcc_lo
	v_lshlrev_b32_e32 v5, 2, v5
	s_waitcnt lgkmcnt(0)
	v_add_f32_e32 v3, v3, v4
	ds_bpermute_b32 v4, v5, v3
	v_xor_b32_e32 v5, 1, v2
	s_delay_alu instid0(VALU_DEP_1) | instskip(SKIP_3) | instid1(VALU_DEP_2)
	v_cmp_gt_i32_e32 vcc_lo, 32, v5
	v_cndmask_b32_e32 v5, v2, v5, vcc_lo
	v_cmp_eq_u32_e32 vcc_lo, 0, v0
	s_waitcnt lgkmcnt(0)
	v_dual_add_f32 v2, v3, v4 :: v_dual_lshlrev_b32 v3, 2, v5
	ds_bpermute_b32 v3, v3, v2
	s_and_b32 exec_lo, exec_lo, vcc_lo
	s_cbranch_execz .LBB111_7
; %bb.6:
	s_waitcnt lgkmcnt(0)
	v_add_f32_e32 v4, v2, v3
	v_mad_u64_u32 v[2:3], null, s15, s5, v[1:2]
	v_mov_b32_e32 v3, 0
	s_delay_alu instid0(VALU_DEP_3) | instskip(SKIP_1) | instid1(VALU_DEP_2)
	v_bfe_u32 v0, v4, 16, 1
	v_cmp_o_f32_e32 vcc_lo, v4, v4
	v_add3_u32 v0, v4, v0, 0x7fff
	s_delay_alu instid0(VALU_DEP_1) | instskip(SKIP_1) | instid1(VALU_DEP_2)
	v_lshrrev_b32_e32 v5, 16, v0
	v_lshlrev_b64 v[0:1], 1, v[2:3]
	v_cndmask_b32_e32 v2, 0x7fc0, v5, vcc_lo
	s_delay_alu instid0(VALU_DEP_2) | instskip(NEXT) | instid1(VALU_DEP_3)
	v_add_co_u32 v0, vcc_lo, s6, v0
	v_add_co_ci_u32_e32 v1, vcc_lo, s7, v1, vcc_lo
	global_store_b16 v[0:1], v2, off
.LBB111_7:
	s_nop 0
	s_sendmsg sendmsg(MSG_DEALLOC_VGPRS)
	s_endpgm
	.section	.rodata,"a",@progbits
	.p2align	6, 0x0
	.amdhsa_kernel _ZL13mul_mat_vec_qIN3c108BFloat16ELi256ELi8E11block_iq1_sLi1EXadL_ZL18vec_dot_iq1_s_q8_1PKvPK10block_q8_1RKiEEEvS4_S4_PT_iii
		.amdhsa_group_segment_fixed_size 0
		.amdhsa_private_segment_fixed_size 0
		.amdhsa_kernarg_size 296
		.amdhsa_user_sgpr_count 14
		.amdhsa_user_sgpr_dispatch_ptr 0
		.amdhsa_user_sgpr_queue_ptr 0
		.amdhsa_user_sgpr_kernarg_segment_ptr 1
		.amdhsa_user_sgpr_dispatch_id 0
		.amdhsa_user_sgpr_private_segment_size 0
		.amdhsa_wavefront_size32 1
		.amdhsa_uses_dynamic_stack 0
		.amdhsa_enable_private_segment 0
		.amdhsa_system_sgpr_workgroup_id_x 1
		.amdhsa_system_sgpr_workgroup_id_y 1
		.amdhsa_system_sgpr_workgroup_id_z 0
		.amdhsa_system_sgpr_workgroup_info 0
		.amdhsa_system_vgpr_workitem_id 1
		.amdhsa_next_free_vgpr 53
		.amdhsa_next_free_sgpr 16
		.amdhsa_reserve_vcc 1
		.amdhsa_float_round_mode_32 0
		.amdhsa_float_round_mode_16_64 0
		.amdhsa_float_denorm_mode_32 3
		.amdhsa_float_denorm_mode_16_64 3
		.amdhsa_dx10_clamp 1
		.amdhsa_ieee_mode 1
		.amdhsa_fp16_overflow 0
		.amdhsa_workgroup_processor_mode 1
		.amdhsa_memory_ordered 1
		.amdhsa_forward_progress 0
		.amdhsa_shared_vgpr_count 0
		.amdhsa_exception_fp_ieee_invalid_op 0
		.amdhsa_exception_fp_denorm_src 0
		.amdhsa_exception_fp_ieee_div_zero 0
		.amdhsa_exception_fp_ieee_overflow 0
		.amdhsa_exception_fp_ieee_underflow 0
		.amdhsa_exception_fp_ieee_inexact 0
		.amdhsa_exception_int_div_zero 0
	.end_amdhsa_kernel
	.section	.text._ZL13mul_mat_vec_qIN3c108BFloat16ELi256ELi8E11block_iq1_sLi1EXadL_ZL18vec_dot_iq1_s_q8_1PKvPK10block_q8_1RKiEEEvS4_S4_PT_iii,"axG",@progbits,_ZL13mul_mat_vec_qIN3c108BFloat16ELi256ELi8E11block_iq1_sLi1EXadL_ZL18vec_dot_iq1_s_q8_1PKvPK10block_q8_1RKiEEEvS4_S4_PT_iii,comdat
.Lfunc_end111:
	.size	_ZL13mul_mat_vec_qIN3c108BFloat16ELi256ELi8E11block_iq1_sLi1EXadL_ZL18vec_dot_iq1_s_q8_1PKvPK10block_q8_1RKiEEEvS4_S4_PT_iii, .Lfunc_end111-_ZL13mul_mat_vec_qIN3c108BFloat16ELi256ELi8E11block_iq1_sLi1EXadL_ZL18vec_dot_iq1_s_q8_1PKvPK10block_q8_1RKiEEEvS4_S4_PT_iii
                                        ; -- End function
	.section	.AMDGPU.csdata,"",@progbits
; Kernel info:
; codeLenInByte = 1696
; NumSgprs: 18
; NumVgprs: 53
; ScratchSize: 0
; MemoryBound: 0
; FloatMode: 240
; IeeeMode: 1
; LDSByteSize: 0 bytes/workgroup (compile time only)
; SGPRBlocks: 2
; VGPRBlocks: 6
; NumSGPRsForWavesPerEU: 18
; NumVGPRsForWavesPerEU: 53
; Occupancy: 16
; WaveLimiterHint : 0
; COMPUTE_PGM_RSRC2:SCRATCH_EN: 0
; COMPUTE_PGM_RSRC2:USER_SGPR: 14
; COMPUTE_PGM_RSRC2:TRAP_HANDLER: 0
; COMPUTE_PGM_RSRC2:TGID_X_EN: 1
; COMPUTE_PGM_RSRC2:TGID_Y_EN: 1
; COMPUTE_PGM_RSRC2:TGID_Z_EN: 0
; COMPUTE_PGM_RSRC2:TIDIG_COMP_CNT: 1
	.section	.text._ZL13mul_mat_vec_qIN3c108BFloat16ELi32ELi4E12block_iq4_nlLi2EXadL_ZL19vec_dot_iq4_nl_q8_1PKvPK10block_q8_1RKiEEEvS4_S4_PT_iii,"axG",@progbits,_ZL13mul_mat_vec_qIN3c108BFloat16ELi32ELi4E12block_iq4_nlLi2EXadL_ZL19vec_dot_iq4_nl_q8_1PKvPK10block_q8_1RKiEEEvS4_S4_PT_iii,comdat
	.globl	_ZL13mul_mat_vec_qIN3c108BFloat16ELi32ELi4E12block_iq4_nlLi2EXadL_ZL19vec_dot_iq4_nl_q8_1PKvPK10block_q8_1RKiEEEvS4_S4_PT_iii ; -- Begin function _ZL13mul_mat_vec_qIN3c108BFloat16ELi32ELi4E12block_iq4_nlLi2EXadL_ZL19vec_dot_iq4_nl_q8_1PKvPK10block_q8_1RKiEEEvS4_S4_PT_iii
	.p2align	8
	.type	_ZL13mul_mat_vec_qIN3c108BFloat16ELi32ELi4E12block_iq4_nlLi2EXadL_ZL19vec_dot_iq4_nl_q8_1PKvPK10block_q8_1RKiEEEvS4_S4_PT_iii,@function
_ZL13mul_mat_vec_qIN3c108BFloat16ELi32ELi4E12block_iq4_nlLi2EXadL_ZL19vec_dot_iq4_nl_q8_1PKvPK10block_q8_1RKiEEEvS4_S4_PT_iii: ; @_ZL13mul_mat_vec_qIN3c108BFloat16ELi32ELi4E12block_iq4_nlLi2EXadL_ZL19vec_dot_iq4_nl_q8_1PKvPK10block_q8_1RKiEEEvS4_S4_PT_iii
; %bb.0:
	s_clause 0x1
	s_load_b32 s2, s[0:1], 0x34
	s_load_b128 s[4:7], s[0:1], 0x18
	v_bfe_u32 v3, v0, 10, 10
	s_waitcnt lgkmcnt(0)
	s_lshr_b32 s2, s2, 16
	s_cmp_lt_u32 s15, s6
	s_delay_alu instid0(VALU_DEP_1) | instskip(SKIP_1) | instid1(VALU_DEP_1)
	v_mad_u64_u32 v[1:2], null, s14, s2, v[3:4]
	s_cselect_b32 s2, -1, 0
	v_cmp_gt_u32_e32 vcc_lo, s5, v1
	s_and_b32 s2, s2, vcc_lo
	s_delay_alu instid0(SALU_CYCLE_1)
	s_and_saveexec_b32 s3, s2
	s_cbranch_execz .LBB112_7
; %bb.1:
	s_load_b64 s[6:7], s[0:1], 0x10
	v_dual_mov_b32 v3, 0 :: v_dual_and_b32 v0, 0x3ff, v0
	s_ashr_i32 s2, s4, 31
	s_mov_b32 s8, exec_lo
	s_lshr_b32 s2, s2, 27
	s_delay_alu instid0(VALU_DEP_1) | instskip(SKIP_1) | instid1(SALU_CYCLE_1)
	v_lshrrev_b32_e32 v2, 1, v0
	s_add_i32 s2, s4, s2
	s_ashr_i32 s9, s2, 5
	s_delay_alu instid0(VALU_DEP_1) | instid1(SALU_CYCLE_1)
	v_cmpx_gt_u32_e64 s9, v2
	s_cbranch_execz .LBB112_5
; %bb.2:
	v_lshlrev_b32_e32 v3, 1, v0
	s_load_b128 s[0:3], s[0:1], 0x0
	s_addk_i32 s4, 0x1ff
	v_mul_lo_u32 v4, v1, s9
	s_ashr_i32 s10, s4, 31
	v_dual_mov_b32 v3, 0 :: v_dual_and_b32 v6, 2, v3
	s_lshr_b32 s10, s10, 23
	s_delay_alu instid0(SALU_CYCLE_1) | instskip(NEXT) | instid1(VALU_DEP_1)
	s_add_i32 s4, s4, s10
	v_lshlrev_b32_e32 v5, 1, v6
	s_ashr_i32 s4, s4, 9
	v_lshlrev_b32_e32 v6, 2, v6
	s_mul_i32 s4, s15, s4
	s_delay_alu instid0(SALU_CYCLE_1)
	s_lshl_b32 s10, s4, 4
	v_lshlrev_b32_e32 v5, 1, v5
	s_mov_b32 s4, 0
	s_getpc_b64 s[12:13]
	s_add_u32 s12, s12, _ZL13kvalues_iq4nl@rel32@lo+4
	s_addc_u32 s13, s13, _ZL13kvalues_iq4nl@rel32@hi+12
.LBB112_3:                              ; =>This Inner Loop Header: Depth=1
	v_add_nc_u32_e32 v9, v4, v2
	v_add_nc_u32_e32 v13, s10, v2
	s_waitcnt lgkmcnt(0)
	s_delay_alu instid0(VALU_DEP_2) | instskip(NEXT) | instid1(VALU_DEP_2)
	v_mad_i64_i32 v[7:8], null, v9, 18, s[0:1]
	v_mad_i64_i32 v[11:12], null, v13, 36, s[2:3]
	s_delay_alu instid0(VALU_DEP_2) | instskip(NEXT) | instid1(VALU_DEP_3)
	v_add_co_u32 v9, vcc_lo, v7, v5
	v_add_co_ci_u32_e32 v10, vcc_lo, 0, v8, vcc_lo
	s_delay_alu instid0(VALU_DEP_3) | instskip(NEXT) | instid1(VALU_DEP_4)
	v_add_co_u32 v13, vcc_lo, v11, v6
	v_add_co_ci_u32_e32 v14, vcc_lo, 0, v12, vcc_lo
	global_load_b64 v[9:10], v[9:10], off offset:2
	global_load_b64 v[15:16], v[13:14], off offset:4
	s_waitcnt vmcnt(1)
	v_bfe_u32 v19, v9, 8, 4
	v_bfe_u32 v20, v9, 16, 4
	;; [unrolled: 1-line block ×5, first 2 shown]
	v_and_b32_e32 v18, 15, v9
	v_lshrrev_b32_e32 v23, 28, v9
	v_bfe_u32 v9, v9, 4, 4
	s_clause 0x7
	global_load_i8 v19, v19, s[12:13]
	global_load_i8 v20, v20, s[12:13]
	;; [unrolled: 1-line block ×8, first 2 shown]
	v_bfe_u32 v26, v10, 8, 4
	v_bfe_u32 v27, v10, 16, 4
	;; [unrolled: 1-line block ×5, first 2 shown]
	v_and_b32_e32 v25, 15, v10
	v_lshrrev_b32_e32 v30, 28, v10
	v_bfe_u32 v9, v10, 4, 4
	s_clause 0x7
	global_load_i8 v26, v26, s[12:13]
	global_load_i8 v27, v27, s[12:13]
	;; [unrolled: 1-line block ×8, first 2 shown]
	global_load_b64 v[9:10], v[13:14], off offset:20
	global_load_u16 v7, v[7:8], off
	global_load_b32 v8, v[11:12], off
	s_waitcnt vmcnt(14)
	v_perm_b32 v13, v21, v31, 0xc0c0400
	s_waitcnt vmcnt(13)
	v_perm_b32 v14, v23, v22, 0x4000c0c
	;; [unrolled: 2-line block ×4, first 2 shown]
	v_or_b32_e32 v13, v14, v13
	s_delay_alu instid0(VALU_DEP_2)
	v_or_b32_e32 v11, v12, v11
	s_waitcnt vmcnt(5)
	v_perm_b32 v12, v26, v25, 0xc0c0400
	s_waitcnt vmcnt(4)
	v_perm_b32 v17, v24, v27, 0x4000c0c
	;; [unrolled: 2-line block ×3, first 2 shown]
	s_waitcnt vmcnt(1)
	v_cvt_f32_f16_e32 v7, v7
	v_dot4_i32_iu8 v11, v15, v11, 0 neg_lo:[1,1,0]
	v_perm_b32 v15, v30, v29, 0x4000c0c
	v_or_b32_e32 v12, v17, v12
	s_waitcnt vmcnt(0)
	v_cvt_f32_f16_e32 v8, v8
	v_dot4_i32_iu8 v9, v9, v13, v11 neg_lo:[1,1,0]
	v_or_b32_e32 v11, v15, v14
	s_delay_alu instid0(VALU_DEP_3) | instskip(NEXT) | instid1(VALU_DEP_3)
	v_mul_f32_e32 v7, v7, v8
	v_dot4_i32_iu8 v9, v16, v12, v9 neg_lo:[1,1,0]
	s_delay_alu instid0(VALU_DEP_1) | instskip(NEXT) | instid1(VALU_DEP_1)
	v_dot4_i32_iu8 v9, v10, v11, v9 neg_lo:[1,1,0]
	v_cvt_f32_i32_e32 v8, v9
	s_delay_alu instid0(VALU_DEP_1) | instskip(NEXT) | instid1(VALU_DEP_1)
	v_dual_fmac_f32 v3, v7, v8 :: v_dual_add_nc_u32 v2, 16, v2
	v_cmp_le_u32_e32 vcc_lo, s9, v2
	s_or_b32 s4, vcc_lo, s4
	s_delay_alu instid0(SALU_CYCLE_1)
	s_and_not1_b32 exec_lo, exec_lo, s4
	s_cbranch_execnz .LBB112_3
; %bb.4:
	s_or_b32 exec_lo, exec_lo, s4
.LBB112_5:
	s_delay_alu instid0(SALU_CYCLE_1) | instskip(SKIP_1) | instid1(VALU_DEP_1)
	s_or_b32 exec_lo, exec_lo, s8
	v_mbcnt_lo_u32_b32 v2, -1, 0
	v_xor_b32_e32 v4, 16, v2
	v_xor_b32_e32 v5, 8, v2
	s_delay_alu instid0(VALU_DEP_2) | instskip(SKIP_1) | instid1(VALU_DEP_3)
	v_cmp_gt_i32_e32 vcc_lo, 32, v4
	v_cndmask_b32_e32 v4, v2, v4, vcc_lo
	v_cmp_gt_i32_e32 vcc_lo, 32, v5
	v_cndmask_b32_e32 v5, v2, v5, vcc_lo
	s_delay_alu instid0(VALU_DEP_1) | instskip(NEXT) | instid1(VALU_DEP_4)
	v_lshlrev_b32_e32 v5, 2, v5
	v_lshlrev_b32_e32 v4, 2, v4
	ds_bpermute_b32 v4, v4, v3
	s_waitcnt lgkmcnt(0)
	v_add_f32_e32 v3, v3, v4
	ds_bpermute_b32 v4, v5, v3
	v_xor_b32_e32 v5, 4, v2
	s_delay_alu instid0(VALU_DEP_1) | instskip(SKIP_1) | instid1(VALU_DEP_1)
	v_cmp_gt_i32_e32 vcc_lo, 32, v5
	v_cndmask_b32_e32 v5, v2, v5, vcc_lo
	v_lshlrev_b32_e32 v5, 2, v5
	s_waitcnt lgkmcnt(0)
	v_add_f32_e32 v3, v3, v4
	ds_bpermute_b32 v4, v5, v3
	v_xor_b32_e32 v5, 2, v2
	s_delay_alu instid0(VALU_DEP_1) | instskip(SKIP_1) | instid1(VALU_DEP_1)
	v_cmp_gt_i32_e32 vcc_lo, 32, v5
	v_cndmask_b32_e32 v5, v2, v5, vcc_lo
	v_lshlrev_b32_e32 v5, 2, v5
	s_waitcnt lgkmcnt(0)
	v_add_f32_e32 v3, v3, v4
	ds_bpermute_b32 v4, v5, v3
	v_xor_b32_e32 v5, 1, v2
	s_delay_alu instid0(VALU_DEP_1) | instskip(SKIP_3) | instid1(VALU_DEP_2)
	v_cmp_gt_i32_e32 vcc_lo, 32, v5
	v_cndmask_b32_e32 v5, v2, v5, vcc_lo
	v_cmp_eq_u32_e32 vcc_lo, 0, v0
	s_waitcnt lgkmcnt(0)
	v_dual_add_f32 v2, v3, v4 :: v_dual_lshlrev_b32 v3, 2, v5
	ds_bpermute_b32 v3, v3, v2
	s_and_b32 exec_lo, exec_lo, vcc_lo
	s_cbranch_execz .LBB112_7
; %bb.6:
	s_waitcnt lgkmcnt(0)
	v_add_f32_e32 v4, v2, v3
	v_mad_u64_u32 v[2:3], null, s15, s5, v[1:2]
	v_mov_b32_e32 v3, 0
	s_delay_alu instid0(VALU_DEP_3) | instskip(SKIP_1) | instid1(VALU_DEP_2)
	v_bfe_u32 v0, v4, 16, 1
	v_cmp_o_f32_e32 vcc_lo, v4, v4
	v_add3_u32 v0, v4, v0, 0x7fff
	s_delay_alu instid0(VALU_DEP_1) | instskip(SKIP_1) | instid1(VALU_DEP_2)
	v_lshrrev_b32_e32 v5, 16, v0
	v_lshlrev_b64 v[0:1], 1, v[2:3]
	v_cndmask_b32_e32 v2, 0x7fc0, v5, vcc_lo
	s_delay_alu instid0(VALU_DEP_2) | instskip(NEXT) | instid1(VALU_DEP_3)
	v_add_co_u32 v0, vcc_lo, s6, v0
	v_add_co_ci_u32_e32 v1, vcc_lo, s7, v1, vcc_lo
	global_store_b16 v[0:1], v2, off
.LBB112_7:
	s_nop 0
	s_sendmsg sendmsg(MSG_DEALLOC_VGPRS)
	s_endpgm
	.section	.rodata,"a",@progbits
	.p2align	6, 0x0
	.amdhsa_kernel _ZL13mul_mat_vec_qIN3c108BFloat16ELi32ELi4E12block_iq4_nlLi2EXadL_ZL19vec_dot_iq4_nl_q8_1PKvPK10block_q8_1RKiEEEvS4_S4_PT_iii
		.amdhsa_group_segment_fixed_size 0
		.amdhsa_private_segment_fixed_size 0
		.amdhsa_kernarg_size 296
		.amdhsa_user_sgpr_count 14
		.amdhsa_user_sgpr_dispatch_ptr 0
		.amdhsa_user_sgpr_queue_ptr 0
		.amdhsa_user_sgpr_kernarg_segment_ptr 1
		.amdhsa_user_sgpr_dispatch_id 0
		.amdhsa_user_sgpr_private_segment_size 0
		.amdhsa_wavefront_size32 1
		.amdhsa_uses_dynamic_stack 0
		.amdhsa_enable_private_segment 0
		.amdhsa_system_sgpr_workgroup_id_x 1
		.amdhsa_system_sgpr_workgroup_id_y 1
		.amdhsa_system_sgpr_workgroup_id_z 0
		.amdhsa_system_sgpr_workgroup_info 0
		.amdhsa_system_vgpr_workitem_id 1
		.amdhsa_next_free_vgpr 33
		.amdhsa_next_free_sgpr 16
		.amdhsa_reserve_vcc 1
		.amdhsa_float_round_mode_32 0
		.amdhsa_float_round_mode_16_64 0
		.amdhsa_float_denorm_mode_32 3
		.amdhsa_float_denorm_mode_16_64 3
		.amdhsa_dx10_clamp 1
		.amdhsa_ieee_mode 1
		.amdhsa_fp16_overflow 0
		.amdhsa_workgroup_processor_mode 1
		.amdhsa_memory_ordered 1
		.amdhsa_forward_progress 0
		.amdhsa_shared_vgpr_count 0
		.amdhsa_exception_fp_ieee_invalid_op 0
		.amdhsa_exception_fp_denorm_src 0
		.amdhsa_exception_fp_ieee_div_zero 0
		.amdhsa_exception_fp_ieee_overflow 0
		.amdhsa_exception_fp_ieee_underflow 0
		.amdhsa_exception_fp_ieee_inexact 0
		.amdhsa_exception_int_div_zero 0
	.end_amdhsa_kernel
	.section	.text._ZL13mul_mat_vec_qIN3c108BFloat16ELi32ELi4E12block_iq4_nlLi2EXadL_ZL19vec_dot_iq4_nl_q8_1PKvPK10block_q8_1RKiEEEvS4_S4_PT_iii,"axG",@progbits,_ZL13mul_mat_vec_qIN3c108BFloat16ELi32ELi4E12block_iq4_nlLi2EXadL_ZL19vec_dot_iq4_nl_q8_1PKvPK10block_q8_1RKiEEEvS4_S4_PT_iii,comdat
.Lfunc_end112:
	.size	_ZL13mul_mat_vec_qIN3c108BFloat16ELi32ELi4E12block_iq4_nlLi2EXadL_ZL19vec_dot_iq4_nl_q8_1PKvPK10block_q8_1RKiEEEvS4_S4_PT_iii, .Lfunc_end112-_ZL13mul_mat_vec_qIN3c108BFloat16ELi32ELi4E12block_iq4_nlLi2EXadL_ZL19vec_dot_iq4_nl_q8_1PKvPK10block_q8_1RKiEEEvS4_S4_PT_iii
                                        ; -- End function
	.section	.AMDGPU.csdata,"",@progbits
; Kernel info:
; codeLenInByte = 1148
; NumSgprs: 18
; NumVgprs: 33
; ScratchSize: 0
; MemoryBound: 0
; FloatMode: 240
; IeeeMode: 1
; LDSByteSize: 0 bytes/workgroup (compile time only)
; SGPRBlocks: 2
; VGPRBlocks: 4
; NumSGPRsForWavesPerEU: 18
; NumVGPRsForWavesPerEU: 33
; Occupancy: 16
; WaveLimiterHint : 0
; COMPUTE_PGM_RSRC2:SCRATCH_EN: 0
; COMPUTE_PGM_RSRC2:USER_SGPR: 14
; COMPUTE_PGM_RSRC2:TRAP_HANDLER: 0
; COMPUTE_PGM_RSRC2:TGID_X_EN: 1
; COMPUTE_PGM_RSRC2:TGID_Y_EN: 1
; COMPUTE_PGM_RSRC2:TGID_Z_EN: 0
; COMPUTE_PGM_RSRC2:TIDIG_COMP_CNT: 1
	.section	.text._ZL13mul_mat_vec_qIN3c108BFloat16ELi256ELi8E11block_iq3_sLi1EXadL_ZL18vec_dot_iq3_s_q8_1PKvPK10block_q8_1RKiEEEvS4_S4_PT_iii,"axG",@progbits,_ZL13mul_mat_vec_qIN3c108BFloat16ELi256ELi8E11block_iq3_sLi1EXadL_ZL18vec_dot_iq3_s_q8_1PKvPK10block_q8_1RKiEEEvS4_S4_PT_iii,comdat
	.globl	_ZL13mul_mat_vec_qIN3c108BFloat16ELi256ELi8E11block_iq3_sLi1EXadL_ZL18vec_dot_iq3_s_q8_1PKvPK10block_q8_1RKiEEEvS4_S4_PT_iii ; -- Begin function _ZL13mul_mat_vec_qIN3c108BFloat16ELi256ELi8E11block_iq3_sLi1EXadL_ZL18vec_dot_iq3_s_q8_1PKvPK10block_q8_1RKiEEEvS4_S4_PT_iii
	.p2align	8
	.type	_ZL13mul_mat_vec_qIN3c108BFloat16ELi256ELi8E11block_iq3_sLi1EXadL_ZL18vec_dot_iq3_s_q8_1PKvPK10block_q8_1RKiEEEvS4_S4_PT_iii,@function
_ZL13mul_mat_vec_qIN3c108BFloat16ELi256ELi8E11block_iq3_sLi1EXadL_ZL18vec_dot_iq3_s_q8_1PKvPK10block_q8_1RKiEEEvS4_S4_PT_iii: ; @_ZL13mul_mat_vec_qIN3c108BFloat16ELi256ELi8E11block_iq3_sLi1EXadL_ZL18vec_dot_iq3_s_q8_1PKvPK10block_q8_1RKiEEEvS4_S4_PT_iii
; %bb.0:
	s_clause 0x1
	s_load_b32 s2, s[0:1], 0x34
	s_load_b128 s[4:7], s[0:1], 0x18
	v_bfe_u32 v3, v0, 10, 10
	s_waitcnt lgkmcnt(0)
	s_lshr_b32 s2, s2, 16
	s_cmp_lt_u32 s15, s6
	s_delay_alu instid0(VALU_DEP_1) | instskip(SKIP_1) | instid1(VALU_DEP_1)
	v_mad_u64_u32 v[1:2], null, s14, s2, v[3:4]
	s_cselect_b32 s2, -1, 0
	v_cmp_gt_u32_e32 vcc_lo, s5, v1
	s_and_b32 s2, s2, vcc_lo
	s_delay_alu instid0(SALU_CYCLE_1)
	s_and_saveexec_b32 s3, s2
	s_cbranch_execz .LBB113_9
; %bb.1:
	s_load_b64 s[6:7], s[0:1], 0x10
	v_and_b32_e32 v0, 0x3ff, v0
	s_ashr_i32 s2, s4, 31
	v_mov_b32_e32 v18, 0
	s_lshr_b32 s2, s2, 24
	s_mov_b32 s8, exec_lo
	v_lshrrev_b32_e32 v19, 3, v0
	s_add_i32 s2, s4, s2
	s_delay_alu instid0(SALU_CYCLE_1)
	s_ashr_i32 s9, s2, 8
	s_delay_alu instid0(VALU_DEP_1) | instid1(SALU_CYCLE_1)
	v_cmpx_gt_u32_e64 s9, v19
	s_cbranch_execz .LBB113_7
; %bb.2:
	s_load_b128 s[0:3], s[0:1], 0x0
	v_dual_mov_b32 v18, 0 :: v_dual_and_b32 v21, 7, v0
	s_addk_i32 s4, 0x1ff
	v_lshlrev_b32_e32 v2, 2, v0
	s_ashr_i32 s10, s4, 31
	s_delay_alu instid0(VALU_DEP_2)
	v_lshlrev_b32_e32 v3, 2, v21
	s_lshr_b32 s10, s10, 23
	v_lshlrev_b32_e32 v6, 3, v21
	s_add_i32 s4, s4, s10
	v_mul_lo_u32 v20, v1, s9
	v_and_b32_e32 v23, 4, v2
	s_ashr_i32 s4, s4, 9
	v_bfe_u32 v22, v0, 1, 2
	s_mul_i32 s4, s15, s4
	s_delay_alu instid0(VALU_DEP_3) | instskip(SKIP_2) | instid1(VALU_DEP_1)
	v_add_nc_u32_e32 v24, v19, v20
	s_waitcnt lgkmcnt(0)
	v_add_co_u32 v4, s10, v3, s0
	v_add_co_ci_u32_e64 v5, null, 0, s1, s10
	v_mad_u64_u32 v[2:3], null, v21, 36, s[2:3]
	v_add_co_u32 v6, s2, v6, s0
	s_delay_alu instid0(VALU_DEP_4) | instskip(SKIP_2) | instid1(VALU_DEP_4)
	v_add_co_u32 v4, vcc_lo, 0x4a, v4
	v_add_co_ci_u32_e64 v7, null, 0, s1, s2
	v_add_co_ci_u32_e32 v5, vcc_lo, 0, v5, vcc_lo
	v_add_co_u32 v6, vcc_lo, v6, 2
	s_delay_alu instid0(VALU_DEP_3)
	v_add_co_ci_u32_e32 v7, vcc_lo, 0, v7, vcc_lo
	s_lshl_b32 s3, s4, 4
	s_mov_b32 s2, 0
	s_getpc_b64 s[10:11]
	s_add_u32 s10, s10, _ZL10iq3xs_grid@rel32@lo+4
	s_addc_u32 s11, s11, _ZL10iq3xs_grid@rel32@hi+12
.LBB113_3:                              ; =>This Loop Header: Depth=1
                                        ;     Child Loop BB113_4 Depth 2
	v_dual_mov_b32 v25, 0 :: v_dual_add_nc_u32 v10, v19, v20
	v_lshl_add_u32 v12, v19, 3, s3
	v_mad_i64_i32 v[14:15], null, 0x6e, v24, v[6:7]
	s_delay_alu instid0(VALU_DEP_3) | instskip(SKIP_1) | instid1(VALU_DEP_1)
	v_mad_i64_i32 v[8:9], null, 0x6e, v10, s[0:1]
	s_mov_b32 s4, 7
	v_add_co_u32 v10, vcc_lo, v8, v21
	s_delay_alu instid0(VALU_DEP_2) | instskip(SKIP_3) | instid1(VALU_DEP_2)
	v_add_co_ci_u32_e32 v11, vcc_lo, 0, v9, vcc_lo
	global_load_u8 v26, v[10:11], off offset:66
	v_mad_i64_i32 v[10:11], null, v12, 36, v[2:3]
	v_mad_i64_i32 v[12:13], null, 0x6e, v24, v[4:5]
	v_add_co_u32 v16, vcc_lo, v10, 4
	s_delay_alu instid0(VALU_DEP_3)
	v_add_co_ci_u32_e32 v17, vcc_lo, 0, v11, vcc_lo
.LBB113_4:                              ;   Parent Loop BB113_3 Depth=1
                                        ; =>  This Inner Loop Header: Depth=2
	global_load_u16 v27, v[14:15], off
	global_load_u8 v29, v[12:13], off
	s_add_i32 s12, s4, 1
	s_waitcnt vmcnt(2)
	v_lshlrev_b32_e32 v28, s4, v26
	v_lshlrev_b32_e32 v30, s12, v26
	s_add_i32 s4, s4, -2
	s_delay_alu instid0(SALU_CYCLE_1)
	s_cmp_lg_u32 s4, -1
	s_waitcnt vmcnt(1)
	v_lshrrev_b16 v31, 8, v27
	v_and_b32_e32 v27, 0xff, v27
	s_waitcnt vmcnt(0)
	v_and_b32_e32 v32, 15, v29
	v_lshrrev_b16 v29, 4, v29
	v_and_b32_e32 v31, 0xffff, v31
	v_and_or_b32 v27, 0x100, v30, v27
	s_delay_alu instid0(VALU_DEP_4) | instskip(NEXT) | instid1(VALU_DEP_4)
	v_and_b32_e32 v32, 0xffff, v32
	v_and_b32_e32 v29, 0xffff, v29
	s_delay_alu instid0(VALU_DEP_4) | instskip(NEXT) | instid1(VALU_DEP_4)
	v_and_or_b32 v28, 0x100, v28, v31
	v_lshlrev_b32_e32 v27, 2, v27
	s_delay_alu instid0(VALU_DEP_4) | instskip(NEXT) | instid1(VALU_DEP_4)
	v_mul_lo_u32 v32, 0x1010101, v32
	v_mul_lo_u32 v29, 0x1010101, v29
	s_delay_alu instid0(VALU_DEP_4)
	v_lshlrev_b32_e32 v28, 2, v28
	s_clause 0x1
	global_load_b32 v30, v27, s[10:11]
	global_load_b32 v31, v28, s[10:11]
	global_load_b64 v[27:28], v[16:17], off
	v_not_b32_e32 v32, v32
	v_add_co_u32 v16, vcc_lo, v16, 8
	v_add_co_ci_u32_e32 v17, vcc_lo, 0, v17, vcc_lo
	s_delay_alu instid0(VALU_DEP_3)
	v_and_b32_e32 v33, 0x8040201, v32
	v_and_b32_e32 v34, 0x40000, v32
	;; [unrolled: 1-line block ×3, first 2 shown]
	v_not_b32_e32 v29, v29
	v_and_b32_e32 v32, 1, v32
	v_cmp_gt_u32_e32 vcc_lo, 0x1000000, v33
	s_delay_alu instid0(VALU_DEP_3)
	v_and_b32_e32 v36, 0x8040201, v29
	v_and_b32_e32 v38, 0x200, v29
	v_cndmask_b32_e64 v33, 0, -1, vcc_lo
	v_cmp_eq_u32_e32 vcc_lo, 0, v34
	v_and_b32_e32 v37, 0x40000, v29
	v_and_b32_e32 v29, 1, v29
	s_delay_alu instid0(VALU_DEP_4)
	v_lshlrev_b32_e32 v33, 24, v33
	v_cndmask_b32_e64 v34, 0, 0xff0000, vcc_lo
	v_cmp_eq_u32_e32 vcc_lo, 0, v35
	v_cndmask_b32_e64 v35, 0, 0xff00, vcc_lo
	v_cmp_eq_u32_e32 vcc_lo, 0, v32
	v_cndmask_b32_e64 v32, 0, 0xff, vcc_lo
	v_cmp_gt_u32_e32 vcc_lo, 0x1000000, v36
	s_delay_alu instid0(VALU_DEP_2) | instskip(SKIP_2) | instid1(VALU_DEP_3)
	v_or_b32_e32 v39, v35, v32
	v_cndmask_b32_e64 v36, 0, -1, vcc_lo
	v_cmp_eq_u32_e32 vcc_lo, 0, v38
	v_or3_b32 v39, v39, v34, v33
	s_delay_alu instid0(VALU_DEP_3) | instskip(SKIP_4) | instid1(VALU_DEP_2)
	v_lshlrev_b32_e32 v36, 24, v36
	v_cndmask_b32_e64 v38, 0, 0xff00, vcc_lo
	v_cmp_eq_u32_e32 vcc_lo, 0, v29
	v_cndmask_b32_e64 v29, 0, 0xff, vcc_lo
	v_cmp_eq_u32_e32 vcc_lo, 0, v37
	v_or_b32_e32 v40, v38, v29
	v_cndmask_b32_e64 v37, 0, 0xff0000, vcc_lo
	v_add_co_u32 v12, vcc_lo, v12, 1
	v_add_co_ci_u32_e32 v13, vcc_lo, 0, v13, vcc_lo
	s_delay_alu instid0(VALU_DEP_3)
	v_or3_b32 v40, v40, v37, v36
	v_add_co_u32 v14, vcc_lo, v14, 2
	v_add_co_ci_u32_e32 v15, vcc_lo, 0, v15, vcc_lo
	s_waitcnt vmcnt(2)
	v_xor_b32_e32 v30, v39, v30
	s_waitcnt vmcnt(1)
	v_xor_b32_e32 v31, v40, v31
	s_waitcnt vmcnt(0)
	v_bfe_i32 v41, v27, 0, 8
	v_bfe_i32 v39, v28, 0, 8
	v_sub_nc_u32_e32 v32, v30, v32
	v_sub_nc_u32_e32 v29, v31, v29
	v_sub_nc_u32_e32 v33, v30, v33
	v_sub_nc_u32_e32 v34, v30, v34
	v_sub_nc_u32_e32 v30, v30, v35
	v_sub_nc_u32_e32 v35, v31, v37
	v_sub_nc_u32_e32 v37, v31, v38
	v_bfe_i32 v32, v32, 0, 8
	v_bfe_i32 v29, v29, 0, 8
	v_perm_b32 v34, v34, v30, 0xc06010c
	v_sub_nc_u32_e32 v31, v31, v36
	v_perm_b32 v35, v35, v37, 0xc06010c
	v_mul_i32_i24_e32 v32, v32, v41
	v_mul_i32_i24_e32 v29, v29, v39
	v_perm_b32 v36, v27, v27, 0xc0c0201
	v_perm_b32 v30, v34, v30, 0xc0c0601
	;; [unrolled: 1-line block ×4, first 2 shown]
	v_add3_u32 v25, v32, v25, v29
	v_perm_b32 v27, v28, v27, 0x7060503
	s_delay_alu instid0(VALU_DEP_3) | instskip(NEXT) | instid1(VALU_DEP_3)
	v_or_b32_e32 v28, v31, v33
	v_dot4_i32_iu8 v25, v30, v36, v25 neg_lo:[1,1,0]
	s_delay_alu instid0(VALU_DEP_1)
	v_dot4_i32_iu8 v25, v28, v27, v25 neg_lo:[1,1,0]
	s_cbranch_scc1 .LBB113_4
; %bb.5:                                ;   in Loop: Header=BB113_3 Depth=1
	v_add_co_u32 v12, vcc_lo, v8, v22
	v_add_co_ci_u32_e32 v13, vcc_lo, 0, v9, vcc_lo
	v_add_nc_u32_e32 v24, 4, v24
	s_clause 0x1
	global_load_u8 v12, v[12:13], off offset:106
	global_load_u16 v8, v[8:9], off
	global_load_b32 v9, v[10:11], off
	v_add_nc_u32_e32 v19, 4, v19
	s_delay_alu instid0(VALU_DEP_1)
	v_cmp_le_u32_e32 vcc_lo, s9, v19
	s_or_b32 s2, vcc_lo, s2
	s_waitcnt vmcnt(2)
	v_bfe_u32 v10, v12, v23, 4
	s_waitcnt vmcnt(1)
	v_cvt_f32_f16_e32 v8, v8
	s_waitcnt vmcnt(0)
	v_cvt_f32_f16_e32 v9, v9
	v_cvt_f32_ubyte0_e32 v10, v10
	s_delay_alu instid0(VALU_DEP_1) | instskip(NEXT) | instid1(VALU_DEP_1)
	v_add_f32_e32 v10, 0.5, v10
	v_mul_f32_e32 v8, v10, v8
	s_delay_alu instid0(VALU_DEP_1) | instskip(SKIP_1) | instid1(VALU_DEP_2)
	v_mul_f32_e32 v8, v8, v9
	v_cvt_f32_i32_e32 v9, v25
	v_mul_f32_e32 v8, 0.5, v8
	s_delay_alu instid0(VALU_DEP_1)
	v_fmac_f32_e32 v18, v8, v9
	s_and_not1_b32 exec_lo, exec_lo, s2
	s_cbranch_execnz .LBB113_3
; %bb.6:
	s_or_b32 exec_lo, exec_lo, s2
.LBB113_7:
	s_delay_alu instid0(SALU_CYCLE_1) | instskip(SKIP_1) | instid1(VALU_DEP_1)
	s_or_b32 exec_lo, exec_lo, s8
	v_mbcnt_lo_u32_b32 v2, -1, 0
	v_xor_b32_e32 v3, 16, v2
	v_xor_b32_e32 v4, 8, v2
	;; [unrolled: 1-line block ×3, first 2 shown]
	s_delay_alu instid0(VALU_DEP_3) | instskip(SKIP_1) | instid1(VALU_DEP_4)
	v_cmp_gt_i32_e32 vcc_lo, 32, v3
	v_cndmask_b32_e32 v3, v2, v3, vcc_lo
	v_cmp_gt_i32_e32 vcc_lo, 32, v4
	v_cndmask_b32_e32 v4, v2, v4, vcc_lo
	;; [unrolled: 2-line block ×3, first 2 shown]
	s_delay_alu instid0(VALU_DEP_1) | instskip(NEXT) | instid1(VALU_DEP_4)
	v_lshlrev_b32_e32 v5, 2, v5
	v_lshlrev_b32_e32 v4, 2, v4
	;; [unrolled: 1-line block ×3, first 2 shown]
	ds_bpermute_b32 v3, v3, v18
	s_waitcnt lgkmcnt(0)
	v_add_f32_e32 v3, v18, v3
	ds_bpermute_b32 v4, v4, v3
	s_waitcnt lgkmcnt(0)
	v_add_f32_e32 v3, v3, v4
	ds_bpermute_b32 v4, v5, v3
	v_xor_b32_e32 v5, 2, v2
	s_delay_alu instid0(VALU_DEP_1) | instskip(SKIP_1) | instid1(VALU_DEP_1)
	v_cmp_gt_i32_e32 vcc_lo, 32, v5
	v_cndmask_b32_e32 v5, v2, v5, vcc_lo
	v_lshlrev_b32_e32 v5, 2, v5
	s_waitcnt lgkmcnt(0)
	v_add_f32_e32 v3, v3, v4
	ds_bpermute_b32 v4, v5, v3
	v_xor_b32_e32 v5, 1, v2
	s_delay_alu instid0(VALU_DEP_1) | instskip(SKIP_3) | instid1(VALU_DEP_2)
	v_cmp_gt_i32_e32 vcc_lo, 32, v5
	v_cndmask_b32_e32 v5, v2, v5, vcc_lo
	v_cmp_eq_u32_e32 vcc_lo, 0, v0
	s_waitcnt lgkmcnt(0)
	v_dual_add_f32 v2, v3, v4 :: v_dual_lshlrev_b32 v3, 2, v5
	ds_bpermute_b32 v3, v3, v2
	s_and_b32 exec_lo, exec_lo, vcc_lo
	s_cbranch_execz .LBB113_9
; %bb.8:
	s_waitcnt lgkmcnt(0)
	v_add_f32_e32 v4, v2, v3
	v_mad_u64_u32 v[2:3], null, s15, s5, v[1:2]
	v_mov_b32_e32 v3, 0
	s_delay_alu instid0(VALU_DEP_3) | instskip(SKIP_1) | instid1(VALU_DEP_2)
	v_bfe_u32 v0, v4, 16, 1
	v_cmp_o_f32_e32 vcc_lo, v4, v4
	v_add3_u32 v0, v4, v0, 0x7fff
	s_delay_alu instid0(VALU_DEP_1) | instskip(SKIP_1) | instid1(VALU_DEP_2)
	v_lshrrev_b32_e32 v5, 16, v0
	v_lshlrev_b64 v[0:1], 1, v[2:3]
	v_cndmask_b32_e32 v2, 0x7fc0, v5, vcc_lo
	s_delay_alu instid0(VALU_DEP_2) | instskip(NEXT) | instid1(VALU_DEP_3)
	v_add_co_u32 v0, vcc_lo, s6, v0
	v_add_co_ci_u32_e32 v1, vcc_lo, s7, v1, vcc_lo
	global_store_b16 v[0:1], v2, off
.LBB113_9:
	s_nop 0
	s_sendmsg sendmsg(MSG_DEALLOC_VGPRS)
	s_endpgm
	.section	.rodata,"a",@progbits
	.p2align	6, 0x0
	.amdhsa_kernel _ZL13mul_mat_vec_qIN3c108BFloat16ELi256ELi8E11block_iq3_sLi1EXadL_ZL18vec_dot_iq3_s_q8_1PKvPK10block_q8_1RKiEEEvS4_S4_PT_iii
		.amdhsa_group_segment_fixed_size 0
		.amdhsa_private_segment_fixed_size 0
		.amdhsa_kernarg_size 296
		.amdhsa_user_sgpr_count 14
		.amdhsa_user_sgpr_dispatch_ptr 0
		.amdhsa_user_sgpr_queue_ptr 0
		.amdhsa_user_sgpr_kernarg_segment_ptr 1
		.amdhsa_user_sgpr_dispatch_id 0
		.amdhsa_user_sgpr_private_segment_size 0
		.amdhsa_wavefront_size32 1
		.amdhsa_uses_dynamic_stack 0
		.amdhsa_enable_private_segment 0
		.amdhsa_system_sgpr_workgroup_id_x 1
		.amdhsa_system_sgpr_workgroup_id_y 1
		.amdhsa_system_sgpr_workgroup_id_z 0
		.amdhsa_system_sgpr_workgroup_info 0
		.amdhsa_system_vgpr_workitem_id 1
		.amdhsa_next_free_vgpr 42
		.amdhsa_next_free_sgpr 16
		.amdhsa_reserve_vcc 1
		.amdhsa_float_round_mode_32 0
		.amdhsa_float_round_mode_16_64 0
		.amdhsa_float_denorm_mode_32 3
		.amdhsa_float_denorm_mode_16_64 3
		.amdhsa_dx10_clamp 1
		.amdhsa_ieee_mode 1
		.amdhsa_fp16_overflow 0
		.amdhsa_workgroup_processor_mode 1
		.amdhsa_memory_ordered 1
		.amdhsa_forward_progress 0
		.amdhsa_shared_vgpr_count 0
		.amdhsa_exception_fp_ieee_invalid_op 0
		.amdhsa_exception_fp_denorm_src 0
		.amdhsa_exception_fp_ieee_div_zero 0
		.amdhsa_exception_fp_ieee_overflow 0
		.amdhsa_exception_fp_ieee_underflow 0
		.amdhsa_exception_fp_ieee_inexact 0
		.amdhsa_exception_int_div_zero 0
	.end_amdhsa_kernel
	.section	.text._ZL13mul_mat_vec_qIN3c108BFloat16ELi256ELi8E11block_iq3_sLi1EXadL_ZL18vec_dot_iq3_s_q8_1PKvPK10block_q8_1RKiEEEvS4_S4_PT_iii,"axG",@progbits,_ZL13mul_mat_vec_qIN3c108BFloat16ELi256ELi8E11block_iq3_sLi1EXadL_ZL18vec_dot_iq3_s_q8_1PKvPK10block_q8_1RKiEEEvS4_S4_PT_iii,comdat
.Lfunc_end113:
	.size	_ZL13mul_mat_vec_qIN3c108BFloat16ELi256ELi8E11block_iq3_sLi1EXadL_ZL18vec_dot_iq3_s_q8_1PKvPK10block_q8_1RKiEEEvS4_S4_PT_iii, .Lfunc_end113-_ZL13mul_mat_vec_qIN3c108BFloat16ELi256ELi8E11block_iq3_sLi1EXadL_ZL18vec_dot_iq3_s_q8_1PKvPK10block_q8_1RKiEEEvS4_S4_PT_iii
                                        ; -- End function
	.section	.AMDGPU.csdata,"",@progbits
; Kernel info:
; codeLenInByte = 1588
; NumSgprs: 18
; NumVgprs: 42
; ScratchSize: 0
; MemoryBound: 0
; FloatMode: 240
; IeeeMode: 1
; LDSByteSize: 0 bytes/workgroup (compile time only)
; SGPRBlocks: 2
; VGPRBlocks: 5
; NumSGPRsForWavesPerEU: 18
; NumVGPRsForWavesPerEU: 42
; Occupancy: 16
; WaveLimiterHint : 0
; COMPUTE_PGM_RSRC2:SCRATCH_EN: 0
; COMPUTE_PGM_RSRC2:USER_SGPR: 14
; COMPUTE_PGM_RSRC2:TRAP_HANDLER: 0
; COMPUTE_PGM_RSRC2:TGID_X_EN: 1
; COMPUTE_PGM_RSRC2:TGID_Y_EN: 1
; COMPUTE_PGM_RSRC2:TGID_Z_EN: 0
; COMPUTE_PGM_RSRC2:TIDIG_COMP_CNT: 1
	.section	.text._ZL13mul_mat_vec_qIN3c108BFloat16ELi256ELi8E11block_iq2_sLi1EXadL_ZL18vec_dot_iq2_s_q8_1PKvPK10block_q8_1RKiEEEvS4_S4_PT_iii,"axG",@progbits,_ZL13mul_mat_vec_qIN3c108BFloat16ELi256ELi8E11block_iq2_sLi1EXadL_ZL18vec_dot_iq2_s_q8_1PKvPK10block_q8_1RKiEEEvS4_S4_PT_iii,comdat
	.globl	_ZL13mul_mat_vec_qIN3c108BFloat16ELi256ELi8E11block_iq2_sLi1EXadL_ZL18vec_dot_iq2_s_q8_1PKvPK10block_q8_1RKiEEEvS4_S4_PT_iii ; -- Begin function _ZL13mul_mat_vec_qIN3c108BFloat16ELi256ELi8E11block_iq2_sLi1EXadL_ZL18vec_dot_iq2_s_q8_1PKvPK10block_q8_1RKiEEEvS4_S4_PT_iii
	.p2align	8
	.type	_ZL13mul_mat_vec_qIN3c108BFloat16ELi256ELi8E11block_iq2_sLi1EXadL_ZL18vec_dot_iq2_s_q8_1PKvPK10block_q8_1RKiEEEvS4_S4_PT_iii,@function
_ZL13mul_mat_vec_qIN3c108BFloat16ELi256ELi8E11block_iq2_sLi1EXadL_ZL18vec_dot_iq2_s_q8_1PKvPK10block_q8_1RKiEEEvS4_S4_PT_iii: ; @_ZL13mul_mat_vec_qIN3c108BFloat16ELi256ELi8E11block_iq2_sLi1EXadL_ZL18vec_dot_iq2_s_q8_1PKvPK10block_q8_1RKiEEEvS4_S4_PT_iii
; %bb.0:
	s_clause 0x1
	s_load_b32 s2, s[0:1], 0x34
	s_load_b128 s[4:7], s[0:1], 0x18
	v_bfe_u32 v3, v0, 10, 10
	s_waitcnt lgkmcnt(0)
	s_lshr_b32 s2, s2, 16
	s_cmp_lt_u32 s15, s6
	s_delay_alu instid0(VALU_DEP_1) | instskip(SKIP_1) | instid1(VALU_DEP_1)
	v_mad_u64_u32 v[1:2], null, s14, s2, v[3:4]
	s_cselect_b32 s2, -1, 0
	v_cmp_gt_u32_e32 vcc_lo, s5, v1
	s_and_b32 s2, s2, vcc_lo
	s_delay_alu instid0(SALU_CYCLE_1)
	s_and_saveexec_b32 s3, s2
	s_cbranch_execz .LBB114_11
; %bb.1:
	s_load_b64 s[2:3], s[0:1], 0x10
	v_dual_mov_b32 v15, 0 :: v_dual_and_b32 v0, 0x3ff, v0
	s_ashr_i32 s6, s4, 31
	s_delay_alu instid0(SALU_CYCLE_1) | instskip(NEXT) | instid1(VALU_DEP_1)
	s_lshr_b32 s6, s6, 24
	v_lshrrev_b32_e32 v14, 3, v0
	s_add_i32 s6, s4, s6
	s_delay_alu instid0(SALU_CYCLE_1) | instskip(SKIP_1) | instid1(VALU_DEP_1)
	s_ashr_i32 s7, s6, 8
	s_mov_b32 s6, exec_lo
	v_cmpx_gt_u32_e64 s7, v14
	s_cbranch_execz .LBB114_9
; %bb.2:
	s_load_b128 s[8:11], s[0:1], 0x0
	v_dual_mov_b32 v15, 0 :: v_dual_and_b32 v16, 7, v0
	s_add_i32 s0, s4, 0x1ff
	v_mul_lo_u32 v17, v1, s7
	s_ashr_i32 s1, s0, 31
	s_delay_alu instid0(VALU_DEP_2) | instskip(SKIP_1) | instid1(SALU_CYCLE_1)
	v_lshlrev_b32_e32 v18, 2, v16
	s_lshr_b32 s1, s1, 23
	s_add_i32 s0, s0, s1
	s_delay_alu instid0(SALU_CYCLE_1) | instskip(NEXT) | instid1(VALU_DEP_2)
	s_ashr_i32 s0, s0, 9
	v_add_nc_u32_e32 v19, v14, v17
	s_mul_i32 s0, s15, s0
	s_delay_alu instid0(SALU_CYCLE_1) | instskip(SKIP_2) | instid1(VALU_DEP_1)
	s_lshl_b32 s4, s0, 4
	s_waitcnt lgkmcnt(0)
	v_add_co_u32 v4, s1, v18, s8
	v_add_co_ci_u32_e64 v5, null, 0, s9, s1
	v_mad_u64_u32 v[2:3], null, v16, 36, s[10:11]
	s_delay_alu instid0(VALU_DEP_3) | instskip(NEXT) | instid1(VALU_DEP_3)
	v_add_co_u32 v4, vcc_lo, v4, 36
	v_add_co_ci_u32_e32 v5, vcc_lo, 0, v5, vcc_lo
	s_mov_b32 s1, 0
.LBB114_3:                              ; =>This Loop Header: Depth=1
                                        ;     Child Loop BB114_4 Depth 2
                                        ;     Child Loop BB114_6 Depth 2
	v_add_nc_u32_e32 v8, v14, v17
	v_lshl_add_u32 v10, v14, 3, s4
	s_mov_b32 s0, -1
	s_mov_b32 s10, 0
	s_delay_alu instid0(VALU_DEP_2) | instskip(NEXT) | instid1(VALU_DEP_1)
	v_mad_i64_i32 v[6:7], null, 0x52, v8, s[8:9]
	v_add_co_u32 v8, vcc_lo, v6, v16
	s_delay_alu instid0(VALU_DEP_2) | instskip(SKIP_4) | instid1(VALU_DEP_1)
	v_add_co_ci_u32_e32 v9, vcc_lo, 0, v7, vcc_lo
	s_clause 0x1
	global_load_u8 v20, v[8:9], off offset:74
	global_load_u8 v21, v[8:9], off offset:66
	v_mad_i64_i32 v[8:9], null, v10, 36, v[2:3]
	v_add_co_u32 v10, vcc_lo, v8, 4
	s_delay_alu instid0(VALU_DEP_2) | instskip(SKIP_4) | instid1(VALU_DEP_4)
	v_add_co_ci_u32_e32 v11, vcc_lo, 0, v9, vcc_lo
	v_add_co_u32 v22, vcc_lo, v6, v18
	v_add_co_ci_u32_e32 v24, vcc_lo, 0, v7, vcc_lo
	v_add_co_u32 v12, vcc_lo, v6, 2
	;; [unrolled: 2-line block ×3, first 2 shown]
	s_delay_alu instid0(VALU_DEP_4)
	v_add_co_ci_u32_e32 v24, vcc_lo, 0, v24, vcc_lo
	v_mov_b32_e32 v22, 0
.LBB114_4:                              ;   Parent Loop BB114_3 Depth=1
                                        ; =>  This Inner Loop Header: Depth=2
	v_or_b32_e32 v25, s10, v18
	s_lshl_b32 s12, s10, 1
	s_delay_alu instid0(VALU_DEP_1)
	v_add_co_u32 v25, vcc_lo, v12, v25
	v_add_co_ci_u32_e32 v26, vcc_lo, 0, v13, vcc_lo
	global_load_u8 v27, v[25:26], off
	v_add_co_u32 v25, vcc_lo, v23, s10
	v_add_co_ci_u32_e32 v26, vcc_lo, 0, v24, vcc_lo
	s_getpc_b64 s[10:11]
	s_add_u32 s10, s10, _ZL9iq2s_grid@rel32@lo+4
	s_addc_u32 s11, s11, _ZL9iq2s_grid@rel32@hi+12
	s_sub_i32 s12, 8, s12
	global_load_u8 v29, v[25:26], off
	s_waitcnt vmcnt(2)
	v_lshlrev_b32_e32 v25, s12, v21
	s_waitcnt vmcnt(1)
	s_delay_alu instid0(VALU_DEP_1) | instskip(NEXT) | instid1(VALU_DEP_1)
	v_and_or_b32 v25, 0x300, v25, v27
	v_lshlrev_b32_e32 v25, 3, v25
	global_load_b64 v[25:26], v25, s[10:11]
	global_load_b64 v[27:28], v[10:11], off
	s_waitcnt vmcnt(2)
	v_and_b32_e32 v30, 15, v29
	v_lshrrev_b16 v29, 4, v29
	s_mov_b32 s10, 1
	s_delay_alu instid0(VALU_DEP_2) | instskip(NEXT) | instid1(VALU_DEP_2)
	v_and_b32_e32 v30, 0xffff, v30
	v_and_b32_e32 v29, 0xffff, v29
	s_delay_alu instid0(VALU_DEP_2) | instskip(NEXT) | instid1(VALU_DEP_2)
	v_mul_lo_u32 v30, 0x1010101, v30
	v_mul_lo_u32 v29, 0x1010101, v29
	s_delay_alu instid0(VALU_DEP_2) | instskip(NEXT) | instid1(VALU_DEP_2)
	v_not_b32_e32 v30, v30
	v_not_b32_e32 v29, v29
	s_delay_alu instid0(VALU_DEP_2)
	v_and_b32_e32 v31, 0x8040201, v30
	v_and_b32_e32 v32, 0x40000, v30
	;; [unrolled: 1-line block ×5, first 2 shown]
	v_cmp_gt_u32_e32 vcc_lo, 0x1000000, v31
	v_and_b32_e32 v35, 0x40000, v29
	v_and_b32_e32 v36, 0x200, v29
	;; [unrolled: 1-line block ×3, first 2 shown]
	v_cndmask_b32_e64 v31, 0, -1, vcc_lo
	v_cmp_eq_u32_e32 vcc_lo, 0, v32
	s_delay_alu instid0(VALU_DEP_2)
	v_lshlrev_b32_e32 v31, 24, v31
	v_cndmask_b32_e64 v32, 0, 0xff0000, vcc_lo
	v_cmp_eq_u32_e32 vcc_lo, 0, v33
	v_cndmask_b32_e64 v33, 0, 0xff00, vcc_lo
	v_cmp_eq_u32_e32 vcc_lo, 0, v30
	v_cndmask_b32_e64 v30, 0, 0xff, vcc_lo
	v_cmp_gt_u32_e32 vcc_lo, 0x1000000, v34
	s_delay_alu instid0(VALU_DEP_2) | instskip(SKIP_2) | instid1(VALU_DEP_3)
	v_or_b32_e32 v37, v33, v30
	v_cndmask_b32_e64 v34, 0, -1, vcc_lo
	v_cmp_eq_u32_e32 vcc_lo, 0, v35
	v_or3_b32 v37, v37, v32, v31
	s_delay_alu instid0(VALU_DEP_3)
	v_lshlrev_b32_e32 v34, 24, v34
	v_cndmask_b32_e64 v35, 0, 0xff0000, vcc_lo
	v_cmp_eq_u32_e32 vcc_lo, 0, v36
	v_cndmask_b32_e64 v36, 0, 0xff00, vcc_lo
	v_cmp_eq_u32_e32 vcc_lo, 0, v29
	v_cndmask_b32_e64 v29, 0, 0xff, vcc_lo
	v_add_co_u32 v10, vcc_lo, v10, 8
	v_add_co_ci_u32_e32 v11, vcc_lo, 0, v11, vcc_lo
	s_delay_alu instid0(VALU_DEP_3) | instskip(SKIP_2) | instid1(VALU_DEP_1)
	v_or_b32_e32 v38, v36, v29
	s_and_b32 vcc_lo, exec_lo, s0
	s_mov_b32 s0, 0
	v_or3_b32 v38, v38, v35, v34
	s_waitcnt vmcnt(1)
	v_xor_b32_e32 v25, v37, v25
	s_delay_alu instid0(VALU_DEP_2)
	v_xor_b32_e32 v26, v38, v26
	s_waitcnt vmcnt(0)
	v_bfe_i32 v39, v27, 0, 8
	v_bfe_i32 v37, v28, 0, 8
	v_sub_nc_u32_e32 v30, v25, v30
	v_sub_nc_u32_e32 v29, v26, v29
	;; [unrolled: 1-line block ×7, first 2 shown]
	v_bfe_i32 v30, v30, 0, 8
	v_bfe_i32 v29, v29, 0, 8
	v_sub_nc_u32_e32 v26, v26, v34
	v_perm_b32 v32, v32, v25, 0xc06010c
	v_perm_b32 v33, v33, v35, 0xc06010c
	v_mul_i32_i24_e32 v30, v30, v39
	v_mul_i32_i24_e32 v29, v29, v37
	v_perm_b32 v34, v27, v27, 0xc0c0201
	v_perm_b32 v31, v35, v31, 0xc0c0503
	;; [unrolled: 1-line block ×4, first 2 shown]
	v_add3_u32 v22, v30, v22, v29
	v_perm_b32 v27, v28, v27, 0x7060503
	s_delay_alu instid0(VALU_DEP_3) | instskip(NEXT) | instid1(VALU_DEP_3)
	v_or_b32_e32 v26, v26, v31
	v_dot4_i32_iu8 v22, v25, v34, v22 neg_lo:[1,1,0]
	s_delay_alu instid0(VALU_DEP_1)
	v_dot4_i32_iu8 v22, v26, v27, v22 neg_lo:[1,1,0]
	s_cbranch_vccnz .LBB114_4
; %bb.5:                                ;   in Loop: Header=BB114_3 Depth=1
	v_mad_i64_i32 v[12:13], null, 0x52, v19, v[4:5]
	v_mov_b32_e32 v23, 0
	s_mov_b32 s10, 4
.LBB114_6:                              ;   Parent Loop BB114_3 Depth=1
                                        ; =>  This Inner Loop Header: Depth=2
	s_clause 0x1
	global_load_u8 v24, v[12:13], off offset:-32
	global_load_u8 v28, v[12:13], off
	v_lshlrev_b32_e32 v25, s10, v21
	s_getpc_b64 s[12:13]
	s_add_u32 s12, s12, _ZL9iq2s_grid@rel32@lo+4
	s_addc_u32 s13, s13, _ZL9iq2s_grid@rel32@hi+12
	s_add_i32 s10, s10, -2
	s_delay_alu instid0(SALU_CYCLE_1)
	s_cmp_lg_u32 s10, 0
	s_waitcnt vmcnt(1)
	v_and_or_b32 v24, 0x300, v25, v24
	s_waitcnt vmcnt(0)
	v_and_b32_e32 v29, 15, v28
	v_lshrrev_b16 v28, 4, v28
	s_delay_alu instid0(VALU_DEP_3) | instskip(NEXT) | instid1(VALU_DEP_3)
	v_lshlrev_b32_e32 v24, 3, v24
	v_and_b32_e32 v29, 0xffff, v29
	s_delay_alu instid0(VALU_DEP_3)
	v_and_b32_e32 v28, 0xffff, v28
	global_load_b64 v[24:25], v24, s[12:13]
	global_load_b64 v[26:27], v[10:11], off
	v_mul_lo_u32 v29, 0x1010101, v29
	v_mul_lo_u32 v28, 0x1010101, v28
	v_add_co_u32 v10, vcc_lo, v10, 8
	v_add_co_ci_u32_e32 v11, vcc_lo, 0, v11, vcc_lo
	v_add_co_u32 v12, vcc_lo, v12, 1
	v_not_b32_e32 v29, v29
	v_not_b32_e32 v28, v28
	v_add_co_ci_u32_e32 v13, vcc_lo, 0, v13, vcc_lo
	s_delay_alu instid0(VALU_DEP_3)
	v_and_b32_e32 v33, 0x8040201, v29
	v_and_b32_e32 v34, 0x40000, v29
	v_and_b32_e32 v35, 0x200, v29
	v_and_b32_e32 v29, 1, v29
	v_and_b32_e32 v36, 0x8040201, v28
	v_cmp_gt_u32_e64 s0, 0x1000000, v33
	v_and_b32_e32 v37, 0x40000, v28
	v_and_b32_e32 v38, 0x200, v28
	;; [unrolled: 1-line block ×3, first 2 shown]
	s_delay_alu instid0(VALU_DEP_4) | instskip(SKIP_1) | instid1(VALU_DEP_2)
	v_cndmask_b32_e64 v33, 0, -1, s0
	v_cmp_eq_u32_e64 s0, 0, v34
	v_lshlrev_b32_e32 v33, 24, v33
	s_delay_alu instid0(VALU_DEP_2) | instskip(SKIP_1) | instid1(VALU_DEP_1)
	v_cndmask_b32_e64 v34, 0, 0xff0000, s0
	v_cmp_eq_u32_e64 s0, 0, v35
	v_cndmask_b32_e64 v35, 0, 0xff00, s0
	v_cmp_eq_u32_e64 s0, 0, v29
	s_delay_alu instid0(VALU_DEP_1) | instskip(SKIP_1) | instid1(VALU_DEP_2)
	v_cndmask_b32_e64 v29, 0, 0xff, s0
	v_cmp_gt_u32_e64 s0, 0x1000000, v36
	v_or_b32_e32 v39, v35, v29
	s_delay_alu instid0(VALU_DEP_2) | instskip(SKIP_1) | instid1(VALU_DEP_3)
	v_cndmask_b32_e64 v36, 0, -1, s0
	v_cmp_eq_u32_e64 s0, 0, v37
	v_or3_b32 v39, v39, v34, v33
	s_delay_alu instid0(VALU_DEP_3) | instskip(NEXT) | instid1(VALU_DEP_3)
	v_lshlrev_b32_e32 v36, 24, v36
	v_cndmask_b32_e64 v37, 0, 0xff0000, s0
	v_cmp_eq_u32_e64 s0, 0, v38
	s_delay_alu instid0(VALU_DEP_1) | instskip(SKIP_1) | instid1(VALU_DEP_1)
	v_cndmask_b32_e64 v38, 0, 0xff00, s0
	v_cmp_eq_u32_e64 s0, 0, v28
	v_cndmask_b32_e64 v28, 0, 0xff, s0
	s_delay_alu instid0(VALU_DEP_1) | instskip(NEXT) | instid1(VALU_DEP_1)
	v_or_b32_e32 v40, v38, v28
	v_or3_b32 v40, v40, v37, v36
	s_waitcnt vmcnt(1)
	v_xor_b32_e32 v24, v39, v24
	s_delay_alu instid0(VALU_DEP_2)
	v_xor_b32_e32 v25, v40, v25
	s_waitcnt vmcnt(0)
	v_bfe_i32 v30, v26, 0, 8
	v_bfe_i32 v31, v27, 0, 8
	v_perm_b32 v32, v26, v26, 0xc0c0201
	v_sub_nc_u32_e32 v33, v24, v33
	v_sub_nc_u32_e32 v34, v24, v34
	v_sub_nc_u32_e32 v35, v24, v35
	v_sub_nc_u32_e32 v24, v24, v29
	v_sub_nc_u32_e32 v28, v25, v28
	v_sub_nc_u32_e32 v29, v25, v36
	v_sub_nc_u32_e32 v36, v25, v37
	v_sub_nc_u32_e32 v25, v25, v38
	v_bfe_i32 v24, v24, 0, 8
	v_bfe_i32 v28, v28, 0, 8
	v_perm_b32 v34, v34, v35, 0xc06010c
	s_delay_alu instid0(VALU_DEP_4) | instskip(NEXT) | instid1(VALU_DEP_4)
	v_perm_b32 v36, v36, v25, 0xc06010c
	v_mul_i32_i24_e32 v24, v24, v30
	s_delay_alu instid0(VALU_DEP_4) | instskip(SKIP_3) | instid1(VALU_DEP_4)
	v_mul_i32_i24_e32 v28, v28, v31
	v_perm_b32 v25, v25, v33, 0xc0c0503
	v_perm_b32 v30, v34, v35, 0xc0c0601
	;; [unrolled: 1-line block ×3, first 2 shown]
	v_add3_u32 v23, v24, v23, v28
	v_perm_b32 v24, v27, v26, 0x7060503
	s_delay_alu instid0(VALU_DEP_3) | instskip(NEXT) | instid1(VALU_DEP_3)
	v_or_b32_e32 v25, v29, v25
	v_dot4_i32_iu8 v23, v30, v32, v23 neg_lo:[1,1,0]
	s_delay_alu instid0(VALU_DEP_1)
	v_dot4_i32_iu8 v23, v25, v24, v23 neg_lo:[1,1,0]
	s_cbranch_scc1 .LBB114_6
; %bb.7:                                ;   in Loop: Header=BB114_3 Depth=1
	global_load_u16 v6, v[6:7], off
	global_load_b32 v7, v[8:9], off
	v_lshrrev_b16 v8, 4, v20
	v_cvt_f32_i32_e32 v10, v23
	v_and_b32_e32 v9, 15, v20
	v_cvt_f32_i32_e32 v11, v22
	v_add_nc_u32_e32 v14, 4, v14
	v_add_nc_u32_e32 v19, 4, v19
	s_delay_alu instid0(VALU_DEP_4) | instskip(SKIP_1) | instid1(VALU_DEP_4)
	v_cvt_f32_ubyte0_e32 v9, v9
	v_and_b32_e32 v8, 15, v8
	v_cmp_le_u32_e32 vcc_lo, s7, v14
	s_delay_alu instid0(VALU_DEP_3) | instskip(NEXT) | instid1(VALU_DEP_3)
	v_add_f32_e32 v9, 0.5, v9
	v_cvt_f32_ubyte0_e32 v8, v8
	s_or_b32 s1, vcc_lo, s1
	s_delay_alu instid0(VALU_DEP_1) | instskip(NEXT) | instid1(VALU_DEP_1)
	v_add_f32_e32 v8, 0.5, v8
	v_mul_f32_e32 v8, v8, v10
	s_delay_alu instid0(VALU_DEP_1) | instskip(SKIP_4) | instid1(VALU_DEP_1)
	v_fmac_f32_e32 v8, v9, v11
	s_waitcnt vmcnt(1)
	v_cvt_f32_f16_e32 v6, v6
	s_waitcnt vmcnt(0)
	v_cvt_f32_f16_e32 v7, v7
	v_mul_f32_e32 v6, v6, v7
	s_delay_alu instid0(VALU_DEP_1) | instskip(NEXT) | instid1(VALU_DEP_1)
	v_mul_f32_e32 v6, 0x3e800000, v6
	v_fmac_f32_e32 v15, v8, v6
	s_and_not1_b32 exec_lo, exec_lo, s1
	s_cbranch_execnz .LBB114_3
; %bb.8:
	s_or_b32 exec_lo, exec_lo, s1
.LBB114_9:
	s_delay_alu instid0(SALU_CYCLE_1) | instskip(SKIP_1) | instid1(VALU_DEP_1)
	s_or_b32 exec_lo, exec_lo, s6
	v_mbcnt_lo_u32_b32 v2, -1, 0
	v_xor_b32_e32 v3, 16, v2
	v_xor_b32_e32 v4, 8, v2
	;; [unrolled: 1-line block ×3, first 2 shown]
	s_delay_alu instid0(VALU_DEP_3) | instskip(SKIP_1) | instid1(VALU_DEP_4)
	v_cmp_gt_i32_e32 vcc_lo, 32, v3
	v_cndmask_b32_e32 v3, v2, v3, vcc_lo
	v_cmp_gt_i32_e32 vcc_lo, 32, v4
	v_cndmask_b32_e32 v4, v2, v4, vcc_lo
	v_cmp_gt_i32_e32 vcc_lo, 32, v5
	s_delay_alu instid0(VALU_DEP_2)
	v_lshlrev_b32_e32 v4, 2, v4
	v_lshlrev_b32_e32 v3, 2, v3
	v_cndmask_b32_e32 v5, v2, v5, vcc_lo
	ds_bpermute_b32 v3, v3, v15
	v_lshlrev_b32_e32 v5, 2, v5
	s_waitcnt lgkmcnt(0)
	v_add_f32_e32 v3, v15, v3
	ds_bpermute_b32 v4, v4, v3
	s_waitcnt lgkmcnt(0)
	v_add_f32_e32 v3, v3, v4
	ds_bpermute_b32 v4, v5, v3
	v_xor_b32_e32 v5, 2, v2
	s_delay_alu instid0(VALU_DEP_1) | instskip(SKIP_1) | instid1(VALU_DEP_1)
	v_cmp_gt_i32_e32 vcc_lo, 32, v5
	v_cndmask_b32_e32 v5, v2, v5, vcc_lo
	v_lshlrev_b32_e32 v5, 2, v5
	s_waitcnt lgkmcnt(0)
	v_add_f32_e32 v3, v3, v4
	ds_bpermute_b32 v4, v5, v3
	v_xor_b32_e32 v5, 1, v2
	s_delay_alu instid0(VALU_DEP_1) | instskip(SKIP_3) | instid1(VALU_DEP_2)
	v_cmp_gt_i32_e32 vcc_lo, 32, v5
	v_cndmask_b32_e32 v5, v2, v5, vcc_lo
	v_cmp_eq_u32_e32 vcc_lo, 0, v0
	s_waitcnt lgkmcnt(0)
	v_dual_add_f32 v2, v3, v4 :: v_dual_lshlrev_b32 v3, 2, v5
	ds_bpermute_b32 v3, v3, v2
	s_and_b32 exec_lo, exec_lo, vcc_lo
	s_cbranch_execz .LBB114_11
; %bb.10:
	s_waitcnt lgkmcnt(0)
	v_add_f32_e32 v4, v2, v3
	v_mad_u64_u32 v[2:3], null, s15, s5, v[1:2]
	v_mov_b32_e32 v3, 0
	s_delay_alu instid0(VALU_DEP_3) | instskip(SKIP_1) | instid1(VALU_DEP_2)
	v_bfe_u32 v0, v4, 16, 1
	v_cmp_o_f32_e32 vcc_lo, v4, v4
	v_add3_u32 v0, v4, v0, 0x7fff
	s_delay_alu instid0(VALU_DEP_1) | instskip(SKIP_1) | instid1(VALU_DEP_2)
	v_lshrrev_b32_e32 v5, 16, v0
	v_lshlrev_b64 v[0:1], 1, v[2:3]
	v_cndmask_b32_e32 v2, 0x7fc0, v5, vcc_lo
	s_delay_alu instid0(VALU_DEP_2) | instskip(NEXT) | instid1(VALU_DEP_3)
	v_add_co_u32 v0, vcc_lo, s2, v0
	v_add_co_ci_u32_e32 v1, vcc_lo, s3, v1, vcc_lo
	global_store_b16 v[0:1], v2, off
.LBB114_11:
	s_nop 0
	s_sendmsg sendmsg(MSG_DEALLOC_VGPRS)
	s_endpgm
	.section	.rodata,"a",@progbits
	.p2align	6, 0x0
	.amdhsa_kernel _ZL13mul_mat_vec_qIN3c108BFloat16ELi256ELi8E11block_iq2_sLi1EXadL_ZL18vec_dot_iq2_s_q8_1PKvPK10block_q8_1RKiEEEvS4_S4_PT_iii
		.amdhsa_group_segment_fixed_size 0
		.amdhsa_private_segment_fixed_size 0
		.amdhsa_kernarg_size 296
		.amdhsa_user_sgpr_count 14
		.amdhsa_user_sgpr_dispatch_ptr 0
		.amdhsa_user_sgpr_queue_ptr 0
		.amdhsa_user_sgpr_kernarg_segment_ptr 1
		.amdhsa_user_sgpr_dispatch_id 0
		.amdhsa_user_sgpr_private_segment_size 0
		.amdhsa_wavefront_size32 1
		.amdhsa_uses_dynamic_stack 0
		.amdhsa_enable_private_segment 0
		.amdhsa_system_sgpr_workgroup_id_x 1
		.amdhsa_system_sgpr_workgroup_id_y 1
		.amdhsa_system_sgpr_workgroup_id_z 0
		.amdhsa_system_sgpr_workgroup_info 0
		.amdhsa_system_vgpr_workitem_id 1
		.amdhsa_next_free_vgpr 41
		.amdhsa_next_free_sgpr 16
		.amdhsa_reserve_vcc 1
		.amdhsa_float_round_mode_32 0
		.amdhsa_float_round_mode_16_64 0
		.amdhsa_float_denorm_mode_32 3
		.amdhsa_float_denorm_mode_16_64 3
		.amdhsa_dx10_clamp 1
		.amdhsa_ieee_mode 1
		.amdhsa_fp16_overflow 0
		.amdhsa_workgroup_processor_mode 1
		.amdhsa_memory_ordered 1
		.amdhsa_forward_progress 0
		.amdhsa_shared_vgpr_count 0
		.amdhsa_exception_fp_ieee_invalid_op 0
		.amdhsa_exception_fp_denorm_src 0
		.amdhsa_exception_fp_ieee_div_zero 0
		.amdhsa_exception_fp_ieee_overflow 0
		.amdhsa_exception_fp_ieee_underflow 0
		.amdhsa_exception_fp_ieee_inexact 0
		.amdhsa_exception_int_div_zero 0
	.end_amdhsa_kernel
	.section	.text._ZL13mul_mat_vec_qIN3c108BFloat16ELi256ELi8E11block_iq2_sLi1EXadL_ZL18vec_dot_iq2_s_q8_1PKvPK10block_q8_1RKiEEEvS4_S4_PT_iii,"axG",@progbits,_ZL13mul_mat_vec_qIN3c108BFloat16ELi256ELi8E11block_iq2_sLi1EXadL_ZL18vec_dot_iq2_s_q8_1PKvPK10block_q8_1RKiEEEvS4_S4_PT_iii,comdat
.Lfunc_end114:
	.size	_ZL13mul_mat_vec_qIN3c108BFloat16ELi256ELi8E11block_iq2_sLi1EXadL_ZL18vec_dot_iq2_s_q8_1PKvPK10block_q8_1RKiEEEvS4_S4_PT_iii, .Lfunc_end114-_ZL13mul_mat_vec_qIN3c108BFloat16ELi256ELi8E11block_iq2_sLi1EXadL_ZL18vec_dot_iq2_s_q8_1PKvPK10block_q8_1RKiEEEvS4_S4_PT_iii
                                        ; -- End function
	.section	.AMDGPU.csdata,"",@progbits
; Kernel info:
; codeLenInByte = 2240
; NumSgprs: 18
; NumVgprs: 41
; ScratchSize: 0
; MemoryBound: 0
; FloatMode: 240
; IeeeMode: 1
; LDSByteSize: 0 bytes/workgroup (compile time only)
; SGPRBlocks: 2
; VGPRBlocks: 5
; NumSGPRsForWavesPerEU: 18
; NumVGPRsForWavesPerEU: 41
; Occupancy: 16
; WaveLimiterHint : 0
; COMPUTE_PGM_RSRC2:SCRATCH_EN: 0
; COMPUTE_PGM_RSRC2:USER_SGPR: 14
; COMPUTE_PGM_RSRC2:TRAP_HANDLER: 0
; COMPUTE_PGM_RSRC2:TGID_X_EN: 1
; COMPUTE_PGM_RSRC2:TGID_Y_EN: 1
; COMPUTE_PGM_RSRC2:TGID_Z_EN: 0
; COMPUTE_PGM_RSRC2:TIDIG_COMP_CNT: 1
	.section	.text._ZL13mul_mat_vec_qIN3c108BFloat16ELi256ELi8E12block_iq4_xsLi1EXadL_ZL19vec_dot_iq4_xs_q8_1PKvPK10block_q8_1RKiEEEvS4_S4_PT_iii,"axG",@progbits,_ZL13mul_mat_vec_qIN3c108BFloat16ELi256ELi8E12block_iq4_xsLi1EXadL_ZL19vec_dot_iq4_xs_q8_1PKvPK10block_q8_1RKiEEEvS4_S4_PT_iii,comdat
	.globl	_ZL13mul_mat_vec_qIN3c108BFloat16ELi256ELi8E12block_iq4_xsLi1EXadL_ZL19vec_dot_iq4_xs_q8_1PKvPK10block_q8_1RKiEEEvS4_S4_PT_iii ; -- Begin function _ZL13mul_mat_vec_qIN3c108BFloat16ELi256ELi8E12block_iq4_xsLi1EXadL_ZL19vec_dot_iq4_xs_q8_1PKvPK10block_q8_1RKiEEEvS4_S4_PT_iii
	.p2align	8
	.type	_ZL13mul_mat_vec_qIN3c108BFloat16ELi256ELi8E12block_iq4_xsLi1EXadL_ZL19vec_dot_iq4_xs_q8_1PKvPK10block_q8_1RKiEEEvS4_S4_PT_iii,@function
_ZL13mul_mat_vec_qIN3c108BFloat16ELi256ELi8E12block_iq4_xsLi1EXadL_ZL19vec_dot_iq4_xs_q8_1PKvPK10block_q8_1RKiEEEvS4_S4_PT_iii: ; @_ZL13mul_mat_vec_qIN3c108BFloat16ELi256ELi8E12block_iq4_xsLi1EXadL_ZL19vec_dot_iq4_xs_q8_1PKvPK10block_q8_1RKiEEEvS4_S4_PT_iii
; %bb.0:
	s_clause 0x1
	s_load_b32 s2, s[0:1], 0x34
	s_load_b128 s[4:7], s[0:1], 0x18
	v_bfe_u32 v3, v0, 10, 10
	s_waitcnt lgkmcnt(0)
	s_lshr_b32 s2, s2, 16
	s_cmp_lt_u32 s15, s6
	s_delay_alu instid0(VALU_DEP_1) | instskip(SKIP_1) | instid1(VALU_DEP_1)
	v_mad_u64_u32 v[1:2], null, s14, s2, v[3:4]
	s_cselect_b32 s2, -1, 0
	v_cmp_gt_u32_e32 vcc_lo, s5, v1
	s_and_b32 s2, s2, vcc_lo
	s_delay_alu instid0(SALU_CYCLE_1)
	s_and_saveexec_b32 s3, s2
	s_cbranch_execz .LBB115_9
; %bb.1:
	s_load_b64 s[6:7], s[0:1], 0x10
	v_dual_mov_b32 v11, 0 :: v_dual_and_b32 v0, 0x3ff, v0
	s_ashr_i32 s2, s4, 31
	s_mov_b32 s8, exec_lo
	s_lshr_b32 s2, s2, 24
	s_delay_alu instid0(VALU_DEP_1) | instskip(SKIP_1) | instid1(SALU_CYCLE_1)
	v_lshrrev_b32_e32 v10, 3, v0
	s_add_i32 s2, s4, s2
	s_ashr_i32 s9, s2, 8
	s_delay_alu instid0(VALU_DEP_1) | instid1(SALU_CYCLE_1)
	v_cmpx_gt_u32_e64 s9, v10
	s_cbranch_execz .LBB115_7
; %bb.2:
	s_load_b128 s[0:3], s[0:1], 0x0
	v_dual_mov_b32 v11, 0 :: v_dual_and_b32 v4, 7, v0
	v_lshlrev_b32_e32 v2, 2, v0
	s_addk_i32 s4, 0x1ff
	v_mul_lo_u32 v12, v1, s9
	s_ashr_i32 s10, s4, 31
	v_lshlrev_b32_e32 v15, 1, v4
	v_and_b32_e32 v14, 4, v2
	v_lshlrev_b32_e32 v2, 4, v4
	s_lshr_b32 s10, s10, 23
	v_bfe_u32 v13, v0, 1, 2
	s_add_i32 s4, s4, s10
	v_add_nc_u32_e32 v17, v10, v12
	s_ashr_i32 s4, s4, 9
	s_delay_alu instid0(SALU_CYCLE_1) | instskip(NEXT) | instid1(SALU_CYCLE_1)
	s_mul_i32 s4, s15, s4
	s_lshl_b32 s4, s4, 4
	s_getpc_b64 s[12:13]
	s_add_u32 s12, s12, _ZL13kvalues_iq4nl@rel32@lo+4
	s_addc_u32 s13, s13, _ZL13kvalues_iq4nl@rel32@hi+12
	s_waitcnt lgkmcnt(0)
	v_add_co_u32 v5, s10, v2, s0
	s_delay_alu instid0(VALU_DEP_1) | instskip(SKIP_1) | instid1(VALU_DEP_3)
	v_add_co_ci_u32_e64 v6, null, 0, s1, s10
	v_mad_u64_u32 v[2:3], null, v4, 36, s[2:3]
	v_add_co_u32 v4, vcc_lo, v5, 8
	v_lshl_add_u32 v16, v10, 3, s4
	s_delay_alu instid0(VALU_DEP_4)
	v_add_co_ci_u32_e32 v5, vcc_lo, 0, v6, vcc_lo
	s_mov_b32 s10, 0
.LBB115_3:                              ; =>This Loop Header: Depth=1
                                        ;     Child Loop BB115_4 Depth 2
	v_dual_mov_b32 v21, 0 :: v_dual_add_nc_u32 v8, v10, v12
	v_lshl_add_u32 v18, v10, 3, s4
	s_mov_b64 s[2:3], 0
	s_delay_alu instid0(VALU_DEP_2) | instskip(NEXT) | instid1(VALU_DEP_2)
	v_mad_i64_i32 v[6:7], null, 0x88, v8, s[0:1]
	v_mad_i64_i32 v[8:9], null, v18, 36, v[2:3]
	s_delay_alu instid0(VALU_DEP_2) | instskip(NEXT) | instid1(VALU_DEP_3)
	v_add_co_u32 v19, vcc_lo, v6, v13
	v_add_co_ci_u32_e32 v20, vcc_lo, 0, v7, vcc_lo
	s_clause 0x1
	global_load_b32 v18, v[6:7], off
	global_load_u8 v22, v[19:20], off offset:4
	global_load_b32 v19, v[8:9], off
	v_mad_i64_i32 v[6:7], null, v16, 36, v[2:3]
	v_mad_i64_i32 v[8:9], null, 0x88, v17, v[4:5]
	v_mov_b32_e32 v20, 0
.LBB115_4:                              ;   Parent Loop BB115_3 Depth=1
                                        ; =>  This Inner Loop Header: Depth=2
	s_delay_alu instid0(VALU_DEP_2) | instskip(NEXT) | instid1(VALU_DEP_3)
	v_add_co_u32 v23, vcc_lo, v8, s2
	v_add_co_ci_u32_e32 v24, vcc_lo, s3, v9, vcc_lo
	global_load_b32 v23, v[23:24], off
	s_waitcnt vmcnt(0)
	v_bfe_u32 v27, v23, 12, 4
	v_bfe_u32 v26, v23, 8, 4
	;; [unrolled: 1-line block ×4, first 2 shown]
	v_and_b32_e32 v25, 15, v23
	v_lshrrev_b32_e32 v30, 28, v23
	v_bfe_u32 v24, v23, 24, 4
	v_bfe_u32 v23, v23, 4, 4
	s_clause 0x7
	global_load_i8 v27, v27, s[12:13]
	global_load_i8 v26, v26, s[12:13]
	;; [unrolled: 1-line block ×8, first 2 shown]
	v_add_co_u32 v23, vcc_lo, v6, s2
	v_add_co_ci_u32_e32 v24, vcc_lo, s3, v7, vcc_lo
	s_clause 0x1
	global_load_b32 v33, v[23:24], off offset:4
	global_load_b32 v23, v[23:24], off offset:20
	s_add_u32 s2, s2, 4
	s_addc_u32 s3, s3, 0
	s_cmp_lg_u32 s2, 16
	s_waitcnt vmcnt(4)
	v_perm_b32 v24, v26, v25, 0xc0c0400
	s_waitcnt vmcnt(3)
	v_perm_b32 v25, v31, v28, 0x4000c0c
	;; [unrolled: 2-line block ×3, first 2 shown]
	v_perm_b32 v27, v30, v29, 0x4000c0c
	s_delay_alu instid0(VALU_DEP_3) | instskip(NEXT) | instid1(VALU_DEP_2)
	v_or_b32_e32 v24, v25, v24
	v_or_b32_e32 v25, v27, v26
	s_waitcnt vmcnt(1)
	s_delay_alu instid0(VALU_DEP_2) | instskip(SKIP_1) | instid1(VALU_DEP_2)
	v_dot4_i32_iu8 v21, v33, v24, v21 neg_lo:[1,1,0]
	s_waitcnt vmcnt(0)
	v_dot4_i32_iu8 v20, v23, v25, v20 neg_lo:[1,1,0]
	s_cbranch_scc1 .LBB115_4
; %bb.5:                                ;   in Loop: Header=BB115_3 Depth=1
	v_lshrrev_b32_e32 v6, 16, v18
	v_cvt_f32_f16_e32 v8, v19
	v_and_b32_e32 v7, 0xff, v22
	v_add_nc_u32_e32 v16, 32, v16
	v_add_nc_u32_e32 v17, 4, v17
	v_lshrrev_b32_e32 v6, v15, v6
	s_delay_alu instid0(VALU_DEP_4) | instskip(NEXT) | instid1(VALU_DEP_2)
	v_bfe_u32 v7, v7, v14, 4
	v_lshlrev_b32_e32 v6, 4, v6
	s_delay_alu instid0(VALU_DEP_1) | instskip(SKIP_1) | instid1(VALU_DEP_2)
	v_and_or_b32 v6, v6, 48, v7
	v_cvt_f32_f16_e32 v7, v18
	v_subrev_nc_u32_e32 v6, 32, v6
	s_delay_alu instid0(VALU_DEP_1) | instskip(NEXT) | instid1(VALU_DEP_1)
	v_cvt_f32_i32_e32 v6, v6
	v_dual_mul_f32 v6, v7, v6 :: v_dual_add_nc_u32 v9, v20, v21
	s_delay_alu instid0(VALU_DEP_1) | instskip(NEXT) | instid1(VALU_DEP_2)
	v_cvt_f32_i32_e32 v7, v9
	v_mul_f32_e32 v6, v6, v8
	s_delay_alu instid0(VALU_DEP_1) | instskip(NEXT) | instid1(VALU_DEP_1)
	v_dual_fmac_f32 v11, v6, v7 :: v_dual_add_nc_u32 v10, 4, v10
	v_cmp_le_u32_e32 vcc_lo, s9, v10
	s_or_b32 s10, vcc_lo, s10
	s_delay_alu instid0(SALU_CYCLE_1)
	s_and_not1_b32 exec_lo, exec_lo, s10
	s_cbranch_execnz .LBB115_3
; %bb.6:
	s_or_b32 exec_lo, exec_lo, s10
.LBB115_7:
	s_delay_alu instid0(SALU_CYCLE_1) | instskip(SKIP_1) | instid1(VALU_DEP_1)
	s_or_b32 exec_lo, exec_lo, s8
	v_mbcnt_lo_u32_b32 v2, -1, 0
	v_xor_b32_e32 v3, 16, v2
	v_xor_b32_e32 v4, 8, v2
	;; [unrolled: 1-line block ×3, first 2 shown]
	s_delay_alu instid0(VALU_DEP_3) | instskip(SKIP_1) | instid1(VALU_DEP_4)
	v_cmp_gt_i32_e32 vcc_lo, 32, v3
	v_cndmask_b32_e32 v3, v2, v3, vcc_lo
	v_cmp_gt_i32_e32 vcc_lo, 32, v4
	v_cndmask_b32_e32 v4, v2, v4, vcc_lo
	v_cmp_gt_i32_e32 vcc_lo, 32, v5
	s_delay_alu instid0(VALU_DEP_2)
	v_lshlrev_b32_e32 v4, 2, v4
	v_lshlrev_b32_e32 v3, 2, v3
	v_cndmask_b32_e32 v5, v2, v5, vcc_lo
	ds_bpermute_b32 v3, v3, v11
	v_lshlrev_b32_e32 v5, 2, v5
	s_waitcnt lgkmcnt(0)
	v_add_f32_e32 v3, v11, v3
	ds_bpermute_b32 v4, v4, v3
	s_waitcnt lgkmcnt(0)
	v_add_f32_e32 v3, v3, v4
	ds_bpermute_b32 v4, v5, v3
	v_xor_b32_e32 v5, 2, v2
	s_delay_alu instid0(VALU_DEP_1) | instskip(SKIP_1) | instid1(VALU_DEP_1)
	v_cmp_gt_i32_e32 vcc_lo, 32, v5
	v_cndmask_b32_e32 v5, v2, v5, vcc_lo
	v_lshlrev_b32_e32 v5, 2, v5
	s_waitcnt lgkmcnt(0)
	v_add_f32_e32 v3, v3, v4
	ds_bpermute_b32 v4, v5, v3
	v_xor_b32_e32 v5, 1, v2
	s_delay_alu instid0(VALU_DEP_1) | instskip(SKIP_3) | instid1(VALU_DEP_2)
	v_cmp_gt_i32_e32 vcc_lo, 32, v5
	v_cndmask_b32_e32 v5, v2, v5, vcc_lo
	v_cmp_eq_u32_e32 vcc_lo, 0, v0
	s_waitcnt lgkmcnt(0)
	v_dual_add_f32 v2, v3, v4 :: v_dual_lshlrev_b32 v3, 2, v5
	ds_bpermute_b32 v3, v3, v2
	s_and_b32 exec_lo, exec_lo, vcc_lo
	s_cbranch_execz .LBB115_9
; %bb.8:
	s_waitcnt lgkmcnt(0)
	v_add_f32_e32 v4, v2, v3
	v_mad_u64_u32 v[2:3], null, s15, s5, v[1:2]
	v_mov_b32_e32 v3, 0
	s_delay_alu instid0(VALU_DEP_3) | instskip(SKIP_1) | instid1(VALU_DEP_2)
	v_bfe_u32 v0, v4, 16, 1
	v_cmp_o_f32_e32 vcc_lo, v4, v4
	v_add3_u32 v0, v4, v0, 0x7fff
	s_delay_alu instid0(VALU_DEP_1) | instskip(SKIP_1) | instid1(VALU_DEP_2)
	v_lshrrev_b32_e32 v5, 16, v0
	v_lshlrev_b64 v[0:1], 1, v[2:3]
	v_cndmask_b32_e32 v2, 0x7fc0, v5, vcc_lo
	s_delay_alu instid0(VALU_DEP_2) | instskip(NEXT) | instid1(VALU_DEP_3)
	v_add_co_u32 v0, vcc_lo, s6, v0
	v_add_co_ci_u32_e32 v1, vcc_lo, s7, v1, vcc_lo
	global_store_b16 v[0:1], v2, off
.LBB115_9:
	s_nop 0
	s_sendmsg sendmsg(MSG_DEALLOC_VGPRS)
	s_endpgm
	.section	.rodata,"a",@progbits
	.p2align	6, 0x0
	.amdhsa_kernel _ZL13mul_mat_vec_qIN3c108BFloat16ELi256ELi8E12block_iq4_xsLi1EXadL_ZL19vec_dot_iq4_xs_q8_1PKvPK10block_q8_1RKiEEEvS4_S4_PT_iii
		.amdhsa_group_segment_fixed_size 0
		.amdhsa_private_segment_fixed_size 0
		.amdhsa_kernarg_size 296
		.amdhsa_user_sgpr_count 14
		.amdhsa_user_sgpr_dispatch_ptr 0
		.amdhsa_user_sgpr_queue_ptr 0
		.amdhsa_user_sgpr_kernarg_segment_ptr 1
		.amdhsa_user_sgpr_dispatch_id 0
		.amdhsa_user_sgpr_private_segment_size 0
		.amdhsa_wavefront_size32 1
		.amdhsa_uses_dynamic_stack 0
		.amdhsa_enable_private_segment 0
		.amdhsa_system_sgpr_workgroup_id_x 1
		.amdhsa_system_sgpr_workgroup_id_y 1
		.amdhsa_system_sgpr_workgroup_id_z 0
		.amdhsa_system_sgpr_workgroup_info 0
		.amdhsa_system_vgpr_workitem_id 1
		.amdhsa_next_free_vgpr 34
		.amdhsa_next_free_sgpr 16
		.amdhsa_reserve_vcc 1
		.amdhsa_float_round_mode_32 0
		.amdhsa_float_round_mode_16_64 0
		.amdhsa_float_denorm_mode_32 3
		.amdhsa_float_denorm_mode_16_64 3
		.amdhsa_dx10_clamp 1
		.amdhsa_ieee_mode 1
		.amdhsa_fp16_overflow 0
		.amdhsa_workgroup_processor_mode 1
		.amdhsa_memory_ordered 1
		.amdhsa_forward_progress 0
		.amdhsa_shared_vgpr_count 0
		.amdhsa_exception_fp_ieee_invalid_op 0
		.amdhsa_exception_fp_denorm_src 0
		.amdhsa_exception_fp_ieee_div_zero 0
		.amdhsa_exception_fp_ieee_overflow 0
		.amdhsa_exception_fp_ieee_underflow 0
		.amdhsa_exception_fp_ieee_inexact 0
		.amdhsa_exception_int_div_zero 0
	.end_amdhsa_kernel
	.section	.text._ZL13mul_mat_vec_qIN3c108BFloat16ELi256ELi8E12block_iq4_xsLi1EXadL_ZL19vec_dot_iq4_xs_q8_1PKvPK10block_q8_1RKiEEEvS4_S4_PT_iii,"axG",@progbits,_ZL13mul_mat_vec_qIN3c108BFloat16ELi256ELi8E12block_iq4_xsLi1EXadL_ZL19vec_dot_iq4_xs_q8_1PKvPK10block_q8_1RKiEEEvS4_S4_PT_iii,comdat
.Lfunc_end115:
	.size	_ZL13mul_mat_vec_qIN3c108BFloat16ELi256ELi8E12block_iq4_xsLi1EXadL_ZL19vec_dot_iq4_xs_q8_1PKvPK10block_q8_1RKiEEEvS4_S4_PT_iii, .Lfunc_end115-_ZL13mul_mat_vec_qIN3c108BFloat16ELi256ELi8E12block_iq4_xsLi1EXadL_ZL19vec_dot_iq4_xs_q8_1PKvPK10block_q8_1RKiEEEvS4_S4_PT_iii
                                        ; -- End function
	.section	.AMDGPU.csdata,"",@progbits
; Kernel info:
; codeLenInByte = 1148
; NumSgprs: 18
; NumVgprs: 34
; ScratchSize: 0
; MemoryBound: 0
; FloatMode: 240
; IeeeMode: 1
; LDSByteSize: 0 bytes/workgroup (compile time only)
; SGPRBlocks: 2
; VGPRBlocks: 4
; NumSGPRsForWavesPerEU: 18
; NumVGPRsForWavesPerEU: 34
; Occupancy: 16
; WaveLimiterHint : 0
; COMPUTE_PGM_RSRC2:SCRATCH_EN: 0
; COMPUTE_PGM_RSRC2:USER_SGPR: 14
; COMPUTE_PGM_RSRC2:TRAP_HANDLER: 0
; COMPUTE_PGM_RSRC2:TGID_X_EN: 1
; COMPUTE_PGM_RSRC2:TGID_Y_EN: 1
; COMPUTE_PGM_RSRC2:TGID_Z_EN: 0
; COMPUTE_PGM_RSRC2:TIDIG_COMP_CNT: 1
	.section	.text._ZL13mul_mat_vec_qIN3c108BFloat16ELi256ELi8E11block_iq1_mLi1EXadL_ZL18vec_dot_iq1_m_q8_1PKvPK10block_q8_1RKiEEEvS4_S4_PT_iii,"axG",@progbits,_ZL13mul_mat_vec_qIN3c108BFloat16ELi256ELi8E11block_iq1_mLi1EXadL_ZL18vec_dot_iq1_m_q8_1PKvPK10block_q8_1RKiEEEvS4_S4_PT_iii,comdat
	.globl	_ZL13mul_mat_vec_qIN3c108BFloat16ELi256ELi8E11block_iq1_mLi1EXadL_ZL18vec_dot_iq1_m_q8_1PKvPK10block_q8_1RKiEEEvS4_S4_PT_iii ; -- Begin function _ZL13mul_mat_vec_qIN3c108BFloat16ELi256ELi8E11block_iq1_mLi1EXadL_ZL18vec_dot_iq1_m_q8_1PKvPK10block_q8_1RKiEEEvS4_S4_PT_iii
	.p2align	8
	.type	_ZL13mul_mat_vec_qIN3c108BFloat16ELi256ELi8E11block_iq1_mLi1EXadL_ZL18vec_dot_iq1_m_q8_1PKvPK10block_q8_1RKiEEEvS4_S4_PT_iii,@function
_ZL13mul_mat_vec_qIN3c108BFloat16ELi256ELi8E11block_iq1_mLi1EXadL_ZL18vec_dot_iq1_m_q8_1PKvPK10block_q8_1RKiEEEvS4_S4_PT_iii: ; @_ZL13mul_mat_vec_qIN3c108BFloat16ELi256ELi8E11block_iq1_mLi1EXadL_ZL18vec_dot_iq1_m_q8_1PKvPK10block_q8_1RKiEEEvS4_S4_PT_iii
; %bb.0:
	s_clause 0x1
	s_load_b32 s2, s[0:1], 0x34
	s_load_b128 s[4:7], s[0:1], 0x18
	v_bfe_u32 v3, v0, 10, 10
	s_waitcnt lgkmcnt(0)
	s_lshr_b32 s2, s2, 16
	s_cmp_lt_u32 s15, s6
	s_delay_alu instid0(VALU_DEP_1) | instskip(SKIP_1) | instid1(VALU_DEP_1)
	v_mad_u64_u32 v[1:2], null, s14, s2, v[3:4]
	s_cselect_b32 s2, -1, 0
	v_cmp_gt_u32_e32 vcc_lo, s5, v1
	s_and_b32 s2, s2, vcc_lo
	s_delay_alu instid0(SALU_CYCLE_1)
	s_and_saveexec_b32 s3, s2
	s_cbranch_execz .LBB116_7
; %bb.1:
	s_load_b64 s[6:7], s[0:1], 0x10
	v_and_b32_e32 v0, 0x3ff, v0
	s_ashr_i32 s2, s4, 31
	v_mov_b32_e32 v2, 0
	s_lshr_b32 s2, s2, 24
	s_mov_b32 s10, exec_lo
	v_lshrrev_b32_e32 v3, 3, v0
	s_add_i32 s2, s4, s2
	s_delay_alu instid0(SALU_CYCLE_1)
	s_ashr_i32 s11, s2, 8
	s_delay_alu instid0(VALU_DEP_1) | instid1(SALU_CYCLE_1)
	v_cmpx_gt_u32_e64 s11, v3
	s_cbranch_execz .LBB116_5
; %bb.2:
	s_load_b128 s[0:3], s[0:1], 0x0
	s_addk_i32 s4, 0x1ff
	v_and_b32_e32 v7, 1, v0
	s_ashr_i32 s8, s4, 31
	v_dual_mov_b32 v2, 0 :: v_dual_and_b32 v5, 7, v0
	s_lshr_b32 s8, s8, 23
	v_lshlrev_b32_e32 v8, 3, v3
	s_add_i32 s4, s4, s8
	v_bfe_u32 v10, v0, 1, 2
	v_cmp_eq_u32_e32 vcc_lo, 1, v7
	s_ashr_i32 s4, s4, 9
	v_mul_lo_u32 v4, v1, s11
	s_mul_i32 s4, s15, s4
	v_lshlrev_b32_e32 v6, 1, v5
	v_cndmask_b32_e64 v7, 0, 6, vcc_lo
	v_lshl_add_u32 v8, s4, 4, v8
	v_lshlrev_b32_e32 v9, 2, v5
	v_lshlrev_b32_e32 v10, 1, v10
	s_mov_b32 s4, 0
	s_mov_b32 s12, 0xbd000000
	s_getpc_b64 s[8:9]
	s_add_u32 s8, s8, _ZL13iq1s_grid_gpu@rel32@lo+4
	s_addc_u32 s9, s9, _ZL13iq1s_grid_gpu@rel32@hi+12
.LBB116_3:                              ; =>This Inner Loop Header: Depth=1
	v_add_nc_u32_e32 v11, v4, v3
	v_add_nc_u32_e32 v3, 4, v3
	s_waitcnt lgkmcnt(0)
	s_delay_alu instid0(VALU_DEP_2) | instskip(NEXT) | instid1(VALU_DEP_1)
	v_mad_i64_i32 v[19:20], null, v11, 56, s[0:1]
	v_add_co_u32 v11, vcc_lo, v19, v9
	s_delay_alu instid0(VALU_DEP_2)
	v_add_co_ci_u32_e32 v12, vcc_lo, 0, v20, vcc_lo
	v_add_co_u32 v13, vcc_lo, v19, v6
	v_add_co_ci_u32_e32 v14, vcc_lo, 0, v20, vcc_lo
	v_add_co_u32 v21, vcc_lo, v19, v10
	s_clause 0x1
	global_load_b32 v23, v[11:12], off
	global_load_u16 v24, v[13:14], off offset:32
	v_mad_i64_i32 v[11:12], null, v8, 36, s[2:3]
	v_add_co_ci_u32_e32 v22, vcc_lo, 0, v20, vcc_lo
	v_cmp_le_u32_e32 vcc_lo, s11, v3
	v_add_nc_u32_e32 v8, 32, v8
	s_delay_alu instid0(VALU_DEP_4)
	v_mad_u64_u32 v[15:16], null, v5, 36, v[11:12]
	s_or_b32 s4, vcc_lo, s4
	s_clause 0x2
	global_load_b128 v[11:14], v[15:16], off
	global_load_b32 v25, v[15:16], off offset:32
	global_load_b128 v[15:18], v[15:16], off offset:16
	global_load_b64 v[19:20], v[19:20], off offset:48
	s_waitcnt vmcnt(5)
	v_and_b32_e32 v28, 0xff, v23
	s_waitcnt vmcnt(4)
	v_lshrrev_b16 v27, 8, v24
	v_lshlrev_b32_e32 v29, 8, v24
	v_bfe_u32 v30, v23, 8, 8
	v_lshlrev_b32_e32 v31, 4, v24
	v_and_b32_e32 v53, 8, v24
	v_and_b32_e32 v27, 0xffff, v27
	v_lshrrev_b32_e32 v26, 24, v23
	v_bfe_u32 v23, v23, 16, 8
	v_and_or_b32 v28, 0x700, v29, v28
	v_and_or_b32 v29, 0x700, v31, v30
	v_cvt_f32_ubyte0_e32 v53, v53
	v_lshlrev_b32_e32 v30, 8, v27
	v_lshlrev_b32_e32 v31, 4, v27
	;; [unrolled: 1-line block ×4, first 2 shown]
	v_fmaak_f32 v53, s12, v53, 0xbf600000
	v_and_or_b32 v23, 0x700, v30, v23
	v_and_or_b32 v26, 0x700, v31, v26
	s_clause 0x1
	global_load_b32 v28, v28, s[8:9]
	global_load_b32 v29, v29, s[8:9]
	s_waitcnt vmcnt(5)
	v_bfe_i32 v30, v12, 8, 8
	v_bfe_i32 v35, v14, 0, 8
	v_lshlrev_b32_e32 v23, 3, v23
	v_lshlrev_b32_e32 v26, 3, v26
	v_bfe_i32 v36, v14, 8, 8
	s_clause 0x1
	global_load_b32 v23, v23, s[8:9]
	global_load_b32 v26, v26, s[8:9]
	global_load_u16 v21, v[21:22], off offset:48
	v_bfe_i32 v22, v12, 0, 8
	s_waitcnt vmcnt(6)
	v_bfe_i32 v41, v16, 0, 8
	v_bfe_i32 v42, v16, 8, 8
	;; [unrolled: 1-line block ×5, first 2 shown]
	v_ashrrev_i32_e32 v12, 24, v12
	v_bfe_i32 v37, v14, 16, 8
	v_ashrrev_i32_e32 v14, 24, v14
	v_bfe_i32 v43, v16, 16, 8
	;; [unrolled: 2-line block ×3, first 2 shown]
	v_ashrrev_i32_e32 v18, 24, v18
	s_waitcnt vmcnt(5)
	v_lshrrev_b16 v55, 12, v19
	v_lshrrev_b32_e32 v19, 24, v19
	v_add_nc_u32_e32 v56, v22, v30
	v_add_nc_u32_e32 v57, v35, v36
	;; [unrolled: 1-line block ×3, first 2 shown]
	v_cvt_f32_f16_e32 v11, v11
	v_add_nc_u32_e32 v58, v41, v42
	v_bfe_i32 v32, v13, 0, 8
	v_bfe_i32 v33, v13, 8, 8
	;; [unrolled: 1-line block ×8, first 2 shown]
	v_lshrrev_b32_e32 v54, 16, v20
	v_lshrrev_b16 v20, 4, v20
	v_and_b32_e32 v19, 0xf0, v19
	v_add3_u32 v56, v56, v31, v12
	v_add3_u32 v57, v57, v37, v14
	;; [unrolled: 1-line block ×4, first 2 shown]
	v_and_b32_e32 v61, 8, v27
	v_bfe_i32 v34, v13, 16, 8
	v_ashrrev_i32_e32 v13, 24, v13
	v_bfe_i32 v40, v15, 16, 8
	v_ashrrev_i32_e32 v15, 24, v15
	;; [unrolled: 2-line block ×4, first 2 shown]
	v_and_b32_e32 v20, 0xf00, v20
	v_or_b32_e32 v19, v19, v55
	v_add3_u32 v56, v56, v32, v33
	v_add3_u32 v57, v57, v38, v39
	;; [unrolled: 1-line block ×4, first 2 shown]
	v_or_b32_e32 v19, v19, v20
	v_add3_u32 v20, v56, v34, v13
	v_add3_u32 v56, v57, v40, v15
	;; [unrolled: 1-line block ×4, first 2 shown]
	v_lshrrev_b32_e32 v24, 4, v24
	v_cvt_f32_i32_e32 v20, v20
	v_and_b32_e32 v54, 0xfffff000, v54
	v_cvt_f32_i32_e32 v57, v57
	v_cvt_f32_i32_e32 v58, v58
	s_waitcnt vmcnt(4)
	v_bfe_u32 v62, v28, 8, 4
	v_bfe_u32 v63, v28, 16, 4
	v_bfe_u32 v64, v28, 24, 4
	v_bfe_u32 v65, v28, 4, 4
	v_bfe_u32 v66, v28, 12, 4
	s_waitcnt vmcnt(3)
	v_and_b32_e32 v68, 15, v29
	v_bfe_u32 v69, v29, 8, 4
	v_bfe_u32 v70, v29, 16, 4
	;; [unrolled: 1-line block ×3, first 2 shown]
	s_waitcnt vmcnt(0)
	v_lshrrev_b32_e32 v21, v7, v21
	v_mul_i32_i24_e32 v31, v63, v31
	v_bfe_u32 v63, v23, 4, 4
	v_mul_i32_i24_e32 v30, v62, v30
	v_mul_i32_i24_e32 v12, v64, v12
	v_lshlrev_b32_e32 v60, 1, v21
	v_bfe_u32 v62, v23, 24, 4
	v_bfe_u32 v64, v23, 12, 4
	v_mul_i32_i24_e32 v33, v66, v33
	v_bfe_u32 v71, v29, 24, 4
	v_and_or_b32 v55, v60, 14, 1
	v_cvt_f32_ubyte0_e32 v60, v61
	v_and_b32_e32 v61, 15, v28
	v_mul_i32_i24_e32 v16, v62, v16
	v_mul_i32_i24_e32 v45, v64, v45
	v_bfe_u32 v73, v29, 12, 4
	v_fmaak_f32 v59, s12, v60, 0xbf600000
	v_bfe_u32 v60, v28, 20, 4
	v_lshrrev_b32_e32 v28, 28, v28
	v_mul_i32_i24_e32 v22, v22, v61
	v_bfe_u32 v61, v23, 16, 4
	v_lshrrev_b32_e32 v21, 2, v21
	v_mul_i32_i24_e32 v34, v60, v34
	v_mul_i32_i24_e32 v13, v28, v13
	;; [unrolled: 1-line block ×6, first 2 shown]
	v_and_b32_e32 v38, 15, v23
	v_bfe_u32 v60, v23, 8, 4
	v_mad_i32_i24 v22, v32, v65, v22
	v_mul_i32_i24_e32 v43, v61, v43
	v_bfe_u32 v32, v23, 20, 4
	v_mul_i32_i24_e32 v38, v41, v38
	v_mul_i32_i24_e32 v42, v60, v42
	v_lshrrev_b32_e32 v23, 28, v23
	v_add3_u32 v22, v22, v30, v31
	v_and_b32_e32 v65, 15, v26
	v_mad_i32_i24 v38, v44, v63, v38
	v_mul_i32_i24_e32 v30, v32, v46
	v_mul_i32_i24_e32 v17, v23, v17
	v_add3_u32 v12, v22, v12, v33
	v_bfe_u32 v44, v26, 8, 4
	v_add3_u32 v38, v38, v42, v43
	v_bfe_u32 v42, v26, 4, 4
	v_bfe_u32 v60, v26, 16, 4
	v_mul_i32_i24_e32 v31, v47, v65
	v_add3_u32 v12, v12, v34, v13
	v_add3_u32 v16, v38, v16, v45
	v_mul_i32_i24_e32 v32, v50, v42
	v_bfe_u32 v23, v26, 24, 4
	v_mul_i32_i24_e32 v22, v44, v48
	v_add3_u32 v12, v12, v28, v37
	v_add3_u32 v16, v16, v30, v17
	v_bfe_u32 v17, v26, 12, 4
	v_mul_i32_i24_e32 v30, v60, v49
	v_bfe_u32 v67, v29, 20, 4
	v_lshrrev_b32_e32 v29, 28, v29
	v_add3_u32 v13, v16, v31, v32
	v_mul_i32_i24_e32 v14, v71, v14
	v_mul_i32_i24_e32 v18, v23, v18
	;; [unrolled: 1-line block ×3, first 2 shown]
	v_add3_u32 v12, v12, v35, v36
	v_add3_u32 v13, v13, v22, v30
	v_mul_i32_i24_e32 v22, v73, v39
	v_and_or_b32 v21, v21, 14, 1
	v_mul_i32_i24_e32 v15, v29, v15
	v_bfe_u32 v41, v26, 20, 4
	v_add3_u32 v13, v13, v18, v17
	v_mul_i32_i24_e32 v18, v67, v40
	v_add3_u32 v12, v12, v14, v22
	v_lshrrev_b32_e32 v16, 28, v26
	v_mul_i32_i24_e32 v23, v41, v52
	v_cvt_f32_i32_e32 v14, v56
	v_fma_f32 v17, v59, v57, 0
	v_add3_u32 v12, v12, v18, v15
	v_cvt_f32_ubyte0_e32 v15, v21
	v_and_b32_e32 v24, 8, v24
	v_mul_i32_i24_e32 v16, v16, v25
	v_or_b32_e32 v18, v19, v54
	v_cvt_f32_i32_e32 v12, v12
	s_delay_alu instid0(VALU_DEP_4) | instskip(NEXT) | instid1(VALU_DEP_4)
	v_cvt_f32_ubyte0_e32 v24, v24
	v_add3_u32 v13, v13, v23, v16
	v_fma_f32 v16, v53, v20, 0
	s_delay_alu instid0(VALU_DEP_3) | instskip(NEXT) | instid1(VALU_DEP_3)
	v_fmaak_f32 v24, s12, v24, 0xbf600000
	v_cvt_f32_i32_e32 v13, v13
	s_delay_alu instid0(VALU_DEP_2) | instskip(SKIP_1) | instid1(VALU_DEP_2)
	v_fmac_f32_e32 v16, v24, v14
	v_cvt_f32_ubyte0_e32 v14, v55
	v_add_f32_e32 v12, v16, v12
	v_lshrrev_b32_e32 v27, 4, v27
	s_delay_alu instid0(VALU_DEP_1) | instskip(NEXT) | instid1(VALU_DEP_1)
	v_and_b32_e32 v27, 8, v27
	v_cvt_f32_ubyte0_e32 v27, v27
	s_delay_alu instid0(VALU_DEP_1) | instskip(NEXT) | instid1(VALU_DEP_1)
	v_fmaak_f32 v27, s12, v27, 0xbf600000
	v_fmac_f32_e32 v17, v27, v58
	s_delay_alu instid0(VALU_DEP_1) | instskip(SKIP_1) | instid1(VALU_DEP_2)
	v_add_f32_e32 v13, v17, v13
	v_cvt_f32_f16_e32 v17, v18
	v_mul_f32_e32 v13, v13, v15
	s_delay_alu instid0(VALU_DEP_2) | instskip(NEXT) | instid1(VALU_DEP_2)
	v_mul_f32_e32 v11, v11, v17
	v_fmac_f32_e32 v13, v12, v14
	s_delay_alu instid0(VALU_DEP_1)
	v_fmac_f32_e32 v2, v11, v13
	s_and_not1_b32 exec_lo, exec_lo, s4
	s_cbranch_execnz .LBB116_3
; %bb.4:
	s_or_b32 exec_lo, exec_lo, s4
.LBB116_5:
	s_delay_alu instid0(SALU_CYCLE_1) | instskip(SKIP_1) | instid1(VALU_DEP_1)
	s_or_b32 exec_lo, exec_lo, s10
	v_mbcnt_lo_u32_b32 v3, -1, 0
	v_xor_b32_e32 v4, 16, v3
	v_xor_b32_e32 v5, 8, v3
	s_delay_alu instid0(VALU_DEP_2) | instskip(SKIP_1) | instid1(VALU_DEP_3)
	v_cmp_gt_i32_e32 vcc_lo, 32, v4
	v_cndmask_b32_e32 v4, v3, v4, vcc_lo
	v_cmp_gt_i32_e32 vcc_lo, 32, v5
	v_cndmask_b32_e32 v5, v3, v5, vcc_lo
	s_delay_alu instid0(VALU_DEP_1) | instskip(NEXT) | instid1(VALU_DEP_4)
	v_lshlrev_b32_e32 v5, 2, v5
	v_lshlrev_b32_e32 v4, 2, v4
	ds_bpermute_b32 v4, v4, v2
	s_waitcnt lgkmcnt(0)
	v_add_f32_e32 v2, v2, v4
	ds_bpermute_b32 v4, v5, v2
	v_xor_b32_e32 v5, 4, v3
	s_delay_alu instid0(VALU_DEP_1) | instskip(SKIP_2) | instid1(VALU_DEP_1)
	v_cmp_gt_i32_e32 vcc_lo, 32, v5
	v_cndmask_b32_e32 v5, v3, v5, vcc_lo
	s_waitcnt lgkmcnt(0)
	v_dual_add_f32 v2, v2, v4 :: v_dual_lshlrev_b32 v5, 2, v5
	ds_bpermute_b32 v4, v5, v2
	v_xor_b32_e32 v5, 2, v3
	s_delay_alu instid0(VALU_DEP_1) | instskip(SKIP_2) | instid1(VALU_DEP_1)
	v_cmp_gt_i32_e32 vcc_lo, 32, v5
	s_waitcnt lgkmcnt(0)
	v_dual_cndmask_b32 v5, v3, v5 :: v_dual_add_f32 v2, v2, v4
	v_lshlrev_b32_e32 v5, 2, v5
	ds_bpermute_b32 v4, v5, v2
	v_xor_b32_e32 v5, 1, v3
	s_delay_alu instid0(VALU_DEP_1) | instskip(SKIP_3) | instid1(VALU_DEP_2)
	v_cmp_gt_i32_e32 vcc_lo, 32, v5
	v_cndmask_b32_e32 v3, v3, v5, vcc_lo
	v_cmp_eq_u32_e32 vcc_lo, 0, v0
	s_waitcnt lgkmcnt(0)
	v_dual_add_f32 v2, v2, v4 :: v_dual_lshlrev_b32 v3, 2, v3
	ds_bpermute_b32 v3, v3, v2
	s_and_b32 exec_lo, exec_lo, vcc_lo
	s_cbranch_execz .LBB116_7
; %bb.6:
	s_waitcnt lgkmcnt(0)
	v_add_f32_e32 v4, v2, v3
	v_mad_u64_u32 v[2:3], null, s15, s5, v[1:2]
	v_mov_b32_e32 v3, 0
	s_delay_alu instid0(VALU_DEP_3) | instskip(SKIP_1) | instid1(VALU_DEP_2)
	v_bfe_u32 v0, v4, 16, 1
	v_cmp_o_f32_e32 vcc_lo, v4, v4
	v_add3_u32 v0, v4, v0, 0x7fff
	s_delay_alu instid0(VALU_DEP_1) | instskip(SKIP_1) | instid1(VALU_DEP_2)
	v_lshrrev_b32_e32 v5, 16, v0
	v_lshlrev_b64 v[0:1], 1, v[2:3]
	v_cndmask_b32_e32 v2, 0x7fc0, v5, vcc_lo
	s_delay_alu instid0(VALU_DEP_2) | instskip(NEXT) | instid1(VALU_DEP_3)
	v_add_co_u32 v0, vcc_lo, s6, v0
	v_add_co_ci_u32_e32 v1, vcc_lo, s7, v1, vcc_lo
	global_store_b16 v[0:1], v2, off
.LBB116_7:
	s_nop 0
	s_sendmsg sendmsg(MSG_DEALLOC_VGPRS)
	s_endpgm
	.section	.rodata,"a",@progbits
	.p2align	6, 0x0
	.amdhsa_kernel _ZL13mul_mat_vec_qIN3c108BFloat16ELi256ELi8E11block_iq1_mLi1EXadL_ZL18vec_dot_iq1_m_q8_1PKvPK10block_q8_1RKiEEEvS4_S4_PT_iii
		.amdhsa_group_segment_fixed_size 0
		.amdhsa_private_segment_fixed_size 0
		.amdhsa_kernarg_size 296
		.amdhsa_user_sgpr_count 14
		.amdhsa_user_sgpr_dispatch_ptr 0
		.amdhsa_user_sgpr_queue_ptr 0
		.amdhsa_user_sgpr_kernarg_segment_ptr 1
		.amdhsa_user_sgpr_dispatch_id 0
		.amdhsa_user_sgpr_private_segment_size 0
		.amdhsa_wavefront_size32 1
		.amdhsa_uses_dynamic_stack 0
		.amdhsa_enable_private_segment 0
		.amdhsa_system_sgpr_workgroup_id_x 1
		.amdhsa_system_sgpr_workgroup_id_y 1
		.amdhsa_system_sgpr_workgroup_id_z 0
		.amdhsa_system_sgpr_workgroup_info 0
		.amdhsa_system_vgpr_workitem_id 1
		.amdhsa_next_free_vgpr 74
		.amdhsa_next_free_sgpr 16
		.amdhsa_reserve_vcc 1
		.amdhsa_float_round_mode_32 0
		.amdhsa_float_round_mode_16_64 0
		.amdhsa_float_denorm_mode_32 3
		.amdhsa_float_denorm_mode_16_64 3
		.amdhsa_dx10_clamp 1
		.amdhsa_ieee_mode 1
		.amdhsa_fp16_overflow 0
		.amdhsa_workgroup_processor_mode 1
		.amdhsa_memory_ordered 1
		.amdhsa_forward_progress 0
		.amdhsa_shared_vgpr_count 0
		.amdhsa_exception_fp_ieee_invalid_op 0
		.amdhsa_exception_fp_denorm_src 0
		.amdhsa_exception_fp_ieee_div_zero 0
		.amdhsa_exception_fp_ieee_overflow 0
		.amdhsa_exception_fp_ieee_underflow 0
		.amdhsa_exception_fp_ieee_inexact 0
		.amdhsa_exception_int_div_zero 0
	.end_amdhsa_kernel
	.section	.text._ZL13mul_mat_vec_qIN3c108BFloat16ELi256ELi8E11block_iq1_mLi1EXadL_ZL18vec_dot_iq1_m_q8_1PKvPK10block_q8_1RKiEEEvS4_S4_PT_iii,"axG",@progbits,_ZL13mul_mat_vec_qIN3c108BFloat16ELi256ELi8E11block_iq1_mLi1EXadL_ZL18vec_dot_iq1_m_q8_1PKvPK10block_q8_1RKiEEEvS4_S4_PT_iii,comdat
.Lfunc_end116:
	.size	_ZL13mul_mat_vec_qIN3c108BFloat16ELi256ELi8E11block_iq1_mLi1EXadL_ZL18vec_dot_iq1_m_q8_1PKvPK10block_q8_1RKiEEEvS4_S4_PT_iii, .Lfunc_end116-_ZL13mul_mat_vec_qIN3c108BFloat16ELi256ELi8E11block_iq1_mLi1EXadL_ZL18vec_dot_iq1_m_q8_1PKvPK10block_q8_1RKiEEEvS4_S4_PT_iii
                                        ; -- End function
	.section	.AMDGPU.csdata,"",@progbits
; Kernel info:
; codeLenInByte = 2032
; NumSgprs: 18
; NumVgprs: 74
; ScratchSize: 0
; MemoryBound: 0
; FloatMode: 240
; IeeeMode: 1
; LDSByteSize: 0 bytes/workgroup (compile time only)
; SGPRBlocks: 2
; VGPRBlocks: 9
; NumSGPRsForWavesPerEU: 18
; NumVGPRsForWavesPerEU: 74
; Occupancy: 16
; WaveLimiterHint : 0
; COMPUTE_PGM_RSRC2:SCRATCH_EN: 0
; COMPUTE_PGM_RSRC2:USER_SGPR: 14
; COMPUTE_PGM_RSRC2:TRAP_HANDLER: 0
; COMPUTE_PGM_RSRC2:TGID_X_EN: 1
; COMPUTE_PGM_RSRC2:TGID_Y_EN: 1
; COMPUTE_PGM_RSRC2:TGID_Z_EN: 0
; COMPUTE_PGM_RSRC2:TIDIG_COMP_CNT: 1
	.section	.text._ZL12mul_mat_q4_0IfLb0EEvPKvS1_PT_iiiii,"axG",@progbits,_ZL12mul_mat_q4_0IfLb0EEvPKvS1_PT_iiiii,comdat
	.globl	_ZL12mul_mat_q4_0IfLb0EEvPKvS1_PT_iiiii ; -- Begin function _ZL12mul_mat_q4_0IfLb0EEvPKvS1_PT_iiiii
	.p2align	8
	.type	_ZL12mul_mat_q4_0IfLb0EEvPKvS1_PT_iiiii,@function
_ZL12mul_mat_q4_0IfLb0EEvPKvS1_PT_iiiii: ; @_ZL12mul_mat_q4_0IfLb0EEvPKvS1_PT_iiiii
; %bb.0:
	s_clause 0x1
	s_load_b32 s11, s[0:1], 0x18
	s_load_b128 s[4:7], s[0:1], 0x20
	v_bfe_u32 v39, v0, 10, 10
	v_and_b32_e32 v40, 0x3ff, v0
	s_waitcnt lgkmcnt(0)
	s_lshl_b32 s7, s15, 6
	s_cmp_gt_i32 s11, 31
	s_cbranch_scc1 .LBB117_2
; %bb.1:
	v_bfe_u32 v1, v0, 10, 10
	v_and_b32_e32 v0, 0x3ff, v0
	s_mov_b32 s2, 0
	s_mov_b32 s3, 0
	s_delay_alu instid0(VALU_DEP_2)
	v_add_nc_u32_e32 v2, s7, v1
	s_branch .LBB117_3
.LBB117_2:
	s_mov_b32 s2, -1
                                        ; implicit-def: $sgpr3
                                        ; implicit-def: $vgpr1
                                        ; implicit-def: $vgpr0
                                        ; implicit-def: $vgpr2
.LBB117_3:
	s_load_b64 s[8:9], s[0:1], 0x10
	v_dual_mov_b32 v5, s3 :: v_dual_mov_b32 v28, s3
	v_dual_mov_b32 v9, s3 :: v_dual_mov_b32 v6, s3
	;; [unrolled: 1-line block ×15, first 2 shown]
	v_mov_b32_e32 v27, s3
	v_mov_b32_e32 v31, s3
	s_and_not1_b32 vcc_lo, exec_lo, s2
	s_lshl_b32 s10, s14, 7
	s_cbranch_vccnz .LBB117_13
; %bb.4:
	s_load_b128 s[0:3], s[0:1], 0x0
	s_ashr_i32 s12, s11, 31
	s_ashr_i32 s13, s5, 31
	s_lshr_b32 s12, s12, 27
	s_lshr_b32 s13, s13, 27
	s_add_i32 s11, s11, s12
	v_dual_mov_b32 v32, 0 :: v_dual_add_nc_u32 v13, s7, v39
	s_add_i32 s12, s5, s13
	s_ashr_i32 s5, s11, 5
	s_ashr_i32 s12, s12, 5
	s_mul_i32 s13, s5, s10
	v_add_nc_u32_e32 v4, 16, v13
	v_dual_mov_b32 v47, 0 :: v_dual_add_nc_u32 v8, 24, v13
	v_dual_mov_b32 v35, 0 :: v_dual_add_nc_u32 v10, 32, v13
	s_mul_hi_i32 s14, s13, 18
	s_mul_i32 s13, s13, 18
	v_add_nc_u32_e32 v14, 48, v13
	s_waitcnt lgkmcnt(0)
	s_add_u32 s0, s0, s13
	s_addc_u32 s1, s1, s14
	s_add_i32 s13, s4, -1
	v_cvt_f64_u32_e32 v[4:5], v4
	v_cvt_f64_i32_e32 v[6:7], s13
	v_cvt_f64_u32_e32 v[8:9], v8
	v_cvt_f64_u32_e32 v[10:11], v10
	;; [unrolled: 1-line block ×3, first 2 shown]
	v_dual_mov_b32 v36, 0 :: v_dual_lshlrev_b32 v19, 2, v40
	v_lshrrev_b32_e32 v24, 2, v40
	v_and_b32_e32 v23, 7, v40
	v_lshrrev_b32_e32 v22, 3, v40
	s_delay_alu instid0(VALU_DEP_4)
	v_and_b32_e32 v25, 12, v19
	v_and_b32_e32 v18, 3, v40
	v_mul_lo_u32 v27, s5, v39
	s_clause 0x3
	scratch_store_b32 off, v23, off offset:20
	scratch_store_b32 off, v24, off offset:16
	;; [unrolled: 1-line block ×4, first 2 shown]
	v_lshl_add_u32 v24, v39, 3, v24
	v_add_nc_u32_e32 v2, 8, v13
	v_add_nc_u32_e32 v12, 40, v13
	v_add_nc_u32_e32 v16, 56, v13
	v_mad_u32_u24 v26, 0x84, v39, v19
	v_dual_mov_b32 v38, 0 :: v_dual_lshlrev_b32 v25, 2, v18
	v_and_b32_e32 v24, 63, v24
	v_cvt_f64_u32_e32 v[0:1], v13
	v_cvt_f64_u32_e32 v[2:3], v2
	v_cvt_f64_u32_e32 v[16:17], v16
	v_add_nc_u32_e32 v28, 0x420, v26
	s_clause 0x1
	scratch_store_b32 off, v27, off offset:36
	scratch_store_b32 off, v13, off offset:244
	v_mov_b32_e32 v37, 0
	s_lshl_b32 s14, s5, 3
	scratch_store_b32 off, v28, off offset:44 ; 4-byte Folded Spill
	v_add_nc_u32_e32 v28, 0x840, v26
	v_dual_mov_b32 v34, 0 :: v_dual_add_nc_u32 v27, s14, v27
	v_dual_mov_b32 v33, 0 :: v_dual_and_b32 v20, 31, v40
	v_min_f64 v[4:5], v[4:5], v[6:7]
	v_min_f64 v[8:9], v[8:9], v[6:7]
	;; [unrolled: 1-line block ×4, first 2 shown]
	scratch_store_b32 off, v28, off offset:48 ; 4-byte Folded Spill
	v_add_nc_u32_e32 v28, 0xc60, v26
	v_lshlrev_b32_e32 v21, 7, v39
	v_lshl_add_u32 v22, v39, 2, v22
	v_lshlrev_b32_e32 v23, 2, v23
	s_and_not1_b32 s11, s11, 31
	scratch_store_b32 off, v28, off offset:52 ; 4-byte Folded Spill
	v_add_nc_u32_e32 v28, 0x1080, v26
	s_clause 0x1
	scratch_store_b32 off, v28, off offset:56
	scratch_store_b32 off, v27, off offset:40
	v_add_nc_u32_e32 v27, s14, v27
	v_add_nc_u32_e32 v28, 0x14a0, v26
	v_lshl_or_b32 v20, v20, 2, v21
	v_mul_lo_u32 v30, s5, v22
	v_and_b32_e32 v19, 28, v19
	scratch_store_b32 off, v27, off offset:60 ; 4-byte Folded Spill
	v_add_nc_u32_e32 v27, s14, v27
	v_min_f64 v[0:1], v[0:1], v[6:7]
	v_min_f64 v[2:3], v[2:3], v[6:7]
	v_add_nc_u32_e32 v29, 0x4200, v20
	v_add_nc_u32_e32 v74, 0x5200, v20
	;; [unrolled: 1-line block ×5, first 2 shown]
	v_lshl_add_u32 v104, v39, 4, 0x7280
	v_cvt_i32_f64_e32 v4, v[4:5]
	v_cvt_i32_f64_e32 v5, v[8:9]
	;; [unrolled: 1-line block ×4, first 2 shown]
	v_lshl_or_b32 v14, v24, 4, v25
	v_mov_b32_e32 v25, 0
	v_cvt_f64_u32_e32 v[12:13], v12
	s_delay_alu instid0(VALU_DEP_3)
	v_dual_mov_b32 v14, 0 :: v_dual_add_nc_u32 v83, 0x7280, v14
	v_mul_lo_u32 v88, s12, v4
	v_mul_lo_u32 v89, s12, v5
	v_add_nc_u32_e32 v4, 64, v40
	v_mul_lo_u32 v93, s12, v11
	v_mul_u32_u24_e32 v11, 0x84, v40
	v_add_nc_u32_e32 v5, 32, v40
	v_min_f64 v[12:13], v[12:13], v[6:7]
	v_min_f64 v[6:7], v[16:17], v[6:7]
	v_add_nc_u32_e32 v16, 0x18c0, v26
	scratch_store_b32 off, v28, off offset:68 ; 4-byte Folded Spill
	v_add_nc_u32_e32 v17, 0x2100, v26
	v_mul_lo_u32 v90, s12, v8
	v_and_b32_e32 v4, 0x1fc, v4
	scratch_store_b32 off, v16, off offset:72 ; 4-byte Folded Spill
	v_add_nc_u32_e32 v16, 0x1ce0, v26
	s_clause 0x2
	scratch_store_b32 off, v16, off offset:76
	scratch_store_b32 off, v27, off offset:64
	;; [unrolled: 1-line block ×3, first 2 shown]
	v_add_nc_u32_e32 v17, 0x2520, v26
	v_add_nc_u32_e32 v16, s14, v27
	v_and_b32_e32 v8, 0x1fc, v5
	v_lshrrev_b32_e32 v5, 3, v5
	scratch_store_b32 off, v17, off offset:88 ; 4-byte Folded Spill
	v_add_nc_u32_e32 v17, 0x2940, v26
	scratch_store_b32 off, v17, off offset:92 ; 4-byte Folded Spill
	v_add_nc_u32_e32 v17, 0x2d60, v26
	s_clause 0x1
	scratch_store_b32 off, v17, off offset:96
	scratch_store_b32 off, v16, off offset:80
	v_add_nc_u32_e32 v17, 0x3180, v26
	v_add_nc_u32_e32 v16, s14, v16
	scratch_store_b32 off, v17, off offset:104 ; 4-byte Folded Spill
	v_add_nc_u32_e32 v17, 0x35a0, v26
	v_add_nc_u32_e32 v27, s14, v16
	v_cvt_i32_f64_e32 v6, v[6:7]
	v_cvt_i32_f64_e32 v9, v[12:13]
	scratch_store_b32 off, v17, off offset:108 ; 4-byte Folded Spill
	v_add_nc_u32_e32 v17, 0x39c0, v26
	s_clause 0x1
	scratch_store_b32 off, v17, off offset:112
	scratch_store_b32 off, v26, off offset:32
	v_add_nc_u32_e32 v17, 0x3de0, v26
	v_add_nc_u32_e32 v28, s14, v27
	s_clause 0x4
	scratch_store_b32 off, v17, off offset:116
	scratch_store_b32 off, v16, off offset:100
	;; [unrolled: 1-line block ×3, first 2 shown]
	scratch_store_b32 off, v29, off
	scratch_store_b32 off, v28, off offset:128
	v_add_nc_u32_e32 v29, 0x4600, v20
	v_add_nc_u32_e32 v28, s14, v28
	v_and_b32_e32 v16, 0x7fc, v22
	v_lshlrev_b32_e32 v17, 5, v22
	v_add_nc_u32_e32 v26, 32, v22
	s_clause 0x1
	scratch_store_b32 off, v29, off offset:4
	scratch_store_b32 off, v30, off offset:124
	v_add_nc_u32_e32 v29, 0x4a00, v20
	v_add_nc_u32_e32 v31, s14, v28
	;; [unrolled: 1-line block ×4, first 2 shown]
	v_add3_u32 v10, v16, v23, 0x6200
	scratch_store_b32 off, v29, off offset:8 ; 4-byte Folded Spill
	v_add_nc_u32_e32 v29, 0x4e00, v20
	v_lshlrev_b32_e32 v7, 5, v26
	v_lshlrev_b32_e32 v13, 5, v22
	;; [unrolled: 1-line block ×3, first 2 shown]
	scratch_store_b32 off, v29, off offset:12 ; 4-byte Folded Spill
	v_cvt_i32_f64_e32 v29, v[2:3]
	v_add_nc_u32_e32 v3, s14, v31
	v_and_b32_e32 v2, 0xffc, v22
	v_mul_lo_u32 v95, s12, v6
	v_lshlrev_b32_e32 v6, 5, v40
	v_mul_lo_u32 v91, s12, v9
	v_add_nc_u32_e32 v16, s14, v3
	scratch_store_b32 off, v28, off offset:132 ; 4-byte Folded Spill
	v_cvt_i32_f64_e32 v28, v[0:1]
	v_and_b32_e32 v0, 0xffc, v26
	v_and_b32_e32 v1, 0xffc, v27
	v_add3_u32 v22, v2, v23, 0x6200
	v_add_nc_u32_e32 v2, s11, v30
	scratch_store_b32 off, v3, off offset:140 ; 4-byte Folded Spill
	v_or_b32_e32 v3, s7, v24
	v_add3_u32 v15, v0, v23, 0x6200
	v_add_nc_u32_e32 v0, s14, v16
	s_clause 0x1
	scratch_store_b32 off, v2, off offset:152
	scratch_store_b32 off, v31, off offset:136
	v_add_nc_u32_e32 v24, s11, v2
	scratch_store_b32 off, v16, off offset:144 ; 4-byte Folded Spill
	v_add3_u32 v16, v1, v23, 0x6200
	v_add_nc_u32_e32 v23, s14, v0
	scratch_store_b32 off, v0, off offset:148 ; 4-byte Folded Spill
	v_mov_b32_e32 v30, 0
	v_add_co_u32 v0, s15, s2, v19
	scratch_store_b32 off, v23, off offset:156 ; 4-byte Folded Spill
	v_min_i32_e32 v19, s13, v3
	v_add_nc_u32_e32 v23, s14, v23
	scratch_store_b32 off, v24, off offset:160 ; 4-byte Folded Spill
	v_add_nc_u32_e32 v4, v6, v4
	v_and_b32_e32 v9, 0xfc, v40
	v_mad_u64_u32 v[2:3], null, v19, s12, v[18:19]
	v_add_nc_u32_e32 v3, s11, v24
	s_clause 0x1
	scratch_store_b32 off, v3, off offset:168
	scratch_store_b32 off, v23, off offset:164
	v_add_nc_u32_e32 v3, s14, v23
	scratch_store_b32 off, v5, off offset:212 ; 4-byte Folded Spill
	v_add_nc_u32_e32 v8, v6, v8
	scratch_store_b32 off, v39, off offset:236 ; 4-byte Folded Spill
	v_mul_lo_u32 v87, s12, v29
	scratch_store_b32 off, v3, off offset:172 ; 4-byte Folded Spill
	v_add_nc_u32_e32 v3, 0x60, v40
	v_mul_lo_u32 v86, s12, v28
	v_add_co_ci_u32_e64 v1, null, s3, 0, s15
	v_mov_b32_e32 v31, 0
	s_delay_alu instid0(VALU_DEP_4) | instskip(SKIP_3) | instid1(VALU_DEP_4)
	v_and_b32_e32 v3, 0x1fc, v3
	v_mov_b32_e32 v27, 0
	v_mov_b32_e32 v19, 0
	v_dual_mov_b32 v29, 0 :: v_dual_mov_b32 v24, 0
	v_add_nc_u32_e32 v3, v6, v3
	v_add_nc_u32_e32 v6, v6, v9
	v_mov_b32_e32 v18, 0
	v_dual_mov_b32 v28, 0 :: v_dual_mov_b32 v23, 0
	s_delay_alu instid0(VALU_DEP_4)
	v_add_nc_u32_e32 v5, 0x6e00, v3
	scratch_store_b32 off, v11, off offset:176 ; 4-byte Folded Spill
	v_add_nc_u32_e32 v3, 0x6e10, v3
	v_mov_b32_e32 v11, 0
	v_mov_b32_e32 v9, 0
	scratch_store_b32 off, v5, off offset:180 ; 4-byte Folded Spill
	v_add_nc_u32_e32 v5, 0x6a00, v4
	scratch_store_b32 off, v3, off offset:216 ; 4-byte Folded Spill
	v_add_nc_u32_e32 v3, 0x6a10, v4
	s_mov_b32 s11, 0
	scratch_store_b32 off, v5, off offset:184 ; 4-byte Folded Spill
	v_add_nc_u32_e32 v5, 0x6600, v8
	scratch_store_b32 off, v3, off offset:220 ; 4-byte Folded Spill
	v_dual_mov_b32 v8, 0 :: v_dual_add_nc_u32 v3, 0x6610, v8
	scratch_store_b32 off, v5, off offset:188 ; 4-byte Folded Spill
	v_add_nc_u32_e32 v5, 0x6200, v6
	scratch_store_b32 off, v3, off offset:224 ; 4-byte Folded Spill
	v_dual_mov_b32 v6, 0 :: v_dual_add_nc_u32 v3, 0x6210, v6
	s_clause 0x2
	scratch_store_b32 off, v5, off offset:192
	scratch_store_b32 off, v3, off offset:228
	;; [unrolled: 1-line block ×3, first 2 shown]
	v_mad_u32_u24 v3, 0x84, v40, 64
	v_mov_b32_e32 v5, 0
	scratch_store_b32 off, v3, off offset:232 ; 4-byte Folded Spill
	v_dual_mov_b32 v10, 0 :: v_dual_add_nc_u32 v3, v10, v17
	v_mov_b32_e32 v17, 0
	scratch_store_b32 off, v3, off offset:196 ; 4-byte Folded Spill
	v_add_nc_u32_e32 v3, v15, v7
	v_mov_b32_e32 v15, 0
	v_mov_b32_e32 v7, 0
	scratch_store_b32 off, v3, off offset:200 ; 4-byte Folded Spill
	v_dual_mov_b32 v16, 0 :: v_dual_add_nc_u32 v3, v16, v12
	v_dual_mov_b32 v12, 0 :: v_dual_add_nc_u32 v103, 0x4200, v21
	scratch_store_b32 off, v3, off offset:204 ; 4-byte Folded Spill
	v_dual_mov_b32 v22, 0 :: v_dual_add_nc_u32 v3, v22, v13
	v_mov_b32_e32 v13, 0
	scratch_store_b32 off, v3, off offset:208 ; 4-byte Folded Spill
	s_branch .LBB117_6
.LBB117_5:                              ;   in Loop: Header=BB117_6 Depth=1
	s_add_i32 s11, s11, 8
	s_delay_alu instid0(SALU_CYCLE_1)
	s_cmp_ge_i32 s11, s5
	s_cbranch_scc1 .LBB117_12
.LBB117_6:                              ; =>This Loop Header: Depth=1
                                        ;     Child Loop BB117_7 Depth 2
                                        ;     Child Loop BB117_10 Depth 2
	s_clause 0x1
	scratch_load_b32 v20, off, off offset:16
	scratch_load_b32 v26, off, off offset:36
	s_mul_i32 s12, s11, 18
	s_mul_hi_u32 s13, s11, 18
	s_add_u32 s12, s0, s12
	s_addc_u32 s13, s1, s13
	v_dual_mov_b32 v115, v104 :: v_dual_add_nc_u32 v114, s11, v2
	v_mov_b32_e32 v116, v103
	s_waitcnt vmcnt(1)
	v_mad_u64_u32 v[3:4], null, v20, 18, s[12:13]
	scratch_load_b32 v20, off, off offset:28 ; 4-byte Folded Reload
	s_waitcnt vmcnt(0)
	v_add_co_u32 v3, vcc_lo, v3, v20
	v_add_co_ci_u32_e32 v4, vcc_lo, 0, v4, vcc_lo
	s_delay_alu instid0(VALU_DEP_2) | instskip(NEXT) | instid1(VALU_DEP_2)
	v_add_co_u32 v3, vcc_lo, v3, 2
	v_add_co_ci_u32_e32 v4, vcc_lo, 0, v4, vcc_lo
	s_delay_alu instid0(VALU_DEP_1)
	v_mad_u64_u32 v[20:21], null, v26, 18, v[3:4]
	scratch_load_b32 v26, off, off offset:40 ; 4-byte Folded Reload
	s_waitcnt vmcnt(0)
	v_mad_u64_u32 v[48:49], null, v26, 18, v[3:4]
	scratch_load_b32 v26, off, off offset:60 ; 4-byte Folded Reload
	s_waitcnt vmcnt(0)
	;; [unrolled: 3-line block ×7, first 2 shown]
	v_mad_u64_u32 v[84:85], null, v26, 18, v[3:4]
	s_clause 0x7
	global_load_b32 v26, v[20:21], off
	global_load_b32 v42, v[48:49], off
	;; [unrolled: 1-line block ×8, first 2 shown]
	scratch_load_b32 v39, off, off offset:132 ; 4-byte Folded Reload
	s_waitcnt vmcnt(0)
	v_mad_u64_u32 v[20:21], null, v39, 18, v[3:4]
	scratch_load_b32 v39, off, off offset:136 ; 4-byte Folded Reload
	s_waitcnt vmcnt(0)
	v_mad_u64_u32 v[48:49], null, v39, 18, v[3:4]
	;; [unrolled: 3-line block ×6, first 2 shown]
	scratch_load_b32 v39, off, off offset:156 ; 4-byte Folded Reload
	s_mov_b32 s12, -4
	s_waitcnt vmcnt(0)
	v_mad_u64_u32 v[64:65], null, v39, 18, v[3:4]
	scratch_load_b32 v39, off, off offset:164 ; 4-byte Folded Reload
	s_waitcnt vmcnt(0)
	v_mad_u64_u32 v[84:85], null, v39, 18, v[3:4]
	scratch_load_b32 v39, off, off offset:172 ; 4-byte Folded Reload
	;; [unrolled: 3-line block ×7, first 2 shown]
	s_clause 0xb
	global_load_b32 v111, v[20:21], off
	global_load_b32 v112, v[48:49], off
	;; [unrolled: 1-line block ×8, first 2 shown]
	global_load_u16 v99, v[3:4], off
	global_load_u16 v100, v[100:101], off
	;; [unrolled: 1-line block ×4, first 2 shown]
	s_waitcnt vmcnt(12)
	v_add_nc_u32_e32 v62, s11, v39
	s_delay_alu instid0(VALU_DEP_1)
	v_add_nc_u32_e32 v20, v62, v86
	v_add_nc_u32_e32 v48, v62, v87
	;; [unrolled: 1-line block ×5, first 2 shown]
	v_mad_i64_i32 v[3:4], null, v20, 36, v[0:1]
	v_add_nc_u32_e32 v63, v62, v91
	v_mad_i64_i32 v[20:21], null, v48, 36, v[0:1]
	v_add_nc_u32_e32 v64, v62, v93
	;; [unrolled: 2-line block ×3, first 2 shown]
	v_mad_i64_i32 v[53:54], null, v57, 36, v[0:1]
	v_mad_i64_i32 v[57:58], null, v59, 36, v[0:1]
	;; [unrolled: 1-line block ×5, first 2 shown]
	v_mad_u64_u32 v[84:85], null, v114, 36, s[2:3]
	s_clause 0x8
	global_load_b32 v3, v[3:4], off offset:4
	global_load_b32 v4, v[20:21], off offset:4
	;; [unrolled: 1-line block ×8, first 2 shown]
	global_load_b32 v57, v[84:85], off
	s_clause 0x5
	scratch_load_b32 v117, off, off offset:176
	scratch_load_b32 v118, off, off offset:192
	;; [unrolled: 1-line block ×6, first 2 shown]
	s_waitcnt vmcnt(18)
	v_cvt_f32_f16_e32 v58, v99
	s_waitcnt vmcnt(17)
	v_cvt_f32_f16_e32 v59, v100
	;; [unrolled: 2-line block ×4, first 2 shown]
	s_waitcnt vmcnt(0)
	ds_store_b32 v39, v26
	scratch_load_b32 v26, off, off offset:44 ; 4-byte Folded Reload
	s_waitcnt vmcnt(0)
	ds_store_b32 v26, v42
	scratch_load_b32 v26, off, off offset:48 ; 4-byte Folded Reload
	;; [unrolled: 3-line block ×19, first 2 shown]
	s_waitcnt vmcnt(0)
	ds_store_b32 v26, v62
	scratch_load_b32 v26, off, off          ; 4-byte Folded Reload
	s_waitcnt vmcnt(0)
	ds_store_b32 v26, v3
	scratch_load_b32 v3, off, off offset:4  ; 4-byte Folded Reload
	s_waitcnt vmcnt(0)
	ds_store_b32 v3, v4
	scratch_load_b32 v3, off, off offset:8  ; 4-byte Folded Reload
	s_waitcnt vmcnt(0)
	ds_store_b32 v3, v20
	scratch_load_b32 v3, off, off offset:12 ; 4-byte Folded Reload
	s_waitcnt vmcnt(0)
	ds_store_b32 v3, v21
	ds_store_b32 v74, v48
	;; [unrolled: 1-line block ×6, first 2 shown]
	s_waitcnt lgkmcnt(0)
	s_waitcnt_vscnt null, 0x0
	s_barrier
	buffer_gl0_inv
.LBB117_7:                              ;   Parent Loop BB117_6 Depth=1
                                        ; =>  This Inner Loop Header: Depth=2
	ds_load_b128 v[57:60], v116
	ds_load_b128 v[62:65], v116 offset:16
	ds_load_2addr_b32 v[3:4], v115 offset1:32
	s_add_i32 s12, s12, 4
	s_delay_alu instid0(SALU_CYCLE_1)
	s_cmp_lt_u32 s12, 12
	s_waitcnt lgkmcnt(2)
	v_bfe_i32 v26, v57, 0, 8
	s_waitcnt lgkmcnt(1)
	v_bfe_i32 v49, v62, 0, 8
	s_waitcnt lgkmcnt(0)
	v_lshrrev_b32_e32 v20, 16, v3
	v_bfe_i32 v55, v58, 0, 8
	v_bfe_i32 v84, v63, 0, 8
	;; [unrolled: 1-line block ×4, first 2 shown]
	v_cvt_f32_f16_e32 v20, v20
	v_bfe_i32 v46, v57, 16, 8
	v_ashrrev_i32_e32 v48, 24, v57
	v_bfe_i32 v102, v64, 0, 8
	v_bfe_i32 v107, v60, 0, 8
	v_mul_f32_e32 v254, 0x41000000, v20
	ds_load_b32 v197, v118
	ds_load_2addr_b32 v[20:21], v117 offset1:1
	v_bfe_i32 v50, v62, 8, 8
	v_bfe_i32 v53, v62, 16, 8
	v_ashrrev_i32_e32 v54, 24, v62
	v_bfe_i32 v57, v58, 8, 8
	v_bfe_i32 v62, v58, 16, 8
	v_ashrrev_i32_e32 v58, 24, v58
	v_bfe_i32 v85, v63, 8, 8
	v_bfe_i32 v110, v65, 0, 8
	;; [unrolled: 1-line block ×3, first 2 shown]
	v_ashrrev_i32_e32 v63, 24, v63
	v_bfe_i32 v100, v59, 8, 8
	v_bfe_i32 v101, v59, 16, 8
	v_ashrrev_i32_e32 v59, 24, v59
	v_bfe_i32 v105, v64, 8, 8
	v_bfe_i32 v106, v64, 16, 8
	;; [unrolled: 3-line block ×3, first 2 shown]
	v_ashrrev_i32_e32 v60, 24, v60
	s_waitcnt lgkmcnt(0)
	v_and_b32_e32 v231, 15, v21
	v_bfe_u32 v223, v20, 20, 4
	v_and_b32_e32 v224, 15, v20
	v_bfe_u32 v225, v20, 8, 4
	v_bfe_u32 v227, v20, 16, 4
	;; [unrolled: 1-line block ×5, first 2 shown]
	v_lshrrev_b32_e32 v230, 28, v20
	v_bfe_u32 v226, v21, 20, 4
	v_bfe_u32 v232, v21, 8, 4
	;; [unrolled: 1-line block ×6, first 2 shown]
	v_lshrrev_b32_e32 v238, 28, v21
	ds_load_2addr_b32 v[20:21], v117 offset0:2 offset1:3
	v_mul_i32_i24_e32 v122, v224, v26
	v_mul_i32_i24_e32 v129, v231, v55
	;; [unrolled: 1-line block ×5, first 2 shown]
	v_mad_i32_i24 v122, v222, v49, v122
	v_mul_i32_i24_e32 v125, v228, v48
	v_mul_i32_i24_e32 v126, v229, v50
	;; [unrolled: 1-line block ×4, first 2 shown]
	v_add3_u32 v122, v122, v129, v133
	v_mul_i32_i24_e32 v130, v232, v57
	v_mul_i32_i24_e32 v131, v233, v62
	;; [unrolled: 1-line block ×6, first 2 shown]
	v_bfe_i32 v111, v65, 8, 8
	v_bfe_i32 v112, v65, 16, 8
	s_waitcnt lgkmcnt(0)
	v_and_b32_e32 v239, 15, v20
	v_bfe_u32 v244, v20, 4, 4
	v_and_b32_e32 v247, 15, v21
	v_bfe_u32 v251, v21, 4, 4
	v_bfe_u32 v240, v20, 8, 4
	v_mul_i32_i24_e32 v137, v239, v99
	v_mul_i32_i24_e32 v141, v244, v102
	;; [unrolled: 1-line block ×4, first 2 shown]
	v_bfe_u32 v242, v20, 16, 4
	v_add3_u32 v122, v122, v137, v123
	v_mul_i32_i24_e32 v138, v240, v100
	v_bfe_u32 v243, v20, 24, 4
	v_bfe_u32 v245, v20, 12, 4
	v_mul_i32_i24_e32 v139, v242, v101
	v_add3_u32 v122, v122, v124, v125
	v_bfe_u32 v234, v20, 20, 4
	v_mul_i32_i24_e32 v140, v243, v59
	v_mul_i32_i24_e32 v142, v245, v105
	v_lshrrev_b32_e32 v246, 28, v20
	v_add3_u32 v122, v122, v141, v144
	v_mul_i32_i24_e32 v143, v234, v106
	v_bfe_u32 v248, v21, 8, 4
	v_bfe_u32 v249, v21, 16, 4
	v_mul_i32_i24_e32 v20, v246, v64
	v_add3_u32 v122, v122, v126, v127
	v_bfe_u32 v250, v21, 24, 4
	v_mul_i32_i24_e32 v145, v248, v108
	v_mul_i32_i24_e32 v146, v249, v109
	v_bfe_u32 v252, v21, 12, 4
	v_add3_u32 v122, v122, v128, v130
	v_ashrrev_i32_e32 v65, 24, v65
	v_bfe_u32 v241, v21, 20, 4
	v_mul_i32_i24_e32 v147, v250, v60
	v_mul_i32_i24_e32 v149, v252, v111
	v_add3_u32 v122, v122, v131, v132
	v_lshrrev_b32_e32 v253, 28, v21
	v_mul_i32_i24_e32 v150, v241, v112
	v_add_nc_u32_e32 v118, 4, v118
	s_delay_alu instid0(VALU_DEP_4) | instskip(NEXT) | instid1(VALU_DEP_4)
	v_add3_u32 v122, v122, v148, v134
	v_mul_i32_i24_e32 v21, v253, v65
	s_delay_alu instid0(VALU_DEP_2) | instskip(NEXT) | instid1(VALU_DEP_1)
	v_add3_u32 v122, v122, v135, v136
	v_add3_u32 v122, v122, v138, v139
	s_delay_alu instid0(VALU_DEP_1) | instskip(NEXT) | instid1(VALU_DEP_1)
	v_add3_u32 v122, v122, v140, v142
	v_add3_u32 v20, v122, v143, v20
	s_delay_alu instid0(VALU_DEP_1) | instskip(NEXT) | instid1(VALU_DEP_1)
	;; [unrolled: 3-line block ×3, first 2 shown]
	v_add3_u32 v20, v20, v150, v21
	v_cvt_f32_i32_e32 v20, v20
	s_delay_alu instid0(VALU_DEP_1) | instskip(NEXT) | instid1(VALU_DEP_1)
	v_fma_mix_f32 v20, v3, v20, -v254 op_sel_hi:[1,0,0]
	v_fmac_f32_e32 v32, v197, v20
	v_add_nc_u32_e32 v20, 0x1080, v117
	ds_load_b32 v188, v119
	ds_load_2addr_b32 v[20:21], v20 offset1:1
	v_add_nc_u32_e32 v119, 4, v119
	s_waitcnt lgkmcnt(0)
	v_bfe_u32 v190, v20, 20, 4
	v_and_b32_e32 v191, 15, v20
	v_bfe_u32 v192, v20, 8, 4
	v_bfe_u32 v194, v20, 16, 4
	;; [unrolled: 1-line block ×5, first 2 shown]
	v_lshrrev_b32_e32 v198, 28, v20
	v_add_nc_u32_e32 v20, 0x1088, v117
	v_bfe_u32 v193, v21, 20, 4
	v_and_b32_e32 v199, 15, v21
	v_bfe_u32 v200, v21, 8, 4
	v_bfe_u32 v201, v21, 16, 4
	;; [unrolled: 1-line block ×5, first 2 shown]
	v_lshrrev_b32_e32 v206, 28, v21
	ds_load_2addr_b32 v[20:21], v20 offset1:1
	v_mul_i32_i24_e32 v122, v191, v26
	v_mul_i32_i24_e32 v129, v199, v55
	;; [unrolled: 1-line block ×5, first 2 shown]
	v_mad_i32_i24 v122, v189, v49, v122
	v_mul_i32_i24_e32 v125, v195, v48
	v_mul_i32_i24_e32 v126, v196, v50
	v_mul_i32_i24_e32 v127, v190, v53
	v_mul_i32_i24_e32 v128, v198, v54
	v_add3_u32 v122, v122, v129, v133
	v_mul_i32_i24_e32 v130, v200, v57
	v_mul_i32_i24_e32 v131, v201, v62
	;; [unrolled: 1-line block ×6, first 2 shown]
	s_waitcnt lgkmcnt(0)
	v_and_b32_e32 v207, 15, v20
	v_bfe_u32 v212, v20, 4, 4
	v_and_b32_e32 v215, 15, v21
	v_bfe_u32 v219, v21, 4, 4
	v_bfe_u32 v208, v20, 8, 4
	v_mul_i32_i24_e32 v137, v207, v99
	v_mul_i32_i24_e32 v141, v212, v102
	;; [unrolled: 1-line block ×4, first 2 shown]
	v_bfe_u32 v210, v20, 16, 4
	v_add3_u32 v122, v122, v137, v123
	v_mul_i32_i24_e32 v138, v208, v100
	v_bfe_u32 v211, v20, 24, 4
	v_bfe_u32 v213, v20, 12, 4
	v_mul_i32_i24_e32 v139, v210, v101
	v_add3_u32 v122, v122, v124, v125
	v_bfe_u32 v203, v20, 20, 4
	v_mul_i32_i24_e32 v140, v211, v59
	v_mul_i32_i24_e32 v142, v213, v105
	v_lshrrev_b32_e32 v214, 28, v20
	v_add3_u32 v122, v122, v141, v144
	v_mul_i32_i24_e32 v143, v203, v106
	v_bfe_u32 v216, v21, 8, 4
	v_bfe_u32 v217, v21, 16, 4
	v_mul_i32_i24_e32 v20, v214, v64
	v_add3_u32 v122, v122, v126, v127
	v_bfe_u32 v218, v21, 24, 4
	v_mul_i32_i24_e32 v145, v216, v108
	v_mul_i32_i24_e32 v146, v217, v109
	v_bfe_u32 v220, v21, 12, 4
	v_add3_u32 v122, v122, v128, v130
	v_bfe_u32 v209, v21, 20, 4
	v_mul_i32_i24_e32 v147, v218, v60
	v_lshrrev_b32_e32 v221, 28, v21
	v_mul_i32_i24_e32 v149, v220, v111
	v_add3_u32 v122, v122, v131, v132
	v_mul_i32_i24_e32 v150, v209, v112
	s_delay_alu instid0(VALU_DEP_4) | instskip(NEXT) | instid1(VALU_DEP_3)
	v_mul_i32_i24_e32 v21, v221, v65
	v_add3_u32 v122, v122, v148, v134
	s_delay_alu instid0(VALU_DEP_1) | instskip(NEXT) | instid1(VALU_DEP_1)
	v_add3_u32 v122, v122, v135, v136
	v_add3_u32 v122, v122, v138, v139
	s_delay_alu instid0(VALU_DEP_1) | instskip(NEXT) | instid1(VALU_DEP_1)
	v_add3_u32 v122, v122, v140, v142
	;; [unrolled: 3-line block ×4, first 2 shown]
	v_cvt_f32_i32_e32 v20, v20
	s_delay_alu instid0(VALU_DEP_1) | instskip(NEXT) | instid1(VALU_DEP_1)
	v_fma_mix_f32 v20, v3, v20, -v254 op_sel_hi:[1,0,0]
	v_dual_fmac_f32 v47, v188, v20 :: v_dual_add_nc_u32 v20, 0x2100, v117
	ds_load_b32 v155, v120
	ds_load_2addr_b32 v[20:21], v20 offset1:1
	v_add_nc_u32_e32 v120, 4, v120
	s_waitcnt lgkmcnt(0)
	v_bfe_u32 v157, v20, 20, 4
	v_and_b32_e32 v158, 15, v20
	v_bfe_u32 v159, v20, 8, 4
	v_bfe_u32 v161, v20, 16, 4
	;; [unrolled: 1-line block ×5, first 2 shown]
	v_lshrrev_b32_e32 v164, 28, v20
	v_add_nc_u32_e32 v20, 0x2108, v117
	v_bfe_u32 v160, v21, 20, 4
	v_and_b32_e32 v165, 15, v21
	v_bfe_u32 v166, v21, 8, 4
	v_bfe_u32 v167, v21, 16, 4
	v_bfe_u32 v168, v21, 24, 4
	v_bfe_u32 v170, v21, 4, 4
	v_bfe_u32 v171, v21, 12, 4
	v_lshrrev_b32_e32 v172, 28, v21
	ds_load_2addr_b32 v[20:21], v20 offset1:1
	v_mul_i32_i24_e32 v122, v158, v26
	v_mul_i32_i24_e32 v129, v165, v55
	;; [unrolled: 1-line block ×5, first 2 shown]
	v_mad_i32_i24 v122, v156, v49, v122
	v_mul_i32_i24_e32 v125, v162, v48
	v_mul_i32_i24_e32 v126, v163, v50
	;; [unrolled: 1-line block ×4, first 2 shown]
	v_add3_u32 v122, v122, v129, v133
	v_mul_i32_i24_e32 v130, v166, v57
	v_mul_i32_i24_e32 v131, v167, v62
	;; [unrolled: 1-line block ×6, first 2 shown]
	s_waitcnt lgkmcnt(0)
	v_and_b32_e32 v173, 15, v20
	v_bfe_u32 v178, v20, 4, 4
	v_and_b32_e32 v181, 15, v21
	v_bfe_u32 v185, v21, 4, 4
	v_bfe_u32 v174, v20, 8, 4
	v_mul_i32_i24_e32 v137, v173, v99
	v_mul_i32_i24_e32 v141, v178, v102
	;; [unrolled: 1-line block ×4, first 2 shown]
	v_bfe_u32 v176, v20, 16, 4
	v_add3_u32 v122, v122, v137, v123
	v_mul_i32_i24_e32 v138, v174, v100
	v_bfe_u32 v177, v20, 24, 4
	v_bfe_u32 v179, v20, 12, 4
	v_mul_i32_i24_e32 v139, v176, v101
	v_add3_u32 v122, v122, v124, v125
	v_bfe_u32 v169, v20, 20, 4
	v_mul_i32_i24_e32 v140, v177, v59
	v_mul_i32_i24_e32 v142, v179, v105
	v_lshrrev_b32_e32 v180, 28, v20
	v_add3_u32 v122, v122, v141, v144
	v_mul_i32_i24_e32 v143, v169, v106
	v_bfe_u32 v182, v21, 8, 4
	v_bfe_u32 v183, v21, 16, 4
	v_mul_i32_i24_e32 v20, v180, v64
	v_add3_u32 v122, v122, v126, v127
	v_bfe_u32 v184, v21, 24, 4
	v_mul_i32_i24_e32 v145, v182, v108
	v_mul_i32_i24_e32 v146, v183, v109
	v_bfe_u32 v186, v21, 12, 4
	v_add3_u32 v122, v122, v128, v130
	v_bfe_u32 v175, v21, 20, 4
	v_mul_i32_i24_e32 v147, v184, v60
	v_lshrrev_b32_e32 v187, 28, v21
	v_mul_i32_i24_e32 v149, v186, v111
	v_add3_u32 v122, v122, v131, v132
	v_mul_i32_i24_e32 v150, v175, v112
	s_delay_alu instid0(VALU_DEP_4) | instskip(NEXT) | instid1(VALU_DEP_3)
	v_mul_i32_i24_e32 v21, v187, v65
	v_add3_u32 v122, v122, v148, v134
	s_delay_alu instid0(VALU_DEP_1) | instskip(NEXT) | instid1(VALU_DEP_1)
	v_add3_u32 v122, v122, v135, v136
	v_add3_u32 v122, v122, v138, v139
	s_delay_alu instid0(VALU_DEP_1) | instskip(NEXT) | instid1(VALU_DEP_1)
	v_add3_u32 v122, v122, v140, v142
	;; [unrolled: 3-line block ×4, first 2 shown]
	v_cvt_f32_i32_e32 v20, v20
	s_delay_alu instid0(VALU_DEP_1) | instskip(NEXT) | instid1(VALU_DEP_1)
	v_fma_mix_f32 v20, v3, v20, -v254 op_sel_hi:[1,0,0]
	v_fmac_f32_e32 v38, v155, v20
	v_add_nc_u32_e32 v20, 0x3180, v117
	ds_load_b32 v122, v121
	ds_load_2addr_b32 v[20:21], v20 offset1:1
	v_add_nc_u32_e32 v121, 4, v121
	s_waitcnt lgkmcnt(0)
	v_bfe_u32 v124, v20, 20, 4
	v_and_b32_e32 v125, 15, v20
	v_bfe_u32 v126, v20, 8, 4
	v_bfe_u32 v128, v20, 16, 4
	;; [unrolled: 1-line block ×5, first 2 shown]
	v_lshrrev_b32_e32 v131, 28, v20
	v_add_nc_u32_e32 v20, 0x3188, v117
	v_bfe_u32 v127, v21, 20, 4
	v_and_b32_e32 v132, 15, v21
	v_bfe_u32 v133, v21, 8, 4
	v_bfe_u32 v134, v21, 16, 4
	;; [unrolled: 1-line block ×5, first 2 shown]
	v_lshrrev_b32_e32 v139, 28, v21
	ds_load_2addr_b32 v[20:21], v20 offset1:1
	v_mul_i32_i24_e32 v26, v125, v26
	v_mul_i32_i24_e32 v55, v132, v55
	;; [unrolled: 1-line block ×5, first 2 shown]
	v_mad_i32_i24 v26, v123, v49, v26
	v_mul_i32_i24_e32 v48, v129, v48
	v_mul_i32_i24_e32 v50, v130, v50
	;; [unrolled: 1-line block ×4, first 2 shown]
	v_add3_u32 v26, v26, v55, v84
	v_mul_i32_i24_e32 v57, v133, v57
	v_mul_i32_i24_e32 v62, v134, v62
	;; [unrolled: 1-line block ×6, first 2 shown]
	v_add_nc_u32_e32 v117, 16, v117
	s_waitcnt lgkmcnt(0)
	v_and_b32_e32 v140, 15, v20
	v_bfe_u32 v145, v20, 4, 4
	v_lshrrev_b32_e32 v147, 28, v20
	v_and_b32_e32 v148, 15, v21
	v_bfe_u32 v136, v20, 20, 4
	v_mul_i32_i24_e32 v99, v140, v99
	v_bfe_u32 v141, v20, 8, 4
	v_bfe_u32 v143, v20, 16, 4
	;; [unrolled: 1-line block ×3, first 2 shown]
	v_mul_i32_i24_e32 v102, v145, v102
	v_add3_u32 v26, v26, v99, v42
	v_bfe_u32 v146, v20, 12, 4
	v_mul_i32_i24_e32 v20, v147, v64
	v_mul_i32_i24_e32 v64, v148, v107
	v_bfe_u32 v149, v21, 8, 4
	v_add3_u32 v26, v26, v46, v48
	v_bfe_u32 v150, v21, 16, 4
	v_bfe_u32 v152, v21, 4, 4
	v_mul_i32_i24_e32 v100, v141, v100
	v_mul_i32_i24_e32 v107, v149, v108
	v_add3_u32 v26, v26, v102, v64
	v_mul_i32_i24_e32 v108, v150, v109
	v_mul_i32_i24_e32 v109, v152, v110
	;; [unrolled: 1-line block ×4, first 2 shown]
	v_add3_u32 v26, v26, v50, v53
	v_mul_i32_i24_e32 v105, v146, v105
	v_mul_i32_i24_e32 v106, v136, v106
	v_bfe_u32 v151, v21, 24, 4
	v_bfe_u32 v153, v21, 12, 4
	v_add3_u32 v26, v26, v54, v57
	v_bfe_u32 v142, v21, 20, 4
	v_lshrrev_b32_e32 v154, 28, v21
	v_mul_i32_i24_e32 v60, v151, v60
	v_mul_i32_i24_e32 v110, v153, v111
	v_add3_u32 v26, v26, v62, v58
	v_mul_i32_i24_e32 v111, v142, v112
	v_mul_i32_i24_e32 v21, v154, v65
	s_delay_alu instid0(VALU_DEP_3) | instskip(NEXT) | instid1(VALU_DEP_1)
	v_add3_u32 v26, v26, v109, v85
	v_add3_u32 v26, v26, v98, v63
	s_delay_alu instid0(VALU_DEP_1) | instskip(NEXT) | instid1(VALU_DEP_1)
	v_add3_u32 v26, v26, v100, v101
	v_add3_u32 v26, v26, v59, v105
	s_delay_alu instid0(VALU_DEP_1) | instskip(NEXT) | instid1(VALU_DEP_1)
	v_add3_u32 v20, v26, v106, v20
	v_add3_u32 v20, v20, v107, v108
	s_delay_alu instid0(VALU_DEP_1) | instskip(SKIP_4) | instid1(VALU_DEP_2)
	v_add3_u32 v20, v20, v60, v110
	ds_load_b128 v[57:60], v116 offset:1024
	ds_load_b128 v[62:65], v116 offset:1040
	v_lshrrev_b32_e32 v110, 16, v4
	v_add3_u32 v20, v20, v111, v21
	v_cvt_f32_f16_e32 v110, v110
	s_delay_alu instid0(VALU_DEP_2) | instskip(NEXT) | instid1(VALU_DEP_2)
	v_cvt_f32_i32_e32 v20, v20
	v_mul_f32_e32 v110, 0x41000000, v110
	s_delay_alu instid0(VALU_DEP_2) | instskip(NEXT) | instid1(VALU_DEP_1)
	v_fma_mix_f32 v3, v3, v20, -v254 op_sel_hi:[1,0,0]
	v_fmac_f32_e32 v37, v122, v3
	s_waitcnt lgkmcnt(1)
	v_bfe_i32 v3, v57, 0, 8
	v_bfe_i32 v20, v57, 8, 8
	;; [unrolled: 1-line block ×3, first 2 shown]
	s_waitcnt lgkmcnt(0)
	v_bfe_i32 v42, v62, 0, 8
	v_ashrrev_i32_e32 v26, 24, v57
	v_mul_i32_i24_e32 v111, v3, v224
	v_bfe_i32 v50, v58, 0, 8
	v_mul_i32_i24_e32 v112, v20, v225
	v_mul_i32_i24_e32 v254, v21, v227
	v_bfe_i32 v46, v62, 8, 8
	v_mad_i32_i24 v111, v42, v222, v111
	v_bfe_i32 v48, v62, 16, 8
	v_mul_i32_i24_e32 v255, v26, v228
	v_mul_i32_i24_e32 v40, v50, v231
	v_ashrrev_i32_e32 v49, 24, v62
	v_add3_u32 v111, v111, v112, v254
	v_bfe_i32 v57, v63, 0, 8
	v_mul_i32_i24_e32 v113, v46, v229
	v_mul_i32_i24_e32 v97, v48, v223
	v_bfe_i32 v53, v58, 8, 8
	v_add3_u32 v40, v111, v255, v40
	v_bfe_i32 v54, v58, 16, 8
	v_mul_i32_i24_e32 v39, v49, v230
	v_mul_i32_i24_e32 v51, v57, v236
	v_ashrrev_i32_e32 v55, 24, v58
	v_add3_u32 v40, v40, v113, v97
	v_bfe_i32 v84, v59, 0, 8
	v_mul_i32_i24_e32 v41, v53, v232
	v_mul_i32_i24_e32 v44, v54, v233
	v_bfe_i32 v58, v63, 8, 8
	v_add3_u32 v39, v40, v39, v51
	;; [unrolled: 10-line block ×6, first 2 shown]
	v_ashrrev_i32_e32 v65, 24, v65
	v_mul_i32_i24_e32 v82, v60, v250
	v_mul_i32_i24_e32 v69, v108, v252
	v_mul_i32_i24_e32 v71, v109, v241
	v_add3_u32 v39, v39, v80, v81
	v_mul_i32_i24_e32 v72, v65, v253
	v_mul_i32_i24_e32 v40, v20, v192
	v_mul_i32_i24_e32 v41, v21, v194
	v_mul_i32_i24_e32 v43, v26, v195
	v_add3_u32 v39, v39, v82, v69
	v_mul_i32_i24_e32 v52, v50, v199
	;; [unrolled: 5-line block ×3, first 2 shown]
	v_mul_i32_i24_e32 v56, v53, v200
	v_mul_i32_i24_e32 v61, v54, v201
	;; [unrolled: 1-line block ×3, first 2 shown]
	v_cvt_f32_i32_e32 v39, v39
	v_mul_i32_i24_e32 v71, v84, v207
	v_mul_i32_i24_e32 v68, v58, v205
	;; [unrolled: 1-line block ×4, first 2 shown]
	v_fma_mix_f32 v39, v4, v39, -v110 op_sel_hi:[1,0,0]
	v_mul_i32_i24_e32 v77, v99, v212
	v_mul_i32_i24_e32 v72, v85, v208
	;; [unrolled: 1-line block ×4, first 2 shown]
	v_fmac_f32_e32 v36, v197, v39
	v_mul_i32_i24_e32 v39, v3, v191
	v_mul_i32_i24_e32 v81, v102, v215
	;; [unrolled: 1-line block ×5, first 2 shown]
	v_mad_i32_i24 v39, v42, v189, v39
	v_mul_i32_i24_e32 v112, v107, v219
	v_mul_i32_i24_e32 v82, v105, v216
	v_mul_i32_i24_e32 v97, v106, v217
	v_mul_i32_i24_e32 v111, v60, v218
	v_add3_u32 v39, v39, v40, v41
	v_mul_i32_i24_e32 v113, v108, v220
	v_mul_i32_i24_e32 v254, v109, v209
	v_mul_i32_i24_e32 v255, v65, v221
	v_mul_i32_i24_e32 v40, v20, v159
	v_add3_u32 v39, v39, v43, v52
	;; [unrolled: 5-line block ×4, first 2 shown]
	v_mul_i32_i24_e32 v51, v49, v164
	v_mul_i32_i24_e32 v67, v57, v170
	s_delay_alu instid0(VALU_DEP_3) | instskip(SKIP_2) | instid1(VALU_DEP_3)
	v_add3_u32 v39, v39, v56, v61
	v_mul_i32_i24_e32 v56, v53, v166
	v_mul_i32_i24_e32 v61, v54, v167
	v_add3_u32 v39, v39, v66, v71
	v_mul_i32_i24_e32 v66, v55, v168
	v_mul_i32_i24_e32 v71, v84, v173
	s_delay_alu instid0(VALU_DEP_3) | instskip(SKIP_2) | instid1(VALU_DEP_3)
	v_add3_u32 v39, v39, v68, v69
	v_mul_i32_i24_e32 v68, v58, v171
	v_mul_i32_i24_e32 v69, v62, v160
	v_add3_u32 v39, v39, v70, v77
	;; [unrolled: 7-line block ×5, first 2 shown]
	v_mul_i32_i24_e32 v111, v60, v184
	v_mul_i32_i24_e32 v113, v108, v186
	;; [unrolled: 1-line block ×3, first 2 shown]
	s_delay_alu instid0(VALU_DEP_4) | instskip(SKIP_3) | instid1(VALU_DEP_4)
	v_add3_u32 v39, v39, v254, v255
	v_mul_i32_i24_e32 v254, v109, v175
	v_mul_i32_i24_e32 v255, v65, v187
	;; [unrolled: 1-line block ×3, first 2 shown]
	v_cvt_f32_i32_e32 v39, v39
	s_delay_alu instid0(VALU_DEP_1) | instskip(NEXT) | instid1(VALU_DEP_1)
	v_fma_mix_f32 v39, v4, v39, -v110 op_sel_hi:[1,0,0]
	v_fmac_f32_e32 v35, v188, v39
	v_mul_i32_i24_e32 v39, v3, v158
	v_mul_i32_i24_e32 v3, v3, v125
	s_delay_alu instid0(VALU_DEP_2) | instskip(NEXT) | instid1(VALU_DEP_2)
	v_mad_i32_i24 v39, v42, v156, v39
	v_mad_i32_i24 v3, v42, v123, v3
	s_delay_alu instid0(VALU_DEP_2) | instskip(NEXT) | instid1(VALU_DEP_2)
	v_add3_u32 v39, v39, v40, v41
	v_add3_u32 v3, v3, v20, v21
	v_mul_i32_i24_e32 v40, v48, v124
	v_mul_i32_i24_e32 v41, v49, v131
	;; [unrolled: 1-line block ×3, first 2 shown]
	v_add3_u32 v39, v39, v43, v52
	v_mul_i32_i24_e32 v43, v50, v132
	v_mul_i32_i24_e32 v52, v84, v140
	;; [unrolled: 1-line block ×4, first 2 shown]
	v_add3_u32 v39, v39, v44, v45
	v_add3_u32 v3, v3, v26, v43
	v_mul_i32_i24_e32 v44, v53, v133
	v_mul_i32_i24_e32 v45, v54, v134
	v_mul_i32_i24_e32 v53, v85, v141
	v_add3_u32 v39, v39, v51, v67
	v_mul_i32_i24_e32 v51, v63, v139
	v_mul_i32_i24_e32 v54, v98, v143
	v_mul_i32_i24_e32 v57, v100, v146
	v_mul_i32_i24_e32 v58, v101, v136
	v_add3_u32 v39, v39, v56, v61
	v_mul_i32_i24_e32 v56, v99, v145
	;; [unrolled: 5-line block ×3, first 2 shown]
	v_mul_i32_i24_e32 v67, v109, v142
	s_delay_alu instid0(VALU_DEP_3) | instskip(NEXT) | instid1(VALU_DEP_1)
	v_add3_u32 v39, v39, v68, v69
	v_add3_u32 v39, v39, v70, v77
	s_delay_alu instid0(VALU_DEP_1) | instskip(NEXT) | instid1(VALU_DEP_1)
	v_add3_u32 v39, v39, v72, v75
	v_add3_u32 v39, v39, v76, v81
	s_delay_alu instid0(VALU_DEP_1) | instskip(NEXT) | instid1(VALU_DEP_1)
	v_add3_u32 v39, v39, v78, v79
	v_add3_u32 v39, v39, v80, v112
	s_delay_alu instid0(VALU_DEP_1) | instskip(NEXT) | instid1(VALU_DEP_1)
	v_add3_u32 v39, v39, v82, v97
	v_add3_u32 v39, v39, v111, v113
	s_delay_alu instid0(VALU_DEP_1) | instskip(NEXT) | instid1(VALU_DEP_1)
	v_add3_u32 v39, v39, v254, v255
	v_cvt_f32_i32_e32 v39, v39
	s_delay_alu instid0(VALU_DEP_1) | instskip(NEXT) | instid1(VALU_DEP_1)
	v_fma_mix_f32 v39, v4, v39, -v110 op_sel_hi:[1,0,0]
	v_fmac_f32_e32 v34, v155, v39
	v_mul_i32_i24_e32 v39, v46, v130
	v_mul_i32_i24_e32 v46, v55, v135
	v_mul_i32_i24_e32 v55, v59, v144
	v_mul_i32_i24_e32 v59, v64, v147
	v_mul_i32_i24_e32 v64, v107, v152
	v_add3_u32 v3, v3, v39, v40
	s_delay_alu instid0(VALU_DEP_1) | instskip(NEXT) | instid1(VALU_DEP_1)
	v_add3_u32 v3, v3, v41, v48
	v_add3_u32 v3, v3, v44, v45
	s_delay_alu instid0(VALU_DEP_1) | instskip(NEXT) | instid1(VALU_DEP_1)
	v_add3_u32 v3, v3, v46, v52
	;; [unrolled: 3-line block ×6, first 2 shown]
	v_add3_u32 v3, v3, v67, v65
	s_delay_alu instid0(VALU_DEP_1) | instskip(NEXT) | instid1(VALU_DEP_1)
	v_cvt_f32_i32_e32 v3, v3
	v_fma_mix_f32 v3, v4, v3, -v110 op_sel_hi:[1,0,0]
	s_delay_alu instid0(VALU_DEP_1)
	v_fmac_f32_e32 v33, v122, v3
	ds_load_b128 v[57:60], v116 offset:2048
	ds_load_b128 v[62:65], v116 offset:2064
	ds_load_2addr_b32 v[3:4], v115 offset0:64 offset1:96
	s_waitcnt lgkmcnt(2)
	v_bfe_i32 v20, v57, 0, 8
	v_bfe_i32 v21, v57, 8, 8
	;; [unrolled: 1-line block ×3, first 2 shown]
	s_waitcnt lgkmcnt(1)
	v_bfe_i32 v40, v62, 0, 8
	v_ashrrev_i32_e32 v39, 24, v57
	v_mul_i32_i24_e32 v70, v20, v224
	v_bfe_i32 v44, v58, 0, 8
	v_mul_i32_i24_e32 v71, v21, v225
	v_mul_i32_i24_e32 v72, v26, v227
	v_bfe_i32 v41, v62, 8, 8
	v_mad_i32_i24 v70, v40, v222, v70
	v_bfe_i32 v42, v62, 16, 8
	v_mul_i32_i24_e32 v75, v39, v228
	v_mul_i32_i24_e32 v79, v44, v231
	v_ashrrev_i32_e32 v43, 24, v62
	v_add3_u32 v70, v70, v71, v72
	v_bfe_i32 v49, v63, 0, 8
	v_mul_i32_i24_e32 v76, v41, v229
	v_mul_i32_i24_e32 v77, v42, v223
	v_bfe_i32 v45, v58, 8, 8
	v_add3_u32 v70, v70, v75, v79
	v_bfe_i32 v46, v58, 16, 8
	v_mul_i32_i24_e32 v78, v43, v230
	v_mul_i32_i24_e32 v84, v49, v236
	v_ashrrev_i32_e32 v48, 24, v58
	v_add3_u32 v70, v70, v76, v77
	v_bfe_i32 v53, v59, 0, 8
	v_mul_i32_i24_e32 v80, v45, v232
	v_mul_i32_i24_e32 v81, v46, v233
	v_bfe_i32 v50, v63, 8, 8
	v_add3_u32 v70, v70, v78, v84
	;; [unrolled: 10-line block ×6, first 2 shown]
	v_ashrrev_i32_e32 v65, 24, v65
	v_mul_i32_i24_e32 v112, v60, v250
	v_mul_i32_i24_e32 v254, v67, v252
	s_waitcnt lgkmcnt(0)
	v_lshrrev_b32_e32 v69, 16, v3
	v_add3_u32 v70, v70, v110, v111
	v_mul_i32_i24_e32 v255, v68, v241
	v_mul_i32_i24_e32 v73, v65, v253
	;; [unrolled: 1-line block ×3, first 2 shown]
	v_cvt_f32_f16_e32 v69, v69
	v_add3_u32 v70, v70, v112, v254
	v_mul_i32_i24_e32 v72, v26, v194
	v_mul_i32_i24_e32 v78, v44, v199
	;; [unrolled: 1-line block ×3, first 2 shown]
	v_mul_f32_e32 v69, 0x41000000, v69
	v_add3_u32 v70, v70, v255, v73
	v_mul_i32_i24_e32 v73, v39, v195
	v_mul_i32_i24_e32 v76, v42, v190
	;; [unrolled: 1-line block ×4, first 2 shown]
	v_cvt_f32_i32_e32 v70, v70
	v_mul_i32_i24_e32 v79, v45, v200
	v_mul_i32_i24_e32 v80, v46, v201
	;; [unrolled: 1-line block ×4, first 2 shown]
	v_fma_mix_f32 v70, v3, v70, -v69 op_sel_hi:[1,0,0]
	v_mul_i32_i24_e32 v84, v50, v205
	v_mul_i32_i24_e32 v85, v51, v193
	;; [unrolled: 1-line block ×4, first 2 shown]
	v_fmac_f32_e32 v31, v197, v70
	v_mul_i32_i24_e32 v70, v20, v191
	v_mul_i32_i24_e32 v99, v54, v208
	;; [unrolled: 1-line block ×5, first 2 shown]
	v_mad_i32_i24 v70, v40, v189, v70
	v_mul_i32_i24_e32 v105, v58, v213
	v_mul_i32_i24_e32 v106, v59, v203
	v_mul_i32_i24_e32 v107, v61, v214
	v_mul_i32_i24_e32 v112, v66, v219
	v_add3_u32 v70, v70, v71, v72
	v_mul_i32_i24_e32 v109, v63, v216
	v_mul_i32_i24_e32 v110, v64, v217
	v_mul_i32_i24_e32 v111, v60, v218
	v_mul_i32_i24_e32 v113, v67, v220
	v_add3_u32 v70, v70, v73, v78
	;; [unrolled: 5-line block ×15, first 2 shown]
	v_mul_i32_i24_e32 v63, v63, v149
	v_mul_i32_i24_e32 v64, v64, v150
	;; [unrolled: 1-line block ×4, first 2 shown]
	v_cvt_f32_i32_e32 v70, v70
	v_mul_i32_i24_e32 v60, v60, v151
	v_mul_i32_i24_e32 v67, v67, v153
	;; [unrolled: 1-line block ×4, first 2 shown]
	v_fma_mix_f32 v70, v3, v70, -v69 op_sel_hi:[1,0,0]
	v_mul_i32_i24_e32 v68, v68, v142
	v_mul_i32_i24_e32 v65, v65, v154
	s_delay_alu instid0(VALU_DEP_3) | instskip(SKIP_2) | instid1(VALU_DEP_2)
	v_fmac_f32_e32 v30, v188, v70
	v_mul_i32_i24_e32 v70, v20, v158
	v_mul_i32_i24_e32 v20, v20, v125
	v_mad_i32_i24 v70, v40, v156, v70
	s_delay_alu instid0(VALU_DEP_2) | instskip(NEXT) | instid1(VALU_DEP_2)
	v_mad_i32_i24 v20, v40, v123, v20
	v_add3_u32 v70, v70, v71, v72
	s_delay_alu instid0(VALU_DEP_2) | instskip(NEXT) | instid1(VALU_DEP_2)
	v_add3_u32 v20, v20, v21, v26
	v_add3_u32 v70, v70, v73, v78
	s_delay_alu instid0(VALU_DEP_2) | instskip(NEXT) | instid1(VALU_DEP_2)
	v_add3_u32 v20, v20, v39, v44
	;; [unrolled: 3-line block ×14, first 2 shown]
	v_add3_u32 v70, v70, v254, v255
	s_delay_alu instid0(VALU_DEP_2)
	v_add3_u32 v20, v20, v68, v65
	ds_load_b128 v[57:60], v116 offset:3072
	ds_load_b128 v[62:65], v116 offset:3088
	v_lshrrev_b32_e32 v68, 16, v4
	v_cvt_f32_i32_e32 v70, v70
	v_cvt_f32_i32_e32 v20, v20
	s_delay_alu instid0(VALU_DEP_3) | instskip(NEXT) | instid1(VALU_DEP_3)
	v_cvt_f32_f16_e32 v68, v68
	v_fma_mix_f32 v70, v3, v70, -v69 op_sel_hi:[1,0,0]
	s_delay_alu instid0(VALU_DEP_3) | instskip(NEXT) | instid1(VALU_DEP_2)
	v_fma_mix_f32 v3, v3, v20, -v69 op_sel_hi:[1,0,0]
	v_dual_mul_f32 v68, 0x41000000, v68 :: v_dual_fmac_f32 v29, v155, v70
	s_delay_alu instid0(VALU_DEP_2)
	v_fmac_f32_e32 v28, v122, v3
	s_waitcnt lgkmcnt(1)
	v_bfe_i32 v3, v57, 0, 8
	v_bfe_i32 v20, v57, 8, 8
	;; [unrolled: 1-line block ×3, first 2 shown]
	s_waitcnt lgkmcnt(0)
	v_bfe_i32 v39, v62, 0, 8
	v_ashrrev_i32_e32 v26, 24, v57
	v_mul_i32_i24_e32 v69, v3, v224
	v_bfe_i32 v43, v58, 0, 8
	v_mul_i32_i24_e32 v70, v20, v225
	v_mul_i32_i24_e32 v71, v21, v227
	v_bfe_i32 v40, v62, 8, 8
	v_mad_i32_i24 v69, v39, v222, v69
	v_bfe_i32 v41, v62, 16, 8
	v_mul_i32_i24_e32 v72, v26, v228
	v_mul_i32_i24_e32 v77, v43, v231
	v_ashrrev_i32_e32 v42, 24, v62
	v_add3_u32 v69, v69, v70, v71
	v_bfe_i32 v48, v63, 0, 8
	v_mul_i32_i24_e32 v73, v40, v229
	v_mul_i32_i24_e32 v75, v41, v223
	v_bfe_i32 v44, v58, 8, 8
	v_add3_u32 v69, v69, v72, v77
	v_bfe_i32 v45, v58, 16, 8
	v_mul_i32_i24_e32 v76, v42, v230
	v_mul_i32_i24_e32 v81, v48, v236
	v_ashrrev_i32_e32 v46, 24, v58
	v_add3_u32 v69, v69, v73, v75
	v_bfe_i32 v52, v59, 0, 8
	v_mul_i32_i24_e32 v78, v44, v232
	v_mul_i32_i24_e32 v79, v45, v233
	v_bfe_i32 v49, v63, 8, 8
	v_add3_u32 v69, v69, v76, v81
	;; [unrolled: 10-line block ×6, first 2 shown]
	v_ashrrev_i32_e32 v65, 24, v65
	v_mul_i32_i24_e32 v110, v60, v250
	v_mul_i32_i24_e32 v112, v66, v252
	v_mul_i32_i24_e32 v113, v67, v241
	v_add3_u32 v69, v69, v108, v109
	v_mul_i32_i24_e32 v254, v65, v253
	v_mul_i32_i24_e32 v70, v20, v192
	v_mul_i32_i24_e32 v71, v21, v194
	v_mul_i32_i24_e32 v72, v26, v195
	v_add3_u32 v69, v69, v110, v112
	v_mul_i32_i24_e32 v77, v43, v199
	;; [unrolled: 5-line block ×3, first 2 shown]
	v_mul_i32_i24_e32 v78, v44, v200
	v_mul_i32_i24_e32 v79, v45, v201
	;; [unrolled: 1-line block ×3, first 2 shown]
	v_cvt_f32_i32_e32 v69, v69
	v_mul_i32_i24_e32 v97, v52, v207
	v_mul_i32_i24_e32 v82, v49, v205
	;; [unrolled: 1-line block ×4, first 2 shown]
	v_fma_mix_f32 v69, v4, v69, -v68 op_sel_hi:[1,0,0]
	v_mul_i32_i24_e32 v101, v56, v212
	v_mul_i32_i24_e32 v98, v53, v208
	;; [unrolled: 1-line block ×4, first 2 shown]
	v_fmac_f32_e32 v27, v197, v69
	v_mul_i32_i24_e32 v69, v3, v191
	v_mul_i32_i24_e32 v107, v61, v215
	;; [unrolled: 1-line block ×5, first 2 shown]
	v_mad_i32_i24 v69, v39, v189, v69
	v_mul_i32_i24_e32 v111, v64, v219
	v_mul_i32_i24_e32 v108, v62, v216
	v_mul_i32_i24_e32 v109, v63, v217
	v_mul_i32_i24_e32 v110, v60, v218
	v_add3_u32 v69, v69, v70, v71
	v_mul_i32_i24_e32 v112, v66, v220
	v_mul_i32_i24_e32 v113, v67, v209
	v_mul_i32_i24_e32 v254, v65, v221
	v_mul_i32_i24_e32 v70, v20, v159
	v_add3_u32 v69, v69, v72, v77
	;; [unrolled: 5-line block ×15, first 2 shown]
	v_mul_i32_i24_e32 v112, v66, v186
	v_mul_i32_i24_e32 v60, v60, v151
	;; [unrolled: 1-line block ×4, first 2 shown]
	v_cvt_f32_i32_e32 v69, v69
	v_mul_i32_i24_e32 v254, v65, v187
	v_mul_i32_i24_e32 v67, v67, v142
	;; [unrolled: 1-line block ×3, first 2 shown]
	s_delay_alu instid0(VALU_DEP_4) | instskip(NEXT) | instid1(VALU_DEP_1)
	v_fma_mix_f32 v69, v4, v69, -v68 op_sel_hi:[1,0,0]
	v_fmac_f32_e32 v25, v188, v69
	v_mul_i32_i24_e32 v69, v3, v158
	v_mul_i32_i24_e32 v3, v3, v125
	s_delay_alu instid0(VALU_DEP_2) | instskip(NEXT) | instid1(VALU_DEP_2)
	v_mad_i32_i24 v69, v39, v156, v69
	v_mad_i32_i24 v3, v39, v123, v3
	s_delay_alu instid0(VALU_DEP_2) | instskip(NEXT) | instid1(VALU_DEP_2)
	v_add3_u32 v69, v69, v70, v71
	v_add3_u32 v3, v3, v20, v21
	s_delay_alu instid0(VALU_DEP_2) | instskip(NEXT) | instid1(VALU_DEP_2)
	v_add3_u32 v69, v69, v72, v77
	v_add3_u32 v3, v3, v26, v43
	;; [unrolled: 3-line block ×15, first 2 shown]
	s_delay_alu instid0(VALU_DEP_2) | instskip(NEXT) | instid1(VALU_DEP_2)
	v_cvt_f32_i32_e32 v69, v69
	v_cvt_f32_i32_e32 v3, v3
	s_delay_alu instid0(VALU_DEP_2) | instskip(NEXT) | instid1(VALU_DEP_2)
	v_fma_mix_f32 v69, v4, v69, -v68 op_sel_hi:[1,0,0]
	v_fma_mix_f32 v3, v4, v3, -v68 op_sel_hi:[1,0,0]
	s_delay_alu instid0(VALU_DEP_1)
	v_dual_fmac_f32 v24, v155, v69 :: v_dual_fmac_f32 v23, v122, v3
	ds_load_b128 v[57:60], v116 offset:4096
	ds_load_b128 v[62:65], v116 offset:4112
	ds_load_2addr_b32 v[3:4], v115 offset0:128 offset1:160
	s_waitcnt lgkmcnt(2)
	v_bfe_i32 v20, v57, 0, 8
	v_bfe_i32 v21, v57, 8, 8
	;; [unrolled: 1-line block ×3, first 2 shown]
	s_waitcnt lgkmcnt(1)
	v_bfe_i32 v40, v62, 0, 8
	v_ashrrev_i32_e32 v39, 24, v57
	v_mul_i32_i24_e32 v70, v20, v224
	v_bfe_i32 v44, v58, 0, 8
	v_mul_i32_i24_e32 v71, v21, v225
	v_mul_i32_i24_e32 v72, v26, v227
	v_bfe_i32 v41, v62, 8, 8
	v_mad_i32_i24 v70, v40, v222, v70
	v_bfe_i32 v42, v62, 16, 8
	v_mul_i32_i24_e32 v73, v39, v228
	v_mul_i32_i24_e32 v78, v44, v231
	v_ashrrev_i32_e32 v43, 24, v62
	v_add3_u32 v70, v70, v71, v72
	v_bfe_i32 v49, v63, 0, 8
	v_mul_i32_i24_e32 v75, v41, v229
	v_mul_i32_i24_e32 v76, v42, v223
	v_bfe_i32 v45, v58, 8, 8
	v_add3_u32 v70, v70, v73, v78
	v_bfe_i32 v46, v58, 16, 8
	v_mul_i32_i24_e32 v77, v43, v230
	v_mul_i32_i24_e32 v82, v49, v236
	v_ashrrev_i32_e32 v48, 24, v58
	v_add3_u32 v70, v70, v75, v76
	v_bfe_i32 v53, v59, 0, 8
	v_mul_i32_i24_e32 v79, v45, v232
	v_mul_i32_i24_e32 v80, v46, v233
	v_bfe_i32 v50, v63, 8, 8
	v_add3_u32 v70, v70, v77, v82
	;; [unrolled: 10-line block ×6, first 2 shown]
	v_ashrrev_i32_e32 v65, 24, v65
	v_mul_i32_i24_e32 v111, v60, v250
	v_mul_i32_i24_e32 v113, v67, v252
	s_waitcnt lgkmcnt(0)
	v_lshrrev_b32_e32 v69, 16, v3
	v_add3_u32 v70, v70, v109, v110
	v_mul_i32_i24_e32 v254, v68, v241
	v_mul_i32_i24_e32 v255, v65, v253
	;; [unrolled: 1-line block ×3, first 2 shown]
	v_cvt_f32_f16_e32 v69, v69
	v_add3_u32 v70, v70, v111, v113
	v_mul_i32_i24_e32 v72, v26, v194
	v_mul_i32_i24_e32 v73, v39, v195
	v_mul_i32_i24_e32 v78, v44, v199
	v_mul_f32_e32 v69, 0x41000000, v69
	v_add3_u32 v70, v70, v254, v255
	v_mul_i32_i24_e32 v75, v41, v196
	v_mul_i32_i24_e32 v76, v42, v190
	;; [unrolled: 1-line block ×4, first 2 shown]
	v_cvt_f32_i32_e32 v70, v70
	v_mul_i32_i24_e32 v79, v45, v200
	v_mul_i32_i24_e32 v80, v46, v201
	;; [unrolled: 1-line block ×4, first 2 shown]
	v_fma_mix_f32 v70, v3, v70, -v69 op_sel_hi:[1,0,0]
	v_mul_i32_i24_e32 v84, v50, v205
	v_mul_i32_i24_e32 v85, v51, v193
	;; [unrolled: 1-line block ×4, first 2 shown]
	v_fmac_f32_e32 v22, v197, v70
	v_mul_i32_i24_e32 v70, v20, v191
	v_mul_i32_i24_e32 v99, v54, v208
	v_mul_i32_i24_e32 v100, v55, v210
	v_mul_i32_i24_e32 v101, v56, v211
	v_mul_i32_i24_e32 v108, v62, v215
	v_mad_i32_i24 v70, v40, v189, v70
	v_mul_i32_i24_e32 v105, v58, v213
	v_mul_i32_i24_e32 v106, v59, v203
	v_mul_i32_i24_e32 v107, v61, v214
	v_mul_i32_i24_e32 v112, v66, v219
	v_add3_u32 v70, v70, v71, v72
	v_mul_i32_i24_e32 v109, v63, v216
	v_mul_i32_i24_e32 v110, v64, v217
	v_mul_i32_i24_e32 v111, v60, v218
	v_mul_i32_i24_e32 v113, v67, v220
	v_add3_u32 v70, v70, v73, v78
	;; [unrolled: 5-line block ×15, first 2 shown]
	v_mul_i32_i24_e32 v63, v63, v149
	v_mul_i32_i24_e32 v64, v64, v150
	;; [unrolled: 1-line block ×4, first 2 shown]
	v_cvt_f32_i32_e32 v70, v70
	v_mul_i32_i24_e32 v60, v60, v151
	v_mul_i32_i24_e32 v67, v67, v153
	;; [unrolled: 1-line block ×4, first 2 shown]
	v_fma_mix_f32 v70, v3, v70, -v69 op_sel_hi:[1,0,0]
	v_mul_i32_i24_e32 v68, v68, v142
	v_mul_i32_i24_e32 v65, v65, v154
	s_delay_alu instid0(VALU_DEP_3) | instskip(SKIP_2) | instid1(VALU_DEP_2)
	v_fmac_f32_e32 v19, v188, v70
	v_mul_i32_i24_e32 v70, v20, v158
	v_mul_i32_i24_e32 v20, v20, v125
	v_mad_i32_i24 v70, v40, v156, v70
	s_delay_alu instid0(VALU_DEP_2) | instskip(NEXT) | instid1(VALU_DEP_2)
	v_mad_i32_i24 v20, v40, v123, v20
	v_add3_u32 v70, v70, v71, v72
	s_delay_alu instid0(VALU_DEP_2) | instskip(NEXT) | instid1(VALU_DEP_2)
	v_add3_u32 v20, v20, v21, v26
	v_add3_u32 v70, v70, v73, v78
	s_delay_alu instid0(VALU_DEP_2) | instskip(NEXT) | instid1(VALU_DEP_2)
	v_add3_u32 v20, v20, v39, v44
	;; [unrolled: 3-line block ×14, first 2 shown]
	v_add3_u32 v70, v70, v254, v255
	s_delay_alu instid0(VALU_DEP_2)
	v_add3_u32 v20, v20, v68, v65
	ds_load_b128 v[57:60], v116 offset:5120
	ds_load_b128 v[62:65], v116 offset:5136
	v_lshrrev_b32_e32 v68, 16, v4
	v_cvt_f32_i32_e32 v70, v70
	v_cvt_f32_i32_e32 v20, v20
	s_delay_alu instid0(VALU_DEP_3) | instskip(NEXT) | instid1(VALU_DEP_1)
	v_cvt_f32_f16_e32 v68, v68
	v_mul_f32_e32 v68, 0x41000000, v68
	s_delay_alu instid0(VALU_DEP_4) | instskip(NEXT) | instid1(VALU_DEP_4)
	v_fma_mix_f32 v70, v3, v70, -v69 op_sel_hi:[1,0,0]
	v_fma_mix_f32 v3, v3, v20, -v69 op_sel_hi:[1,0,0]
	s_delay_alu instid0(VALU_DEP_1)
	v_dual_fmac_f32 v18, v155, v70 :: v_dual_fmac_f32 v17, v122, v3
	s_waitcnt lgkmcnt(1)
	v_bfe_i32 v3, v57, 0, 8
	v_bfe_i32 v20, v57, 8, 8
	;; [unrolled: 1-line block ×3, first 2 shown]
	s_waitcnt lgkmcnt(0)
	v_bfe_i32 v39, v62, 0, 8
	v_ashrrev_i32_e32 v26, 24, v57
	v_mul_i32_i24_e32 v69, v3, v224
	v_bfe_i32 v43, v58, 0, 8
	v_mul_i32_i24_e32 v70, v20, v225
	v_mul_i32_i24_e32 v71, v21, v227
	v_bfe_i32 v40, v62, 8, 8
	v_mad_i32_i24 v69, v39, v222, v69
	v_bfe_i32 v41, v62, 16, 8
	v_mul_i32_i24_e32 v72, v26, v228
	v_mul_i32_i24_e32 v77, v43, v231
	v_ashrrev_i32_e32 v42, 24, v62
	v_add3_u32 v69, v69, v70, v71
	v_bfe_i32 v48, v63, 0, 8
	v_mul_i32_i24_e32 v73, v40, v229
	v_mul_i32_i24_e32 v75, v41, v223
	v_bfe_i32 v44, v58, 8, 8
	v_add3_u32 v69, v69, v72, v77
	v_bfe_i32 v45, v58, 16, 8
	v_mul_i32_i24_e32 v76, v42, v230
	v_mul_i32_i24_e32 v81, v48, v236
	v_ashrrev_i32_e32 v46, 24, v58
	v_add3_u32 v69, v69, v73, v75
	v_bfe_i32 v52, v59, 0, 8
	v_mul_i32_i24_e32 v78, v44, v232
	v_mul_i32_i24_e32 v79, v45, v233
	v_bfe_i32 v49, v63, 8, 8
	v_add3_u32 v69, v69, v76, v81
	;; [unrolled: 10-line block ×6, first 2 shown]
	v_ashrrev_i32_e32 v65, 24, v65
	v_mul_i32_i24_e32 v110, v60, v250
	v_mul_i32_i24_e32 v112, v66, v252
	v_mul_i32_i24_e32 v113, v67, v241
	v_add3_u32 v69, v69, v108, v109
	v_mul_i32_i24_e32 v254, v65, v253
	v_mul_i32_i24_e32 v70, v20, v192
	v_mul_i32_i24_e32 v71, v21, v194
	v_mul_i32_i24_e32 v72, v26, v195
	v_add3_u32 v69, v69, v110, v112
	v_mul_i32_i24_e32 v77, v43, v199
	;; [unrolled: 5-line block ×3, first 2 shown]
	v_mul_i32_i24_e32 v78, v44, v200
	v_mul_i32_i24_e32 v79, v45, v201
	;; [unrolled: 1-line block ×3, first 2 shown]
	v_cvt_f32_i32_e32 v69, v69
	v_mul_i32_i24_e32 v97, v52, v207
	v_mul_i32_i24_e32 v82, v49, v205
	;; [unrolled: 1-line block ×4, first 2 shown]
	v_fma_mix_f32 v69, v4, v69, -v68 op_sel_hi:[1,0,0]
	v_mul_i32_i24_e32 v101, v56, v212
	v_mul_i32_i24_e32 v98, v53, v208
	;; [unrolled: 1-line block ×4, first 2 shown]
	v_fmac_f32_e32 v16, v197, v69
	v_mul_i32_i24_e32 v69, v3, v191
	v_mul_i32_i24_e32 v107, v61, v215
	;; [unrolled: 1-line block ×5, first 2 shown]
	v_mad_i32_i24 v69, v39, v189, v69
	v_mul_i32_i24_e32 v111, v64, v219
	v_mul_i32_i24_e32 v108, v62, v216
	v_mul_i32_i24_e32 v109, v63, v217
	v_mul_i32_i24_e32 v110, v60, v218
	v_add3_u32 v69, v69, v70, v71
	v_mul_i32_i24_e32 v112, v66, v220
	v_mul_i32_i24_e32 v113, v67, v209
	v_mul_i32_i24_e32 v254, v65, v221
	v_mul_i32_i24_e32 v70, v20, v159
	v_add3_u32 v69, v69, v72, v77
	;; [unrolled: 5-line block ×15, first 2 shown]
	v_mul_i32_i24_e32 v112, v66, v186
	v_mul_i32_i24_e32 v60, v60, v151
	;; [unrolled: 1-line block ×4, first 2 shown]
	v_cvt_f32_i32_e32 v69, v69
	v_mul_i32_i24_e32 v254, v65, v187
	v_mul_i32_i24_e32 v67, v67, v142
	;; [unrolled: 1-line block ×3, first 2 shown]
	s_delay_alu instid0(VALU_DEP_4) | instskip(NEXT) | instid1(VALU_DEP_1)
	v_fma_mix_f32 v69, v4, v69, -v68 op_sel_hi:[1,0,0]
	v_fmac_f32_e32 v15, v188, v69
	v_mul_i32_i24_e32 v69, v3, v158
	v_mul_i32_i24_e32 v3, v3, v125
	s_delay_alu instid0(VALU_DEP_2) | instskip(NEXT) | instid1(VALU_DEP_2)
	v_mad_i32_i24 v69, v39, v156, v69
	v_mad_i32_i24 v3, v39, v123, v3
	s_delay_alu instid0(VALU_DEP_2) | instskip(NEXT) | instid1(VALU_DEP_2)
	v_add3_u32 v69, v69, v70, v71
	v_add3_u32 v3, v3, v20, v21
	s_delay_alu instid0(VALU_DEP_2) | instskip(NEXT) | instid1(VALU_DEP_2)
	v_add3_u32 v69, v69, v72, v77
	v_add3_u32 v3, v3, v26, v43
	;; [unrolled: 3-line block ×15, first 2 shown]
	s_delay_alu instid0(VALU_DEP_2) | instskip(NEXT) | instid1(VALU_DEP_2)
	v_cvt_f32_i32_e32 v69, v69
	v_cvt_f32_i32_e32 v3, v3
	s_delay_alu instid0(VALU_DEP_2) | instskip(NEXT) | instid1(VALU_DEP_2)
	v_fma_mix_f32 v69, v4, v69, -v68 op_sel_hi:[1,0,0]
	v_fma_mix_f32 v3, v4, v3, -v68 op_sel_hi:[1,0,0]
	s_delay_alu instid0(VALU_DEP_1)
	v_dual_fmac_f32 v14, v155, v69 :: v_dual_fmac_f32 v13, v122, v3
	ds_load_b128 v[57:60], v116 offset:6144
	ds_load_b128 v[62:65], v116 offset:6160
	ds_load_2addr_b32 v[3:4], v115 offset0:192 offset1:224
	v_add_nc_u32_e32 v115, 4, v115
	s_waitcnt lgkmcnt(2)
	v_bfe_i32 v20, v57, 0, 8
	v_bfe_i32 v21, v57, 8, 8
	v_bfe_i32 v26, v57, 16, 8
	s_waitcnt lgkmcnt(1)
	v_bfe_i32 v40, v62, 0, 8
	v_ashrrev_i32_e32 v39, 24, v57
	v_mul_i32_i24_e32 v70, v20, v224
	v_bfe_i32 v44, v58, 0, 8
	v_mul_i32_i24_e32 v71, v21, v225
	v_mul_i32_i24_e32 v72, v26, v227
	v_bfe_i32 v41, v62, 8, 8
	v_mad_i32_i24 v70, v40, v222, v70
	v_bfe_i32 v42, v62, 16, 8
	v_mul_i32_i24_e32 v73, v39, v228
	v_mul_i32_i24_e32 v78, v44, v231
	v_ashrrev_i32_e32 v43, 24, v62
	v_add3_u32 v70, v70, v71, v72
	v_bfe_i32 v49, v63, 0, 8
	v_mul_i32_i24_e32 v75, v41, v229
	v_mul_i32_i24_e32 v76, v42, v223
	v_bfe_i32 v45, v58, 8, 8
	v_add3_u32 v70, v70, v73, v78
	v_bfe_i32 v46, v58, 16, 8
	v_mul_i32_i24_e32 v77, v43, v230
	v_mul_i32_i24_e32 v82, v49, v236
	v_ashrrev_i32_e32 v48, 24, v58
	v_add3_u32 v70, v70, v75, v76
	v_bfe_i32 v53, v59, 0, 8
	v_mul_i32_i24_e32 v79, v45, v232
	v_mul_i32_i24_e32 v80, v46, v233
	v_bfe_i32 v50, v63, 8, 8
	v_add3_u32 v70, v70, v77, v82
	;; [unrolled: 10-line block ×6, first 2 shown]
	v_ashrrev_i32_e32 v65, 24, v65
	v_mul_i32_i24_e32 v111, v60, v250
	v_mul_i32_i24_e32 v113, v67, v252
	s_waitcnt lgkmcnt(0)
	v_lshrrev_b32_e32 v69, 16, v3
	v_add3_u32 v70, v70, v109, v110
	v_mul_i32_i24_e32 v254, v68, v241
	v_mul_i32_i24_e32 v255, v65, v253
	;; [unrolled: 1-line block ×3, first 2 shown]
	v_cvt_f32_f16_e32 v69, v69
	v_add3_u32 v70, v70, v111, v113
	v_mul_i32_i24_e32 v72, v26, v194
	v_mul_i32_i24_e32 v73, v39, v195
	v_mul_i32_i24_e32 v78, v44, v199
	v_mul_f32_e32 v69, 0x41000000, v69
	v_add3_u32 v70, v70, v254, v255
	v_mul_i32_i24_e32 v75, v41, v196
	v_mul_i32_i24_e32 v76, v42, v190
	;; [unrolled: 1-line block ×4, first 2 shown]
	v_cvt_f32_i32_e32 v70, v70
	v_mul_i32_i24_e32 v79, v45, v200
	v_mul_i32_i24_e32 v80, v46, v201
	;; [unrolled: 1-line block ×4, first 2 shown]
	v_fma_mix_f32 v70, v3, v70, -v69 op_sel_hi:[1,0,0]
	v_mul_i32_i24_e32 v84, v50, v205
	v_mul_i32_i24_e32 v85, v51, v193
	;; [unrolled: 1-line block ×4, first 2 shown]
	v_fmac_f32_e32 v12, v197, v70
	v_mul_i32_i24_e32 v70, v20, v191
	v_mul_i32_i24_e32 v99, v54, v208
	v_mul_i32_i24_e32 v100, v55, v210
	v_mul_i32_i24_e32 v101, v56, v211
	v_mul_i32_i24_e32 v108, v62, v215
	v_mad_i32_i24 v70, v40, v189, v70
	v_mul_i32_i24_e32 v105, v58, v213
	v_mul_i32_i24_e32 v106, v59, v203
	v_mul_i32_i24_e32 v107, v61, v214
	v_mul_i32_i24_e32 v112, v66, v219
	v_add3_u32 v70, v70, v71, v72
	v_mul_i32_i24_e32 v109, v63, v216
	v_mul_i32_i24_e32 v110, v64, v217
	v_mul_i32_i24_e32 v111, v60, v218
	v_mul_i32_i24_e32 v113, v67, v220
	v_add3_u32 v70, v70, v73, v78
	;; [unrolled: 5-line block ×15, first 2 shown]
	v_mul_i32_i24_e32 v111, v60, v184
	v_mul_i32_i24_e32 v113, v67, v186
	;; [unrolled: 1-line block ×4, first 2 shown]
	v_cvt_f32_i32_e32 v70, v70
	v_mul_i32_i24_e32 v254, v68, v175
	v_mul_i32_i24_e32 v255, v65, v187
	;; [unrolled: 1-line block ×4, first 2 shown]
	v_fma_mix_f32 v70, v3, v70, -v69 op_sel_hi:[1,0,0]
	v_mul_i32_i24_e32 v68, v68, v142
	v_mul_i32_i24_e32 v65, v65, v154
	s_delay_alu instid0(VALU_DEP_3) | instskip(SKIP_2) | instid1(VALU_DEP_2)
	v_fmac_f32_e32 v11, v188, v70
	v_mul_i32_i24_e32 v70, v20, v158
	v_mul_i32_i24_e32 v20, v20, v125
	v_mad_i32_i24 v70, v40, v156, v70
	s_delay_alu instid0(VALU_DEP_2) | instskip(NEXT) | instid1(VALU_DEP_2)
	v_mad_i32_i24 v20, v40, v123, v20
	v_add3_u32 v70, v70, v71, v72
	s_delay_alu instid0(VALU_DEP_2) | instskip(NEXT) | instid1(VALU_DEP_2)
	v_add3_u32 v20, v20, v21, v26
	v_add3_u32 v70, v70, v73, v78
	s_delay_alu instid0(VALU_DEP_2) | instskip(NEXT) | instid1(VALU_DEP_2)
	v_add3_u32 v20, v20, v39, v44
	;; [unrolled: 3-line block ×13, first 2 shown]
	v_add3_u32 v70, v70, v111, v113
	ds_load_b128 v[109:112], v116 offset:7168
	ds_load_b128 v[99:102], v116 offset:7184
	v_add3_u32 v20, v20, v60, v67
	v_add_nc_u32_e32 v116, 32, v116
	v_add3_u32 v70, v70, v254, v255
	s_delay_alu instid0(VALU_DEP_3) | instskip(NEXT) | instid1(VALU_DEP_2)
	v_add3_u32 v20, v20, v68, v65
	v_cvt_f32_i32_e32 v70, v70
	s_delay_alu instid0(VALU_DEP_2) | instskip(NEXT) | instid1(VALU_DEP_2)
	v_cvt_f32_i32_e32 v20, v20
	v_fma_mix_f32 v70, v3, v70, -v69 op_sel_hi:[1,0,0]
	s_delay_alu instid0(VALU_DEP_1)
	v_fmac_f32_e32 v10, v155, v70
	s_waitcnt lgkmcnt(1)
	v_bfe_i32 v255, v109, 0, 8
	v_fma_mix_f32 v3, v3, v20, -v69 op_sel_hi:[1,0,0]
	v_bfe_i32 v20, v109, 8, 8
	v_bfe_i32 v21, v109, 16, 8
	s_waitcnt lgkmcnt(0)
	v_bfe_i32 v254, v99, 0, 8
	v_mul_i32_i24_e32 v39, v255, v224
	v_ashrrev_i32_e32 v98, 24, v109
	v_bfe_i32 v108, v110, 0, 8
	v_mul_i32_i24_e32 v40, v20, v225
	v_mul_i32_i24_e32 v41, v21, v227
	v_mad_i32_i24 v39, v254, v222, v39
	v_bfe_i32 v105, v99, 8, 8
	v_bfe_i32 v106, v99, 16, 8
	v_mul_i32_i24_e32 v43, v98, v228
	v_mul_i32_i24_e32 v52, v108, v231
	v_add3_u32 v39, v39, v40, v41
	v_ashrrev_i32_e32 v107, 24, v99
	v_bfe_i32 v46, v100, 0, 8
	v_mul_i32_i24_e32 v44, v105, v229
	v_mul_i32_i24_e32 v45, v106, v223
	v_add3_u32 v39, v39, v43, v52
	v_bfe_i32 v109, v110, 8, 8
	v_bfe_i32 v26, v110, 16, 8
	v_mul_i32_i24_e32 v51, v107, v230
	v_mul_i32_i24_e32 v67, v46, v236
	v_add3_u32 v39, v39, v44, v45
	v_ashrrev_i32_e32 v42, 24, v110
	v_bfe_i32 v53, v111, 0, 8
	v_mul_i32_i24_e32 v56, v109, v232
	v_mul_i32_i24_e32 v61, v26, v233
	v_add3_u32 v39, v39, v51, v67
	;; [unrolled: 10-line block ×6, first 2 shown]
	v_bfe_i32 v111, v102, 16, 8
	v_ashrrev_i32_e32 v112, 24, v102
	v_mul_i32_i24_e32 v97, v84, v250
	v_mul_i32_i24_e32 v100, v110, v252
	v_add3_u32 v39, v39, v81, v82
	v_fmac_f32_e32 v9, v122, v3
	v_lshrrev_b32_e32 v3, 16, v4
	v_mul_i32_i24_e32 v101, v111, v241
	v_mul_i32_i24_e32 v102, v112, v253
	v_add3_u32 v39, v39, v97, v100
	v_mul_i32_i24_e32 v40, v20, v192
	v_cvt_f32_f16_e32 v3, v3
	v_mul_i32_i24_e32 v41, v21, v194
	v_mul_i32_i24_e32 v43, v98, v195
	v_add3_u32 v39, v39, v101, v102
	v_mul_i32_i24_e32 v52, v108, v199
	v_mul_f32_e32 v3, 0x41000000, v3
	v_mul_i32_i24_e32 v44, v105, v196
	v_mul_i32_i24_e32 v45, v106, v190
	v_cvt_f32_i32_e32 v39, v39
	v_mul_i32_i24_e32 v51, v107, v198
	v_mul_i32_i24_e32 v67, v46, v204
	;; [unrolled: 1-line block ×4, first 2 shown]
	v_fma_mix_f32 v39, v4, v39, -v3 op_sel_hi:[1,0,0]
	v_mul_i32_i24_e32 v66, v42, v202
	v_mul_i32_i24_e32 v71, v53, v207
	;; [unrolled: 1-line block ×4, first 2 shown]
	v_fmac_f32_e32 v8, v197, v39
	v_mul_i32_i24_e32 v39, v255, v191
	v_mul_i32_i24_e32 v70, v50, v206
	;; [unrolled: 1-line block ×5, first 2 shown]
	v_mad_i32_i24 v39, v254, v189, v39
	v_mul_i32_i24_e32 v75, v57, v211
	v_mul_i32_i24_e32 v80, v63, v215
	v_mul_i32_i24_e32 v77, v59, v213
	v_mul_i32_i24_e32 v78, v60, v203
	v_add3_u32 v39, v39, v40, v41
	v_mul_i32_i24_e32 v79, v62, v214
	v_mul_i32_i24_e32 v99, v85, v219
	v_mul_i32_i24_e32 v81, v64, v216
	v_mul_i32_i24_e32 v82, v65, v217
	v_add3_u32 v39, v39, v43, v52
	;; [unrolled: 5-line block ×6, first 2 shown]
	v_mul_i32_i24_e32 v66, v42, v168
	v_mul_i32_i24_e32 v71, v53, v173
	s_delay_alu instid0(VALU_DEP_3) | instskip(SKIP_2) | instid1(VALU_DEP_3)
	v_add3_u32 v39, v39, v68, v69
	v_mul_i32_i24_e32 v68, v48, v171
	v_mul_i32_i24_e32 v69, v49, v160
	v_add3_u32 v39, v39, v70, v76
	v_mul_i32_i24_e32 v70, v50, v172
	v_mul_i32_i24_e32 v76, v58, v178
	;; [unrolled: 1-line block ×3, first 2 shown]
	s_delay_alu instid0(VALU_DEP_4) | instskip(SKIP_3) | instid1(VALU_DEP_4)
	v_add3_u32 v39, v39, v72, v73
	v_mul_i32_i24_e32 v72, v54, v174
	v_mul_i32_i24_e32 v73, v55, v176
	v_mul_i32_i24_e32 v55, v57, v144
	v_add3_u32 v39, v39, v75, v80
	v_mul_i32_i24_e32 v75, v57, v177
	v_mul_i32_i24_e32 v80, v63, v181
	v_mul_i32_i24_e32 v57, v63, v148
	s_delay_alu instid0(VALU_DEP_4) | instskip(SKIP_2) | instid1(VALU_DEP_3)
	v_add3_u32 v39, v39, v77, v78
	v_mul_i32_i24_e32 v77, v59, v179
	v_mul_i32_i24_e32 v78, v60, v169
	v_add3_u32 v39, v39, v79, v99
	v_mul_i32_i24_e32 v79, v62, v180
	v_mul_i32_i24_e32 v99, v85, v185
	s_delay_alu instid0(VALU_DEP_3) | instskip(SKIP_2) | instid1(VALU_DEP_3)
	v_add3_u32 v39, v39, v81, v82
	v_mul_i32_i24_e32 v81, v64, v182
	v_mul_i32_i24_e32 v82, v65, v183
	v_add3_u32 v39, v39, v97, v100
	v_mul_i32_i24_e32 v97, v84, v184
	v_mul_i32_i24_e32 v100, v110, v186
	s_delay_alu instid0(VALU_DEP_3) | instskip(SKIP_2) | instid1(VALU_DEP_3)
	v_add3_u32 v39, v39, v101, v102
	v_mul_i32_i24_e32 v101, v111, v175
	v_mul_i32_i24_e32 v102, v112, v187
	v_cvt_f32_i32_e32 v39, v39
	s_delay_alu instid0(VALU_DEP_1) | instskip(NEXT) | instid1(VALU_DEP_1)
	v_fma_mix_f32 v39, v4, v39, -v3 op_sel_hi:[1,0,0]
	v_fmac_f32_e32 v7, v188, v39
	v_mul_i32_i24_e32 v39, v255, v158
	s_delay_alu instid0(VALU_DEP_1) | instskip(NEXT) | instid1(VALU_DEP_1)
	v_mad_i32_i24 v39, v254, v156, v39
	v_add3_u32 v39, v39, v40, v41
	v_mul_i32_i24_e32 v40, v20, v126
	v_mul_i32_i24_e32 v41, v21, v128
	v_mul_i32_i24_e32 v128, v107, v131
	v_mul_i32_i24_e32 v126, v26, v134
	v_add3_u32 v39, v39, v43, v52
	v_mul_i32_i24_e32 v43, v98, v129
	v_mul_i32_i24_e32 v129, v46, v137
	v_mul_i32_i24_e32 v107, v48, v138
	v_mul_i32_i24_e32 v98, v54, v141
	;; [unrolled: 5-line block ×4, first 2 shown]
	v_add3_u32 v39, v39, v56, v61
	v_mul_i32_i24_e32 v21, v112, v154
	s_delay_alu instid0(VALU_DEP_2) | instskip(NEXT) | instid1(VALU_DEP_1)
	v_add3_u32 v39, v39, v66, v71
	v_add3_u32 v39, v39, v68, v69
	s_delay_alu instid0(VALU_DEP_1) | instskip(NEXT) | instid1(VALU_DEP_1)
	v_add3_u32 v39, v39, v70, v76
	v_add3_u32 v39, v39, v72, v73
	s_delay_alu instid0(VALU_DEP_1) | instskip(NEXT) | instid1(VALU_DEP_1)
	;; [unrolled: 3-line block ×5, first 2 shown]
	v_cvt_f32_i32_e32 v39, v39
	v_fma_mix_f32 v39, v4, v39, -v3 op_sel_hi:[1,0,0]
	s_delay_alu instid0(VALU_DEP_1)
	v_fmac_f32_e32 v6, v155, v39
	v_mul_i32_i24_e32 v39, v255, v125
	v_mul_i32_i24_e32 v155, v106, v124
	;; [unrolled: 1-line block ×5, first 2 shown]
	v_mad_i32_i24 v39, v254, v123, v39
	v_mul_i32_i24_e32 v106, v50, v139
	v_mul_i32_i24_e32 v53, v59, v146
	;; [unrolled: 1-line block ×4, first 2 shown]
	v_add3_u32 v39, v39, v40, v41
	s_delay_alu instid0(VALU_DEP_1) | instskip(NEXT) | instid1(VALU_DEP_1)
	v_add3_u32 v39, v39, v43, v44
	v_add3_u32 v39, v39, v130, v155
	s_delay_alu instid0(VALU_DEP_1) | instskip(NEXT) | instid1(VALU_DEP_1)
	v_add3_u32 v39, v39, v128, v129
	;; [unrolled: 3-line block ×7, first 2 shown]
	v_add3_u32 v20, v26, v20, v21
	s_delay_alu instid0(VALU_DEP_1) | instskip(NEXT) | instid1(VALU_DEP_1)
	v_cvt_f32_i32_e32 v20, v20
	v_fma_mix_f32 v3, v4, v20, -v3 op_sel_hi:[1,0,0]
	s_delay_alu instid0(VALU_DEP_1)
	v_fmac_f32_e32 v5, v122, v3
	s_cbranch_scc1 .LBB117_7
; %bb.8:                                ;   in Loop: Header=BB117_6 Depth=1
	s_or_b32 s12, s11, 4
	s_delay_alu instid0(SALU_CYCLE_1)
	s_cmp_ge_i32 s12, s5
	s_barrier
	buffer_gl0_inv
	s_cbranch_scc1 .LBB117_5
; %bb.9:                                ;   in Loop: Header=BB117_6 Depth=1
	scratch_load_b32 v3, off, off offset:212 ; 4-byte Folded Reload
	s_mov_b32 s12, 12
	s_waitcnt vmcnt(0)
	v_dual_mov_b32 v115, v103 :: v_dual_add_nc_u32 v26, s11, v3
	s_delay_alu instid0(VALU_DEP_1) | instskip(SKIP_3) | instid1(VALU_DEP_4)
	v_add_nc_u32_e32 v40, v26, v88
	v_add_nc_u32_e32 v20, v26, v86
	;; [unrolled: 1-line block ×4, first 2 shown]
	v_mad_i64_i32 v[48:49], null, v40, 36, v[0:1]
	v_add_nc_u32_e32 v40, v26, v91
	v_mad_i64_i32 v[3:4], null, v20, 36, v[0:1]
	s_delay_alu instid0(VALU_DEP_4) | instskip(NEXT) | instid1(VALU_DEP_3)
	v_mad_i64_i32 v[53:54], null, v41, 36, v[0:1]
	v_mad_i64_i32 v[59:60], null, v40, 36, v[0:1]
	v_add_nc_u32_e32 v40, 4, v114
	v_mov_b32_e32 v114, v104
	v_mad_i64_i32 v[20:21], null, v39, 36, v[0:1]
	v_add_nc_u32_e32 v39, v26, v90
	s_delay_alu instid0(VALU_DEP_4) | instskip(NEXT) | instid1(VALU_DEP_2)
	v_mad_u64_u32 v[84:85], null, v40, 36, s[2:3]
	v_mad_i64_i32 v[57:58], null, v39, 36, v[0:1]
	v_add_nc_u32_e32 v39, v26, v93
	v_add_nc_u32_e32 v26, v26, v95
	s_delay_alu instid0(VALU_DEP_2) | instskip(NEXT) | instid1(VALU_DEP_2)
	v_mad_i64_i32 v[62:63], null, v39, 36, v[0:1]
	v_mad_i64_i32 v[64:65], null, v26, 36, v[0:1]
	s_clause 0x8
	global_load_b32 v3, v[3:4], off offset:4
	global_load_b32 v4, v[20:21], off offset:4
	global_load_b32 v20, v[48:49], off offset:4
	global_load_b32 v21, v[53:54], off offset:4
	global_load_b32 v26, v[57:58], off offset:4
	global_load_b32 v39, v[59:60], off offset:4
	global_load_b32 v40, v[62:63], off offset:4
	global_load_b32 v41, v[64:65], off offset:4
	global_load_b32 v42, v[84:85], off
	s_clause 0x5
	scratch_load_b32 v116, off, off offset:232
	scratch_load_b32 v117, off, off offset:228
	;; [unrolled: 1-line block ×5, first 2 shown]
	scratch_load_b32 v43, off, off
	s_waitcnt vmcnt(0)
	ds_store_b32 v43, v3
	scratch_load_b32 v3, off, off offset:4  ; 4-byte Folded Reload
	s_waitcnt vmcnt(0)
	ds_store_b32 v3, v4
	scratch_load_b32 v3, off, off offset:8  ; 4-byte Folded Reload
	s_waitcnt vmcnt(0)
	ds_store_b32 v3, v20
	scratch_load_b32 v3, off, off offset:12 ; 4-byte Folded Reload
	s_waitcnt vmcnt(0)
	ds_store_b32 v3, v21
	ds_store_b32 v74, v26
	ds_store_b32 v92, v39
	ds_store_b32 v94, v40
	ds_store_b32 v96, v41
	ds_store_b32 v83, v42
	s_waitcnt lgkmcnt(0)
	s_barrier
	buffer_gl0_inv
.LBB117_10:                             ;   Parent Loop BB117_6 Depth=1
                                        ; =>  This Inner Loop Header: Depth=2
	ds_load_b128 v[57:60], v115
	ds_load_b128 v[62:65], v115 offset:16
	ds_load_2addr_b32 v[3:4], v114 offset1:32
	s_add_i32 s12, s12, 4
	s_delay_alu instid0(SALU_CYCLE_1)
	s_cmp_lt_u32 s12, 28
	s_waitcnt lgkmcnt(2)
	v_bfe_i32 v26, v57, 0, 8
	s_waitcnt lgkmcnt(1)
	v_bfe_i32 v42, v62, 0, 8
	s_waitcnt lgkmcnt(0)
	v_lshrrev_b32_e32 v20, 16, v3
	v_bfe_i32 v46, v58, 0, 8
	v_bfe_i32 v51, v63, 0, 8
	;; [unrolled: 1-line block ×4, first 2 shown]
	v_cvt_f32_f16_e32 v20, v20
	v_bfe_i32 v40, v57, 16, 8
	v_ashrrev_i32_e32 v41, 24, v57
	v_bfe_i32 v43, v62, 8, 8
	v_bfe_i32 v44, v62, 16, 8
	v_mul_f32_e32 v71, 0x41000000, v20
	ds_load_b32 v196, v117
	ds_load_2addr_b32 v[20:21], v116 offset1:1
	v_ashrrev_i32_e32 v45, 24, v62
	v_bfe_i32 v48, v58, 8, 8
	v_bfe_i32 v49, v58, 16, 8
	v_ashrrev_i32_e32 v50, 24, v58
	v_bfe_i32 v52, v63, 8, 8
	v_bfe_i32 v53, v63, 16, 8
	;; [unrolled: 3-line block ×4, first 2 shown]
	v_bfe_i32 v62, v64, 16, 8
	v_ashrrev_i32_e32 v63, 24, v64
	v_bfe_i32 v64, v60, 0, 8
	v_bfe_i32 v68, v65, 0, 8
	;; [unrolled: 1-line block ×4, first 2 shown]
	v_ashrrev_i32_e32 v60, 24, v60
	s_waitcnt lgkmcnt(0)
	v_and_b32_e32 v230, 15, v21
	v_bfe_u32 v222, v20, 20, 4
	v_and_b32_e32 v223, 15, v20
	v_bfe_u32 v224, v20, 8, 4
	v_bfe_u32 v226, v20, 16, 4
	v_bfe_u32 v227, v20, 24, 4
	v_bfe_u32 v221, v20, 4, 4
	v_bfe_u32 v228, v20, 12, 4
	v_lshrrev_b32_e32 v229, 28, v20
	v_bfe_u32 v225, v21, 20, 4
	v_bfe_u32 v231, v21, 8, 4
	;; [unrolled: 1-line block ×6, first 2 shown]
	v_lshrrev_b32_e32 v237, 28, v21
	ds_load_2addr_b32 v[20:21], v116 offset0:2 offset1:3
	v_mul_i32_i24_e32 v72, v223, v26
	v_mul_i32_i24_e32 v80, v230, v46
	;; [unrolled: 1-line block ×5, first 2 shown]
	v_mad_i32_i24 v72, v221, v42, v72
	v_mul_i32_i24_e32 v76, v227, v41
	v_mul_i32_i24_e32 v77, v228, v43
	;; [unrolled: 1-line block ×4, first 2 shown]
	v_add3_u32 v72, v72, v80, v85
	v_mul_i32_i24_e32 v81, v231, v48
	v_mul_i32_i24_e32 v82, v232, v49
	;; [unrolled: 1-line block ×6, first 2 shown]
	v_bfe_i32 v69, v65, 8, 8
	v_bfe_i32 v70, v65, 16, 8
	s_waitcnt lgkmcnt(0)
	v_and_b32_e32 v238, 15, v20
	v_bfe_u32 v243, v20, 4, 4
	v_and_b32_e32 v246, 15, v21
	v_bfe_u32 v250, v21, 4, 4
	v_bfe_u32 v239, v20, 8, 4
	v_mul_i32_i24_e32 v100, v238, v55
	v_mul_i32_i24_e32 v106, v243, v59
	;; [unrolled: 1-line block ×4, first 2 shown]
	v_bfe_u32 v241, v20, 16, 4
	v_add3_u32 v72, v72, v100, v73
	v_mul_i32_i24_e32 v101, v239, v56
	v_bfe_u32 v242, v20, 24, 4
	v_bfe_u32 v244, v20, 12, 4
	v_mul_i32_i24_e32 v102, v241, v57
	v_add3_u32 v72, v72, v75, v76
	v_bfe_u32 v233, v20, 20, 4
	v_mul_i32_i24_e32 v105, v242, v58
	v_mul_i32_i24_e32 v107, v244, v61
	v_lshrrev_b32_e32 v245, 28, v20
	v_add3_u32 v72, v72, v106, v109
	v_mul_i32_i24_e32 v108, v233, v62
	v_bfe_u32 v247, v21, 8, 4
	v_bfe_u32 v248, v21, 16, 4
	v_mul_i32_i24_e32 v20, v245, v63
	v_add3_u32 v72, v72, v77, v78
	v_bfe_u32 v249, v21, 24, 4
	v_mul_i32_i24_e32 v110, v247, v66
	v_mul_i32_i24_e32 v111, v248, v67
	v_bfe_u32 v251, v21, 12, 4
	v_add3_u32 v72, v72, v79, v81
	v_ashrrev_i32_e32 v65, 24, v65
	v_bfe_u32 v240, v21, 20, 4
	v_mul_i32_i24_e32 v112, v249, v60
	v_mul_i32_i24_e32 v121, v251, v69
	v_add3_u32 v72, v72, v82, v84
	v_lshrrev_b32_e32 v252, 28, v21
	v_mul_i32_i24_e32 v122, v240, v70
	v_add_nc_u32_e32 v117, 4, v117
	s_delay_alu instid0(VALU_DEP_4) | instskip(NEXT) | instid1(VALU_DEP_4)
	v_add3_u32 v72, v72, v113, v97
	v_mul_i32_i24_e32 v21, v252, v65
	s_delay_alu instid0(VALU_DEP_2) | instskip(NEXT) | instid1(VALU_DEP_1)
	v_add3_u32 v72, v72, v98, v99
	v_add3_u32 v72, v72, v101, v102
	s_delay_alu instid0(VALU_DEP_1) | instskip(NEXT) | instid1(VALU_DEP_1)
	v_add3_u32 v72, v72, v105, v107
	v_add3_u32 v20, v72, v108, v20
	s_delay_alu instid0(VALU_DEP_1) | instskip(NEXT) | instid1(VALU_DEP_1)
	;; [unrolled: 3-line block ×3, first 2 shown]
	v_add3_u32 v20, v20, v122, v21
	v_cvt_f32_i32_e32 v20, v20
	s_delay_alu instid0(VALU_DEP_1) | instskip(NEXT) | instid1(VALU_DEP_1)
	v_fma_mix_f32 v20, v3, v20, -v71 op_sel_hi:[1,0,0]
	v_fmac_f32_e32 v32, v196, v20
	v_add_nc_u32_e32 v20, 0x1080, v116
	ds_load_b32 v187, v118
	ds_load_2addr_b32 v[20:21], v20 offset1:1
	v_add_nc_u32_e32 v118, 4, v118
	s_waitcnt lgkmcnt(0)
	v_bfe_u32 v189, v20, 20, 4
	v_and_b32_e32 v190, 15, v20
	v_bfe_u32 v191, v20, 8, 4
	v_bfe_u32 v193, v20, 16, 4
	;; [unrolled: 1-line block ×5, first 2 shown]
	v_lshrrev_b32_e32 v197, 28, v20
	v_add_nc_u32_e32 v20, 0x1088, v116
	v_bfe_u32 v192, v21, 20, 4
	v_and_b32_e32 v198, 15, v21
	v_bfe_u32 v199, v21, 8, 4
	v_bfe_u32 v200, v21, 16, 4
	;; [unrolled: 1-line block ×5, first 2 shown]
	v_lshrrev_b32_e32 v205, 28, v21
	ds_load_2addr_b32 v[20:21], v20 offset1:1
	v_mul_i32_i24_e32 v72, v190, v26
	v_mul_i32_i24_e32 v80, v198, v46
	;; [unrolled: 1-line block ×5, first 2 shown]
	v_mad_i32_i24 v72, v188, v42, v72
	v_mul_i32_i24_e32 v76, v194, v41
	v_mul_i32_i24_e32 v77, v195, v43
	v_mul_i32_i24_e32 v78, v189, v44
	v_mul_i32_i24_e32 v79, v197, v45
	v_add3_u32 v72, v72, v80, v85
	v_mul_i32_i24_e32 v81, v199, v48
	v_mul_i32_i24_e32 v82, v200, v49
	;; [unrolled: 1-line block ×6, first 2 shown]
	s_waitcnt lgkmcnt(0)
	v_and_b32_e32 v206, 15, v20
	v_bfe_u32 v211, v20, 4, 4
	v_and_b32_e32 v214, 15, v21
	v_bfe_u32 v218, v21, 4, 4
	v_bfe_u32 v207, v20, 8, 4
	v_mul_i32_i24_e32 v100, v206, v55
	v_mul_i32_i24_e32 v106, v211, v59
	;; [unrolled: 1-line block ×4, first 2 shown]
	v_bfe_u32 v209, v20, 16, 4
	v_add3_u32 v72, v72, v100, v73
	v_mul_i32_i24_e32 v101, v207, v56
	v_bfe_u32 v210, v20, 24, 4
	v_bfe_u32 v212, v20, 12, 4
	v_mul_i32_i24_e32 v102, v209, v57
	v_add3_u32 v72, v72, v75, v76
	v_bfe_u32 v202, v20, 20, 4
	v_mul_i32_i24_e32 v105, v210, v58
	v_mul_i32_i24_e32 v107, v212, v61
	v_lshrrev_b32_e32 v213, 28, v20
	v_add3_u32 v72, v72, v106, v109
	v_mul_i32_i24_e32 v108, v202, v62
	v_bfe_u32 v215, v21, 8, 4
	v_bfe_u32 v216, v21, 16, 4
	v_mul_i32_i24_e32 v20, v213, v63
	v_add3_u32 v72, v72, v77, v78
	v_bfe_u32 v217, v21, 24, 4
	v_mul_i32_i24_e32 v110, v215, v66
	v_mul_i32_i24_e32 v111, v216, v67
	v_bfe_u32 v219, v21, 12, 4
	v_add3_u32 v72, v72, v79, v81
	v_bfe_u32 v208, v21, 20, 4
	v_mul_i32_i24_e32 v112, v217, v60
	v_lshrrev_b32_e32 v220, 28, v21
	v_mul_i32_i24_e32 v121, v219, v69
	v_add3_u32 v72, v72, v82, v84
	v_mul_i32_i24_e32 v122, v208, v70
	s_delay_alu instid0(VALU_DEP_4) | instskip(NEXT) | instid1(VALU_DEP_3)
	v_mul_i32_i24_e32 v21, v220, v65
	v_add3_u32 v72, v72, v113, v97
	s_delay_alu instid0(VALU_DEP_1) | instskip(NEXT) | instid1(VALU_DEP_1)
	v_add3_u32 v72, v72, v98, v99
	v_add3_u32 v72, v72, v101, v102
	s_delay_alu instid0(VALU_DEP_1) | instskip(NEXT) | instid1(VALU_DEP_1)
	v_add3_u32 v72, v72, v105, v107
	;; [unrolled: 3-line block ×4, first 2 shown]
	v_cvt_f32_i32_e32 v20, v20
	s_delay_alu instid0(VALU_DEP_1) | instskip(NEXT) | instid1(VALU_DEP_1)
	v_fma_mix_f32 v20, v3, v20, -v71 op_sel_hi:[1,0,0]
	v_fmac_f32_e32 v47, v187, v20
	v_add_nc_u32_e32 v20, 0x2100, v116
	ds_load_b32 v154, v119
	ds_load_2addr_b32 v[20:21], v20 offset1:1
	v_add_nc_u32_e32 v119, 4, v119
	s_waitcnt lgkmcnt(0)
	v_bfe_u32 v156, v20, 20, 4
	v_and_b32_e32 v157, 15, v20
	v_bfe_u32 v158, v20, 8, 4
	v_bfe_u32 v160, v20, 16, 4
	v_bfe_u32 v161, v20, 24, 4
	v_bfe_u32 v155, v20, 4, 4
	v_bfe_u32 v162, v20, 12, 4
	v_lshrrev_b32_e32 v163, 28, v20
	v_add_nc_u32_e32 v20, 0x2108, v116
	v_bfe_u32 v159, v21, 20, 4
	v_and_b32_e32 v164, 15, v21
	v_bfe_u32 v165, v21, 8, 4
	v_bfe_u32 v166, v21, 16, 4
	;; [unrolled: 1-line block ×5, first 2 shown]
	v_lshrrev_b32_e32 v171, 28, v21
	ds_load_2addr_b32 v[20:21], v20 offset1:1
	v_mul_i32_i24_e32 v72, v157, v26
	v_mul_i32_i24_e32 v80, v164, v46
	;; [unrolled: 1-line block ×5, first 2 shown]
	v_mad_i32_i24 v72, v155, v42, v72
	v_mul_i32_i24_e32 v76, v161, v41
	v_mul_i32_i24_e32 v77, v162, v43
	;; [unrolled: 1-line block ×4, first 2 shown]
	v_add3_u32 v72, v72, v80, v85
	v_mul_i32_i24_e32 v81, v165, v48
	v_mul_i32_i24_e32 v82, v166, v49
	;; [unrolled: 1-line block ×6, first 2 shown]
	s_waitcnt lgkmcnt(0)
	v_and_b32_e32 v172, 15, v20
	v_bfe_u32 v177, v20, 4, 4
	v_and_b32_e32 v180, 15, v21
	v_bfe_u32 v184, v21, 4, 4
	v_bfe_u32 v173, v20, 8, 4
	v_mul_i32_i24_e32 v100, v172, v55
	v_mul_i32_i24_e32 v106, v177, v59
	;; [unrolled: 1-line block ×4, first 2 shown]
	v_bfe_u32 v175, v20, 16, 4
	v_add3_u32 v72, v72, v100, v73
	v_mul_i32_i24_e32 v101, v173, v56
	v_bfe_u32 v176, v20, 24, 4
	v_bfe_u32 v178, v20, 12, 4
	v_mul_i32_i24_e32 v102, v175, v57
	v_add3_u32 v72, v72, v75, v76
	v_bfe_u32 v168, v20, 20, 4
	v_mul_i32_i24_e32 v105, v176, v58
	v_mul_i32_i24_e32 v107, v178, v61
	v_lshrrev_b32_e32 v179, 28, v20
	v_add3_u32 v72, v72, v106, v109
	v_mul_i32_i24_e32 v108, v168, v62
	v_bfe_u32 v181, v21, 8, 4
	v_bfe_u32 v182, v21, 16, 4
	v_mul_i32_i24_e32 v20, v179, v63
	v_add3_u32 v72, v72, v77, v78
	v_bfe_u32 v183, v21, 24, 4
	v_mul_i32_i24_e32 v110, v181, v66
	v_mul_i32_i24_e32 v111, v182, v67
	v_bfe_u32 v185, v21, 12, 4
	v_add3_u32 v72, v72, v79, v81
	v_bfe_u32 v174, v21, 20, 4
	v_mul_i32_i24_e32 v112, v183, v60
	v_lshrrev_b32_e32 v186, 28, v21
	v_mul_i32_i24_e32 v121, v185, v69
	v_add3_u32 v72, v72, v82, v84
	v_mul_i32_i24_e32 v122, v174, v70
	s_delay_alu instid0(VALU_DEP_4) | instskip(NEXT) | instid1(VALU_DEP_3)
	v_mul_i32_i24_e32 v21, v186, v65
	v_add3_u32 v72, v72, v113, v97
	s_delay_alu instid0(VALU_DEP_1) | instskip(NEXT) | instid1(VALU_DEP_1)
	v_add3_u32 v72, v72, v98, v99
	v_add3_u32 v72, v72, v101, v102
	s_delay_alu instid0(VALU_DEP_1) | instskip(NEXT) | instid1(VALU_DEP_1)
	v_add3_u32 v72, v72, v105, v107
	;; [unrolled: 3-line block ×4, first 2 shown]
	v_cvt_f32_i32_e32 v20, v20
	s_delay_alu instid0(VALU_DEP_1) | instskip(NEXT) | instid1(VALU_DEP_1)
	v_fma_mix_f32 v20, v3, v20, -v71 op_sel_hi:[1,0,0]
	v_fmac_f32_e32 v38, v154, v20
	v_add_nc_u32_e32 v20, 0x3180, v116
	ds_load_b32 v121, v120
	ds_load_2addr_b32 v[20:21], v20 offset1:1
	v_add_nc_u32_e32 v120, 4, v120
	s_waitcnt lgkmcnt(0)
	v_bfe_u32 v123, v20, 20, 4
	v_and_b32_e32 v124, 15, v20
	v_bfe_u32 v125, v20, 8, 4
	v_bfe_u32 v127, v20, 16, 4
	v_bfe_u32 v128, v20, 24, 4
	v_bfe_u32 v122, v20, 4, 4
	v_bfe_u32 v129, v20, 12, 4
	v_lshrrev_b32_e32 v130, 28, v20
	v_add_nc_u32_e32 v20, 0x3188, v116
	v_bfe_u32 v126, v21, 20, 4
	v_and_b32_e32 v131, 15, v21
	v_bfe_u32 v132, v21, 8, 4
	v_bfe_u32 v133, v21, 16, 4
	;; [unrolled: 1-line block ×5, first 2 shown]
	v_lshrrev_b32_e32 v138, 28, v21
	ds_load_2addr_b32 v[20:21], v20 offset1:1
	v_mul_i32_i24_e32 v26, v124, v26
	v_mul_i32_i24_e32 v46, v131, v46
	;; [unrolled: 1-line block ×5, first 2 shown]
	v_mad_i32_i24 v26, v122, v42, v26
	v_mul_i32_i24_e32 v41, v128, v41
	v_mul_i32_i24_e32 v43, v129, v43
	;; [unrolled: 1-line block ×4, first 2 shown]
	v_add3_u32 v26, v26, v46, v51
	v_mul_i32_i24_e32 v48, v132, v48
	v_mul_i32_i24_e32 v49, v133, v49
	;; [unrolled: 1-line block ×6, first 2 shown]
	v_add_nc_u32_e32 v116, 16, v116
	s_waitcnt lgkmcnt(0)
	v_and_b32_e32 v139, 15, v20
	v_bfe_u32 v144, v20, 4, 4
	v_lshrrev_b32_e32 v146, 28, v20
	v_and_b32_e32 v147, 15, v21
	v_bfe_u32 v135, v20, 20, 4
	v_mul_i32_i24_e32 v55, v139, v55
	v_bfe_u32 v140, v20, 8, 4
	v_bfe_u32 v142, v20, 16, 4
	v_bfe_u32 v143, v20, 24, 4
	v_mul_i32_i24_e32 v59, v144, v59
	v_add3_u32 v26, v26, v55, v39
	v_bfe_u32 v145, v20, 12, 4
	v_mul_i32_i24_e32 v20, v146, v63
	v_mul_i32_i24_e32 v63, v147, v64
	v_bfe_u32 v148, v21, 8, 4
	v_add3_u32 v26, v26, v40, v41
	v_bfe_u32 v149, v21, 16, 4
	v_bfe_u32 v151, v21, 4, 4
	v_mul_i32_i24_e32 v56, v140, v56
	v_mul_i32_i24_e32 v64, v148, v66
	v_add3_u32 v26, v26, v59, v63
	v_mul_i32_i24_e32 v66, v149, v67
	v_mul_i32_i24_e32 v67, v151, v68
	;; [unrolled: 1-line block ×4, first 2 shown]
	v_add3_u32 v26, v26, v43, v44
	v_mul_i32_i24_e32 v61, v145, v61
	v_mul_i32_i24_e32 v62, v135, v62
	v_bfe_u32 v150, v21, 24, 4
	v_bfe_u32 v152, v21, 12, 4
	v_add3_u32 v26, v26, v45, v48
	v_bfe_u32 v141, v21, 20, 4
	v_lshrrev_b32_e32 v153, 28, v21
	v_mul_i32_i24_e32 v60, v150, v60
	v_mul_i32_i24_e32 v68, v152, v69
	v_add3_u32 v26, v26, v49, v50
	v_mul_i32_i24_e32 v69, v141, v70
	v_mul_i32_i24_e32 v21, v153, v65
	s_delay_alu instid0(VALU_DEP_3) | instskip(NEXT) | instid1(VALU_DEP_1)
	v_add3_u32 v26, v26, v67, v52
	v_add3_u32 v26, v26, v53, v54
	s_delay_alu instid0(VALU_DEP_1) | instskip(NEXT) | instid1(VALU_DEP_1)
	v_add3_u32 v26, v26, v56, v57
	v_add3_u32 v26, v26, v58, v61
	s_delay_alu instid0(VALU_DEP_1) | instskip(NEXT) | instid1(VALU_DEP_1)
	v_add3_u32 v20, v26, v62, v20
	v_add3_u32 v20, v20, v64, v66
	s_delay_alu instid0(VALU_DEP_1) | instskip(SKIP_4) | instid1(VALU_DEP_2)
	v_add3_u32 v20, v20, v60, v68
	ds_load_b128 v[57:60], v115 offset:1024
	ds_load_b128 v[62:65], v115 offset:1040
	v_lshrrev_b32_e32 v68, 16, v4
	v_add3_u32 v20, v20, v69, v21
	v_cvt_f32_f16_e32 v68, v68
	s_delay_alu instid0(VALU_DEP_2) | instskip(NEXT) | instid1(VALU_DEP_2)
	v_cvt_f32_i32_e32 v20, v20
	v_mul_f32_e32 v68, 0x41000000, v68
	s_delay_alu instid0(VALU_DEP_2) | instskip(NEXT) | instid1(VALU_DEP_1)
	v_fma_mix_f32 v3, v3, v20, -v71 op_sel_hi:[1,0,0]
	v_fmac_f32_e32 v37, v121, v3
	s_waitcnt lgkmcnt(1)
	v_bfe_i32 v3, v57, 0, 8
	v_bfe_i32 v20, v57, 8, 8
	;; [unrolled: 1-line block ×3, first 2 shown]
	s_waitcnt lgkmcnt(0)
	v_bfe_i32 v39, v62, 0, 8
	v_ashrrev_i32_e32 v26, 24, v57
	v_mul_i32_i24_e32 v69, v3, v223
	v_bfe_i32 v43, v58, 0, 8
	v_mul_i32_i24_e32 v70, v20, v224
	v_mul_i32_i24_e32 v71, v21, v226
	v_bfe_i32 v40, v62, 8, 8
	v_mad_i32_i24 v69, v39, v221, v69
	v_bfe_i32 v41, v62, 16, 8
	v_mul_i32_i24_e32 v72, v26, v227
	v_mul_i32_i24_e32 v77, v43, v230
	v_ashrrev_i32_e32 v42, 24, v62
	v_add3_u32 v69, v69, v70, v71
	v_bfe_i32 v48, v63, 0, 8
	v_mul_i32_i24_e32 v73, v40, v228
	v_mul_i32_i24_e32 v75, v41, v222
	v_bfe_i32 v44, v58, 8, 8
	v_add3_u32 v69, v69, v72, v77
	v_bfe_i32 v45, v58, 16, 8
	v_mul_i32_i24_e32 v76, v42, v229
	v_mul_i32_i24_e32 v81, v48, v235
	v_ashrrev_i32_e32 v46, 24, v58
	v_add3_u32 v69, v69, v73, v75
	v_bfe_i32 v52, v59, 0, 8
	v_mul_i32_i24_e32 v78, v44, v231
	v_mul_i32_i24_e32 v79, v45, v232
	v_bfe_i32 v49, v63, 8, 8
	v_add3_u32 v69, v69, v76, v81
	;; [unrolled: 10-line block ×6, first 2 shown]
	v_ashrrev_i32_e32 v65, 24, v65
	v_mul_i32_i24_e32 v110, v60, v249
	v_mul_i32_i24_e32 v112, v66, v251
	v_mul_i32_i24_e32 v113, v67, v240
	v_add3_u32 v69, v69, v108, v109
	v_mul_i32_i24_e32 v253, v65, v252
	v_mul_i32_i24_e32 v70, v20, v191
	v_mul_i32_i24_e32 v71, v21, v193
	v_mul_i32_i24_e32 v72, v26, v194
	v_add3_u32 v69, v69, v110, v112
	v_mul_i32_i24_e32 v77, v43, v198
	;; [unrolled: 5-line block ×3, first 2 shown]
	v_mul_i32_i24_e32 v78, v44, v199
	v_mul_i32_i24_e32 v79, v45, v200
	;; [unrolled: 1-line block ×3, first 2 shown]
	v_cvt_f32_i32_e32 v69, v69
	v_mul_i32_i24_e32 v97, v52, v206
	v_mul_i32_i24_e32 v82, v49, v204
	v_mul_i32_i24_e32 v84, v50, v192
	v_mul_i32_i24_e32 v85, v51, v205
	v_fma_mix_f32 v69, v4, v69, -v68 op_sel_hi:[1,0,0]
	v_mul_i32_i24_e32 v101, v56, v211
	v_mul_i32_i24_e32 v98, v53, v207
	;; [unrolled: 1-line block ×4, first 2 shown]
	v_fmac_f32_e32 v36, v196, v69
	v_mul_i32_i24_e32 v69, v3, v190
	v_mul_i32_i24_e32 v107, v61, v214
	;; [unrolled: 1-line block ×5, first 2 shown]
	v_mad_i32_i24 v69, v39, v188, v69
	v_mul_i32_i24_e32 v111, v64, v218
	v_mul_i32_i24_e32 v108, v62, v215
	v_mul_i32_i24_e32 v109, v63, v216
	v_mul_i32_i24_e32 v110, v60, v217
	v_add3_u32 v69, v69, v70, v71
	v_mul_i32_i24_e32 v112, v66, v219
	v_mul_i32_i24_e32 v113, v67, v208
	v_mul_i32_i24_e32 v253, v65, v220
	v_mul_i32_i24_e32 v70, v20, v158
	v_add3_u32 v69, v69, v72, v77
	;; [unrolled: 5-line block ×15, first 2 shown]
	v_mul_i32_i24_e32 v112, v66, v185
	v_mul_i32_i24_e32 v60, v60, v150
	v_mul_i32_i24_e32 v66, v66, v152
	v_mul_i32_i24_e32 v113, v67, v174
	v_cvt_f32_i32_e32 v69, v69
	v_mul_i32_i24_e32 v253, v65, v186
	v_mul_i32_i24_e32 v67, v67, v141
	;; [unrolled: 1-line block ×3, first 2 shown]
	s_delay_alu instid0(VALU_DEP_4) | instskip(NEXT) | instid1(VALU_DEP_1)
	v_fma_mix_f32 v69, v4, v69, -v68 op_sel_hi:[1,0,0]
	v_fmac_f32_e32 v35, v187, v69
	v_mul_i32_i24_e32 v69, v3, v157
	v_mul_i32_i24_e32 v3, v3, v124
	s_delay_alu instid0(VALU_DEP_2) | instskip(NEXT) | instid1(VALU_DEP_2)
	v_mad_i32_i24 v69, v39, v155, v69
	v_mad_i32_i24 v3, v39, v122, v3
	s_delay_alu instid0(VALU_DEP_2) | instskip(NEXT) | instid1(VALU_DEP_2)
	v_add3_u32 v69, v69, v70, v71
	v_add3_u32 v3, v3, v20, v21
	s_delay_alu instid0(VALU_DEP_2) | instskip(NEXT) | instid1(VALU_DEP_2)
	v_add3_u32 v69, v69, v72, v77
	v_add3_u32 v3, v3, v26, v43
	;; [unrolled: 3-line block ×15, first 2 shown]
	s_delay_alu instid0(VALU_DEP_2) | instskip(NEXT) | instid1(VALU_DEP_2)
	v_cvt_f32_i32_e32 v69, v69
	v_cvt_f32_i32_e32 v3, v3
	s_delay_alu instid0(VALU_DEP_2) | instskip(NEXT) | instid1(VALU_DEP_2)
	v_fma_mix_f32 v69, v4, v69, -v68 op_sel_hi:[1,0,0]
	v_fma_mix_f32 v3, v4, v3, -v68 op_sel_hi:[1,0,0]
	s_delay_alu instid0(VALU_DEP_1)
	v_dual_fmac_f32 v34, v154, v69 :: v_dual_fmac_f32 v33, v121, v3
	ds_load_b128 v[57:60], v115 offset:2048
	ds_load_b128 v[62:65], v115 offset:2064
	ds_load_2addr_b32 v[3:4], v114 offset0:64 offset1:96
	s_waitcnt lgkmcnt(2)
	v_bfe_i32 v20, v57, 0, 8
	v_bfe_i32 v21, v57, 8, 8
	;; [unrolled: 1-line block ×3, first 2 shown]
	s_waitcnt lgkmcnt(1)
	v_bfe_i32 v40, v62, 0, 8
	v_ashrrev_i32_e32 v39, 24, v57
	v_mul_i32_i24_e32 v70, v20, v223
	v_bfe_i32 v44, v58, 0, 8
	v_mul_i32_i24_e32 v71, v21, v224
	v_mul_i32_i24_e32 v72, v26, v226
	v_bfe_i32 v41, v62, 8, 8
	v_mad_i32_i24 v70, v40, v221, v70
	v_bfe_i32 v42, v62, 16, 8
	v_mul_i32_i24_e32 v73, v39, v227
	v_mul_i32_i24_e32 v78, v44, v230
	v_ashrrev_i32_e32 v43, 24, v62
	v_add3_u32 v70, v70, v71, v72
	v_bfe_i32 v49, v63, 0, 8
	v_mul_i32_i24_e32 v75, v41, v228
	v_mul_i32_i24_e32 v76, v42, v222
	v_bfe_i32 v45, v58, 8, 8
	v_add3_u32 v70, v70, v73, v78
	v_bfe_i32 v46, v58, 16, 8
	v_mul_i32_i24_e32 v77, v43, v229
	v_mul_i32_i24_e32 v82, v49, v235
	v_ashrrev_i32_e32 v48, 24, v58
	v_add3_u32 v70, v70, v75, v76
	v_bfe_i32 v53, v59, 0, 8
	v_mul_i32_i24_e32 v79, v45, v231
	v_mul_i32_i24_e32 v80, v46, v232
	v_bfe_i32 v50, v63, 8, 8
	v_add3_u32 v70, v70, v77, v82
	;; [unrolled: 10-line block ×6, first 2 shown]
	v_ashrrev_i32_e32 v65, 24, v65
	v_mul_i32_i24_e32 v111, v60, v249
	v_mul_i32_i24_e32 v113, v67, v251
	s_waitcnt lgkmcnt(0)
	v_lshrrev_b32_e32 v69, 16, v3
	v_add3_u32 v70, v70, v109, v110
	v_mul_i32_i24_e32 v253, v68, v240
	v_mul_i32_i24_e32 v254, v65, v252
	;; [unrolled: 1-line block ×3, first 2 shown]
	v_cvt_f32_f16_e32 v69, v69
	v_add3_u32 v70, v70, v111, v113
	v_mul_i32_i24_e32 v72, v26, v193
	v_mul_i32_i24_e32 v73, v39, v194
	;; [unrolled: 1-line block ×3, first 2 shown]
	v_mul_f32_e32 v69, 0x41000000, v69
	v_add3_u32 v70, v70, v253, v254
	v_mul_i32_i24_e32 v76, v42, v189
	v_mul_i32_i24_e32 v77, v43, v197
	;; [unrolled: 1-line block ×4, first 2 shown]
	v_cvt_f32_i32_e32 v70, v70
	v_mul_i32_i24_e32 v80, v46, v200
	v_mul_i32_i24_e32 v81, v48, v201
	;; [unrolled: 1-line block ×4, first 2 shown]
	v_fma_mix_f32 v70, v3, v70, -v69 op_sel_hi:[1,0,0]
	v_mul_i32_i24_e32 v85, v51, v192
	v_mul_i32_i24_e32 v97, v52, v205
	;; [unrolled: 1-line block ×4, first 2 shown]
	v_fmac_f32_e32 v31, v196, v70
	v_mul_i32_i24_e32 v70, v20, v190
	v_mul_i32_i24_e32 v78, v44, v198
	;; [unrolled: 1-line block ×5, first 2 shown]
	v_mad_i32_i24 v70, v40, v188, v70
	v_mul_i32_i24_e32 v105, v58, v212
	v_mul_i32_i24_e32 v106, v59, v202
	v_mul_i32_i24_e32 v107, v61, v213
	v_mul_i32_i24_e32 v112, v66, v218
	v_add3_u32 v70, v70, v71, v72
	v_mul_i32_i24_e32 v109, v63, v215
	v_mul_i32_i24_e32 v110, v64, v216
	v_mul_i32_i24_e32 v111, v60, v217
	v_mul_i32_i24_e32 v113, v67, v219
	v_add3_u32 v70, v70, v73, v78
	;; [unrolled: 5-line block ×15, first 2 shown]
	v_mul_i32_i24_e32 v64, v64, v149
	v_mul_i32_i24_e32 v111, v60, v183
	;; [unrolled: 1-line block ×4, first 2 shown]
	v_cvt_f32_i32_e32 v70, v70
	v_mul_i32_i24_e32 v67, v67, v152
	v_mul_i32_i24_e32 v253, v68, v174
	v_mul_i32_i24_e32 v254, v65, v186
	v_mul_i32_i24_e32 v68, v68, v141
	v_fma_mix_f32 v70, v3, v70, -v69 op_sel_hi:[1,0,0]
	v_mul_i32_i24_e32 v65, v65, v153
	s_delay_alu instid0(VALU_DEP_2) | instskip(SKIP_3) | instid1(VALU_DEP_3)
	v_fmac_f32_e32 v30, v187, v70
	v_mul_i32_i24_e32 v70, v20, v157
	v_mul_i32_i24_e32 v20, v20, v124
	;; [unrolled: 1-line block ×3, first 2 shown]
	v_mad_i32_i24 v70, v40, v155, v70
	s_delay_alu instid0(VALU_DEP_3) | instskip(NEXT) | instid1(VALU_DEP_2)
	v_mad_i32_i24 v20, v40, v122, v20
	v_add3_u32 v70, v70, v71, v72
	s_delay_alu instid0(VALU_DEP_2) | instskip(NEXT) | instid1(VALU_DEP_2)
	v_add3_u32 v20, v20, v21, v26
	v_add3_u32 v70, v70, v73, v78
	s_delay_alu instid0(VALU_DEP_2) | instskip(NEXT) | instid1(VALU_DEP_2)
	v_add3_u32 v20, v20, v39, v44
	;; [unrolled: 3-line block ×14, first 2 shown]
	v_add3_u32 v70, v70, v253, v254
	s_delay_alu instid0(VALU_DEP_2)
	v_add3_u32 v20, v20, v68, v65
	ds_load_b128 v[57:60], v115 offset:3072
	ds_load_b128 v[62:65], v115 offset:3088
	v_lshrrev_b32_e32 v68, 16, v4
	v_cvt_f32_i32_e32 v70, v70
	v_cvt_f32_i32_e32 v20, v20
	s_delay_alu instid0(VALU_DEP_3) | instskip(NEXT) | instid1(VALU_DEP_3)
	v_cvt_f32_f16_e32 v68, v68
	v_fma_mix_f32 v70, v3, v70, -v69 op_sel_hi:[1,0,0]
	s_delay_alu instid0(VALU_DEP_3) | instskip(NEXT) | instid1(VALU_DEP_2)
	v_fma_mix_f32 v3, v3, v20, -v69 op_sel_hi:[1,0,0]
	v_dual_mul_f32 v68, 0x41000000, v68 :: v_dual_fmac_f32 v29, v154, v70
	s_delay_alu instid0(VALU_DEP_2)
	v_fmac_f32_e32 v28, v121, v3
	s_waitcnt lgkmcnt(1)
	v_bfe_i32 v3, v57, 0, 8
	v_bfe_i32 v20, v57, 8, 8
	;; [unrolled: 1-line block ×3, first 2 shown]
	s_waitcnt lgkmcnt(0)
	v_bfe_i32 v39, v62, 0, 8
	v_ashrrev_i32_e32 v26, 24, v57
	v_mul_i32_i24_e32 v69, v3, v223
	v_bfe_i32 v43, v58, 0, 8
	v_mul_i32_i24_e32 v70, v20, v224
	v_mul_i32_i24_e32 v71, v21, v226
	v_bfe_i32 v40, v62, 8, 8
	v_mad_i32_i24 v69, v39, v221, v69
	v_bfe_i32 v41, v62, 16, 8
	v_mul_i32_i24_e32 v72, v26, v227
	v_mul_i32_i24_e32 v77, v43, v230
	v_ashrrev_i32_e32 v42, 24, v62
	v_add3_u32 v69, v69, v70, v71
	v_bfe_i32 v48, v63, 0, 8
	v_mul_i32_i24_e32 v73, v40, v228
	v_mul_i32_i24_e32 v75, v41, v222
	v_bfe_i32 v44, v58, 8, 8
	v_add3_u32 v69, v69, v72, v77
	v_bfe_i32 v45, v58, 16, 8
	v_mul_i32_i24_e32 v76, v42, v229
	v_mul_i32_i24_e32 v81, v48, v235
	v_ashrrev_i32_e32 v46, 24, v58
	v_add3_u32 v69, v69, v73, v75
	v_bfe_i32 v52, v59, 0, 8
	v_mul_i32_i24_e32 v78, v44, v231
	v_mul_i32_i24_e32 v79, v45, v232
	v_bfe_i32 v49, v63, 8, 8
	v_add3_u32 v69, v69, v76, v81
	;; [unrolled: 10-line block ×6, first 2 shown]
	v_ashrrev_i32_e32 v65, 24, v65
	v_mul_i32_i24_e32 v110, v60, v249
	v_mul_i32_i24_e32 v112, v66, v251
	v_mul_i32_i24_e32 v113, v67, v240
	v_add3_u32 v69, v69, v108, v109
	v_mul_i32_i24_e32 v253, v65, v252
	v_mul_i32_i24_e32 v70, v20, v191
	v_mul_i32_i24_e32 v71, v21, v193
	v_mul_i32_i24_e32 v72, v26, v194
	v_add3_u32 v69, v69, v110, v112
	v_mul_i32_i24_e32 v77, v43, v198
	;; [unrolled: 5-line block ×3, first 2 shown]
	v_mul_i32_i24_e32 v78, v44, v199
	v_mul_i32_i24_e32 v79, v45, v200
	v_mul_i32_i24_e32 v80, v46, v201
	v_cvt_f32_i32_e32 v69, v69
	v_mul_i32_i24_e32 v97, v52, v206
	v_mul_i32_i24_e32 v82, v49, v204
	;; [unrolled: 1-line block ×4, first 2 shown]
	v_fma_mix_f32 v69, v4, v69, -v68 op_sel_hi:[1,0,0]
	v_mul_i32_i24_e32 v101, v56, v211
	v_mul_i32_i24_e32 v98, v53, v207
	;; [unrolled: 1-line block ×4, first 2 shown]
	v_fmac_f32_e32 v27, v196, v69
	v_mul_i32_i24_e32 v69, v3, v190
	v_mul_i32_i24_e32 v107, v61, v214
	;; [unrolled: 1-line block ×5, first 2 shown]
	v_mad_i32_i24 v69, v39, v188, v69
	v_mul_i32_i24_e32 v111, v64, v218
	v_mul_i32_i24_e32 v108, v62, v215
	v_mul_i32_i24_e32 v109, v63, v216
	v_mul_i32_i24_e32 v110, v60, v217
	v_add3_u32 v69, v69, v70, v71
	v_mul_i32_i24_e32 v112, v66, v219
	v_mul_i32_i24_e32 v113, v67, v208
	v_mul_i32_i24_e32 v253, v65, v220
	v_mul_i32_i24_e32 v70, v20, v158
	v_add3_u32 v69, v69, v72, v77
	;; [unrolled: 5-line block ×15, first 2 shown]
	v_mul_i32_i24_e32 v112, v66, v185
	v_mul_i32_i24_e32 v60, v60, v150
	;; [unrolled: 1-line block ×4, first 2 shown]
	v_cvt_f32_i32_e32 v69, v69
	v_mul_i32_i24_e32 v253, v65, v186
	v_mul_i32_i24_e32 v67, v67, v141
	v_mul_i32_i24_e32 v65, v65, v153
	s_delay_alu instid0(VALU_DEP_4) | instskip(NEXT) | instid1(VALU_DEP_1)
	v_fma_mix_f32 v69, v4, v69, -v68 op_sel_hi:[1,0,0]
	v_fmac_f32_e32 v25, v187, v69
	v_mul_i32_i24_e32 v69, v3, v157
	v_mul_i32_i24_e32 v3, v3, v124
	s_delay_alu instid0(VALU_DEP_2) | instskip(NEXT) | instid1(VALU_DEP_2)
	v_mad_i32_i24 v69, v39, v155, v69
	v_mad_i32_i24 v3, v39, v122, v3
	s_delay_alu instid0(VALU_DEP_2) | instskip(NEXT) | instid1(VALU_DEP_2)
	v_add3_u32 v69, v69, v70, v71
	v_add3_u32 v3, v3, v20, v21
	s_delay_alu instid0(VALU_DEP_2) | instskip(NEXT) | instid1(VALU_DEP_2)
	v_add3_u32 v69, v69, v72, v77
	v_add3_u32 v3, v3, v26, v43
	;; [unrolled: 3-line block ×15, first 2 shown]
	s_delay_alu instid0(VALU_DEP_2) | instskip(NEXT) | instid1(VALU_DEP_2)
	v_cvt_f32_i32_e32 v69, v69
	v_cvt_f32_i32_e32 v3, v3
	s_delay_alu instid0(VALU_DEP_2) | instskip(NEXT) | instid1(VALU_DEP_2)
	v_fma_mix_f32 v69, v4, v69, -v68 op_sel_hi:[1,0,0]
	v_fma_mix_f32 v3, v4, v3, -v68 op_sel_hi:[1,0,0]
	s_delay_alu instid0(VALU_DEP_1)
	v_dual_fmac_f32 v24, v154, v69 :: v_dual_fmac_f32 v23, v121, v3
	ds_load_b128 v[57:60], v115 offset:4096
	ds_load_b128 v[62:65], v115 offset:4112
	ds_load_2addr_b32 v[3:4], v114 offset0:128 offset1:160
	s_waitcnt lgkmcnt(2)
	v_bfe_i32 v20, v57, 0, 8
	v_bfe_i32 v21, v57, 8, 8
	;; [unrolled: 1-line block ×3, first 2 shown]
	s_waitcnt lgkmcnt(1)
	v_bfe_i32 v40, v62, 0, 8
	v_ashrrev_i32_e32 v39, 24, v57
	v_mul_i32_i24_e32 v70, v20, v223
	v_bfe_i32 v44, v58, 0, 8
	v_mul_i32_i24_e32 v71, v21, v224
	v_mul_i32_i24_e32 v72, v26, v226
	v_bfe_i32 v41, v62, 8, 8
	v_mad_i32_i24 v70, v40, v221, v70
	v_bfe_i32 v42, v62, 16, 8
	v_mul_i32_i24_e32 v73, v39, v227
	v_mul_i32_i24_e32 v78, v44, v230
	v_ashrrev_i32_e32 v43, 24, v62
	v_add3_u32 v70, v70, v71, v72
	v_bfe_i32 v49, v63, 0, 8
	v_mul_i32_i24_e32 v75, v41, v228
	v_mul_i32_i24_e32 v76, v42, v222
	v_bfe_i32 v45, v58, 8, 8
	v_add3_u32 v70, v70, v73, v78
	v_bfe_i32 v46, v58, 16, 8
	v_mul_i32_i24_e32 v77, v43, v229
	v_mul_i32_i24_e32 v82, v49, v235
	v_ashrrev_i32_e32 v48, 24, v58
	v_add3_u32 v70, v70, v75, v76
	v_bfe_i32 v53, v59, 0, 8
	v_mul_i32_i24_e32 v79, v45, v231
	v_mul_i32_i24_e32 v80, v46, v232
	v_bfe_i32 v50, v63, 8, 8
	v_add3_u32 v70, v70, v77, v82
	;; [unrolled: 10-line block ×6, first 2 shown]
	v_ashrrev_i32_e32 v65, 24, v65
	v_mul_i32_i24_e32 v111, v60, v249
	v_mul_i32_i24_e32 v113, v67, v251
	s_waitcnt lgkmcnt(0)
	v_lshrrev_b32_e32 v69, 16, v3
	v_add3_u32 v70, v70, v109, v110
	v_mul_i32_i24_e32 v253, v68, v240
	v_mul_i32_i24_e32 v254, v65, v252
	;; [unrolled: 1-line block ×3, first 2 shown]
	v_cvt_f32_f16_e32 v69, v69
	v_add3_u32 v70, v70, v111, v113
	v_mul_i32_i24_e32 v72, v26, v193
	v_mul_i32_i24_e32 v73, v39, v194
	;; [unrolled: 1-line block ×3, first 2 shown]
	v_mul_f32_e32 v69, 0x41000000, v69
	v_add3_u32 v70, v70, v253, v254
	v_mul_i32_i24_e32 v75, v41, v195
	v_mul_i32_i24_e32 v76, v42, v189
	;; [unrolled: 1-line block ×4, first 2 shown]
	v_cvt_f32_i32_e32 v70, v70
	v_mul_i32_i24_e32 v79, v45, v199
	v_mul_i32_i24_e32 v80, v46, v200
	;; [unrolled: 1-line block ×4, first 2 shown]
	v_fma_mix_f32 v70, v3, v70, -v69 op_sel_hi:[1,0,0]
	v_mul_i32_i24_e32 v84, v50, v204
	v_mul_i32_i24_e32 v85, v51, v192
	;; [unrolled: 1-line block ×4, first 2 shown]
	v_fmac_f32_e32 v22, v196, v70
	v_mul_i32_i24_e32 v70, v20, v190
	v_mul_i32_i24_e32 v99, v54, v207
	v_mul_i32_i24_e32 v100, v55, v209
	v_mul_i32_i24_e32 v101, v56, v210
	v_mul_i32_i24_e32 v108, v62, v214
	v_mad_i32_i24 v70, v40, v188, v70
	v_mul_i32_i24_e32 v105, v58, v212
	v_mul_i32_i24_e32 v106, v59, v202
	v_mul_i32_i24_e32 v107, v61, v213
	v_mul_i32_i24_e32 v112, v66, v218
	v_add3_u32 v70, v70, v71, v72
	v_mul_i32_i24_e32 v109, v63, v215
	v_mul_i32_i24_e32 v110, v64, v216
	v_mul_i32_i24_e32 v111, v60, v217
	v_mul_i32_i24_e32 v113, v67, v219
	v_add3_u32 v70, v70, v73, v78
	;; [unrolled: 5-line block ×15, first 2 shown]
	v_mul_i32_i24_e32 v111, v60, v183
	v_mul_i32_i24_e32 v113, v67, v185
	;; [unrolled: 1-line block ×4, first 2 shown]
	v_cvt_f32_i32_e32 v70, v70
	v_mul_i32_i24_e32 v253, v68, v174
	v_mul_i32_i24_e32 v254, v65, v186
	;; [unrolled: 1-line block ×4, first 2 shown]
	v_fma_mix_f32 v70, v3, v70, -v69 op_sel_hi:[1,0,0]
	s_delay_alu instid0(VALU_DEP_1) | instskip(SKIP_4) | instid1(VALU_DEP_4)
	v_fmac_f32_e32 v19, v187, v70
	v_mul_i32_i24_e32 v70, v20, v157
	v_mul_i32_i24_e32 v20, v20, v124
	;; [unrolled: 1-line block ×4, first 2 shown]
	v_mad_i32_i24 v70, v40, v155, v70
	s_delay_alu instid0(VALU_DEP_4) | instskip(NEXT) | instid1(VALU_DEP_2)
	v_mad_i32_i24 v20, v40, v122, v20
	v_add3_u32 v70, v70, v71, v72
	s_delay_alu instid0(VALU_DEP_2) | instskip(NEXT) | instid1(VALU_DEP_2)
	v_add3_u32 v20, v20, v21, v26
	v_add3_u32 v70, v70, v73, v78
	s_delay_alu instid0(VALU_DEP_2) | instskip(NEXT) | instid1(VALU_DEP_2)
	v_add3_u32 v20, v20, v39, v44
	;; [unrolled: 3-line block ×14, first 2 shown]
	v_add3_u32 v70, v70, v253, v254
	s_delay_alu instid0(VALU_DEP_2)
	v_add3_u32 v20, v20, v68, v65
	ds_load_b128 v[57:60], v115 offset:5120
	ds_load_b128 v[62:65], v115 offset:5136
	v_lshrrev_b32_e32 v68, 16, v4
	v_cvt_f32_i32_e32 v70, v70
	v_cvt_f32_i32_e32 v20, v20
	s_delay_alu instid0(VALU_DEP_3) | instskip(NEXT) | instid1(VALU_DEP_3)
	v_cvt_f32_f16_e32 v68, v68
	v_fma_mix_f32 v70, v3, v70, -v69 op_sel_hi:[1,0,0]
	s_delay_alu instid0(VALU_DEP_3) | instskip(NEXT) | instid1(VALU_DEP_3)
	v_fma_mix_f32 v3, v3, v20, -v69 op_sel_hi:[1,0,0]
	v_mul_f32_e32 v68, 0x41000000, v68
	s_delay_alu instid0(VALU_DEP_2)
	v_dual_fmac_f32 v18, v154, v70 :: v_dual_fmac_f32 v17, v121, v3
	s_waitcnt lgkmcnt(1)
	v_bfe_i32 v3, v57, 0, 8
	v_bfe_i32 v20, v57, 8, 8
	;; [unrolled: 1-line block ×3, first 2 shown]
	s_waitcnt lgkmcnt(0)
	v_bfe_i32 v39, v62, 0, 8
	v_ashrrev_i32_e32 v26, 24, v57
	v_mul_i32_i24_e32 v69, v3, v223
	v_bfe_i32 v43, v58, 0, 8
	v_mul_i32_i24_e32 v70, v20, v224
	v_mul_i32_i24_e32 v71, v21, v226
	v_bfe_i32 v40, v62, 8, 8
	v_mad_i32_i24 v69, v39, v221, v69
	v_bfe_i32 v41, v62, 16, 8
	v_mul_i32_i24_e32 v72, v26, v227
	v_mul_i32_i24_e32 v77, v43, v230
	v_ashrrev_i32_e32 v42, 24, v62
	v_add3_u32 v69, v69, v70, v71
	v_bfe_i32 v48, v63, 0, 8
	v_mul_i32_i24_e32 v73, v40, v228
	v_mul_i32_i24_e32 v75, v41, v222
	v_bfe_i32 v44, v58, 8, 8
	v_add3_u32 v69, v69, v72, v77
	v_bfe_i32 v45, v58, 16, 8
	v_mul_i32_i24_e32 v76, v42, v229
	v_mul_i32_i24_e32 v81, v48, v235
	v_ashrrev_i32_e32 v46, 24, v58
	v_add3_u32 v69, v69, v73, v75
	v_bfe_i32 v52, v59, 0, 8
	v_mul_i32_i24_e32 v78, v44, v231
	v_mul_i32_i24_e32 v79, v45, v232
	v_bfe_i32 v49, v63, 8, 8
	v_add3_u32 v69, v69, v76, v81
	;; [unrolled: 10-line block ×6, first 2 shown]
	v_ashrrev_i32_e32 v65, 24, v65
	v_mul_i32_i24_e32 v110, v60, v249
	v_mul_i32_i24_e32 v112, v66, v251
	v_mul_i32_i24_e32 v113, v67, v240
	v_add3_u32 v69, v69, v108, v109
	v_mul_i32_i24_e32 v253, v65, v252
	v_mul_i32_i24_e32 v70, v20, v191
	v_mul_i32_i24_e32 v71, v21, v193
	v_mul_i32_i24_e32 v72, v26, v194
	v_add3_u32 v69, v69, v110, v112
	v_mul_i32_i24_e32 v77, v43, v198
	;; [unrolled: 5-line block ×3, first 2 shown]
	v_mul_i32_i24_e32 v78, v44, v199
	v_mul_i32_i24_e32 v79, v45, v200
	;; [unrolled: 1-line block ×3, first 2 shown]
	v_cvt_f32_i32_e32 v69, v69
	v_mul_i32_i24_e32 v97, v52, v206
	v_mul_i32_i24_e32 v82, v49, v204
	v_mul_i32_i24_e32 v84, v50, v192
	v_mul_i32_i24_e32 v85, v51, v205
	v_fma_mix_f32 v69, v4, v69, -v68 op_sel_hi:[1,0,0]
	v_mul_i32_i24_e32 v101, v56, v211
	v_mul_i32_i24_e32 v98, v53, v207
	;; [unrolled: 1-line block ×4, first 2 shown]
	v_fmac_f32_e32 v16, v196, v69
	v_mul_i32_i24_e32 v69, v3, v190
	v_mul_i32_i24_e32 v107, v61, v214
	v_mul_i32_i24_e32 v102, v57, v212
	v_mul_i32_i24_e32 v105, v58, v202
	v_mul_i32_i24_e32 v106, v59, v213
	v_mad_i32_i24 v69, v39, v188, v69
	v_mul_i32_i24_e32 v111, v64, v218
	v_mul_i32_i24_e32 v108, v62, v215
	v_mul_i32_i24_e32 v109, v63, v216
	v_mul_i32_i24_e32 v110, v60, v217
	v_add3_u32 v69, v69, v70, v71
	v_mul_i32_i24_e32 v112, v66, v219
	v_mul_i32_i24_e32 v113, v67, v208
	v_mul_i32_i24_e32 v253, v65, v220
	v_mul_i32_i24_e32 v70, v20, v158
	v_add3_u32 v69, v69, v72, v77
	;; [unrolled: 5-line block ×15, first 2 shown]
	v_mul_i32_i24_e32 v112, v66, v185
	v_mul_i32_i24_e32 v60, v60, v150
	;; [unrolled: 1-line block ×4, first 2 shown]
	v_cvt_f32_i32_e32 v69, v69
	v_mul_i32_i24_e32 v253, v65, v186
	v_mul_i32_i24_e32 v67, v67, v141
	;; [unrolled: 1-line block ×3, first 2 shown]
	s_delay_alu instid0(VALU_DEP_4) | instskip(NEXT) | instid1(VALU_DEP_1)
	v_fma_mix_f32 v69, v4, v69, -v68 op_sel_hi:[1,0,0]
	v_fmac_f32_e32 v15, v187, v69
	v_mul_i32_i24_e32 v69, v3, v157
	v_mul_i32_i24_e32 v3, v3, v124
	s_delay_alu instid0(VALU_DEP_2) | instskip(NEXT) | instid1(VALU_DEP_2)
	v_mad_i32_i24 v69, v39, v155, v69
	v_mad_i32_i24 v3, v39, v122, v3
	s_delay_alu instid0(VALU_DEP_2) | instskip(NEXT) | instid1(VALU_DEP_2)
	v_add3_u32 v69, v69, v70, v71
	v_add3_u32 v3, v3, v20, v21
	s_delay_alu instid0(VALU_DEP_2) | instskip(NEXT) | instid1(VALU_DEP_2)
	v_add3_u32 v69, v69, v72, v77
	v_add3_u32 v3, v3, v26, v43
	;; [unrolled: 3-line block ×15, first 2 shown]
	s_delay_alu instid0(VALU_DEP_2) | instskip(NEXT) | instid1(VALU_DEP_2)
	v_cvt_f32_i32_e32 v69, v69
	v_cvt_f32_i32_e32 v3, v3
	s_delay_alu instid0(VALU_DEP_2) | instskip(NEXT) | instid1(VALU_DEP_2)
	v_fma_mix_f32 v69, v4, v69, -v68 op_sel_hi:[1,0,0]
	v_fma_mix_f32 v3, v4, v3, -v68 op_sel_hi:[1,0,0]
	s_delay_alu instid0(VALU_DEP_1)
	v_dual_fmac_f32 v14, v154, v69 :: v_dual_fmac_f32 v13, v121, v3
	ds_load_b128 v[57:60], v115 offset:6144
	ds_load_b128 v[62:65], v115 offset:6160
	ds_load_2addr_b32 v[3:4], v114 offset0:192 offset1:224
	v_add_nc_u32_e32 v114, 4, v114
	s_waitcnt lgkmcnt(2)
	v_bfe_i32 v20, v57, 0, 8
	v_bfe_i32 v21, v57, 8, 8
	;; [unrolled: 1-line block ×3, first 2 shown]
	s_waitcnt lgkmcnt(1)
	v_bfe_i32 v40, v62, 0, 8
	v_ashrrev_i32_e32 v39, 24, v57
	v_mul_i32_i24_e32 v70, v20, v223
	v_bfe_i32 v44, v58, 0, 8
	v_mul_i32_i24_e32 v71, v21, v224
	v_mul_i32_i24_e32 v72, v26, v226
	v_bfe_i32 v41, v62, 8, 8
	v_mad_i32_i24 v70, v40, v221, v70
	v_bfe_i32 v42, v62, 16, 8
	v_mul_i32_i24_e32 v73, v39, v227
	v_mul_i32_i24_e32 v78, v44, v230
	v_ashrrev_i32_e32 v43, 24, v62
	v_add3_u32 v70, v70, v71, v72
	v_bfe_i32 v49, v63, 0, 8
	v_mul_i32_i24_e32 v75, v41, v228
	v_mul_i32_i24_e32 v76, v42, v222
	v_bfe_i32 v45, v58, 8, 8
	v_add3_u32 v70, v70, v73, v78
	v_bfe_i32 v46, v58, 16, 8
	v_mul_i32_i24_e32 v77, v43, v229
	v_mul_i32_i24_e32 v82, v49, v235
	v_ashrrev_i32_e32 v48, 24, v58
	v_add3_u32 v70, v70, v75, v76
	v_bfe_i32 v53, v59, 0, 8
	v_mul_i32_i24_e32 v79, v45, v231
	v_mul_i32_i24_e32 v80, v46, v232
	v_bfe_i32 v50, v63, 8, 8
	v_add3_u32 v70, v70, v77, v82
	;; [unrolled: 10-line block ×6, first 2 shown]
	v_ashrrev_i32_e32 v65, 24, v65
	v_mul_i32_i24_e32 v111, v60, v249
	v_mul_i32_i24_e32 v113, v67, v251
	s_waitcnt lgkmcnt(0)
	v_lshrrev_b32_e32 v69, 16, v3
	v_add3_u32 v70, v70, v109, v110
	v_mul_i32_i24_e32 v253, v68, v240
	v_mul_i32_i24_e32 v254, v65, v252
	v_mul_i32_i24_e32 v71, v21, v191
	v_cvt_f32_f16_e32 v69, v69
	v_add3_u32 v70, v70, v111, v113
	v_mul_i32_i24_e32 v72, v26, v193
	v_mul_i32_i24_e32 v73, v39, v194
	;; [unrolled: 1-line block ×3, first 2 shown]
	v_mul_f32_e32 v69, 0x41000000, v69
	v_add3_u32 v70, v70, v253, v254
	v_mul_i32_i24_e32 v75, v41, v195
	v_mul_i32_i24_e32 v76, v42, v189
	;; [unrolled: 1-line block ×4, first 2 shown]
	v_cvt_f32_i32_e32 v70, v70
	v_mul_i32_i24_e32 v79, v45, v199
	v_mul_i32_i24_e32 v80, v46, v200
	;; [unrolled: 1-line block ×4, first 2 shown]
	v_fma_mix_f32 v70, v3, v70, -v69 op_sel_hi:[1,0,0]
	v_mul_i32_i24_e32 v84, v50, v204
	v_mul_i32_i24_e32 v85, v51, v192
	;; [unrolled: 1-line block ×4, first 2 shown]
	v_fmac_f32_e32 v12, v196, v70
	v_mul_i32_i24_e32 v70, v20, v190
	v_mul_i32_i24_e32 v99, v54, v207
	;; [unrolled: 1-line block ×5, first 2 shown]
	v_mad_i32_i24 v70, v40, v188, v70
	v_mul_i32_i24_e32 v105, v58, v212
	v_mul_i32_i24_e32 v106, v59, v202
	v_mul_i32_i24_e32 v107, v61, v213
	v_mul_i32_i24_e32 v112, v66, v218
	v_add3_u32 v70, v70, v71, v72
	v_mul_i32_i24_e32 v109, v63, v215
	v_mul_i32_i24_e32 v110, v64, v216
	v_mul_i32_i24_e32 v111, v60, v217
	v_mul_i32_i24_e32 v113, v67, v219
	v_add3_u32 v70, v70, v73, v78
	v_mul_i32_i24_e32 v253, v68, v208
	v_mul_i32_i24_e32 v254, v65, v220
	v_mul_i32_i24_e32 v71, v21, v158
	v_mul_i32_i24_e32 v72, v26, v160
	v_add3_u32 v70, v70, v75, v76
	v_mul_i32_i24_e32 v21, v21, v125
	v_mul_i32_i24_e32 v26, v26, v127
	v_mul_i32_i24_e32 v73, v39, v161
	v_mul_i32_i24_e32 v78, v44, v164
	v_add3_u32 v70, v70, v77, v82
	v_mul_i32_i24_e32 v39, v39, v128
	v_mul_i32_i24_e32 v44, v44, v131
	v_mul_i32_i24_e32 v75, v41, v162
	v_mul_i32_i24_e32 v76, v42, v156
	v_add3_u32 v70, v70, v79, v80
	v_mul_i32_i24_e32 v41, v41, v129
	v_mul_i32_i24_e32 v42, v42, v123
	v_mul_i32_i24_e32 v77, v43, v163
	v_mul_i32_i24_e32 v82, v49, v169
	v_add3_u32 v70, v70, v81, v98
	v_mul_i32_i24_e32 v43, v43, v130
	v_mul_i32_i24_e32 v49, v49, v136
	v_mul_i32_i24_e32 v79, v45, v165
	v_mul_i32_i24_e32 v80, v46, v166
	v_add3_u32 v70, v70, v84, v85
	v_mul_i32_i24_e32 v45, v45, v132
	v_mul_i32_i24_e32 v46, v46, v133
	v_mul_i32_i24_e32 v81, v48, v167
	v_mul_i32_i24_e32 v98, v53, v172
	v_add3_u32 v70, v70, v97, v102
	v_mul_i32_i24_e32 v48, v48, v134
	v_mul_i32_i24_e32 v53, v53, v139
	v_mul_i32_i24_e32 v84, v50, v170
	v_mul_i32_i24_e32 v85, v51, v159
	v_add3_u32 v70, v70, v99, v100
	v_mul_i32_i24_e32 v50, v50, v137
	v_mul_i32_i24_e32 v51, v51, v126
	v_mul_i32_i24_e32 v97, v52, v171
	v_mul_i32_i24_e32 v102, v57, v177
	v_add3_u32 v70, v70, v101, v108
	v_mul_i32_i24_e32 v52, v52, v138
	v_mul_i32_i24_e32 v57, v57, v144
	v_mul_i32_i24_e32 v99, v54, v173
	v_mul_i32_i24_e32 v100, v55, v175
	v_add3_u32 v70, v70, v105, v106
	v_mul_i32_i24_e32 v54, v54, v140
	v_mul_i32_i24_e32 v55, v55, v142
	v_mul_i32_i24_e32 v101, v56, v176
	v_mul_i32_i24_e32 v108, v62, v180
	v_add3_u32 v70, v70, v107, v112
	v_mul_i32_i24_e32 v56, v56, v143
	v_mul_i32_i24_e32 v62, v62, v147
	v_mul_i32_i24_e32 v105, v58, v178
	v_mul_i32_i24_e32 v106, v59, v168
	v_add3_u32 v70, v70, v109, v110
	v_mul_i32_i24_e32 v58, v58, v145
	v_mul_i32_i24_e32 v59, v59, v135
	v_mul_i32_i24_e32 v107, v61, v179
	v_mul_i32_i24_e32 v112, v66, v184
	v_add3_u32 v70, v70, v111, v113
	v_mul_i32_i24_e32 v61, v61, v146
	v_mul_i32_i24_e32 v66, v66, v151
	v_mul_i32_i24_e32 v109, v63, v181
	v_mul_i32_i24_e32 v110, v64, v182
	v_add3_u32 v70, v70, v253, v254
	v_mul_i32_i24_e32 v63, v63, v148
	v_mul_i32_i24_e32 v64, v64, v149
	;; [unrolled: 1-line block ×4, first 2 shown]
	v_cvt_f32_i32_e32 v70, v70
	v_mul_i32_i24_e32 v60, v60, v150
	v_mul_i32_i24_e32 v67, v67, v152
	;; [unrolled: 1-line block ×4, first 2 shown]
	v_fma_mix_f32 v70, v3, v70, -v69 op_sel_hi:[1,0,0]
	v_mul_i32_i24_e32 v68, v68, v141
	v_mul_i32_i24_e32 v65, v65, v153
	s_delay_alu instid0(VALU_DEP_3) | instskip(SKIP_2) | instid1(VALU_DEP_2)
	v_fmac_f32_e32 v11, v187, v70
	v_mul_i32_i24_e32 v70, v20, v157
	v_mul_i32_i24_e32 v20, v20, v124
	v_mad_i32_i24 v70, v40, v155, v70
	s_delay_alu instid0(VALU_DEP_2) | instskip(NEXT) | instid1(VALU_DEP_2)
	v_mad_i32_i24 v20, v40, v122, v20
	v_add3_u32 v70, v70, v71, v72
	s_delay_alu instid0(VALU_DEP_2) | instskip(NEXT) | instid1(VALU_DEP_2)
	v_add3_u32 v20, v20, v21, v26
	v_add3_u32 v70, v70, v73, v78
	s_delay_alu instid0(VALU_DEP_2) | instskip(NEXT) | instid1(VALU_DEP_2)
	v_add3_u32 v20, v20, v39, v44
	;; [unrolled: 3-line block ×13, first 2 shown]
	v_add3_u32 v70, v70, v111, v113
	ds_load_b128 v[99:102], v115 offset:7168
	ds_load_b128 v[109:112], v115 offset:7184
	v_add_nc_u32_e32 v115, 32, v115
	v_add3_u32 v20, v20, v60, v67
	v_add3_u32 v70, v70, v253, v254
	s_delay_alu instid0(VALU_DEP_2) | instskip(NEXT) | instid1(VALU_DEP_2)
	v_add3_u32 v20, v20, v68, v65
	v_cvt_f32_i32_e32 v70, v70
	s_delay_alu instid0(VALU_DEP_2) | instskip(NEXT) | instid1(VALU_DEP_2)
	v_cvt_f32_i32_e32 v20, v20
	v_fma_mix_f32 v70, v3, v70, -v69 op_sel_hi:[1,0,0]
	s_delay_alu instid0(VALU_DEP_2)
	v_fma_mix_f32 v3, v3, v20, -v69 op_sel_hi:[1,0,0]
	s_waitcnt lgkmcnt(1)
	v_bfe_i32 v20, v99, 0, 8
	v_bfe_i32 v21, v99, 8, 8
	;; [unrolled: 1-line block ×3, first 2 shown]
	s_waitcnt lgkmcnt(0)
	v_bfe_i32 v253, v109, 0, 8
	v_ashrrev_i32_e32 v254, 24, v99
	v_mul_i32_i24_e32 v39, v20, v223
	v_bfe_i32 v26, v100, 0, 8
	v_mul_i32_i24_e32 v40, v21, v224
	v_mul_i32_i24_e32 v41, v98, v226
	v_bfe_i32 v105, v109, 8, 8
	v_mad_i32_i24 v39, v253, v221, v39
	v_bfe_i32 v106, v109, 16, 8
	v_mul_i32_i24_e32 v43, v254, v227
	v_mul_i32_i24_e32 v52, v26, v230
	v_ashrrev_i32_e32 v107, 24, v109
	v_add3_u32 v39, v39, v40, v41
	v_bfe_i32 v49, v110, 0, 8
	v_mul_i32_i24_e32 v44, v105, v228
	v_mul_i32_i24_e32 v45, v106, v222
	v_bfe_i32 v42, v100, 8, 8
	v_add3_u32 v39, v39, v43, v52
	v_bfe_i32 v46, v100, 16, 8
	v_mul_i32_i24_e32 v51, v107, v229
	v_mul_i32_i24_e32 v67, v49, v235
	v_ashrrev_i32_e32 v48, 24, v100
	v_add3_u32 v39, v39, v44, v45
	v_bfe_i32 v53, v101, 0, 8
	v_mul_i32_i24_e32 v56, v42, v231
	v_mul_i32_i24_e32 v61, v46, v232
	v_bfe_i32 v50, v110, 8, 8
	v_add3_u32 v39, v39, v51, v67
	v_bfe_i32 v108, v110, 16, 8
	v_mul_i32_i24_e32 v66, v48, v234
	v_mul_i32_i24_e32 v71, v53, v238
	v_ashrrev_i32_e32 v109, 24, v110
	v_add3_u32 v39, v39, v56, v61
	v_bfe_i32 v58, v111, 0, 8
	v_mul_i32_i24_e32 v68, v50, v236
	v_mul_i32_i24_e32 v69, v108, v225
	v_fmac_f32_e32 v10, v154, v70
	v_add3_u32 v39, v39, v66, v71
	v_bfe_i32 v54, v101, 8, 8
	v_bfe_i32 v55, v101, 16, 8
	v_mul_i32_i24_e32 v70, v109, v237
	v_mul_i32_i24_e32 v76, v58, v243
	v_add3_u32 v39, v39, v68, v69
	v_ashrrev_i32_e32 v57, 24, v101
	v_bfe_i32 v63, v102, 0, 8
	v_mul_i32_i24_e32 v72, v54, v239
	v_mul_i32_i24_e32 v73, v55, v241
	v_add3_u32 v39, v39, v70, v76
	v_bfe_i32 v59, v111, 8, 8
	v_bfe_i32 v60, v111, 16, 8
	v_mul_i32_i24_e32 v75, v57, v242
	v_mul_i32_i24_e32 v80, v63, v246
	v_add3_u32 v39, v39, v72, v73
	v_ashrrev_i32_e32 v62, 24, v111
	v_bfe_i32 v85, v112, 0, 8
	v_mul_i32_i24_e32 v77, v59, v244
	v_mul_i32_i24_e32 v78, v60, v233
	;; [unrolled: 10-line block ×3, first 2 shown]
	v_add3_u32 v39, v39, v79, v99
	v_bfe_i32 v111, v112, 16, 8
	v_ashrrev_i32_e32 v112, 24, v112
	v_mul_i32_i24_e32 v97, v84, v249
	v_mul_i32_i24_e32 v100, v110, v251
	v_add3_u32 v39, v39, v81, v82
	v_fmac_f32_e32 v9, v121, v3
	v_lshrrev_b32_e32 v3, 16, v4
	v_mul_i32_i24_e32 v101, v111, v240
	v_mul_i32_i24_e32 v102, v112, v252
	v_add3_u32 v39, v39, v97, v100
	v_mul_i32_i24_e32 v40, v21, v191
	v_cvt_f32_f16_e32 v3, v3
	v_mul_i32_i24_e32 v41, v98, v193
	v_mul_i32_i24_e32 v43, v254, v194
	v_add3_u32 v39, v39, v101, v102
	v_mul_i32_i24_e32 v52, v26, v198
	v_mul_f32_e32 v3, 0x41000000, v3
	v_mul_i32_i24_e32 v44, v105, v195
	v_mul_i32_i24_e32 v45, v106, v189
	v_cvt_f32_i32_e32 v39, v39
	v_mul_i32_i24_e32 v51, v107, v197
	v_mul_i32_i24_e32 v67, v49, v203
	;; [unrolled: 1-line block ×4, first 2 shown]
	v_fma_mix_f32 v39, v4, v39, -v3 op_sel_hi:[1,0,0]
	v_mul_i32_i24_e32 v66, v48, v201
	v_mul_i32_i24_e32 v71, v53, v206
	;; [unrolled: 1-line block ×4, first 2 shown]
	v_fmac_f32_e32 v8, v196, v39
	v_mul_i32_i24_e32 v39, v20, v190
	v_mul_i32_i24_e32 v70, v109, v205
	;; [unrolled: 1-line block ×5, first 2 shown]
	v_mad_i32_i24 v39, v253, v188, v39
	v_mul_i32_i24_e32 v75, v57, v210
	v_mul_i32_i24_e32 v80, v63, v214
	v_mul_i32_i24_e32 v77, v59, v212
	v_mul_i32_i24_e32 v78, v60, v202
	v_add3_u32 v39, v39, v40, v41
	v_mul_i32_i24_e32 v79, v62, v213
	v_mul_i32_i24_e32 v99, v85, v218
	v_mul_i32_i24_e32 v81, v64, v215
	v_mul_i32_i24_e32 v82, v65, v216
	v_add3_u32 v39, v39, v43, v52
	;; [unrolled: 5-line block ×6, first 2 shown]
	v_mul_i32_i24_e32 v66, v48, v167
	v_mul_i32_i24_e32 v71, v53, v172
	s_delay_alu instid0(VALU_DEP_3) | instskip(SKIP_3) | instid1(VALU_DEP_4)
	v_add3_u32 v39, v39, v68, v69
	v_mul_i32_i24_e32 v68, v50, v170
	v_mul_i32_i24_e32 v69, v108, v159
	;; [unrolled: 1-line block ×3, first 2 shown]
	v_add3_u32 v39, v39, v70, v76
	v_mul_i32_i24_e32 v70, v109, v171
	v_mul_i32_i24_e32 v76, v58, v177
	;; [unrolled: 1-line block ×3, first 2 shown]
	s_delay_alu instid0(VALU_DEP_4) | instskip(SKIP_3) | instid1(VALU_DEP_4)
	v_add3_u32 v39, v39, v72, v73
	v_mul_i32_i24_e32 v72, v54, v173
	v_mul_i32_i24_e32 v73, v55, v175
	;; [unrolled: 1-line block ×3, first 2 shown]
	v_add3_u32 v39, v39, v75, v80
	v_mul_i32_i24_e32 v75, v57, v176
	v_mul_i32_i24_e32 v80, v63, v180
	;; [unrolled: 1-line block ×3, first 2 shown]
	s_delay_alu instid0(VALU_DEP_4) | instskip(SKIP_2) | instid1(VALU_DEP_3)
	v_add3_u32 v39, v39, v77, v78
	v_mul_i32_i24_e32 v77, v59, v178
	v_mul_i32_i24_e32 v78, v60, v168
	v_add3_u32 v39, v39, v79, v99
	v_mul_i32_i24_e32 v79, v62, v179
	v_mul_i32_i24_e32 v99, v85, v184
	s_delay_alu instid0(VALU_DEP_3) | instskip(SKIP_2) | instid1(VALU_DEP_3)
	v_add3_u32 v39, v39, v81, v82
	v_mul_i32_i24_e32 v81, v64, v181
	v_mul_i32_i24_e32 v82, v65, v182
	v_add3_u32 v39, v39, v97, v100
	v_mul_i32_i24_e32 v97, v84, v183
	v_mul_i32_i24_e32 v100, v110, v185
	s_delay_alu instid0(VALU_DEP_3) | instskip(SKIP_2) | instid1(VALU_DEP_3)
	v_add3_u32 v39, v39, v101, v102
	v_mul_i32_i24_e32 v101, v111, v174
	v_mul_i32_i24_e32 v102, v112, v186
	v_cvt_f32_i32_e32 v39, v39
	s_delay_alu instid0(VALU_DEP_1) | instskip(NEXT) | instid1(VALU_DEP_1)
	v_fma_mix_f32 v39, v4, v39, -v3 op_sel_hi:[1,0,0]
	v_fmac_f32_e32 v7, v187, v39
	v_mul_i32_i24_e32 v39, v20, v157
	s_delay_alu instid0(VALU_DEP_1) | instskip(NEXT) | instid1(VALU_DEP_1)
	v_mad_i32_i24 v39, v253, v155, v39
	v_add3_u32 v39, v39, v40, v41
	v_mul_i32_i24_e32 v40, v21, v125
	v_mul_i32_i24_e32 v41, v98, v127
	v_mul_i32_i24_e32 v127, v107, v130
	v_mul_i32_i24_e32 v125, v46, v133
	v_add3_u32 v39, v39, v43, v52
	v_mul_i32_i24_e32 v43, v254, v128
	v_mul_i32_i24_e32 v128, v49, v136
	v_mul_i32_i24_e32 v107, v50, v137
	v_mul_i32_i24_e32 v98, v54, v140
	;; [unrolled: 5-line block ×3, first 2 shown]
	v_add3_u32 v39, v39, v51, v67
	v_mul_i32_i24_e32 v46, v64, v148
	v_mul_i32_i24_e32 v26, v84, v150
	;; [unrolled: 1-line block ×3, first 2 shown]
	s_delay_alu instid0(VALU_DEP_4) | instskip(NEXT) | instid1(VALU_DEP_1)
	v_add3_u32 v39, v39, v56, v61
	v_add3_u32 v39, v39, v66, v71
	s_delay_alu instid0(VALU_DEP_1) | instskip(NEXT) | instid1(VALU_DEP_1)
	v_add3_u32 v39, v39, v68, v69
	v_add3_u32 v39, v39, v70, v76
	s_delay_alu instid0(VALU_DEP_1) | instskip(NEXT) | instid1(VALU_DEP_1)
	;; [unrolled: 3-line block ×5, first 2 shown]
	v_add3_u32 v39, v39, v101, v102
	v_cvt_f32_i32_e32 v39, v39
	s_delay_alu instid0(VALU_DEP_1) | instskip(NEXT) | instid1(VALU_DEP_1)
	v_fma_mix_f32 v39, v4, v39, -v3 op_sel_hi:[1,0,0]
	v_fmac_f32_e32 v6, v154, v39
	v_mul_i32_i24_e32 v39, v20, v124
	v_mul_i32_i24_e32 v154, v106, v123
	v_mul_i32_i24_e32 v124, v42, v132
	v_mul_i32_i24_e32 v123, v48, v134
	v_mul_i32_i24_e32 v106, v109, v138
	v_mad_i32_i24 v39, v253, v122, v39
	v_mul_i32_i24_e32 v109, v53, v139
	v_mul_i32_i24_e32 v53, v59, v145
	;; [unrolled: 1-line block ×4, first 2 shown]
	v_add3_u32 v39, v39, v40, v41
	v_mul_i32_i24_e32 v20, v111, v141
	s_delay_alu instid0(VALU_DEP_2) | instskip(NEXT) | instid1(VALU_DEP_1)
	v_add3_u32 v39, v39, v43, v44
	v_add3_u32 v39, v39, v129, v154
	s_delay_alu instid0(VALU_DEP_1) | instskip(NEXT) | instid1(VALU_DEP_1)
	v_add3_u32 v39, v39, v127, v128
	v_add3_u32 v39, v39, v124, v125
	s_delay_alu instid0(VALU_DEP_1) | instskip(NEXT) | instid1(VALU_DEP_1)
	;; [unrolled: 3-line block ×7, first 2 shown]
	v_cvt_f32_i32_e32 v20, v20
	v_fma_mix_f32 v3, v4, v20, -v3 op_sel_hi:[1,0,0]
	s_delay_alu instid0(VALU_DEP_1)
	v_fmac_f32_e32 v5, v121, v3
	s_cbranch_scc1 .LBB117_10
; %bb.11:                               ;   in Loop: Header=BB117_6 Depth=1
	s_barrier
	buffer_gl0_inv
	s_branch .LBB117_5
.LBB117_12:
	s_clause 0x2
	scratch_load_b32 v1, off, off offset:236
	scratch_load_b32 v0, off, off offset:240
	;; [unrolled: 1-line block ×3, first 2 shown]
.LBB117_13:
	s_mov_b32 s0, exec_lo
	s_waitcnt vmcnt(0)
	v_cmpx_gt_u32_e64 s4, v2
	s_cbranch_execz .LBB117_64
; %bb.14:
	v_add_nc_u32_e32 v0, s10, v0
	v_mul_lo_u32 v20, v2, s6
	s_delay_alu instid0(VALU_DEP_2)
	v_cmp_gt_u32_e32 vcc_lo, s6, v0
	s_and_saveexec_b32 s1, vcc_lo
	s_cbranch_execz .LBB117_16
; %bb.15:
	s_delay_alu instid0(VALU_DEP_2) | instskip(NEXT) | instid1(VALU_DEP_1)
	v_dual_mov_b32 v3, 0 :: v_dual_add_nc_u32 v2, v0, v20
	v_lshlrev_b64 v[2:3], 2, v[2:3]
	s_waitcnt lgkmcnt(0)
	s_delay_alu instid0(VALU_DEP_1) | instskip(NEXT) | instid1(VALU_DEP_1)
	v_add_co_u32 v2, s0, s8, v2
	v_add_co_ci_u32_e64 v3, s0, s9, v3, s0
	global_store_b32 v[2:3], v32, off
.LBB117_16:
	s_or_b32 exec_lo, exec_lo, s1
	v_add_nc_u32_e32 v2, 32, v0
	s_delay_alu instid0(VALU_DEP_1) | instskip(NEXT) | instid1(VALU_DEP_1)
	v_cmp_gt_u32_e64 s0, s6, v2
	s_and_saveexec_b32 s2, s0
	s_cbranch_execz .LBB117_18
; %bb.17:
	v_dual_mov_b32 v4, 0 :: v_dual_add_nc_u32 v3, v2, v20
	s_delay_alu instid0(VALU_DEP_1) | instskip(SKIP_1) | instid1(VALU_DEP_1)
	v_lshlrev_b64 v[3:4], 2, v[3:4]
	s_waitcnt lgkmcnt(0)
	v_add_co_u32 v3, s1, s8, v3
	s_delay_alu instid0(VALU_DEP_1)
	v_add_co_ci_u32_e64 v4, s1, s9, v4, s1
	global_store_b32 v[3:4], v47, off
.LBB117_18:
	s_or_b32 exec_lo, exec_lo, s2
	v_add_nc_u32_e32 v3, 64, v0
	s_delay_alu instid0(VALU_DEP_1) | instskip(NEXT) | instid1(VALU_DEP_1)
	v_cmp_gt_u32_e64 s1, s6, v3
	s_and_saveexec_b32 s3, s1
	s_cbranch_execz .LBB117_20
; %bb.19:
	v_dual_mov_b32 v40, 0 :: v_dual_add_nc_u32 v39, v3, v20
	s_delay_alu instid0(VALU_DEP_1) | instskip(SKIP_1) | instid1(VALU_DEP_1)
	v_lshlrev_b64 v[39:40], 2, v[39:40]
	s_waitcnt lgkmcnt(0)
	v_add_co_u32 v39, s2, s8, v39
	s_delay_alu instid0(VALU_DEP_1)
	v_add_co_ci_u32_e64 v40, s2, s9, v40, s2
	global_store_b32 v[39:40], v38, off
.LBB117_20:
	;; [unrolled: 16-line block ×3, first 2 shown]
	s_or_b32 exec_lo, exec_lo, s5
	v_add3_u32 v20, v1, s7, 8
	s_delay_alu instid0(VALU_DEP_1) | instskip(NEXT) | instid1(VALU_DEP_1)
	v_cmp_gt_u32_e64 s3, s4, v20
	s_and_b32 exec_lo, exec_lo, s3
	s_cbranch_execz .LBB117_64
; %bb.23:
	v_mul_lo_u32 v20, v20, s6
	s_and_saveexec_b32 s5, vcc_lo
	s_cbranch_execnz .LBB117_65
; %bb.24:
	s_or_b32 exec_lo, exec_lo, s5
	s_and_saveexec_b32 s5, s0
	s_cbranch_execnz .LBB117_66
.LBB117_25:
	s_or_b32 exec_lo, exec_lo, s5
	s_and_saveexec_b32 s5, s1
	s_cbranch_execnz .LBB117_67
.LBB117_26:
	s_or_b32 exec_lo, exec_lo, s5
	s_and_saveexec_b32 s5, s2
	s_cbranch_execz .LBB117_28
.LBB117_27:
	v_dual_mov_b32 v21, 0 :: v_dual_add_nc_u32 v20, v20, v4
	s_delay_alu instid0(VALU_DEP_1) | instskip(SKIP_1) | instid1(VALU_DEP_1)
	v_lshlrev_b64 v[20:21], 2, v[20:21]
	s_waitcnt lgkmcnt(0)
	v_add_co_u32 v20, s3, s8, v20
	s_delay_alu instid0(VALU_DEP_1)
	v_add_co_ci_u32_e64 v21, s3, s9, v21, s3
	global_store_b32 v[20:21], v33, off
.LBB117_28:
	s_or_b32 exec_lo, exec_lo, s5
	v_add3_u32 v20, v1, s7, 16
	s_delay_alu instid0(VALU_DEP_1) | instskip(NEXT) | instid1(VALU_DEP_1)
	v_cmp_gt_u32_e64 s3, s4, v20
	s_and_b32 exec_lo, exec_lo, s3
	s_cbranch_execz .LBB117_64
; %bb.29:
	v_mul_lo_u32 v20, v20, s6
	s_and_saveexec_b32 s5, vcc_lo
	s_cbranch_execnz .LBB117_68
; %bb.30:
	s_or_b32 exec_lo, exec_lo, s5
	s_and_saveexec_b32 s5, s0
	s_cbranch_execnz .LBB117_69
.LBB117_31:
	s_or_b32 exec_lo, exec_lo, s5
	s_and_saveexec_b32 s5, s1
	s_cbranch_execnz .LBB117_70
.LBB117_32:
	s_or_b32 exec_lo, exec_lo, s5
	s_and_saveexec_b32 s5, s2
	s_cbranch_execz .LBB117_34
.LBB117_33:
	v_dual_mov_b32 v21, 0 :: v_dual_add_nc_u32 v20, v20, v4
	s_delay_alu instid0(VALU_DEP_1) | instskip(SKIP_1) | instid1(VALU_DEP_1)
	v_lshlrev_b64 v[20:21], 2, v[20:21]
	s_waitcnt lgkmcnt(0)
	v_add_co_u32 v20, s3, s8, v20
	s_delay_alu instid0(VALU_DEP_1)
	v_add_co_ci_u32_e64 v21, s3, s9, v21, s3
	global_store_b32 v[20:21], v28, off
.LBB117_34:
	s_or_b32 exec_lo, exec_lo, s5
	v_add3_u32 v20, v1, s7, 24
	s_delay_alu instid0(VALU_DEP_1) | instskip(NEXT) | instid1(VALU_DEP_1)
	v_cmp_gt_u32_e64 s3, s4, v20
	s_and_b32 exec_lo, exec_lo, s3
	s_cbranch_execz .LBB117_64
; %bb.35:
	v_mul_lo_u32 v20, v20, s6
	s_and_saveexec_b32 s5, vcc_lo
	s_cbranch_execnz .LBB117_71
; %bb.36:
	s_or_b32 exec_lo, exec_lo, s5
	s_and_saveexec_b32 s5, s0
	s_cbranch_execnz .LBB117_72
.LBB117_37:
	s_or_b32 exec_lo, exec_lo, s5
	s_and_saveexec_b32 s5, s1
	s_cbranch_execnz .LBB117_73
.LBB117_38:
	s_or_b32 exec_lo, exec_lo, s5
	s_and_saveexec_b32 s5, s2
	s_cbranch_execz .LBB117_40
.LBB117_39:
	v_dual_mov_b32 v21, 0 :: v_dual_add_nc_u32 v20, v20, v4
	s_delay_alu instid0(VALU_DEP_1) | instskip(SKIP_1) | instid1(VALU_DEP_1)
	v_lshlrev_b64 v[20:21], 2, v[20:21]
	s_waitcnt lgkmcnt(0)
	v_add_co_u32 v20, s3, s8, v20
	s_delay_alu instid0(VALU_DEP_1)
	v_add_co_ci_u32_e64 v21, s3, s9, v21, s3
	global_store_b32 v[20:21], v23, off
.LBB117_40:
	s_or_b32 exec_lo, exec_lo, s5
	v_add3_u32 v20, v1, s7, 32
	s_delay_alu instid0(VALU_DEP_1) | instskip(NEXT) | instid1(VALU_DEP_1)
	v_cmp_gt_u32_e64 s3, s4, v20
	s_and_b32 exec_lo, exec_lo, s3
	s_cbranch_execz .LBB117_64
; %bb.41:
	v_mul_lo_u32 v20, v20, s6
	s_and_saveexec_b32 s5, vcc_lo
	s_cbranch_execnz .LBB117_74
; %bb.42:
	s_or_b32 exec_lo, exec_lo, s5
	s_and_saveexec_b32 s5, s0
	s_cbranch_execnz .LBB117_75
.LBB117_43:
	s_or_b32 exec_lo, exec_lo, s5
	s_and_saveexec_b32 s5, s1
	s_cbranch_execnz .LBB117_76
.LBB117_44:
	s_or_b32 exec_lo, exec_lo, s5
	s_and_saveexec_b32 s5, s2
	s_cbranch_execz .LBB117_46
.LBB117_45:
	v_dual_mov_b32 v19, 0 :: v_dual_add_nc_u32 v18, v20, v4
	s_delay_alu instid0(VALU_DEP_1) | instskip(SKIP_1) | instid1(VALU_DEP_1)
	v_lshlrev_b64 v[18:19], 2, v[18:19]
	s_waitcnt lgkmcnt(0)
	v_add_co_u32 v18, s3, s8, v18
	s_delay_alu instid0(VALU_DEP_1)
	v_add_co_ci_u32_e64 v19, s3, s9, v19, s3
	global_store_b32 v[18:19], v17, off
.LBB117_46:
	s_or_b32 exec_lo, exec_lo, s5
	v_add3_u32 v17, v1, s7, 40
	s_delay_alu instid0(VALU_DEP_1) | instskip(NEXT) | instid1(VALU_DEP_1)
	v_cmp_gt_u32_e64 s3, s4, v17
	s_and_b32 exec_lo, exec_lo, s3
	s_cbranch_execz .LBB117_64
; %bb.47:
	v_mul_lo_u32 v17, v17, s6
	s_and_saveexec_b32 s5, vcc_lo
	s_cbranch_execnz .LBB117_77
; %bb.48:
	s_or_b32 exec_lo, exec_lo, s5
	s_and_saveexec_b32 s5, s0
	s_cbranch_execnz .LBB117_78
.LBB117_49:
	s_or_b32 exec_lo, exec_lo, s5
	s_and_saveexec_b32 s5, s1
	s_cbranch_execnz .LBB117_79
.LBB117_50:
	s_or_b32 exec_lo, exec_lo, s5
	s_and_saveexec_b32 s5, s2
	s_cbranch_execz .LBB117_52
.LBB117_51:
	v_dual_mov_b32 v15, 0 :: v_dual_add_nc_u32 v14, v17, v4
	s_delay_alu instid0(VALU_DEP_1) | instskip(SKIP_1) | instid1(VALU_DEP_1)
	v_lshlrev_b64 v[14:15], 2, v[14:15]
	s_waitcnt lgkmcnt(0)
	v_add_co_u32 v14, s3, s8, v14
	s_delay_alu instid0(VALU_DEP_1)
	v_add_co_ci_u32_e64 v15, s3, s9, v15, s3
	global_store_b32 v[14:15], v13, off
.LBB117_52:
	s_or_b32 exec_lo, exec_lo, s5
	v_add3_u32 v13, v1, s7, 48
	s_delay_alu instid0(VALU_DEP_1) | instskip(NEXT) | instid1(VALU_DEP_1)
	v_cmp_gt_u32_e64 s3, s4, v13
	s_and_b32 exec_lo, exec_lo, s3
	s_cbranch_execz .LBB117_64
; %bb.53:
	v_mul_lo_u32 v13, v13, s6
	s_and_saveexec_b32 s5, vcc_lo
	s_cbranch_execnz .LBB117_80
; %bb.54:
	s_or_b32 exec_lo, exec_lo, s5
	s_and_saveexec_b32 s5, s0
	s_cbranch_execnz .LBB117_81
.LBB117_55:
	s_or_b32 exec_lo, exec_lo, s5
	s_and_saveexec_b32 s5, s1
	s_cbranch_execnz .LBB117_82
.LBB117_56:
	s_or_b32 exec_lo, exec_lo, s5
	s_and_saveexec_b32 s5, s2
	s_cbranch_execz .LBB117_58
.LBB117_57:
	v_dual_mov_b32 v11, 0 :: v_dual_add_nc_u32 v10, v13, v4
	s_delay_alu instid0(VALU_DEP_1) | instskip(SKIP_1) | instid1(VALU_DEP_1)
	v_lshlrev_b64 v[10:11], 2, v[10:11]
	s_waitcnt lgkmcnt(0)
	v_add_co_u32 v10, s3, s8, v10
	s_delay_alu instid0(VALU_DEP_1)
	v_add_co_ci_u32_e64 v11, s3, s9, v11, s3
	global_store_b32 v[10:11], v9, off
.LBB117_58:
	s_or_b32 exec_lo, exec_lo, s5
	v_add3_u32 v1, v1, s7, 56
	s_delay_alu instid0(VALU_DEP_1) | instskip(NEXT) | instid1(VALU_DEP_1)
	v_cmp_gt_u32_e64 s3, s4, v1
	s_and_b32 exec_lo, exec_lo, s3
	s_cbranch_execz .LBB117_64
; %bb.59:
	v_mul_lo_u32 v1, v1, s6
	s_and_saveexec_b32 s3, vcc_lo
	s_cbranch_execnz .LBB117_83
; %bb.60:
	s_or_b32 exec_lo, exec_lo, s3
	s_and_saveexec_b32 s3, s0
	s_cbranch_execnz .LBB117_84
.LBB117_61:
	s_or_b32 exec_lo, exec_lo, s3
	s_and_saveexec_b32 s0, s1
	s_cbranch_execnz .LBB117_85
.LBB117_62:
	s_or_b32 exec_lo, exec_lo, s0
	s_delay_alu instid0(SALU_CYCLE_1)
	s_and_b32 exec_lo, exec_lo, s2
	s_cbranch_execz .LBB117_64
.LBB117_63:
	v_dual_mov_b32 v1, 0 :: v_dual_add_nc_u32 v0, v1, v4
	s_delay_alu instid0(VALU_DEP_1) | instskip(SKIP_1) | instid1(VALU_DEP_1)
	v_lshlrev_b64 v[0:1], 2, v[0:1]
	s_waitcnt lgkmcnt(0)
	v_add_co_u32 v0, vcc_lo, s8, v0
	s_delay_alu instid0(VALU_DEP_2)
	v_add_co_ci_u32_e32 v1, vcc_lo, s9, v1, vcc_lo
	global_store_b32 v[0:1], v5, off
.LBB117_64:
	s_nop 0
	s_sendmsg sendmsg(MSG_DEALLOC_VGPRS)
	s_endpgm
.LBB117_65:
	s_delay_alu instid0(VALU_DEP_1) | instskip(NEXT) | instid1(VALU_DEP_1)
	v_dual_mov_b32 v38, 0 :: v_dual_add_nc_u32 v37, v20, v0
	v_lshlrev_b64 v[37:38], 2, v[37:38]
	s_waitcnt lgkmcnt(0)
	s_delay_alu instid0(VALU_DEP_1) | instskip(NEXT) | instid1(VALU_DEP_1)
	v_add_co_u32 v37, s3, s8, v37
	v_add_co_ci_u32_e64 v38, s3, s9, v38, s3
	global_store_b32 v[37:38], v36, off
	s_or_b32 exec_lo, exec_lo, s5
	s_and_saveexec_b32 s5, s0
	s_cbranch_execz .LBB117_25
.LBB117_66:
	s_delay_alu instid0(VALU_DEP_1) | instskip(NEXT) | instid1(VALU_DEP_1)
	v_dual_mov_b32 v37, 0 :: v_dual_add_nc_u32 v36, v20, v2
	v_lshlrev_b64 v[36:37], 2, v[36:37]
	s_waitcnt lgkmcnt(0)
	s_delay_alu instid0(VALU_DEP_1) | instskip(NEXT) | instid1(VALU_DEP_1)
	v_add_co_u32 v36, s3, s8, v36
	v_add_co_ci_u32_e64 v37, s3, s9, v37, s3
	global_store_b32 v[36:37], v35, off
	s_or_b32 exec_lo, exec_lo, s5
	s_and_saveexec_b32 s5, s1
	s_cbranch_execz .LBB117_26
.LBB117_67:
	v_dual_mov_b32 v36, 0 :: v_dual_add_nc_u32 v35, v20, v3
	s_delay_alu instid0(VALU_DEP_1) | instskip(SKIP_1) | instid1(VALU_DEP_1)
	v_lshlrev_b64 v[35:36], 2, v[35:36]
	s_waitcnt lgkmcnt(0)
	v_add_co_u32 v35, s3, s8, v35
	s_delay_alu instid0(VALU_DEP_1)
	v_add_co_ci_u32_e64 v36, s3, s9, v36, s3
	global_store_b32 v[35:36], v34, off
	s_or_b32 exec_lo, exec_lo, s5
	s_and_saveexec_b32 s5, s2
	s_cbranch_execnz .LBB117_27
	s_branch .LBB117_28
.LBB117_68:
	s_delay_alu instid0(VALU_DEP_1) | instskip(NEXT) | instid1(VALU_DEP_1)
	v_dual_mov_b32 v33, 0 :: v_dual_add_nc_u32 v32, v20, v0
	v_lshlrev_b64 v[32:33], 2, v[32:33]
	s_waitcnt lgkmcnt(0)
	s_delay_alu instid0(VALU_DEP_1) | instskip(NEXT) | instid1(VALU_DEP_1)
	v_add_co_u32 v32, s3, s8, v32
	v_add_co_ci_u32_e64 v33, s3, s9, v33, s3
	global_store_b32 v[32:33], v31, off
	s_or_b32 exec_lo, exec_lo, s5
	s_and_saveexec_b32 s5, s0
	s_cbranch_execz .LBB117_31
.LBB117_69:
	s_delay_alu instid0(VALU_DEP_1) | instskip(NEXT) | instid1(VALU_DEP_1)
	v_dual_mov_b32 v32, 0 :: v_dual_add_nc_u32 v31, v20, v2
	v_lshlrev_b64 v[31:32], 2, v[31:32]
	s_waitcnt lgkmcnt(0)
	s_delay_alu instid0(VALU_DEP_1) | instskip(NEXT) | instid1(VALU_DEP_1)
	v_add_co_u32 v31, s3, s8, v31
	v_add_co_ci_u32_e64 v32, s3, s9, v32, s3
	global_store_b32 v[31:32], v30, off
	s_or_b32 exec_lo, exec_lo, s5
	s_and_saveexec_b32 s5, s1
	s_cbranch_execz .LBB117_32
.LBB117_70:
	v_dual_mov_b32 v31, 0 :: v_dual_add_nc_u32 v30, v20, v3
	s_delay_alu instid0(VALU_DEP_1) | instskip(SKIP_1) | instid1(VALU_DEP_1)
	v_lshlrev_b64 v[30:31], 2, v[30:31]
	s_waitcnt lgkmcnt(0)
	v_add_co_u32 v30, s3, s8, v30
	s_delay_alu instid0(VALU_DEP_1)
	v_add_co_ci_u32_e64 v31, s3, s9, v31, s3
	global_store_b32 v[30:31], v29, off
	s_or_b32 exec_lo, exec_lo, s5
	s_and_saveexec_b32 s5, s2
	s_cbranch_execnz .LBB117_33
	s_branch .LBB117_34
.LBB117_71:
	s_delay_alu instid0(VALU_DEP_1) | instskip(NEXT) | instid1(VALU_DEP_1)
	v_dual_mov_b32 v29, 0 :: v_dual_add_nc_u32 v28, v20, v0
	v_lshlrev_b64 v[28:29], 2, v[28:29]
	s_waitcnt lgkmcnt(0)
	s_delay_alu instid0(VALU_DEP_1) | instskip(NEXT) | instid1(VALU_DEP_1)
	v_add_co_u32 v28, s3, s8, v28
	v_add_co_ci_u32_e64 v29, s3, s9, v29, s3
	global_store_b32 v[28:29], v27, off
	s_or_b32 exec_lo, exec_lo, s5
	s_and_saveexec_b32 s5, s0
	s_cbranch_execz .LBB117_37
.LBB117_72:
	s_delay_alu instid0(VALU_DEP_1) | instskip(NEXT) | instid1(VALU_DEP_1)
	v_dual_mov_b32 v27, 0 :: v_dual_add_nc_u32 v26, v20, v2
	v_lshlrev_b64 v[26:27], 2, v[26:27]
	s_waitcnt lgkmcnt(0)
	s_delay_alu instid0(VALU_DEP_1) | instskip(NEXT) | instid1(VALU_DEP_1)
	v_add_co_u32 v26, s3, s8, v26
	v_add_co_ci_u32_e64 v27, s3, s9, v27, s3
	global_store_b32 v[26:27], v25, off
	s_or_b32 exec_lo, exec_lo, s5
	s_and_saveexec_b32 s5, s1
	s_cbranch_execz .LBB117_38
.LBB117_73:
	v_dual_mov_b32 v26, 0 :: v_dual_add_nc_u32 v25, v20, v3
	s_delay_alu instid0(VALU_DEP_1) | instskip(SKIP_1) | instid1(VALU_DEP_1)
	v_lshlrev_b64 v[25:26], 2, v[25:26]
	s_waitcnt lgkmcnt(0)
	v_add_co_u32 v25, s3, s8, v25
	s_delay_alu instid0(VALU_DEP_1)
	v_add_co_ci_u32_e64 v26, s3, s9, v26, s3
	global_store_b32 v[25:26], v24, off
	s_or_b32 exec_lo, exec_lo, s5
	s_and_saveexec_b32 s5, s2
	s_cbranch_execnz .LBB117_39
	s_branch .LBB117_40
.LBB117_74:
	s_delay_alu instid0(VALU_DEP_1) | instskip(NEXT) | instid1(VALU_DEP_1)
	v_dual_mov_b32 v24, 0 :: v_dual_add_nc_u32 v23, v20, v0
	v_lshlrev_b64 v[23:24], 2, v[23:24]
	s_waitcnt lgkmcnt(0)
	s_delay_alu instid0(VALU_DEP_1) | instskip(NEXT) | instid1(VALU_DEP_1)
	v_add_co_u32 v23, s3, s8, v23
	v_add_co_ci_u32_e64 v24, s3, s9, v24, s3
	global_store_b32 v[23:24], v22, off
	s_or_b32 exec_lo, exec_lo, s5
	s_and_saveexec_b32 s5, s0
	s_cbranch_execz .LBB117_43
.LBB117_75:
	s_delay_alu instid0(VALU_DEP_1) | instskip(NEXT) | instid1(VALU_DEP_1)
	v_dual_mov_b32 v22, 0 :: v_dual_add_nc_u32 v21, v20, v2
	v_lshlrev_b64 v[21:22], 2, v[21:22]
	s_waitcnt lgkmcnt(0)
	s_delay_alu instid0(VALU_DEP_1) | instskip(NEXT) | instid1(VALU_DEP_1)
	v_add_co_u32 v21, s3, s8, v21
	v_add_co_ci_u32_e64 v22, s3, s9, v22, s3
	global_store_b32 v[21:22], v19, off
	s_or_b32 exec_lo, exec_lo, s5
	s_and_saveexec_b32 s5, s1
	s_cbranch_execz .LBB117_44
.LBB117_76:
	v_dual_mov_b32 v22, 0 :: v_dual_add_nc_u32 v21, v20, v3
	s_delay_alu instid0(VALU_DEP_1) | instskip(SKIP_1) | instid1(VALU_DEP_1)
	v_lshlrev_b64 v[21:22], 2, v[21:22]
	s_waitcnt lgkmcnt(0)
	v_add_co_u32 v21, s3, s8, v21
	s_delay_alu instid0(VALU_DEP_1)
	v_add_co_ci_u32_e64 v22, s3, s9, v22, s3
	global_store_b32 v[21:22], v18, off
	s_or_b32 exec_lo, exec_lo, s5
	s_and_saveexec_b32 s5, s2
	s_cbranch_execnz .LBB117_45
	s_branch .LBB117_46
.LBB117_77:
	s_delay_alu instid0(VALU_DEP_1) | instskip(NEXT) | instid1(VALU_DEP_1)
	v_dual_mov_b32 v19, 0 :: v_dual_add_nc_u32 v18, v17, v0
	v_lshlrev_b64 v[18:19], 2, v[18:19]
	s_waitcnt lgkmcnt(0)
	s_delay_alu instid0(VALU_DEP_1) | instskip(NEXT) | instid1(VALU_DEP_1)
	v_add_co_u32 v18, s3, s8, v18
	v_add_co_ci_u32_e64 v19, s3, s9, v19, s3
	global_store_b32 v[18:19], v16, off
	s_or_b32 exec_lo, exec_lo, s5
	s_and_saveexec_b32 s5, s0
	s_cbranch_execz .LBB117_49
.LBB117_78:
	s_delay_alu instid0(VALU_DEP_1) | instskip(NEXT) | instid1(VALU_DEP_1)
	v_dual_mov_b32 v19, 0 :: v_dual_add_nc_u32 v18, v17, v2
	v_lshlrev_b64 v[18:19], 2, v[18:19]
	s_waitcnt lgkmcnt(0)
	s_delay_alu instid0(VALU_DEP_1) | instskip(NEXT) | instid1(VALU_DEP_1)
	v_add_co_u32 v18, s3, s8, v18
	v_add_co_ci_u32_e64 v19, s3, s9, v19, s3
	global_store_b32 v[18:19], v15, off
	s_or_b32 exec_lo, exec_lo, s5
	s_and_saveexec_b32 s5, s1
	s_cbranch_execz .LBB117_50
.LBB117_79:
	v_dual_mov_b32 v16, 0 :: v_dual_add_nc_u32 v15, v17, v3
	s_delay_alu instid0(VALU_DEP_1) | instskip(SKIP_1) | instid1(VALU_DEP_1)
	v_lshlrev_b64 v[15:16], 2, v[15:16]
	s_waitcnt lgkmcnt(0)
	v_add_co_u32 v15, s3, s8, v15
	s_delay_alu instid0(VALU_DEP_1)
	v_add_co_ci_u32_e64 v16, s3, s9, v16, s3
	global_store_b32 v[15:16], v14, off
	s_or_b32 exec_lo, exec_lo, s5
	s_and_saveexec_b32 s5, s2
	s_cbranch_execnz .LBB117_51
	s_branch .LBB117_52
.LBB117_80:
	s_delay_alu instid0(VALU_DEP_1) | instskip(NEXT) | instid1(VALU_DEP_1)
	v_dual_mov_b32 v15, 0 :: v_dual_add_nc_u32 v14, v13, v0
	v_lshlrev_b64 v[14:15], 2, v[14:15]
	s_waitcnt lgkmcnt(0)
	s_delay_alu instid0(VALU_DEP_1) | instskip(NEXT) | instid1(VALU_DEP_1)
	v_add_co_u32 v14, s3, s8, v14
	v_add_co_ci_u32_e64 v15, s3, s9, v15, s3
	global_store_b32 v[14:15], v12, off
	s_or_b32 exec_lo, exec_lo, s5
	s_and_saveexec_b32 s5, s0
	s_cbranch_execz .LBB117_55
.LBB117_81:
	s_delay_alu instid0(VALU_DEP_1) | instskip(NEXT) | instid1(VALU_DEP_1)
	v_dual_mov_b32 v15, 0 :: v_dual_add_nc_u32 v14, v13, v2
	v_lshlrev_b64 v[14:15], 2, v[14:15]
	s_waitcnt lgkmcnt(0)
	s_delay_alu instid0(VALU_DEP_1) | instskip(NEXT) | instid1(VALU_DEP_1)
	v_add_co_u32 v14, s3, s8, v14
	v_add_co_ci_u32_e64 v15, s3, s9, v15, s3
	global_store_b32 v[14:15], v11, off
	s_or_b32 exec_lo, exec_lo, s5
	s_and_saveexec_b32 s5, s1
	s_cbranch_execz .LBB117_56
.LBB117_82:
	v_dual_mov_b32 v12, 0 :: v_dual_add_nc_u32 v11, v13, v3
	s_delay_alu instid0(VALU_DEP_1) | instskip(SKIP_1) | instid1(VALU_DEP_1)
	v_lshlrev_b64 v[11:12], 2, v[11:12]
	s_waitcnt lgkmcnt(0)
	v_add_co_u32 v11, s3, s8, v11
	s_delay_alu instid0(VALU_DEP_1)
	v_add_co_ci_u32_e64 v12, s3, s9, v12, s3
	global_store_b32 v[11:12], v10, off
	s_or_b32 exec_lo, exec_lo, s5
	s_and_saveexec_b32 s5, s2
	s_cbranch_execnz .LBB117_57
	s_branch .LBB117_58
.LBB117_83:
	s_delay_alu instid0(VALU_DEP_1) | instskip(NEXT) | instid1(VALU_DEP_1)
	v_dual_mov_b32 v10, 0 :: v_dual_add_nc_u32 v9, v1, v0
	v_lshlrev_b64 v[9:10], 2, v[9:10]
	s_waitcnt lgkmcnt(0)
	s_delay_alu instid0(VALU_DEP_1) | instskip(NEXT) | instid1(VALU_DEP_2)
	v_add_co_u32 v9, vcc_lo, s8, v9
	v_add_co_ci_u32_e32 v10, vcc_lo, s9, v10, vcc_lo
	global_store_b32 v[9:10], v8, off
	s_or_b32 exec_lo, exec_lo, s3
	s_and_saveexec_b32 s3, s0
	s_cbranch_execz .LBB117_61
.LBB117_84:
	s_delay_alu instid0(VALU_DEP_1) | instskip(NEXT) | instid1(VALU_DEP_1)
	v_dual_mov_b32 v9, 0 :: v_dual_add_nc_u32 v8, v1, v2
	v_lshlrev_b64 v[8:9], 2, v[8:9]
	s_waitcnt lgkmcnt(0)
	s_delay_alu instid0(VALU_DEP_1) | instskip(NEXT) | instid1(VALU_DEP_2)
	v_add_co_u32 v8, vcc_lo, s8, v8
	v_add_co_ci_u32_e32 v9, vcc_lo, s9, v9, vcc_lo
	global_store_b32 v[8:9], v7, off
	s_or_b32 exec_lo, exec_lo, s3
	s_and_saveexec_b32 s0, s1
	s_cbranch_execz .LBB117_62
.LBB117_85:
	v_dual_mov_b32 v3, 0 :: v_dual_add_nc_u32 v2, v1, v3
	s_delay_alu instid0(VALU_DEP_1) | instskip(SKIP_1) | instid1(VALU_DEP_1)
	v_lshlrev_b64 v[2:3], 2, v[2:3]
	s_waitcnt lgkmcnt(0)
	v_add_co_u32 v2, vcc_lo, s8, v2
	s_delay_alu instid0(VALU_DEP_2) | instskip(SKIP_2) | instid1(SALU_CYCLE_1)
	v_add_co_ci_u32_e32 v3, vcc_lo, s9, v3, vcc_lo
	global_store_b32 v[2:3], v6, off
	s_or_b32 exec_lo, exec_lo, s0
	s_and_b32 exec_lo, exec_lo, s2
	s_cbranch_execnz .LBB117_63
	s_branch .LBB117_64
	.section	.rodata,"a",@progbits
	.p2align	6, 0x0
	.amdhsa_kernel _ZL12mul_mat_q4_0IfLb0EEvPKvS1_PT_iiiii
		.amdhsa_group_segment_fixed_size 30336
		.amdhsa_private_segment_fixed_size 252
		.amdhsa_kernarg_size 44
		.amdhsa_user_sgpr_count 14
		.amdhsa_user_sgpr_dispatch_ptr 0
		.amdhsa_user_sgpr_queue_ptr 0
		.amdhsa_user_sgpr_kernarg_segment_ptr 1
		.amdhsa_user_sgpr_dispatch_id 0
		.amdhsa_user_sgpr_private_segment_size 0
		.amdhsa_wavefront_size32 1
		.amdhsa_uses_dynamic_stack 0
		.amdhsa_enable_private_segment 1
		.amdhsa_system_sgpr_workgroup_id_x 1
		.amdhsa_system_sgpr_workgroup_id_y 1
		.amdhsa_system_sgpr_workgroup_id_z 0
		.amdhsa_system_sgpr_workgroup_info 0
		.amdhsa_system_vgpr_workitem_id 1
		.amdhsa_next_free_vgpr 256
		.amdhsa_next_free_sgpr 16
		.amdhsa_reserve_vcc 1
		.amdhsa_float_round_mode_32 0
		.amdhsa_float_round_mode_16_64 0
		.amdhsa_float_denorm_mode_32 3
		.amdhsa_float_denorm_mode_16_64 3
		.amdhsa_dx10_clamp 1
		.amdhsa_ieee_mode 1
		.amdhsa_fp16_overflow 0
		.amdhsa_workgroup_processor_mode 1
		.amdhsa_memory_ordered 1
		.amdhsa_forward_progress 0
		.amdhsa_shared_vgpr_count 0
		.amdhsa_exception_fp_ieee_invalid_op 0
		.amdhsa_exception_fp_denorm_src 0
		.amdhsa_exception_fp_ieee_div_zero 0
		.amdhsa_exception_fp_ieee_overflow 0
		.amdhsa_exception_fp_ieee_underflow 0
		.amdhsa_exception_fp_ieee_inexact 0
		.amdhsa_exception_int_div_zero 0
	.end_amdhsa_kernel
	.section	.text._ZL12mul_mat_q4_0IfLb0EEvPKvS1_PT_iiiii,"axG",@progbits,_ZL12mul_mat_q4_0IfLb0EEvPKvS1_PT_iiiii,comdat
.Lfunc_end117:
	.size	_ZL12mul_mat_q4_0IfLb0EEvPKvS1_PT_iiiii, .Lfunc_end117-_ZL12mul_mat_q4_0IfLb0EEvPKvS1_PT_iiiii
                                        ; -- End function
	.section	.AMDGPU.csdata,"",@progbits
; Kernel info:
; codeLenInByte = 31644
; NumSgprs: 18
; NumVgprs: 256
; ScratchSize: 252
; MemoryBound: 0
; FloatMode: 240
; IeeeMode: 1
; LDSByteSize: 30336 bytes/workgroup (compile time only)
; SGPRBlocks: 2
; VGPRBlocks: 31
; NumSGPRsForWavesPerEU: 18
; NumVGPRsForWavesPerEU: 256
; Occupancy: 5
; WaveLimiterHint : 0
; COMPUTE_PGM_RSRC2:SCRATCH_EN: 1
; COMPUTE_PGM_RSRC2:USER_SGPR: 14
; COMPUTE_PGM_RSRC2:TRAP_HANDLER: 0
; COMPUTE_PGM_RSRC2:TGID_X_EN: 1
; COMPUTE_PGM_RSRC2:TGID_Y_EN: 1
; COMPUTE_PGM_RSRC2:TGID_Z_EN: 0
; COMPUTE_PGM_RSRC2:TIDIG_COMP_CNT: 1
	.section	.text._ZL12mul_mat_q4_0IfLb1EEvPKvS1_PT_iiiii,"axG",@progbits,_ZL12mul_mat_q4_0IfLb1EEvPKvS1_PT_iiiii,comdat
	.globl	_ZL12mul_mat_q4_0IfLb1EEvPKvS1_PT_iiiii ; -- Begin function _ZL12mul_mat_q4_0IfLb1EEvPKvS1_PT_iiiii
	.p2align	8
	.type	_ZL12mul_mat_q4_0IfLb1EEvPKvS1_PT_iiiii,@function
_ZL12mul_mat_q4_0IfLb1EEvPKvS1_PT_iiiii: ; @_ZL12mul_mat_q4_0IfLb1EEvPKvS1_PT_iiiii
; %bb.0:
	s_clause 0x1
	s_load_b128 s[4:7], s[0:1], 0x18
	s_load_b32 s10, s[0:1], 0x28
	v_bfe_u32 v2, v0, 10, 10
	v_and_b32_e32 v3, 0x3ff, v0
	s_lshl_b32 s11, s15, 6
	s_waitcnt lgkmcnt(0)
	s_cmp_gt_i32 s4, 31
	s_cbranch_scc1 .LBB118_2
; %bb.1:
	v_bfe_u32 v1, v0, 10, 10
	v_and_b32_e32 v0, 0x3ff, v0
	s_mov_b32 s2, 0
	s_mov_b32 s3, 0
	s_delay_alu instid0(VALU_DEP_2)
	v_add_nc_u32_e32 v4, s11, v1
	s_branch .LBB118_3
.LBB118_2:
	s_mov_b32 s2, -1
                                        ; implicit-def: $sgpr3
                                        ; implicit-def: $vgpr1
                                        ; implicit-def: $vgpr0
                                        ; implicit-def: $vgpr4
.LBB118_3:
	s_load_b64 s[8:9], s[0:1], 0x10
	v_dual_mov_b32 v21, s3 :: v_dual_mov_b32 v36, s3
	v_dual_mov_b32 v25, s3 :: v_dual_mov_b32 v40, s3
	;; [unrolled: 1-line block ×13, first 2 shown]
	v_mov_b32_e32 v74, s3
	v_mov_b32_e32 v24, s3
	v_mov_b32_e32 v28, s3
	v_mov_b32_e32 v34, s3
	v_mov_b32_e32 v48, s3
	v_mov_b32_e32 v60, s3
	s_and_not1_b32 vcc_lo, exec_lo, s2
	s_lshl_b32 s12, s14, 7
	s_cbranch_vccnz .LBB118_13
; %bb.4:
	s_load_b128 s[0:3], s[0:1], 0x0
	s_ashr_i32 s13, s4, 31
	s_ashr_i32 s14, s7, 31
	s_lshr_b32 s13, s13, 27
	v_dual_mov_b32 v0, v2 :: v_dual_lshlrev_b32 v17, 2, v3
	s_add_i32 s4, s4, s13
	s_lshr_b32 s13, s14, 27
	s_ashr_i32 s4, s4, 5
	s_add_i32 s7, s7, s13
	s_mul_i32 s13, s4, s12
	s_ashr_i32 s7, s7, 5
	s_mul_i32 s14, s13, 18
	s_mul_hi_i32 s13, s13, 18
	v_dual_mov_b32 v35, 0 :: v_dual_add_nc_u32 v34, 8, v2
	v_dual_mov_b32 v41, v3 :: v_dual_add_nc_u32 v38, 16, v2
	v_and_b32_e32 v1, 12, v17
	v_lshrrev_b32_e32 v51, 2, v3
	s_waitcnt lgkmcnt(0)
	s_add_u32 s0, s0, s14
	s_addc_u32 s1, s1, s13
	s_not_b32 s13, s12
	v_dual_mov_b32 v60, 0 :: v_dual_add_nc_u32 v39, 24, v0
	s_add_i32 s5, s13, s5
	v_dual_mov_b32 v65, 0 :: v_dual_add_nc_u32 v40, 32, v0
	v_min_i32_e32 v2, s5, v0
	v_min_i32_e32 v3, s5, v34
	;; [unrolled: 1-line block ×3, first 2 shown]
	v_add_nc_u32_e32 v42, 40, v0
	v_add_nc_u32_e32 v43, 48, v0
	v_mad_u64_u32 v[5:6], null, 0x84, v2, v[17:18]
	scratch_store_b32 off, v1, off offset:80 ; 4-byte Folded Spill
	v_mul_lo_u32 v1, v2, s4
	v_min_i32_e32 v7, s5, v42
	v_min_i32_e32 v8, s5, v43
	v_dual_mov_b32 v59, 0 :: v_dual_add_nc_u32 v44, 56, v0
	v_add_nc_u32_e32 v10, 64, v0
	v_add_nc_u32_e32 v11, 0x48, v0
	;; [unrolled: 1-line block ×3, first 2 shown]
	scratch_store_b32 off, v1, off offset:84 ; 4-byte Folded Spill
	v_mul_lo_u32 v1, v3, s4
	scratch_store_b64 off, v[5:6], off offset:88 ; 8-byte Folded Spill
	v_min_i32_e32 v5, s5, v39
	v_min_i32_e32 v6, s5, v40
	;; [unrolled: 1-line block ×5, first 2 shown]
	s_add_i32 s13, s6, -1
	scratch_store_b32 off, v1, off offset:96 ; 4-byte Folded Spill
	v_mad_u64_u32 v[1:2], null, 0x84, v3, v[17:18]
	v_mul_lo_u32 v2, v4, s4
	v_min_i32_e32 v12, s5, v12
	v_add_nc_u32_e32 v28, s11, v0
	v_add_nc_u32_e32 v13, 0x58, v0
	v_dual_mov_b32 v61, 0 :: v_dual_add_nc_u32 v36, 0x68, v0
	v_add_nc_u32_e32 v37, 0x70, v0
	s_delay_alu instid0(VALU_DEP_4)
	v_add_nc_u32_e32 v14, 16, v28
	scratch_store_b32 off, v2, off offset:100 ; 4-byte Folded Spill
	v_mad_u64_u32 v[2:3], null, 0x84, v4, v[17:18]
	v_mul_lo_u32 v3, v5, s4
	v_add_nc_u32_e32 v24, 24, v28
	v_cvt_f64_u32_e32 v[15:16], v28
	v_cvt_f64_u32_e32 v[22:23], v14
	v_min_i32_e32 v13, s5, v13
	v_add_nc_u32_e32 v14, 40, v28
	v_cvt_f64_u32_e32 v[24:25], v24
	v_add_nc_u32_e32 v32, 56, v28
	scratch_store_b32 off, v3, off offset:104 ; 4-byte Folded Spill
	v_mad_u64_u32 v[3:4], null, 0x84, v5, v[17:18]
	v_mul_lo_u32 v4, v6, s4
	v_mul_lo_u32 v29, v13, s4
	v_min_i32_e32 v36, s5, v36
	v_cvt_f64_u32_e32 v[32:33], v32
	v_lshrrev_b32_e32 v46, 3, v41
	v_min_i32_e32 v45, s5, v37
	v_add_nc_u32_e32 v37, 0x78, v0
	v_and_b32_e32 v50, 7, v41
	scratch_store_b32 off, v4, off offset:108 ; 4-byte Folded Spill
	v_mad_u64_u32 v[4:5], null, 0x84, v6, v[17:18]
	v_mul_lo_u32 v5, v7, s4
	v_min_i32_e32 v47, s5, v37
	v_dual_mov_b32 v63, 0 :: v_dual_mov_b32 v74, 0
	v_mov_b32_e32 v64, 0
	v_mov_b32_e32 v68, 0
	;; [unrolled: 1-line block ×4, first 2 shown]
	scratch_store_b32 off, v5, off offset:112 ; 4-byte Folded Spill
	v_mad_u64_u32 v[5:6], null, 0x84, v7, v[17:18]
	v_mul_lo_u32 v6, v8, s4
	v_mov_b32_e32 v66, 0
	scratch_store_b32 off, v6, off offset:116 ; 4-byte Folded Spill
	v_mad_u64_u32 v[6:7], null, 0x84, v8, v[17:18]
	v_mul_lo_u32 v7, v9, s4
	scratch_store_b32 off, v7, off offset:120 ; 4-byte Folded Spill
	v_mad_u64_u32 v[7:8], null, 0x84, v9, v[17:18]
	v_mul_lo_u32 v8, v10, s4
	;; [unrolled: 3-line block ×3, first 2 shown]
	scratch_store_b32 off, v9, off offset:128 ; 4-byte Folded Spill
	v_mad_u64_u32 v[9:10], null, 0x84, v11, v[17:18]
	v_cvt_f64_i32_e32 v[18:19], s13
	v_mul_lo_u32 v10, v12, s4
	scratch_store_b32 off, v10, off offset:132 ; 4-byte Folded Spill
	v_add_nc_u32_e32 v10, 8, v28
	s_clause 0x2
	scratch_store_b32 off, v29, off offset:136
	scratch_store_b32 off, v28, off offset:248
	;; [unrolled: 1-line block ×3, first 2 shown]
	v_lshl_add_u32 v46, v0, 2, v46
	v_cvt_f64_u32_e32 v[20:21], v10
	s_delay_alu instid0(VALU_DEP_2)
	v_min_i32_e32 v48, s5, v46
	v_mad_u64_u32 v[10:11], null, 0x84, v12, v[17:18]
	v_add_nc_u32_e32 v11, 32, v28
	v_add_nc_u32_e32 v12, 0x60, v0
	v_min_f64 v[22:23], v[22:23], v[18:19]
	v_min_f64 v[24:25], v[24:25], v[18:19]
	s_delay_alu instid0(VALU_DEP_4) | instskip(SKIP_3) | instid1(VALU_DEP_3)
	v_cvt_f64_u32_e32 v[26:27], v11
	v_add_nc_u32_e32 v11, 48, v28
	v_cvt_f64_u32_e32 v[28:29], v14
	v_min_i32_e32 v14, s5, v12
	v_cvt_f64_u32_e32 v[30:31], v11
	v_mad_u64_u32 v[11:12], null, 0x84, v13, v[17:18]
	s_delay_alu instid0(VALU_DEP_3)
	v_mul_lo_u32 v12, v14, s4
	v_min_f64 v[20:21], v[20:21], v[18:19]
	scratch_store_b32 off, v12, off offset:140 ; 4-byte Folded Spill
	v_mad_u64_u32 v[12:13], null, 0x84, v14, v[17:18]
	v_mul_lo_u32 v13, v36, s4
	scratch_store_b32 off, v13, off offset:148 ; 4-byte Folded Spill
	v_mad_u64_u32 v[13:14], null, 0x84, v36, v[17:18]
	v_min_f64 v[36:37], v[15:16], v[18:19]
	v_mul_lo_u32 v14, v45, s4
	v_mul_lo_u32 v16, v47, s4
	v_cvt_i32_f64_e32 v22, v[22:23]
	v_cvt_i32_f64_e32 v23, v[24:25]
	v_lshl_add_u32 v24, v0, 3, v51
	v_min_f64 v[26:27], v[26:27], v[18:19]
	s_clause 0x1
	scratch_store_b32 off, v14, off offset:152
	scratch_store_b32 off, v16, off offset:156
	v_mad_u64_u32 v[14:15], null, 0x84, v45, v[17:18]
	v_add_nc_u32_e32 v15, 32, v46
	v_min_f64 v[28:29], v[28:29], v[18:19]
	v_min_f64 v[30:31], v[30:31], v[18:19]
	v_ashrrev_i32_e32 v45, 31, v48
	v_cvt_i32_f64_e32 v21, v[20:21]
	v_min_i32_e32 v49, s5, v15
	v_mad_u64_u32 v[15:16], null, 0x84, v47, v[17:18]
	v_add_nc_u32_e32 v16, 64, v46
	v_min_f64 v[18:19], v[32:33], v[18:19]
	s_delay_alu instid0(VALU_DEP_4)
	v_ashrrev_i32_e32 v47, 31, v49
	v_add_nc_u32_e32 v46, 0x60, v46
	v_lshrrev_b32_e32 v45, 30, v45
	v_min_i32_e32 v16, s5, v16
	v_and_b32_e32 v24, 63, v24
	v_lshrrev_b32_e32 v32, 30, v47
	v_lshlrev_b32_e32 v47, 2, v50
	v_min_i32_e32 v46, s5, v46
	v_ashrrev_i32_e32 v33, 31, v16
	v_mul_lo_u32 v20, v16, s4
	scratch_store_b32 off, v50, off offset:160 ; 4-byte Folded Spill
	v_mul_lo_u32 v50, v48, s4
	v_lshlrev_b32_e32 v25, 5, v16
	v_lshrrev_b32_e32 v33, 30, v33
	v_add_nc_u32_e32 v32, v49, v32
	v_cvt_i32_f64_e32 v36, v[36:37]
	v_lshlrev_b32_e32 v37, 5, v49
	scratch_store_b32 off, v20, off offset:172 ; 4-byte Folded Spill
	v_add_nc_u32_e32 v33, v16, v33
	v_mul_lo_u32 v16, v46, s4
	scratch_store_b32 off, v50, off offset:164 ; 4-byte Folded Spill
	v_mul_lo_u32 v50, v49, s4
	v_add_nc_u32_e32 v45, v48, v45
	v_cvt_i32_f64_e32 v26, v[26:27]
	v_and_b32_e32 v32, -4, v32
	v_and_b32_e32 v33, -4, v33
	v_lshlrev_b32_e32 v48, 5, v48
	scratch_store_b32 off, v16, off offset:176 ; 4-byte Folded Spill
	v_and_b32_e32 v45, -4, v45
	scratch_store_b32 off, v50, off offset:168 ; 4-byte Folded Spill
	v_ashrrev_i32_e32 v50, 31, v46
	v_cvt_i32_f64_e32 v27, v[28:29]
	v_cvt_i32_f64_e32 v28, v[30:31]
	v_lshlrev_b32_e32 v31, 5, v46
	v_add3_u32 v45, v45, v47, 0x6200
	v_lshrrev_b32_e32 v49, 30, v50
	v_add3_u32 v32, v32, v47, 0x6200
	v_cvt_i32_f64_e32 v30, v[18:19]
	v_and_b32_e32 v19, 31, v41
	v_add3_u32 v33, v33, v47, 0x6200
	v_add_nc_u32_e32 v20, v46, v49
	v_lshlrev_b32_e32 v49, 7, v0
	v_and_b32_e32 v17, 28, v17
	s_delay_alu instid0(VALU_DEP_3) | instskip(SKIP_1) | instid1(VALU_DEP_2)
	v_and_b32_e32 v16, -4, v20
	v_and_b32_e32 v20, 3, v41
	v_add3_u32 v29, v16, v47, 0x6200
	v_or_b32_e32 v16, s11, v24
	s_delay_alu instid0(VALU_DEP_3) | instskip(SKIP_1) | instid1(VALU_DEP_3)
	v_lshlrev_b32_e32 v18, 2, v20
	v_lshlrev_b32_e32 v47, 2, v19
	v_min_i32_e32 v46, s13, v16
	s_delay_alu instid0(VALU_DEP_3) | instskip(NEXT) | instid1(VALU_DEP_3)
	v_lshl_or_b32 v24, v24, 4, v18
	v_or_b32_e32 v50, v49, v47
	v_add_co_u32 v16, s5, s2, v17
	s_delay_alu instid0(VALU_DEP_4)
	v_mad_u64_u32 v[18:19], null, v46, s7, v[20:21]
	v_mul_lo_u32 v20, s7, v36
	v_add_nc_u32_e32 v19, 0x7280, v24
	v_mul_lo_u32 v21, s7, v21
	v_and_b32_e32 v24, 0xfc, v41
	v_add_co_ci_u32_e64 v17, null, s3, 0, s5
	scratch_store_b32 off, v19, off         ; 4-byte Folded Spill
	v_lshl_or_b32 v19, v34, 7, v47
	scratch_store_b32 off, v20, off offset:4 ; 4-byte Folded Spill
	v_add_nc_u32_e32 v20, 0x4200, v50
	v_mov_b32_e32 v34, 0
	v_dual_mov_b32 v36, 0 :: v_dual_add_nc_u32 v19, 0x4200, v19
	s_mov_b32 s5, 0
	scratch_store_b32 off, v20, off offset:8 ; 4-byte Folded Spill
	v_lshl_or_b32 v20, v38, 7, v47
	v_mov_b32_e32 v38, 0
	s_delay_alu instid0(VALU_DEP_2)
	v_add_nc_u32_e32 v20, 0x4200, v20
	scratch_store_b32 off, v21, off offset:12 ; 4-byte Folded Spill
	v_mul_lo_u32 v21, s7, v22
	scratch_store_b32 off, v19, off offset:16 ; 4-byte Folded Spill
	v_lshl_or_b32 v19, v39, 7, v47
	v_dual_mov_b32 v39, 0 :: v_dual_add_nc_u32 v22, 32, v41
	s_delay_alu instid0(VALU_DEP_2)
	v_add_nc_u32_e32 v19, 0x4200, v19
	scratch_store_b32 off, v20, off offset:24 ; 4-byte Folded Spill
	v_mul_lo_u32 v20, s7, v23
	scratch_store_b32 off, v21, off offset:20 ; 4-byte Folded Spill
	v_mul_lo_u32 v21, s7, v26
	v_mul_u32_u24_e32 v26, 0x84, v41
	v_and_b32_e32 v23, 0x1fc, v22
	v_lshrrev_b32_e32 v22, 3, v22
	scratch_store_b32 off, v20, off offset:28 ; 4-byte Folded Spill
	v_lshl_or_b32 v20, v40, 7, v47
	scratch_store_b32 off, v22, off offset:216 ; 4-byte Folded Spill
	v_mov_b32_e32 v40, 0
	v_add_nc_u32_e32 v20, 0x4200, v20
	scratch_store_b32 off, v19, off offset:32 ; 4-byte Folded Spill
	v_lshl_or_b32 v19, v42, 7, v47
	s_delay_alu instid0(VALU_DEP_1)
	v_dual_mov_b32 v42, 0 :: v_dual_add_nc_u32 v19, 0x4200, v19
	s_clause 0x1
	scratch_store_b32 off, v20, off offset:40
	scratch_store_b32 off, v51, off offset:76
	v_mul_lo_u32 v20, s7, v27
	s_clause 0x1
	scratch_store_b32 off, v21, off offset:36
	scratch_store_b32 off, v19, off offset:48
	v_mul_lo_u32 v19, s7, v28
	v_lshl_or_b32 v21, v43, 7, v47
	v_dual_mov_b32 v28, 0 :: v_dual_mov_b32 v27, 0
	scratch_store_b32 off, v20, off offset:44 ; 4-byte Folded Spill
	v_mul_lo_u32 v20, s7, v30
	v_mov_b32_e32 v30, 0
	scratch_store_b32 off, v19, off offset:52 ; 4-byte Folded Spill
	v_add_nc_u32_e32 v19, 0x4200, v21
	v_add_nc_u32_e32 v21, 64, v41
	s_clause 0x1
	scratch_store_b32 off, v20, off offset:60
	scratch_store_b32 off, v19, off offset:56
	v_lshl_or_b32 v19, v44, 7, v47
	v_add_nc_u32_e32 v20, 0x60, v41
	v_dual_mov_b32 v44, 0 :: v_dual_and_b32 v21, 0x1fc, v21
	s_delay_alu instid0(VALU_DEP_3) | instskip(NEXT) | instid1(VALU_DEP_3)
	v_add_nc_u32_e32 v19, 0x4200, v19
	v_and_b32_e32 v20, 0x1fc, v20
	scratch_store_b32 off, v19, off offset:64 ; 4-byte Folded Spill
	v_lshlrev_b32_e32 v19, 5, v41
	s_delay_alu instid0(VALU_DEP_1) | instskip(SKIP_3) | instid1(VALU_DEP_4)
	v_add_nc_u32_e32 v20, v19, v20
	v_add_nc_u32_e32 v21, v19, v21
	;; [unrolled: 1-line block ×3, first 2 shown]
	v_dual_mov_b32 v24, 0 :: v_dual_add_nc_u32 v19, v19, v24
	v_add_nc_u32_e32 v22, 0x6e00, v20
	scratch_store_b32 off, v26, off offset:180 ; 4-byte Folded Spill
	v_mov_b32_e32 v26, 0
	scratch_store_b32 off, v22, off offset:184 ; 4-byte Folded Spill
	v_add_nc_u32_e32 v22, 0x6a00, v21
	scratch_store_b32 off, v22, off offset:188 ; 4-byte Folded Spill
	v_add_nc_u32_e32 v22, 0x6600, v23
	;; [unrolled: 2-line block ×4, first 2 shown]
	s_clause 0x1
	scratch_store_b32 off, v22, off offset:68
	scratch_store_b32 off, v0, off offset:240
	v_lshl_add_u32 v0, v0, 4, 0x7280
	v_mov_b32_e32 v22, 0
	scratch_store_b32 off, v0, off offset:72 ; 4-byte Folded Spill
	v_add_nc_u32_e32 v0, 0x6e10, v20
	scratch_store_b32 off, v0, off offset:220 ; 4-byte Folded Spill
	v_dual_mov_b32 v21, 0 :: v_dual_add_nc_u32 v0, 0x6a10, v21
	scratch_store_b32 off, v0, off offset:224 ; 4-byte Folded Spill
	v_dual_mov_b32 v23, 0 :: v_dual_add_nc_u32 v0, 0x6610, v23
	scratch_store_b32 off, v0, off offset:228 ; 4-byte Folded Spill
	v_add_nc_u32_e32 v0, 0x6210, v19
	s_clause 0x1
	scratch_store_b32 off, v0, off offset:232
	scratch_store_b32 off, v41, off offset:244
	v_mad_u32_u24 v0, 0x84, v41, 64
	scratch_store_b32 off, v0, off offset:236 ; 4-byte Folded Spill
	v_add_nc_u32_e32 v0, v45, v48
	v_mov_b32_e32 v48, 0
	scratch_store_b32 off, v0, off offset:200 ; 4-byte Folded Spill
	v_dual_mov_b32 v37, 0 :: v_dual_add_nc_u32 v0, v32, v37
	scratch_store_b32 off, v0, off offset:204 ; 4-byte Folded Spill
	v_dual_mov_b32 v25, 0 :: v_dual_add_nc_u32 v0, v33, v25
	;; [unrolled: 2-line block ×3, first 2 shown]
	v_mov_b32_e32 v29, 0
	scratch_store_b32 off, v0, off offset:212 ; 4-byte Folded Spill
	s_branch .LBB118_6
.LBB118_5:                              ;   in Loop: Header=BB118_6 Depth=1
	s_add_i32 s5, s5, 8
	s_delay_alu instid0(SALU_CYCLE_1)
	s_cmp_ge_i32 s5, s4
	s_cbranch_scc1 .LBB118_12
.LBB118_6:                              ; =>This Loop Header: Depth=1
                                        ;     Child Loop BB118_7 Depth 2
                                        ;     Child Loop BB118_10 Depth 2
	scratch_load_b32 v0, off, off offset:76 ; 4-byte Folded Reload
	s_mul_i32 s7, s5, 18
	s_mul_hi_u32 s13, s5, 18
	s_add_u32 s14, s0, s7
	s_addc_u32 s15, s1, s13
	v_add_nc_u32_e32 v114, s5, v18
	s_mov_b32 s7, -4
	s_waitcnt vmcnt(0)
	v_mad_u64_u32 v[19:20], null, v0, 18, s[14:15]
	scratch_load_b32 v0, off, off offset:80 ; 4-byte Folded Reload
	s_waitcnt vmcnt(0)
	v_add_co_u32 v19, vcc_lo, v19, v0
	scratch_load_b32 v0, off, off offset:84 ; 4-byte Folded Reload
	v_add_co_ci_u32_e32 v20, vcc_lo, 0, v20, vcc_lo
	v_add_co_u32 v19, vcc_lo, v19, 2
	s_delay_alu instid0(VALU_DEP_2) | instskip(SKIP_1) | instid1(VALU_DEP_1)
	v_add_co_ci_u32_e32 v20, vcc_lo, 0, v20, vcc_lo
	s_waitcnt vmcnt(0)
	v_mad_i64_i32 v[32:33], null, v0, 18, v[19:20]
	scratch_load_b32 v0, off, off offset:96 ; 4-byte Folded Reload
	s_waitcnt vmcnt(0)
	v_mad_i64_i32 v[45:46], null, v0, 18, v[19:20]
	scratch_load_b32 v0, off, off offset:100 ; 4-byte Folded Reload
	;; [unrolled: 3-line block ×7, first 2 shown]
	s_waitcnt vmcnt(0)
	v_mad_i64_i32 v[78:79], null, v0, 18, v[19:20]
	s_clause 0x7
	global_load_b32 v43, v[32:33], off
	global_load_b32 v47, v[45:46], off
	;; [unrolled: 1-line block ×8, first 2 shown]
	scratch_load_b32 v0, off, off offset:124 ; 4-byte Folded Reload
	s_waitcnt vmcnt(0)
	v_mad_i64_i32 v[32:33], null, v0, 18, v[19:20]
	scratch_load_b32 v0, off, off offset:128 ; 4-byte Folded Reload
	s_waitcnt vmcnt(0)
	v_mad_i64_i32 v[45:46], null, v0, 18, v[19:20]
	;; [unrolled: 3-line block ×5, first 2 shown]
	scratch_load_b32 v0, off, off offset:160 ; 4-byte Folded Reload
	s_waitcnt vmcnt(0)
	v_mad_u64_u32 v[71:72], null, v0, 18, s[14:15]
	scratch_load_b32 v0, off, off offset:148 ; 4-byte Folded Reload
	s_waitcnt vmcnt(0)
	v_mad_i64_i32 v[76:77], null, v0, 18, v[19:20]
	scratch_load_b32 v0, off, off offset:152 ; 4-byte Folded Reload
	s_waitcnt vmcnt(0)
	v_mad_i64_i32 v[78:79], null, v0, 18, v[19:20]
	;; [unrolled: 3-line block ×7, first 2 shown]
	scratch_load_b32 v0, off, off offset:144 ; 4-byte Folded Reload
	s_waitcnt vmcnt(0)
	v_add_nc_u32_e32 v71, s5, v0
	s_clause 0x7
	global_load_b32 v98, v[32:33], off
	global_load_b32 v113, v[45:46], off
	;; [unrolled: 1-line block ×8, first 2 shown]
	scratch_load_b32 v0, off, off offset:4  ; 4-byte Folded Reload
	s_clause 0x3
	global_load_u16 v106, v[19:20], off
	global_load_u16 v107, v[107:108], off
	;; [unrolled: 1-line block ×4, first 2 shown]
	s_waitcnt vmcnt(4)
	v_add_nc_u32_e32 v32, v71, v0
	scratch_load_b32 v0, off, off offset:12 ; 4-byte Folded Reload
	v_mad_i64_i32 v[19:20], null, v32, 36, v[16:17]
	s_waitcnt vmcnt(0)
	v_add_nc_u32_e32 v45, v71, v0
	scratch_load_b32 v0, off, off offset:20 ; 4-byte Folded Reload
	v_mad_i64_i32 v[32:33], null, v45, 36, v[16:17]
	;; [unrolled: 4-line block ×6, first 2 shown]
	s_waitcnt vmcnt(0)
	v_add_nc_u32_e32 v76, v71, v0
	scratch_load_b32 v0, off, off offset:60 ; 4-byte Folded Reload
	s_waitcnt vmcnt(0)
	v_add_nc_u32_e32 v78, v71, v0
	v_mad_i64_i32 v[71:72], null, v76, 36, v[16:17]
	s_delay_alu instid0(VALU_DEP_2)
	v_mad_i64_i32 v[76:77], null, v78, 36, v[16:17]
	v_mad_u64_u32 v[78:79], null, v114, 36, s[2:3]
	s_clause 0x8
	global_load_b32 v19, v[19:20], off offset:4
	global_load_b32 v20, v[32:33], off offset:4
	;; [unrolled: 1-line block ×8, first 2 shown]
	global_load_b32 v51, v[78:79], off
	s_clause 0x8
	scratch_load_b32 v115, off, off offset:72
	scratch_load_b32 v116, off, off offset:68
	;; [unrolled: 1-line block ×7, first 2 shown]
	scratch_load_b64 v[75:76], off, off offset:88
	scratch_load_b32 v0, off, off offset:200
	v_cvt_f32_f16_e32 v52, v106
	v_cvt_f32_f16_e32 v57, v107
	;; [unrolled: 1-line block ×4, first 2 shown]
	s_waitcnt vmcnt(1)
	ds_store_b32 v75, v43
	s_waitcnt vmcnt(0)
	ds_store_b32 v0, v52
	ds_store_b32 v1, v47
	scratch_load_b32 v0, off, off offset:204 ; 4-byte Folded Reload
	s_waitcnt vmcnt(0)
	ds_store_b32 v0, v57
	ds_store_b32 v2, v53
	scratch_load_b32 v0, off, off offset:208 ; 4-byte Folded Reload
	s_waitcnt vmcnt(0)
	ds_store_b32 v0, v58
	ds_store_b32 v3, v55
	;; [unrolled: 1-line block ×14, first 2 shown]
	scratch_load_b32 v0, off, off offset:212 ; 4-byte Folded Reload
	s_waitcnt vmcnt(0)
	ds_store_b32 v0, v71
	scratch_load_b32 v0, off, off offset:8  ; 4-byte Folded Reload
	s_waitcnt vmcnt(0)
	ds_store_b32 v0, v19
	scratch_load_b32 v0, off, off offset:16 ; 4-byte Folded Reload
	s_waitcnt vmcnt(0)
	ds_store_b32 v0, v20
	scratch_load_b32 v0, off, off offset:24 ; 4-byte Folded Reload
	s_waitcnt vmcnt(0)
	ds_store_b32 v0, v32
	scratch_load_b32 v0, off, off offset:32 ; 4-byte Folded Reload
	s_waitcnt vmcnt(0)
	ds_store_b32 v0, v33
	scratch_load_b32 v0, off, off offset:40 ; 4-byte Folded Reload
	s_waitcnt vmcnt(0)
	ds_store_b32 v0, v45
	scratch_load_b32 v0, off, off offset:48 ; 4-byte Folded Reload
	s_waitcnt vmcnt(0)
	ds_store_b32 v0, v46
	scratch_load_b32 v0, off, off offset:56 ; 4-byte Folded Reload
	s_waitcnt vmcnt(0)
	ds_store_b32 v0, v49
	scratch_load_b32 v0, off, off offset:64 ; 4-byte Folded Reload
	s_waitcnt vmcnt(0)
	ds_store_b32 v0, v50
	scratch_load_b32 v0, off, off           ; 4-byte Folded Reload
	s_waitcnt vmcnt(0)
	ds_store_b32 v0, v51
	s_waitcnt lgkmcnt(0)
	s_waitcnt_vscnt null, 0x0
	s_barrier
	buffer_gl0_inv
.LBB118_7:                              ;   Parent Loop BB118_6 Depth=1
                                        ; =>  This Inner Loop Header: Depth=2
	ds_load_b128 v[49:52], v116
	ds_load_b128 v[76:79], v116 offset:16
	ds_load_2addr_b32 v[19:20], v115 offset1:32
	s_add_i32 s7, s7, 4
	s_delay_alu instid0(SALU_CYCLE_1)
	s_cmp_lt_u32 s7, 12
	s_waitcnt lgkmcnt(2)
	v_bfe_i32 v43, v49, 0, 8
	v_bfe_i32 v45, v49, 8, 8
	s_waitcnt lgkmcnt(0)
	v_lshrrev_b32_e32 v32, 16, v19
	v_bfe_i32 v46, v49, 16, 8
	v_ashrrev_i32_e32 v47, 24, v49
	v_bfe_i32 v49, v76, 0, 8
	v_bfe_i32 v58, v50, 0, 8
	v_cvt_f32_f16_e32 v32, v32
	v_bfe_i32 v69, v77, 0, 8
	v_bfe_i32 v53, v76, 8, 8
	;; [unrolled: 1-line block ×3, first 2 shown]
	v_ashrrev_i32_e32 v57, 24, v76
	v_mul_f32_e32 v254, 0x41000000, v32
	ds_load_b32 v197, v118
	ds_load_2addr_b32 v[32:33], v117 offset1:1
	v_bfe_i32 v76, v51, 0, 8
	v_bfe_i32 v105, v78, 0, 8
	;; [unrolled: 1-line block ×5, first 2 shown]
	v_ashrrev_i32_e32 v50, 24, v50
	v_bfe_i32 v71, v77, 8, 8
	v_bfe_i32 v111, v79, 0, 8
	v_bfe_i32 v72, v77, 16, 8
	v_ashrrev_i32_e32 v73, 24, v77
	v_bfe_i32 v77, v51, 8, 8
	v_bfe_i32 v98, v51, 16, 8
	v_ashrrev_i32_e32 v51, 24, v51
	v_bfe_i32 v106, v78, 8, 8
	v_bfe_i32 v107, v78, 16, 8
	;; [unrolled: 3-line block ×3, first 2 shown]
	v_ashrrev_i32_e32 v52, 24, v52
	s_waitcnt lgkmcnt(0)
	v_and_b32_e32 v231, 15, v33
	v_bfe_u32 v223, v32, 20, 4
	v_and_b32_e32 v224, 15, v32
	v_bfe_u32 v225, v32, 8, 4
	v_bfe_u32 v227, v32, 16, 4
	;; [unrolled: 1-line block ×5, first 2 shown]
	v_lshrrev_b32_e32 v230, 28, v32
	v_bfe_u32 v226, v33, 20, 4
	v_bfe_u32 v232, v33, 8, 4
	;; [unrolled: 1-line block ×6, first 2 shown]
	v_lshrrev_b32_e32 v238, 28, v33
	ds_load_2addr_b32 v[32:33], v117 offset0:2 offset1:3
	v_mul_i32_i24_e32 v122, v224, v43
	v_mul_i32_i24_e32 v129, v231, v58
	;; [unrolled: 1-line block ×5, first 2 shown]
	v_mad_i32_i24 v122, v222, v49, v122
	v_mul_i32_i24_e32 v125, v228, v47
	v_mul_i32_i24_e32 v126, v229, v53
	;; [unrolled: 1-line block ×4, first 2 shown]
	v_add3_u32 v122, v122, v129, v133
	v_mul_i32_i24_e32 v130, v232, v62
	v_mul_i32_i24_e32 v131, v233, v67
	;; [unrolled: 1-line block ×6, first 2 shown]
	v_bfe_i32 v112, v79, 8, 8
	v_bfe_i32 v113, v79, 16, 8
	s_waitcnt lgkmcnt(0)
	v_and_b32_e32 v239, 15, v32
	v_bfe_u32 v244, v32, 4, 4
	v_and_b32_e32 v247, 15, v33
	v_bfe_u32 v251, v33, 4, 4
	v_bfe_u32 v240, v32, 8, 4
	v_mul_i32_i24_e32 v137, v239, v76
	v_mul_i32_i24_e32 v141, v244, v105
	;; [unrolled: 1-line block ×4, first 2 shown]
	v_bfe_u32 v242, v32, 16, 4
	v_add3_u32 v122, v122, v137, v123
	v_mul_i32_i24_e32 v138, v240, v77
	v_bfe_u32 v243, v32, 24, 4
	v_bfe_u32 v245, v32, 12, 4
	v_mul_i32_i24_e32 v139, v242, v98
	v_add3_u32 v122, v122, v124, v125
	v_bfe_u32 v234, v32, 20, 4
	v_mul_i32_i24_e32 v140, v243, v51
	v_mul_i32_i24_e32 v142, v245, v106
	v_lshrrev_b32_e32 v246, 28, v32
	v_add3_u32 v122, v122, v141, v144
	v_mul_i32_i24_e32 v143, v234, v107
	v_bfe_u32 v248, v33, 8, 4
	v_bfe_u32 v249, v33, 16, 4
	v_mul_i32_i24_e32 v32, v246, v78
	v_add3_u32 v122, v122, v126, v127
	v_bfe_u32 v250, v33, 24, 4
	v_mul_i32_i24_e32 v145, v248, v109
	v_mul_i32_i24_e32 v146, v249, v110
	v_bfe_u32 v252, v33, 12, 4
	v_add3_u32 v122, v122, v128, v130
	v_ashrrev_i32_e32 v79, 24, v79
	v_bfe_u32 v241, v33, 20, 4
	v_mul_i32_i24_e32 v147, v250, v52
	v_mul_i32_i24_e32 v149, v252, v112
	v_add3_u32 v122, v122, v131, v132
	v_lshrrev_b32_e32 v253, 28, v33
	v_mul_i32_i24_e32 v150, v241, v113
	v_add_nc_u32_e32 v118, 4, v118
	s_delay_alu instid0(VALU_DEP_4) | instskip(NEXT) | instid1(VALU_DEP_4)
	v_add3_u32 v122, v122, v148, v134
	v_mul_i32_i24_e32 v33, v253, v79
	s_delay_alu instid0(VALU_DEP_2) | instskip(NEXT) | instid1(VALU_DEP_1)
	v_add3_u32 v122, v122, v135, v136
	v_add3_u32 v122, v122, v138, v139
	s_delay_alu instid0(VALU_DEP_1) | instskip(NEXT) | instid1(VALU_DEP_1)
	v_add3_u32 v122, v122, v140, v142
	v_add3_u32 v32, v122, v143, v32
	s_delay_alu instid0(VALU_DEP_1) | instskip(NEXT) | instid1(VALU_DEP_1)
	;; [unrolled: 3-line block ×3, first 2 shown]
	v_add3_u32 v32, v32, v150, v33
	v_cvt_f32_i32_e32 v32, v32
	s_delay_alu instid0(VALU_DEP_1) | instskip(NEXT) | instid1(VALU_DEP_1)
	v_fma_mix_f32 v32, v19, v32, -v254 op_sel_hi:[1,0,0]
	v_dual_fmac_f32 v35, v197, v32 :: v_dual_add_nc_u32 v32, 0x1080, v117
	ds_load_b32 v188, v119
	ds_load_2addr_b32 v[32:33], v32 offset1:1
	v_add_nc_u32_e32 v119, 4, v119
	s_waitcnt lgkmcnt(0)
	v_bfe_u32 v190, v32, 20, 4
	v_and_b32_e32 v191, 15, v32
	v_bfe_u32 v192, v32, 8, 4
	v_bfe_u32 v194, v32, 16, 4
	;; [unrolled: 1-line block ×5, first 2 shown]
	v_lshrrev_b32_e32 v198, 28, v32
	v_add_nc_u32_e32 v32, 0x1088, v117
	v_bfe_u32 v193, v33, 20, 4
	v_and_b32_e32 v199, 15, v33
	v_bfe_u32 v200, v33, 8, 4
	v_bfe_u32 v201, v33, 16, 4
	;; [unrolled: 1-line block ×5, first 2 shown]
	v_lshrrev_b32_e32 v206, 28, v33
	ds_load_2addr_b32 v[32:33], v32 offset1:1
	v_mul_i32_i24_e32 v122, v191, v43
	v_mul_i32_i24_e32 v129, v199, v58
	;; [unrolled: 1-line block ×5, first 2 shown]
	v_mad_i32_i24 v122, v189, v49, v122
	v_mul_i32_i24_e32 v125, v195, v47
	v_mul_i32_i24_e32 v126, v196, v53
	;; [unrolled: 1-line block ×4, first 2 shown]
	v_add3_u32 v122, v122, v129, v133
	v_mul_i32_i24_e32 v130, v200, v62
	v_mul_i32_i24_e32 v131, v201, v67
	;; [unrolled: 1-line block ×6, first 2 shown]
	s_waitcnt lgkmcnt(0)
	v_and_b32_e32 v207, 15, v32
	v_bfe_u32 v212, v32, 4, 4
	v_and_b32_e32 v215, 15, v33
	v_bfe_u32 v219, v33, 4, 4
	v_bfe_u32 v208, v32, 8, 4
	v_mul_i32_i24_e32 v137, v207, v76
	v_mul_i32_i24_e32 v141, v212, v105
	;; [unrolled: 1-line block ×4, first 2 shown]
	v_bfe_u32 v210, v32, 16, 4
	v_add3_u32 v122, v122, v137, v123
	v_mul_i32_i24_e32 v138, v208, v77
	v_bfe_u32 v211, v32, 24, 4
	v_bfe_u32 v213, v32, 12, 4
	v_mul_i32_i24_e32 v139, v210, v98
	v_add3_u32 v122, v122, v124, v125
	v_bfe_u32 v203, v32, 20, 4
	v_mul_i32_i24_e32 v140, v211, v51
	v_mul_i32_i24_e32 v142, v213, v106
	v_lshrrev_b32_e32 v214, 28, v32
	v_add3_u32 v122, v122, v141, v144
	v_mul_i32_i24_e32 v143, v203, v107
	v_bfe_u32 v216, v33, 8, 4
	v_bfe_u32 v217, v33, 16, 4
	v_mul_i32_i24_e32 v32, v214, v78
	v_add3_u32 v122, v122, v126, v127
	v_bfe_u32 v218, v33, 24, 4
	v_mul_i32_i24_e32 v145, v216, v109
	v_mul_i32_i24_e32 v146, v217, v110
	v_bfe_u32 v220, v33, 12, 4
	v_add3_u32 v122, v122, v128, v130
	v_bfe_u32 v209, v33, 20, 4
	v_mul_i32_i24_e32 v147, v218, v52
	v_lshrrev_b32_e32 v221, 28, v33
	v_mul_i32_i24_e32 v149, v220, v112
	v_add3_u32 v122, v122, v131, v132
	v_mul_i32_i24_e32 v150, v209, v113
	s_delay_alu instid0(VALU_DEP_4) | instskip(NEXT) | instid1(VALU_DEP_3)
	v_mul_i32_i24_e32 v33, v221, v79
	v_add3_u32 v122, v122, v148, v134
	s_delay_alu instid0(VALU_DEP_1) | instskip(NEXT) | instid1(VALU_DEP_1)
	v_add3_u32 v122, v122, v135, v136
	v_add3_u32 v122, v122, v138, v139
	s_delay_alu instid0(VALU_DEP_1) | instskip(NEXT) | instid1(VALU_DEP_1)
	v_add3_u32 v122, v122, v140, v142
	;; [unrolled: 3-line block ×4, first 2 shown]
	v_cvt_f32_i32_e32 v32, v32
	s_delay_alu instid0(VALU_DEP_1) | instskip(NEXT) | instid1(VALU_DEP_1)
	v_fma_mix_f32 v32, v19, v32, -v254 op_sel_hi:[1,0,0]
	v_fmac_f32_e32 v74, v188, v32
	v_add_nc_u32_e32 v32, 0x2100, v117
	ds_load_b32 v155, v120
	ds_load_2addr_b32 v[32:33], v32 offset1:1
	v_add_nc_u32_e32 v120, 4, v120
	s_waitcnt lgkmcnt(0)
	v_bfe_u32 v157, v32, 20, 4
	v_and_b32_e32 v158, 15, v32
	v_bfe_u32 v159, v32, 8, 4
	v_bfe_u32 v161, v32, 16, 4
	;; [unrolled: 1-line block ×5, first 2 shown]
	v_lshrrev_b32_e32 v164, 28, v32
	v_add_nc_u32_e32 v32, 0x2108, v117
	v_bfe_u32 v160, v33, 20, 4
	v_and_b32_e32 v165, 15, v33
	v_bfe_u32 v166, v33, 8, 4
	v_bfe_u32 v167, v33, 16, 4
	;; [unrolled: 1-line block ×5, first 2 shown]
	v_lshrrev_b32_e32 v172, 28, v33
	ds_load_2addr_b32 v[32:33], v32 offset1:1
	v_mul_i32_i24_e32 v122, v158, v43
	v_mul_i32_i24_e32 v129, v165, v58
	;; [unrolled: 1-line block ×5, first 2 shown]
	v_mad_i32_i24 v122, v156, v49, v122
	v_mul_i32_i24_e32 v125, v162, v47
	v_mul_i32_i24_e32 v126, v163, v53
	;; [unrolled: 1-line block ×4, first 2 shown]
	v_add3_u32 v122, v122, v129, v133
	v_mul_i32_i24_e32 v130, v166, v62
	v_mul_i32_i24_e32 v131, v167, v67
	;; [unrolled: 1-line block ×6, first 2 shown]
	s_waitcnt lgkmcnt(0)
	v_and_b32_e32 v173, 15, v32
	v_bfe_u32 v178, v32, 4, 4
	v_and_b32_e32 v181, 15, v33
	v_bfe_u32 v185, v33, 4, 4
	v_bfe_u32 v174, v32, 8, 4
	v_mul_i32_i24_e32 v137, v173, v76
	v_mul_i32_i24_e32 v141, v178, v105
	;; [unrolled: 1-line block ×4, first 2 shown]
	v_bfe_u32 v176, v32, 16, 4
	v_add3_u32 v122, v122, v137, v123
	v_mul_i32_i24_e32 v138, v174, v77
	v_bfe_u32 v177, v32, 24, 4
	v_bfe_u32 v179, v32, 12, 4
	v_mul_i32_i24_e32 v139, v176, v98
	v_add3_u32 v122, v122, v124, v125
	v_bfe_u32 v169, v32, 20, 4
	v_mul_i32_i24_e32 v140, v177, v51
	v_mul_i32_i24_e32 v142, v179, v106
	v_lshrrev_b32_e32 v180, 28, v32
	v_add3_u32 v122, v122, v141, v144
	v_mul_i32_i24_e32 v143, v169, v107
	v_bfe_u32 v182, v33, 8, 4
	v_bfe_u32 v183, v33, 16, 4
	v_mul_i32_i24_e32 v32, v180, v78
	v_add3_u32 v122, v122, v126, v127
	v_bfe_u32 v184, v33, 24, 4
	v_mul_i32_i24_e32 v145, v182, v109
	v_mul_i32_i24_e32 v146, v183, v110
	v_bfe_u32 v186, v33, 12, 4
	v_add3_u32 v122, v122, v128, v130
	v_bfe_u32 v175, v33, 20, 4
	v_mul_i32_i24_e32 v147, v184, v52
	v_lshrrev_b32_e32 v187, 28, v33
	v_mul_i32_i24_e32 v149, v186, v112
	v_add3_u32 v122, v122, v131, v132
	v_mul_i32_i24_e32 v150, v175, v113
	s_delay_alu instid0(VALU_DEP_4) | instskip(NEXT) | instid1(VALU_DEP_3)
	v_mul_i32_i24_e32 v33, v187, v79
	v_add3_u32 v122, v122, v148, v134
	s_delay_alu instid0(VALU_DEP_1) | instskip(NEXT) | instid1(VALU_DEP_1)
	v_add3_u32 v122, v122, v135, v136
	v_add3_u32 v122, v122, v138, v139
	s_delay_alu instid0(VALU_DEP_1) | instskip(NEXT) | instid1(VALU_DEP_1)
	v_add3_u32 v122, v122, v140, v142
	;; [unrolled: 3-line block ×4, first 2 shown]
	v_cvt_f32_i32_e32 v32, v32
	s_delay_alu instid0(VALU_DEP_1) | instskip(NEXT) | instid1(VALU_DEP_1)
	v_fma_mix_f32 v32, v19, v32, -v254 op_sel_hi:[1,0,0]
	v_fmac_f32_e32 v68, v155, v32
	v_add_nc_u32_e32 v32, 0x3180, v117
	ds_load_b32 v122, v121
	ds_load_2addr_b32 v[32:33], v32 offset1:1
	v_add_nc_u32_e32 v121, 4, v121
	s_waitcnt lgkmcnt(0)
	v_bfe_u32 v124, v32, 20, 4
	v_and_b32_e32 v125, 15, v32
	v_bfe_u32 v126, v32, 8, 4
	v_bfe_u32 v128, v32, 16, 4
	;; [unrolled: 1-line block ×5, first 2 shown]
	v_lshrrev_b32_e32 v131, 28, v32
	v_add_nc_u32_e32 v32, 0x3188, v117
	v_bfe_u32 v127, v33, 20, 4
	v_and_b32_e32 v132, 15, v33
	v_bfe_u32 v133, v33, 8, 4
	v_bfe_u32 v134, v33, 16, 4
	v_bfe_u32 v135, v33, 24, 4
	v_bfe_u32 v137, v33, 4, 4
	v_bfe_u32 v138, v33, 12, 4
	v_lshrrev_b32_e32 v139, 28, v33
	ds_load_2addr_b32 v[32:33], v32 offset1:1
	v_mul_i32_i24_e32 v43, v125, v43
	v_mul_i32_i24_e32 v58, v132, v58
	;; [unrolled: 1-line block ×5, first 2 shown]
	v_mad_i32_i24 v43, v123, v49, v43
	v_mul_i32_i24_e32 v47, v129, v47
	v_mul_i32_i24_e32 v53, v130, v53
	;; [unrolled: 1-line block ×4, first 2 shown]
	v_add3_u32 v43, v43, v58, v69
	v_mul_i32_i24_e32 v62, v133, v62
	v_mul_i32_i24_e32 v67, v134, v67
	;; [unrolled: 1-line block ×6, first 2 shown]
	v_add_nc_u32_e32 v117, 16, v117
	s_waitcnt lgkmcnt(0)
	v_and_b32_e32 v140, 15, v32
	v_bfe_u32 v145, v32, 4, 4
	v_lshrrev_b32_e32 v147, 28, v32
	v_and_b32_e32 v148, 15, v33
	v_bfe_u32 v136, v32, 20, 4
	v_mul_i32_i24_e32 v76, v140, v76
	v_bfe_u32 v141, v32, 8, 4
	v_bfe_u32 v143, v32, 16, 4
	;; [unrolled: 1-line block ×3, first 2 shown]
	v_mul_i32_i24_e32 v105, v145, v105
	v_add3_u32 v43, v43, v76, v45
	v_bfe_u32 v146, v32, 12, 4
	v_mul_i32_i24_e32 v32, v147, v78
	v_mul_i32_i24_e32 v78, v148, v108
	v_bfe_u32 v149, v33, 8, 4
	v_add3_u32 v43, v43, v46, v47
	v_bfe_u32 v150, v33, 16, 4
	v_bfe_u32 v152, v33, 4, 4
	v_mul_i32_i24_e32 v77, v141, v77
	v_mul_i32_i24_e32 v108, v149, v109
	v_add3_u32 v43, v43, v105, v78
	v_mul_i32_i24_e32 v109, v150, v110
	v_mul_i32_i24_e32 v110, v152, v111
	v_mul_i32_i24_e32 v98, v143, v98
	v_mul_i32_i24_e32 v51, v144, v51
	v_add3_u32 v43, v43, v53, v55
	v_mul_i32_i24_e32 v106, v146, v106
	v_mul_i32_i24_e32 v107, v136, v107
	v_bfe_u32 v151, v33, 24, 4
	v_bfe_u32 v153, v33, 12, 4
	v_add3_u32 v43, v43, v57, v62
	v_bfe_u32 v142, v33, 20, 4
	v_lshrrev_b32_e32 v154, 28, v33
	v_mul_i32_i24_e32 v52, v151, v52
	v_mul_i32_i24_e32 v111, v153, v112
	v_add3_u32 v43, v43, v67, v50
	v_mul_i32_i24_e32 v112, v142, v113
	v_mul_i32_i24_e32 v33, v154, v79
	s_delay_alu instid0(VALU_DEP_3) | instskip(NEXT) | instid1(VALU_DEP_1)
	v_add3_u32 v43, v43, v110, v71
	v_add3_u32 v43, v43, v72, v73
	s_delay_alu instid0(VALU_DEP_1) | instskip(NEXT) | instid1(VALU_DEP_1)
	v_add3_u32 v43, v43, v77, v98
	v_add3_u32 v43, v43, v51, v106
	s_delay_alu instid0(VALU_DEP_1) | instskip(NEXT) | instid1(VALU_DEP_1)
	v_add3_u32 v32, v43, v107, v32
	v_add3_u32 v32, v32, v108, v109
	s_delay_alu instid0(VALU_DEP_1) | instskip(SKIP_4) | instid1(VALU_DEP_2)
	v_add3_u32 v32, v32, v52, v111
	ds_load_b128 v[49:52], v116 offset:1024
	ds_load_b128 v[76:79], v116 offset:1040
	v_lshrrev_b32_e32 v111, 16, v20
	v_add3_u32 v32, v32, v112, v33
	v_cvt_f32_f16_e32 v111, v111
	s_delay_alu instid0(VALU_DEP_2) | instskip(NEXT) | instid1(VALU_DEP_2)
	v_cvt_f32_i32_e32 v32, v32
	v_mul_f32_e32 v111, 0x41000000, v111
	s_delay_alu instid0(VALU_DEP_2) | instskip(NEXT) | instid1(VALU_DEP_1)
	v_fma_mix_f32 v19, v19, v32, -v254 op_sel_hi:[1,0,0]
	v_fmac_f32_e32 v66, v122, v19
	s_waitcnt lgkmcnt(1)
	v_bfe_i32 v19, v49, 0, 8
	v_bfe_i32 v32, v49, 8, 8
	;; [unrolled: 1-line block ×3, first 2 shown]
	s_waitcnt lgkmcnt(0)
	v_bfe_i32 v45, v76, 0, 8
	v_ashrrev_i32_e32 v43, 24, v49
	v_mul_i32_i24_e32 v112, v19, v224
	v_bfe_i32 v53, v50, 0, 8
	v_mul_i32_i24_e32 v113, v32, v225
	v_mul_i32_i24_e32 v254, v33, v227
	v_bfe_i32 v46, v76, 8, 8
	v_mad_i32_i24 v112, v45, v222, v112
	v_bfe_i32 v47, v76, 16, 8
	v_mul_i32_i24_e32 v255, v43, v228
	v_mul_i32_i24_e32 v101, v53, v231
	v_ashrrev_i32_e32 v49, 24, v76
	v_add3_u32 v112, v112, v113, v254
	v_bfe_i32 v58, v77, 0, 8
	v_mul_i32_i24_e32 v97, v46, v229
	v_mul_i32_i24_e32 v99, v47, v223
	v_bfe_i32 v55, v50, 8, 8
	v_add3_u32 v101, v112, v255, v101
	v_bfe_i32 v57, v50, 16, 8
	v_mul_i32_i24_e32 v100, v49, v230
	v_mul_i32_i24_e32 v75, v58, v236
	v_ashrrev_i32_e32 v50, 24, v50
	v_add3_u32 v97, v101, v97, v99
	v_bfe_i32 v71, v51, 0, 8
	v_mul_i32_i24_e32 v102, v55, v232
	v_mul_i32_i24_e32 v41, v57, v233
	v_bfe_i32 v62, v77, 8, 8
	v_add3_u32 v75, v97, v100, v75
	v_bfe_i32 v67, v77, 16, 8
	v_mul_i32_i24_e32 v70, v50, v235
	v_mul_i32_i24_e32 v83, v71, v239
	v_ashrrev_i32_e32 v69, 24, v77
	v_add3_u32 v41, v75, v102, v41
	v_bfe_i32 v76, v78, 0, 8
	v_mul_i32_i24_e32 v80, v62, v237
	v_mul_i32_i24_e32 v81, v67, v226
	v_bfe_i32 v72, v51, 8, 8
	v_add3_u32 v41, v41, v70, v83
	v_bfe_i32 v73, v51, 16, 8
	v_mul_i32_i24_e32 v82, v69, v238
	v_mul_i32_i24_e32 v87, v76, v244
	v_ashrrev_i32_e32 v51, 24, v51
	v_add3_u32 v41, v41, v80, v81
	v_bfe_i32 v105, v52, 0, 8
	v_mul_i32_i24_e32 v84, v72, v240
	v_mul_i32_i24_e32 v85, v73, v242
	v_bfe_i32 v77, v78, 8, 8
	v_add3_u32 v41, v41, v82, v87
	v_bfe_i32 v98, v78, 16, 8
	v_mul_i32_i24_e32 v86, v51, v243
	v_mul_i32_i24_e32 v91, v105, v247
	v_ashrrev_i32_e32 v78, 24, v78
	v_add3_u32 v41, v41, v84, v85
	v_bfe_i32 v108, v79, 0, 8
	v_mul_i32_i24_e32 v88, v77, v245
	v_mul_i32_i24_e32 v89, v98, v234
	v_bfe_i32 v106, v52, 8, 8
	v_add3_u32 v41, v41, v86, v91
	v_bfe_i32 v107, v52, 16, 8
	v_mul_i32_i24_e32 v90, v78, v246
	v_mul_i32_i24_e32 v95, v108, v251
	v_ashrrev_i32_e32 v52, 24, v52
	v_add3_u32 v41, v41, v88, v89
	v_bfe_i32 v109, v79, 8, 8
	v_mul_i32_i24_e32 v92, v106, v248
	v_mul_i32_i24_e32 v93, v107, v249
	v_bfe_i32 v110, v79, 16, 8
	v_add3_u32 v41, v41, v90, v95
	v_ashrrev_i32_e32 v79, 24, v79
	v_mul_i32_i24_e32 v94, v52, v250
	v_mul_i32_i24_e32 v96, v109, v252
	v_mul_i32_i24_e32 v103, v110, v241
	v_add3_u32 v41, v41, v92, v93
	v_mul_i32_i24_e32 v104, v79, v253
	v_mul_i32_i24_e32 v70, v32, v192
	v_mul_i32_i24_e32 v75, v33, v194
	v_mul_i32_i24_e32 v80, v43, v195
	v_add3_u32 v41, v41, v94, v96
	v_mul_i32_i24_e32 v84, v53, v199
	;; [unrolled: 5-line block ×3, first 2 shown]
	v_mul_i32_i24_e32 v85, v55, v200
	v_mul_i32_i24_e32 v86, v57, v201
	;; [unrolled: 1-line block ×3, first 2 shown]
	v_cvt_f32_i32_e32 v41, v41
	v_mul_i32_i24_e32 v92, v71, v207
	v_mul_i32_i24_e32 v89, v62, v205
	;; [unrolled: 1-line block ×4, first 2 shown]
	v_fma_mix_f32 v41, v20, v41, -v111 op_sel_hi:[1,0,0]
	v_mul_i32_i24_e32 v96, v76, v212
	v_mul_i32_i24_e32 v93, v72, v208
	;; [unrolled: 1-line block ×4, first 2 shown]
	v_fmac_f32_e32 v65, v197, v41
	v_mul_i32_i24_e32 v41, v19, v191
	v_mul_i32_i24_e32 v101, v105, v215
	;; [unrolled: 1-line block ×5, first 2 shown]
	v_mad_i32_i24 v41, v45, v189, v41
	v_mul_i32_i24_e32 v112, v108, v219
	v_mul_i32_i24_e32 v102, v106, v216
	v_mul_i32_i24_e32 v103, v107, v217
	v_mul_i32_i24_e32 v104, v52, v218
	v_add3_u32 v41, v41, v70, v75
	v_mul_i32_i24_e32 v113, v109, v220
	v_mul_i32_i24_e32 v254, v110, v209
	v_mul_i32_i24_e32 v255, v79, v221
	v_mul_i32_i24_e32 v70, v32, v159
	v_add3_u32 v41, v41, v80, v84
	;; [unrolled: 5-line block ×3, first 2 shown]
	v_mul_i32_i24_e32 v81, v46, v163
	v_mul_i32_i24_e32 v82, v47, v157
	;; [unrolled: 1-line block ×3, first 2 shown]
	s_delay_alu instid0(VALU_DEP_4) | instskip(SKIP_2) | instid1(VALU_DEP_3)
	v_add3_u32 v41, v41, v83, v88
	v_mul_i32_i24_e32 v83, v49, v164
	v_mul_i32_i24_e32 v88, v58, v170
	v_add3_u32 v41, v41, v85, v86
	v_mul_i32_i24_e32 v85, v55, v166
	v_mul_i32_i24_e32 v86, v57, v167
	s_delay_alu instid0(VALU_DEP_3) | instskip(SKIP_3) | instid1(VALU_DEP_4)
	v_add3_u32 v41, v41, v87, v92
	v_mul_i32_i24_e32 v87, v50, v168
	v_mul_i32_i24_e32 v92, v71, v173
	;; [unrolled: 1-line block ×3, first 2 shown]
	v_add3_u32 v41, v41, v89, v90
	v_mul_i32_i24_e32 v89, v62, v171
	v_mul_i32_i24_e32 v90, v67, v160
	s_delay_alu instid0(VALU_DEP_3) | instskip(SKIP_2) | instid1(VALU_DEP_3)
	v_add3_u32 v41, v41, v91, v96
	v_mul_i32_i24_e32 v91, v69, v172
	v_mul_i32_i24_e32 v96, v76, v178
	v_add3_u32 v41, v41, v93, v94
	v_mul_i32_i24_e32 v93, v72, v174
	v_mul_i32_i24_e32 v94, v73, v176
	s_delay_alu instid0(VALU_DEP_3) | instskip(SKIP_3) | instid1(VALU_DEP_4)
	v_add3_u32 v41, v41, v95, v101
	v_mul_i32_i24_e32 v95, v51, v177
	v_mul_i32_i24_e32 v101, v105, v181
	v_mul_i32_i24_e32 v51, v51, v144
	v_add3_u32 v41, v41, v97, v99
	v_mul_i32_i24_e32 v97, v77, v179
	v_mul_i32_i24_e32 v99, v98, v169
	s_delay_alu instid0(VALU_DEP_3) | instskip(SKIP_2) | instid1(VALU_DEP_3)
	v_add3_u32 v41, v41, v100, v112
	v_mul_i32_i24_e32 v100, v78, v180
	v_mul_i32_i24_e32 v112, v108, v185
	v_add3_u32 v41, v41, v102, v103
	v_mul_i32_i24_e32 v102, v106, v182
	v_mul_i32_i24_e32 v103, v107, v183
	s_delay_alu instid0(VALU_DEP_3) | instskip(SKIP_3) | instid1(VALU_DEP_4)
	v_add3_u32 v41, v41, v104, v113
	v_mul_i32_i24_e32 v104, v52, v184
	v_mul_i32_i24_e32 v113, v109, v186
	;; [unrolled: 1-line block ×3, first 2 shown]
	v_add3_u32 v41, v41, v254, v255
	v_mul_i32_i24_e32 v254, v110, v175
	v_mul_i32_i24_e32 v255, v79, v187
	;; [unrolled: 1-line block ×3, first 2 shown]
	s_delay_alu instid0(VALU_DEP_4) | instskip(NEXT) | instid1(VALU_DEP_1)
	v_cvt_f32_i32_e32 v41, v41
	v_fma_mix_f32 v41, v20, v41, -v111 op_sel_hi:[1,0,0]
	s_delay_alu instid0(VALU_DEP_1) | instskip(SKIP_2) | instid1(VALU_DEP_2)
	v_fmac_f32_e32 v64, v188, v41
	v_mul_i32_i24_e32 v41, v19, v158
	v_mul_i32_i24_e32 v19, v19, v125
	v_mad_i32_i24 v41, v45, v156, v41
	s_delay_alu instid0(VALU_DEP_2) | instskip(NEXT) | instid1(VALU_DEP_2)
	v_mad_i32_i24 v19, v45, v123, v19
	v_add3_u32 v41, v41, v70, v75
	s_delay_alu instid0(VALU_DEP_2)
	v_add3_u32 v19, v19, v32, v33
	v_mul_i32_i24_e32 v70, v72, v141
	v_mul_i32_i24_e32 v72, v76, v145
	;; [unrolled: 1-line block ×3, first 2 shown]
	v_add3_u32 v41, v41, v80, v84
	v_mul_i32_i24_e32 v76, v78, v147
	v_mul_i32_i24_e32 v78, v106, v149
	v_mul_i32_i24_e32 v80, v107, v150
	s_delay_alu instid0(VALU_DEP_4) | instskip(SKIP_2) | instid1(VALU_DEP_3)
	v_add3_u32 v41, v41, v81, v82
	v_mul_i32_i24_e32 v81, v108, v152
	v_mul_i32_i24_e32 v82, v109, v153
	v_add3_u32 v41, v41, v83, v88
	v_mul_i32_i24_e32 v83, v110, v142
	s_delay_alu instid0(VALU_DEP_2) | instskip(NEXT) | instid1(VALU_DEP_1)
	v_add3_u32 v41, v41, v85, v86
	v_add3_u32 v41, v41, v87, v92
	s_delay_alu instid0(VALU_DEP_1) | instskip(NEXT) | instid1(VALU_DEP_1)
	v_add3_u32 v41, v41, v89, v90
	v_add3_u32 v41, v41, v91, v96
	s_delay_alu instid0(VALU_DEP_1) | instskip(NEXT) | instid1(VALU_DEP_1)
	;; [unrolled: 3-line block ×5, first 2 shown]
	v_add3_u32 v41, v41, v254, v255
	v_cvt_f32_i32_e32 v41, v41
	s_delay_alu instid0(VALU_DEP_1) | instskip(NEXT) | instid1(VALU_DEP_1)
	v_fma_mix_f32 v41, v20, v41, -v111 op_sel_hi:[1,0,0]
	v_fmac_f32_e32 v63, v155, v41
	v_mul_i32_i24_e32 v41, v43, v129
	v_mul_i32_i24_e32 v43, v46, v130
	;; [unrolled: 1-line block ×9, first 2 shown]
	v_add3_u32 v19, v19, v41, v49
	v_mul_i32_i24_e32 v62, v67, v127
	v_mul_i32_i24_e32 v67, v69, v139
	;; [unrolled: 1-line block ×4, first 2 shown]
	v_add3_u32 v19, v19, v43, v46
	v_mul_i32_i24_e32 v73, v77, v146
	v_mul_i32_i24_e32 v77, v105, v148
	s_delay_alu instid0(VALU_DEP_3) | instskip(NEXT) | instid1(VALU_DEP_1)
	v_add3_u32 v19, v19, v47, v57
	v_add3_u32 v19, v19, v53, v55
	s_delay_alu instid0(VALU_DEP_1) | instskip(NEXT) | instid1(VALU_DEP_1)
	v_add3_u32 v19, v19, v50, v69
	v_add3_u32 v19, v19, v58, v62
	s_delay_alu instid0(VALU_DEP_1) | instskip(NEXT) | instid1(VALU_DEP_1)
	;; [unrolled: 3-line block ×6, first 2 shown]
	v_cvt_f32_i32_e32 v19, v19
	v_fma_mix_f32 v19, v20, v19, -v111 op_sel_hi:[1,0,0]
	s_delay_alu instid0(VALU_DEP_1)
	v_fmac_f32_e32 v61, v122, v19
	ds_load_b128 v[49:52], v116 offset:2048
	ds_load_b128 v[76:79], v116 offset:2064
	ds_load_2addr_b32 v[19:20], v115 offset0:64 offset1:96
	s_waitcnt lgkmcnt(2)
	v_bfe_i32 v32, v49, 0, 8
	v_bfe_i32 v33, v49, 8, 8
	;; [unrolled: 1-line block ×3, first 2 shown]
	s_waitcnt lgkmcnt(1)
	v_bfe_i32 v45, v76, 0, 8
	v_ashrrev_i32_e32 v43, 24, v49
	v_mul_i32_i24_e32 v86, v32, v224
	v_bfe_i32 v53, v50, 0, 8
	v_mul_i32_i24_e32 v87, v33, v225
	v_mul_i32_i24_e32 v88, v41, v227
	v_bfe_i32 v46, v76, 8, 8
	v_mad_i32_i24 v86, v45, v222, v86
	v_bfe_i32 v47, v76, 16, 8
	v_mul_i32_i24_e32 v89, v43, v228
	v_mul_i32_i24_e32 v93, v53, v231
	v_ashrrev_i32_e32 v49, 24, v76
	v_add3_u32 v86, v86, v87, v88
	v_bfe_i32 v58, v77, 0, 8
	v_mul_i32_i24_e32 v90, v46, v229
	v_mul_i32_i24_e32 v91, v47, v223
	v_bfe_i32 v55, v50, 8, 8
	v_add3_u32 v86, v86, v89, v93
	v_bfe_i32 v57, v50, 16, 8
	v_mul_i32_i24_e32 v92, v49, v230
	v_mul_i32_i24_e32 v97, v58, v236
	v_ashrrev_i32_e32 v50, 24, v50
	v_add3_u32 v86, v86, v90, v91
	v_bfe_i32 v70, v51, 0, 8
	v_mul_i32_i24_e32 v94, v55, v232
	v_mul_i32_i24_e32 v95, v57, v233
	v_bfe_i32 v62, v77, 8, 8
	v_add3_u32 v86, v86, v92, v97
	;; [unrolled: 10-line block ×3, first 2 shown]
	v_bfe_i32 v72, v51, 16, 8
	v_mul_i32_i24_e32 v100, v69, v238
	v_mul_i32_i24_e32 v105, v73, v244
	v_ashrrev_i32_e32 v51, 24, v51
	v_add3_u32 v86, v86, v98, v99
	v_bfe_i32 v75, v78, 8, 8
	v_bfe_i32 v76, v78, 16, 8
	v_ashrrev_i32_e32 v77, 24, v78
	v_bfe_i32 v78, v52, 0, 8
	v_mul_i32_i24_e32 v102, v71, v240
	v_mul_i32_i24_e32 v103, v72, v242
	v_add3_u32 v86, v86, v100, v105
	v_mul_i32_i24_e32 v104, v51, v243
	v_mul_i32_i24_e32 v109, v78, v247
	v_bfe_i32 v82, v79, 0, 8
	v_mul_i32_i24_e32 v106, v75, v245
	v_add3_u32 v86, v86, v102, v103
	v_mul_i32_i24_e32 v107, v76, v234
	v_bfe_i32 v80, v52, 8, 8
	v_bfe_i32 v81, v52, 16, 8
	v_mul_i32_i24_e32 v108, v77, v246
	v_add3_u32 v86, v86, v104, v109
	v_mul_i32_i24_e32 v113, v82, v251
	v_ashrrev_i32_e32 v52, 24, v52
	v_bfe_i32 v83, v79, 8, 8
	v_mul_i32_i24_e32 v110, v80, v248
	v_add3_u32 v86, v86, v106, v107
	v_mul_i32_i24_e32 v111, v81, v249
	v_bfe_i32 v84, v79, 16, 8
	v_ashrrev_i32_e32 v79, 24, v79
	v_mul_i32_i24_e32 v112, v52, v250
	v_add3_u32 v86, v86, v108, v113
	v_mul_i32_i24_e32 v254, v83, v252
	s_waitcnt lgkmcnt(0)
	v_lshrrev_b32_e32 v85, 16, v19
	v_mul_i32_i24_e32 v255, v84, v241
	v_mul_i32_i24_e32 v0, v79, v253
	v_add3_u32 v86, v86, v110, v111
	v_mul_i32_i24_e32 v87, v41, v194
	v_cvt_f32_f16_e32 v85, v85
	v_mul_i32_i24_e32 v88, v43, v195
	v_mul_i32_i24_e32 v92, v53, v199
	v_add3_u32 v86, v86, v112, v254
	v_mul_i32_i24_e32 v89, v46, v196
	v_mul_f32_e32 v85, 0x41000000, v85
	v_mul_i32_i24_e32 v90, v47, v190
	v_mul_i32_i24_e32 v91, v49, v198
	v_add3_u32 v0, v86, v255, v0
	v_mul_i32_i24_e32 v86, v33, v192
	v_mul_i32_i24_e32 v96, v58, v204
	;; [unrolled: 1-line block ×4, first 2 shown]
	v_cvt_f32_i32_e32 v0, v0
	v_mul_i32_i24_e32 v95, v50, v202
	v_mul_i32_i24_e32 v100, v70, v207
	v_mul_i32_i24_e32 v97, v62, v205
	v_mul_i32_i24_e32 v98, v67, v193
	v_fma_mix_f32 v0, v19, v0, -v85 op_sel_hi:[1,0,0]
	v_mul_i32_i24_e32 v99, v69, v206
	v_mul_i32_i24_e32 v104, v73, v212
	;; [unrolled: 1-line block ×4, first 2 shown]
	v_fmac_f32_e32 v60, v197, v0
	v_mul_i32_i24_e32 v0, v32, v191
	v_mul_i32_i24_e32 v103, v51, v211
	v_mul_i32_i24_e32 v108, v78, v215
	v_mul_i32_i24_e32 v105, v75, v213
	v_mul_i32_i24_e32 v106, v76, v203
	v_mad_i32_i24 v0, v45, v189, v0
	v_mul_i32_i24_e32 v107, v77, v214
	v_mul_i32_i24_e32 v112, v82, v219
	v_mul_i32_i24_e32 v109, v80, v216
	v_mul_i32_i24_e32 v110, v81, v217
	v_add3_u32 v0, v0, v86, v87
	v_mul_i32_i24_e32 v111, v52, v218
	v_mul_i32_i24_e32 v113, v83, v220
	v_mul_i32_i24_e32 v254, v84, v209
	v_mul_i32_i24_e32 v255, v79, v221
	v_add3_u32 v0, v0, v88, v92
	;; [unrolled: 5-line block ×3, first 2 shown]
	v_mul_i32_i24_e32 v89, v46, v163
	v_mul_i32_i24_e32 v90, v47, v157
	s_delay_alu instid0(VALU_DEP_3) | instskip(SKIP_2) | instid1(VALU_DEP_3)
	v_add3_u32 v0, v0, v91, v96
	v_mul_i32_i24_e32 v91, v49, v164
	v_mul_i32_i24_e32 v96, v58, v170
	v_add3_u32 v0, v0, v93, v94
	v_mul_i32_i24_e32 v93, v55, v166
	v_mul_i32_i24_e32 v94, v57, v167
	s_delay_alu instid0(VALU_DEP_3) | instskip(SKIP_3) | instid1(VALU_DEP_4)
	v_add3_u32 v0, v0, v95, v100
	v_mul_i32_i24_e32 v95, v50, v168
	v_mul_i32_i24_e32 v100, v70, v173
	v_mul_i32_i24_e32 v50, v50, v135
	v_add3_u32 v0, v0, v97, v98
	v_mul_i32_i24_e32 v97, v62, v171
	v_mul_i32_i24_e32 v98, v67, v160
	s_delay_alu instid0(VALU_DEP_3) | instskip(SKIP_2) | instid1(VALU_DEP_3)
	v_add3_u32 v0, v0, v99, v104
	v_mul_i32_i24_e32 v99, v69, v172
	v_mul_i32_i24_e32 v104, v73, v178
	v_add3_u32 v0, v0, v101, v102
	v_mul_i32_i24_e32 v101, v71, v174
	v_mul_i32_i24_e32 v102, v72, v176
	s_delay_alu instid0(VALU_DEP_3) | instskip(SKIP_3) | instid1(VALU_DEP_4)
	v_add3_u32 v0, v0, v103, v108
	v_mul_i32_i24_e32 v103, v51, v177
	v_mul_i32_i24_e32 v108, v78, v181
	v_mul_i32_i24_e32 v51, v51, v144
	v_add3_u32 v0, v0, v105, v106
	;; [unrolled: 15-line block ×3, first 2 shown]
	v_mul_i32_i24_e32 v254, v84, v175
	v_mul_i32_i24_e32 v255, v79, v187
	;; [unrolled: 1-line block ×3, first 2 shown]
	s_delay_alu instid0(VALU_DEP_4) | instskip(NEXT) | instid1(VALU_DEP_1)
	v_cvt_f32_i32_e32 v0, v0
	v_fma_mix_f32 v0, v19, v0, -v85 op_sel_hi:[1,0,0]
	s_delay_alu instid0(VALU_DEP_1) | instskip(SKIP_1) | instid1(VALU_DEP_1)
	v_fmac_f32_e32 v59, v188, v0
	v_mul_i32_i24_e32 v0, v32, v158
	v_mad_i32_i24 v0, v45, v156, v0
	s_delay_alu instid0(VALU_DEP_1) | instskip(NEXT) | instid1(VALU_DEP_1)
	v_add3_u32 v0, v0, v86, v87
	v_add3_u32 v0, v0, v88, v92
	s_delay_alu instid0(VALU_DEP_1) | instskip(NEXT) | instid1(VALU_DEP_1)
	v_add3_u32 v0, v0, v89, v90
	v_add3_u32 v0, v0, v91, v96
	;; [unrolled: 3-line block ×7, first 2 shown]
	s_delay_alu instid0(VALU_DEP_1) | instskip(NEXT) | instid1(VALU_DEP_1)
	v_add3_u32 v0, v0, v254, v255
	v_cvt_f32_i32_e32 v0, v0
	s_delay_alu instid0(VALU_DEP_1) | instskip(NEXT) | instid1(VALU_DEP_1)
	v_fma_mix_f32 v0, v19, v0, -v85 op_sel_hi:[1,0,0]
	v_fmac_f32_e32 v56, v155, v0
	v_mul_i32_i24_e32 v0, v32, v125
	v_mul_i32_i24_e32 v32, v33, v126
	;; [unrolled: 1-line block ×5, first 2 shown]
	v_mad_i32_i24 v0, v45, v123, v0
	v_mul_i32_i24_e32 v46, v47, v124
	v_mul_i32_i24_e32 v47, v49, v131
	v_mul_i32_i24_e32 v49, v53, v132
	v_mul_i32_i24_e32 v53, v55, v133
	v_add3_u32 v0, v0, v32, v33
	v_mul_i32_i24_e32 v55, v57, v134
	v_mul_i32_i24_e32 v57, v58, v137
	v_mul_i32_i24_e32 v58, v62, v138
	v_mul_i32_i24_e32 v62, v67, v127
	v_add3_u32 v0, v0, v41, v49
	;; [unrolled: 5-line block ×5, first 2 shown]
	v_mul_i32_i24_e32 v82, v83, v153
	v_mul_i32_i24_e32 v83, v84, v142
	s_delay_alu instid0(VALU_DEP_3) | instskip(NEXT) | instid1(VALU_DEP_1)
	v_add3_u32 v0, v0, v50, v69
	v_add3_u32 v0, v0, v58, v62
	s_delay_alu instid0(VALU_DEP_1) | instskip(NEXT) | instid1(VALU_DEP_1)
	v_add3_u32 v0, v0, v67, v72
	v_add3_u32 v0, v0, v70, v71
	s_delay_alu instid0(VALU_DEP_1) | instskip(NEXT) | instid1(VALU_DEP_1)
	;; [unrolled: 3-line block ×4, first 2 shown]
	v_add3_u32 v0, v0, v52, v82
	v_add3_u32 v0, v0, v83, v79
	ds_load_b128 v[49:52], v116 offset:3072
	ds_load_b128 v[76:79], v116 offset:3088
	v_lshrrev_b32_e32 v83, 16, v20
	v_cvt_f32_i32_e32 v0, v0
	s_delay_alu instid0(VALU_DEP_2) | instskip(NEXT) | instid1(VALU_DEP_2)
	v_cvt_f32_f16_e32 v83, v83
	v_fma_mix_f32 v0, v19, v0, -v85 op_sel_hi:[1,0,0]
	s_delay_alu instid0(VALU_DEP_1)
	v_dual_mul_f32 v83, 0x41000000, v83 :: v_dual_fmac_f32 v54, v122, v0
	s_waitcnt lgkmcnt(1)
	v_bfe_i32 v0, v49, 0, 8
	v_bfe_i32 v19, v49, 8, 8
	;; [unrolled: 1-line block ×3, first 2 shown]
	s_waitcnt lgkmcnt(0)
	v_bfe_i32 v41, v76, 0, 8
	v_ashrrev_i32_e32 v33, 24, v49
	v_mul_i32_i24_e32 v84, v0, v224
	v_bfe_i32 v47, v50, 0, 8
	v_mul_i32_i24_e32 v85, v19, v225
	v_mul_i32_i24_e32 v86, v32, v227
	v_bfe_i32 v43, v76, 8, 8
	v_mad_i32_i24 v84, v41, v222, v84
	v_bfe_i32 v45, v76, 16, 8
	v_mul_i32_i24_e32 v87, v33, v228
	v_mul_i32_i24_e32 v91, v47, v231
	v_ashrrev_i32_e32 v46, 24, v76
	v_add3_u32 v84, v84, v85, v86
	v_bfe_i32 v55, v77, 0, 8
	v_mul_i32_i24_e32 v88, v43, v229
	v_mul_i32_i24_e32 v89, v45, v223
	v_bfe_i32 v49, v50, 8, 8
	v_add3_u32 v84, v84, v87, v91
	v_bfe_i32 v53, v50, 16, 8
	v_mul_i32_i24_e32 v90, v46, v230
	v_mul_i32_i24_e32 v95, v55, v236
	v_ashrrev_i32_e32 v50, 24, v50
	v_add3_u32 v84, v84, v88, v89
	v_bfe_i32 v67, v51, 0, 8
	v_mul_i32_i24_e32 v92, v49, v232
	v_mul_i32_i24_e32 v93, v53, v233
	v_bfe_i32 v57, v77, 8, 8
	v_add3_u32 v84, v84, v90, v95
	;; [unrolled: 10-line block ×6, first 2 shown]
	v_ashrrev_i32_e32 v79, 24, v79
	v_mul_i32_i24_e32 v110, v52, v250
	v_mul_i32_i24_e32 v112, v81, v252
	v_mul_i32_i24_e32 v113, v82, v241
	v_add3_u32 v84, v84, v108, v109
	v_mul_i32_i24_e32 v254, v79, v253
	v_mul_i32_i24_e32 v85, v19, v192
	v_mul_i32_i24_e32 v86, v32, v194
	v_mul_i32_i24_e32 v87, v33, v195
	v_add3_u32 v84, v84, v110, v112
	v_mul_i32_i24_e32 v91, v47, v199
	;; [unrolled: 5-line block ×3, first 2 shown]
	v_mul_i32_i24_e32 v92, v49, v200
	v_mul_i32_i24_e32 v93, v53, v201
	;; [unrolled: 1-line block ×3, first 2 shown]
	v_cvt_f32_i32_e32 v84, v84
	v_mul_i32_i24_e32 v99, v67, v207
	v_mul_i32_i24_e32 v96, v57, v205
	;; [unrolled: 1-line block ×4, first 2 shown]
	v_fma_mix_f32 v84, v20, v84, -v83 op_sel_hi:[1,0,0]
	v_mul_i32_i24_e32 v103, v71, v212
	v_mul_i32_i24_e32 v100, v69, v208
	;; [unrolled: 1-line block ×4, first 2 shown]
	v_fmac_f32_e32 v48, v197, v84
	v_mul_i32_i24_e32 v84, v0, v191
	v_mul_i32_i24_e32 v107, v76, v215
	;; [unrolled: 1-line block ×5, first 2 shown]
	v_mad_i32_i24 v84, v41, v189, v84
	v_mul_i32_i24_e32 v111, v80, v219
	v_mul_i32_i24_e32 v108, v77, v216
	v_mul_i32_i24_e32 v109, v78, v217
	v_mul_i32_i24_e32 v110, v52, v218
	v_add3_u32 v84, v84, v85, v86
	v_mul_i32_i24_e32 v112, v81, v220
	v_mul_i32_i24_e32 v113, v82, v209
	v_mul_i32_i24_e32 v254, v79, v221
	v_mul_i32_i24_e32 v85, v19, v159
	v_add3_u32 v84, v84, v87, v91
	;; [unrolled: 5-line block ×15, first 2 shown]
	v_mul_i32_i24_e32 v112, v81, v186
	v_mul_i32_i24_e32 v52, v52, v151
	v_mul_i32_i24_e32 v81, v81, v153
	v_mul_i32_i24_e32 v113, v82, v175
	v_cvt_f32_i32_e32 v84, v84
	v_mul_i32_i24_e32 v254, v79, v187
	v_mul_i32_i24_e32 v82, v82, v142
	;; [unrolled: 1-line block ×3, first 2 shown]
	s_delay_alu instid0(VALU_DEP_4) | instskip(NEXT) | instid1(VALU_DEP_1)
	v_fma_mix_f32 v84, v20, v84, -v83 op_sel_hi:[1,0,0]
	v_fmac_f32_e32 v44, v188, v84
	v_mul_i32_i24_e32 v84, v0, v158
	v_mul_i32_i24_e32 v0, v0, v125
	s_delay_alu instid0(VALU_DEP_2) | instskip(NEXT) | instid1(VALU_DEP_2)
	v_mad_i32_i24 v84, v41, v156, v84
	v_mad_i32_i24 v0, v41, v123, v0
	s_delay_alu instid0(VALU_DEP_2) | instskip(NEXT) | instid1(VALU_DEP_2)
	v_add3_u32 v84, v84, v85, v86
	v_add3_u32 v0, v0, v19, v32
	s_delay_alu instid0(VALU_DEP_2) | instskip(NEXT) | instid1(VALU_DEP_2)
	v_add3_u32 v84, v84, v87, v91
	v_add3_u32 v0, v0, v33, v47
	;; [unrolled: 3-line block ×15, first 2 shown]
	s_delay_alu instid0(VALU_DEP_2) | instskip(NEXT) | instid1(VALU_DEP_2)
	v_cvt_f32_i32_e32 v84, v84
	v_cvt_f32_i32_e32 v0, v0
	s_delay_alu instid0(VALU_DEP_2) | instskip(NEXT) | instid1(VALU_DEP_2)
	v_fma_mix_f32 v84, v20, v84, -v83 op_sel_hi:[1,0,0]
	v_fma_mix_f32 v0, v20, v0, -v83 op_sel_hi:[1,0,0]
	ds_load_b128 v[49:52], v116 offset:4096
	ds_load_b128 v[76:79], v116 offset:4112
	ds_load_2addr_b32 v[19:20], v115 offset0:128 offset1:160
	v_fmac_f32_e32 v42, v155, v84
	v_fmac_f32_e32 v40, v122, v0
	s_waitcnt lgkmcnt(2)
	v_bfe_i32 v0, v49, 0, 8
	v_bfe_i32 v32, v49, 8, 8
	;; [unrolled: 1-line block ×3, first 2 shown]
	s_waitcnt lgkmcnt(1)
	v_bfe_i32 v43, v76, 0, 8
	v_ashrrev_i32_e32 v41, 24, v49
	v_mul_i32_i24_e32 v85, v0, v224
	v_bfe_i32 v49, v50, 0, 8
	v_mul_i32_i24_e32 v86, v32, v225
	v_mul_i32_i24_e32 v87, v33, v227
	v_bfe_i32 v45, v76, 8, 8
	v_mad_i32_i24 v85, v43, v222, v85
	v_bfe_i32 v46, v76, 16, 8
	v_mul_i32_i24_e32 v88, v41, v228
	v_mul_i32_i24_e32 v92, v49, v231
	v_ashrrev_i32_e32 v47, 24, v76
	v_add3_u32 v85, v85, v86, v87
	v_bfe_i32 v57, v77, 0, 8
	v_mul_i32_i24_e32 v89, v45, v229
	v_mul_i32_i24_e32 v90, v46, v223
	v_bfe_i32 v53, v50, 8, 8
	v_add3_u32 v85, v85, v88, v92
	v_bfe_i32 v55, v50, 16, 8
	v_mul_i32_i24_e32 v91, v47, v230
	v_mul_i32_i24_e32 v96, v57, v236
	v_ashrrev_i32_e32 v50, 24, v50
	v_add3_u32 v85, v85, v89, v90
	v_bfe_i32 v69, v51, 0, 8
	v_mul_i32_i24_e32 v93, v53, v232
	v_mul_i32_i24_e32 v94, v55, v233
	v_bfe_i32 v58, v77, 8, 8
	v_add3_u32 v85, v85, v91, v96
	;; [unrolled: 10-line block ×6, first 2 shown]
	v_ashrrev_i32_e32 v79, 24, v79
	v_mul_i32_i24_e32 v111, v52, v250
	v_mul_i32_i24_e32 v113, v82, v252
	s_waitcnt lgkmcnt(0)
	v_lshrrev_b32_e32 v84, 16, v19
	v_add3_u32 v85, v85, v109, v110
	v_mul_i32_i24_e32 v254, v83, v241
	v_mul_i32_i24_e32 v255, v79, v253
	;; [unrolled: 1-line block ×3, first 2 shown]
	v_cvt_f32_f16_e32 v84, v84
	v_add3_u32 v85, v85, v111, v113
	v_mul_i32_i24_e32 v87, v33, v194
	v_mul_i32_i24_e32 v88, v41, v195
	;; [unrolled: 1-line block ×3, first 2 shown]
	v_mul_f32_e32 v84, 0x41000000, v84
	v_add3_u32 v85, v85, v254, v255
	v_mul_i32_i24_e32 v89, v45, v196
	v_mul_i32_i24_e32 v90, v46, v190
	;; [unrolled: 1-line block ×4, first 2 shown]
	v_cvt_f32_i32_e32 v85, v85
	v_mul_i32_i24_e32 v93, v53, v200
	v_mul_i32_i24_e32 v94, v55, v201
	;; [unrolled: 1-line block ×4, first 2 shown]
	v_fma_mix_f32 v85, v19, v85, -v84 op_sel_hi:[1,0,0]
	v_mul_i32_i24_e32 v97, v58, v205
	v_mul_i32_i24_e32 v98, v62, v193
	;; [unrolled: 1-line block ×4, first 2 shown]
	v_fmac_f32_e32 v39, v197, v85
	v_mul_i32_i24_e32 v85, v0, v191
	v_mul_i32_i24_e32 v101, v70, v208
	;; [unrolled: 1-line block ×5, first 2 shown]
	v_mad_i32_i24 v85, v43, v189, v85
	v_mul_i32_i24_e32 v105, v73, v213
	v_mul_i32_i24_e32 v106, v75, v203
	v_mul_i32_i24_e32 v107, v76, v214
	v_mul_i32_i24_e32 v112, v81, v219
	v_add3_u32 v85, v85, v86, v87
	v_mul_i32_i24_e32 v109, v78, v216
	v_mul_i32_i24_e32 v110, v80, v217
	v_mul_i32_i24_e32 v111, v52, v218
	v_mul_i32_i24_e32 v113, v82, v220
	v_add3_u32 v85, v85, v88, v92
	;; [unrolled: 5-line block ×15, first 2 shown]
	v_mul_i32_i24_e32 v78, v78, v149
	v_mul_i32_i24_e32 v80, v80, v150
	v_mul_i32_i24_e32 v111, v52, v184
	v_mul_i32_i24_e32 v113, v82, v186
	v_cvt_f32_i32_e32 v85, v85
	v_mul_i32_i24_e32 v52, v52, v151
	v_mul_i32_i24_e32 v82, v82, v153
	;; [unrolled: 1-line block ×4, first 2 shown]
	v_fma_mix_f32 v85, v19, v85, -v84 op_sel_hi:[1,0,0]
	v_mul_i32_i24_e32 v83, v83, v142
	v_mul_i32_i24_e32 v79, v79, v154
	s_delay_alu instid0(VALU_DEP_3) | instskip(SKIP_2) | instid1(VALU_DEP_2)
	v_fmac_f32_e32 v38, v188, v85
	v_mul_i32_i24_e32 v85, v0, v158
	v_mul_i32_i24_e32 v0, v0, v125
	v_mad_i32_i24 v85, v43, v156, v85
	s_delay_alu instid0(VALU_DEP_2) | instskip(NEXT) | instid1(VALU_DEP_2)
	v_mad_i32_i24 v0, v43, v123, v0
	v_add3_u32 v85, v85, v86, v87
	s_delay_alu instid0(VALU_DEP_2) | instskip(NEXT) | instid1(VALU_DEP_2)
	v_add3_u32 v0, v0, v32, v33
	v_add3_u32 v85, v85, v88, v92
	s_delay_alu instid0(VALU_DEP_2) | instskip(NEXT) | instid1(VALU_DEP_2)
	v_add3_u32 v0, v0, v41, v49
	;; [unrolled: 3-line block ×14, first 2 shown]
	v_add3_u32 v85, v85, v254, v255
	s_delay_alu instid0(VALU_DEP_2)
	v_add3_u32 v0, v0, v83, v79
	ds_load_b128 v[49:52], v116 offset:5120
	ds_load_b128 v[76:79], v116 offset:5136
	v_lshrrev_b32_e32 v83, 16, v20
	v_cvt_f32_i32_e32 v85, v85
	v_cvt_f32_i32_e32 v0, v0
	s_delay_alu instid0(VALU_DEP_3) | instskip(NEXT) | instid1(VALU_DEP_3)
	v_cvt_f32_f16_e32 v83, v83
	v_fma_mix_f32 v85, v19, v85, -v84 op_sel_hi:[1,0,0]
	s_delay_alu instid0(VALU_DEP_3) | instskip(NEXT) | instid1(VALU_DEP_3)
	v_fma_mix_f32 v0, v19, v0, -v84 op_sel_hi:[1,0,0]
	v_mul_f32_e32 v83, 0x41000000, v83
	s_delay_alu instid0(VALU_DEP_2)
	v_dual_fmac_f32 v37, v155, v85 :: v_dual_fmac_f32 v36, v122, v0
	s_waitcnt lgkmcnt(1)
	v_bfe_i32 v0, v49, 0, 8
	v_bfe_i32 v19, v49, 8, 8
	;; [unrolled: 1-line block ×3, first 2 shown]
	s_waitcnt lgkmcnt(0)
	v_bfe_i32 v41, v76, 0, 8
	v_ashrrev_i32_e32 v33, 24, v49
	v_mul_i32_i24_e32 v84, v0, v224
	v_bfe_i32 v47, v50, 0, 8
	v_mul_i32_i24_e32 v85, v19, v225
	v_mul_i32_i24_e32 v86, v32, v227
	v_bfe_i32 v43, v76, 8, 8
	v_mad_i32_i24 v84, v41, v222, v84
	v_bfe_i32 v45, v76, 16, 8
	v_mul_i32_i24_e32 v87, v33, v228
	v_mul_i32_i24_e32 v91, v47, v231
	v_ashrrev_i32_e32 v46, 24, v76
	v_add3_u32 v84, v84, v85, v86
	v_bfe_i32 v55, v77, 0, 8
	v_mul_i32_i24_e32 v88, v43, v229
	v_mul_i32_i24_e32 v89, v45, v223
	v_bfe_i32 v49, v50, 8, 8
	v_add3_u32 v84, v84, v87, v91
	v_bfe_i32 v53, v50, 16, 8
	v_mul_i32_i24_e32 v90, v46, v230
	v_mul_i32_i24_e32 v95, v55, v236
	v_ashrrev_i32_e32 v50, 24, v50
	v_add3_u32 v84, v84, v88, v89
	v_bfe_i32 v67, v51, 0, 8
	v_mul_i32_i24_e32 v92, v49, v232
	v_mul_i32_i24_e32 v93, v53, v233
	v_bfe_i32 v57, v77, 8, 8
	v_add3_u32 v84, v84, v90, v95
	;; [unrolled: 10-line block ×6, first 2 shown]
	v_ashrrev_i32_e32 v79, 24, v79
	v_mul_i32_i24_e32 v110, v52, v250
	v_mul_i32_i24_e32 v112, v81, v252
	v_mul_i32_i24_e32 v113, v82, v241
	v_add3_u32 v84, v84, v108, v109
	v_mul_i32_i24_e32 v254, v79, v253
	v_mul_i32_i24_e32 v85, v19, v192
	v_mul_i32_i24_e32 v86, v32, v194
	v_mul_i32_i24_e32 v87, v33, v195
	v_add3_u32 v84, v84, v110, v112
	v_mul_i32_i24_e32 v91, v47, v199
	v_mul_i32_i24_e32 v88, v43, v196
	v_mul_i32_i24_e32 v89, v45, v190
	v_mul_i32_i24_e32 v90, v46, v198
	v_add3_u32 v84, v84, v113, v254
	v_mul_i32_i24_e32 v95, v55, v204
	v_mul_i32_i24_e32 v92, v49, v200
	v_mul_i32_i24_e32 v93, v53, v201
	;; [unrolled: 1-line block ×3, first 2 shown]
	v_cvt_f32_i32_e32 v84, v84
	v_mul_i32_i24_e32 v99, v67, v207
	v_mul_i32_i24_e32 v96, v57, v205
	;; [unrolled: 1-line block ×4, first 2 shown]
	v_fma_mix_f32 v84, v20, v84, -v83 op_sel_hi:[1,0,0]
	v_mul_i32_i24_e32 v103, v71, v212
	v_mul_i32_i24_e32 v100, v69, v208
	;; [unrolled: 1-line block ×4, first 2 shown]
	v_fmac_f32_e32 v34, v197, v84
	v_mul_i32_i24_e32 v84, v0, v191
	v_mul_i32_i24_e32 v107, v76, v215
	;; [unrolled: 1-line block ×5, first 2 shown]
	v_mad_i32_i24 v84, v41, v189, v84
	v_mul_i32_i24_e32 v111, v80, v219
	v_mul_i32_i24_e32 v108, v77, v216
	v_mul_i32_i24_e32 v109, v78, v217
	v_mul_i32_i24_e32 v110, v52, v218
	v_add3_u32 v84, v84, v85, v86
	v_mul_i32_i24_e32 v112, v81, v220
	v_mul_i32_i24_e32 v113, v82, v209
	v_mul_i32_i24_e32 v254, v79, v221
	v_mul_i32_i24_e32 v85, v19, v159
	v_add3_u32 v84, v84, v87, v91
	;; [unrolled: 5-line block ×15, first 2 shown]
	v_mul_i32_i24_e32 v112, v81, v186
	v_mul_i32_i24_e32 v52, v52, v151
	;; [unrolled: 1-line block ×4, first 2 shown]
	v_cvt_f32_i32_e32 v84, v84
	v_mul_i32_i24_e32 v254, v79, v187
	v_mul_i32_i24_e32 v82, v82, v142
	;; [unrolled: 1-line block ×3, first 2 shown]
	s_delay_alu instid0(VALU_DEP_4) | instskip(NEXT) | instid1(VALU_DEP_1)
	v_fma_mix_f32 v84, v20, v84, -v83 op_sel_hi:[1,0,0]
	v_fmac_f32_e32 v31, v188, v84
	v_mul_i32_i24_e32 v84, v0, v158
	v_mul_i32_i24_e32 v0, v0, v125
	s_delay_alu instid0(VALU_DEP_2) | instskip(NEXT) | instid1(VALU_DEP_2)
	v_mad_i32_i24 v84, v41, v156, v84
	v_mad_i32_i24 v0, v41, v123, v0
	s_delay_alu instid0(VALU_DEP_2) | instskip(NEXT) | instid1(VALU_DEP_2)
	v_add3_u32 v84, v84, v85, v86
	v_add3_u32 v0, v0, v19, v32
	s_delay_alu instid0(VALU_DEP_2) | instskip(NEXT) | instid1(VALU_DEP_2)
	v_add3_u32 v84, v84, v87, v91
	v_add3_u32 v0, v0, v33, v47
	;; [unrolled: 3-line block ×15, first 2 shown]
	s_delay_alu instid0(VALU_DEP_2) | instskip(NEXT) | instid1(VALU_DEP_2)
	v_cvt_f32_i32_e32 v84, v84
	v_cvt_f32_i32_e32 v0, v0
	s_delay_alu instid0(VALU_DEP_2) | instskip(NEXT) | instid1(VALU_DEP_2)
	v_fma_mix_f32 v84, v20, v84, -v83 op_sel_hi:[1,0,0]
	v_fma_mix_f32 v0, v20, v0, -v83 op_sel_hi:[1,0,0]
	ds_load_b128 v[49:52], v116 offset:6144
	ds_load_b128 v[76:79], v116 offset:6160
	ds_load_2addr_b32 v[19:20], v115 offset0:192 offset1:224
	v_dual_fmac_f32 v30, v155, v84 :: v_dual_add_nc_u32 v115, 4, v115
	v_fmac_f32_e32 v29, v122, v0
	s_waitcnt lgkmcnt(2)
	v_bfe_i32 v0, v49, 0, 8
	v_bfe_i32 v32, v49, 8, 8
	v_bfe_i32 v33, v49, 16, 8
	s_waitcnt lgkmcnt(1)
	v_bfe_i32 v43, v76, 0, 8
	v_ashrrev_i32_e32 v41, 24, v49
	v_mul_i32_i24_e32 v85, v0, v224
	v_bfe_i32 v49, v50, 0, 8
	v_mul_i32_i24_e32 v86, v32, v225
	v_mul_i32_i24_e32 v87, v33, v227
	v_bfe_i32 v45, v76, 8, 8
	v_mad_i32_i24 v85, v43, v222, v85
	v_bfe_i32 v46, v76, 16, 8
	v_mul_i32_i24_e32 v88, v41, v228
	v_mul_i32_i24_e32 v92, v49, v231
	v_ashrrev_i32_e32 v47, 24, v76
	v_add3_u32 v85, v85, v86, v87
	v_bfe_i32 v57, v77, 0, 8
	v_mul_i32_i24_e32 v89, v45, v229
	v_mul_i32_i24_e32 v90, v46, v223
	v_bfe_i32 v53, v50, 8, 8
	v_add3_u32 v85, v85, v88, v92
	v_bfe_i32 v55, v50, 16, 8
	v_mul_i32_i24_e32 v91, v47, v230
	v_mul_i32_i24_e32 v96, v57, v236
	v_ashrrev_i32_e32 v50, 24, v50
	v_add3_u32 v85, v85, v89, v90
	v_bfe_i32 v69, v51, 0, 8
	v_mul_i32_i24_e32 v93, v53, v232
	v_mul_i32_i24_e32 v94, v55, v233
	v_bfe_i32 v58, v77, 8, 8
	v_add3_u32 v85, v85, v91, v96
	;; [unrolled: 10-line block ×6, first 2 shown]
	v_ashrrev_i32_e32 v79, 24, v79
	v_mul_i32_i24_e32 v111, v52, v250
	v_mul_i32_i24_e32 v113, v82, v252
	s_waitcnt lgkmcnt(0)
	v_lshrrev_b32_e32 v84, 16, v19
	v_add3_u32 v85, v85, v109, v110
	v_mul_i32_i24_e32 v254, v83, v241
	v_mul_i32_i24_e32 v255, v79, v253
	;; [unrolled: 1-line block ×3, first 2 shown]
	v_cvt_f32_f16_e32 v84, v84
	v_add3_u32 v85, v85, v111, v113
	v_mul_i32_i24_e32 v87, v33, v194
	v_mul_i32_i24_e32 v88, v41, v195
	;; [unrolled: 1-line block ×3, first 2 shown]
	v_mul_f32_e32 v84, 0x41000000, v84
	v_add3_u32 v85, v85, v254, v255
	v_mul_i32_i24_e32 v89, v45, v196
	v_mul_i32_i24_e32 v90, v46, v190
	;; [unrolled: 1-line block ×4, first 2 shown]
	v_cvt_f32_i32_e32 v85, v85
	v_mul_i32_i24_e32 v93, v53, v200
	v_mul_i32_i24_e32 v94, v55, v201
	;; [unrolled: 1-line block ×4, first 2 shown]
	v_fma_mix_f32 v85, v19, v85, -v84 op_sel_hi:[1,0,0]
	v_mul_i32_i24_e32 v97, v58, v205
	v_mul_i32_i24_e32 v98, v62, v193
	;; [unrolled: 1-line block ×4, first 2 shown]
	v_fmac_f32_e32 v28, v197, v85
	v_mul_i32_i24_e32 v85, v0, v191
	v_mul_i32_i24_e32 v101, v70, v208
	;; [unrolled: 1-line block ×5, first 2 shown]
	v_mad_i32_i24 v85, v43, v189, v85
	v_mul_i32_i24_e32 v105, v73, v213
	v_mul_i32_i24_e32 v106, v75, v203
	v_mul_i32_i24_e32 v107, v76, v214
	v_mul_i32_i24_e32 v112, v81, v219
	v_add3_u32 v85, v85, v86, v87
	v_mul_i32_i24_e32 v109, v78, v216
	v_mul_i32_i24_e32 v110, v80, v217
	v_mul_i32_i24_e32 v111, v52, v218
	v_mul_i32_i24_e32 v113, v82, v220
	v_add3_u32 v85, v85, v88, v92
	;; [unrolled: 5-line block ×15, first 2 shown]
	v_mul_i32_i24_e32 v254, v83, v175
	v_mul_i32_i24_e32 v255, v79, v187
	;; [unrolled: 1-line block ×4, first 2 shown]
	v_cvt_f32_i32_e32 v85, v85
	v_mul_i32_i24_e32 v78, v78, v149
	v_mul_i32_i24_e32 v80, v80, v150
	;; [unrolled: 1-line block ×4, first 2 shown]
	v_fma_mix_f32 v85, v19, v85, -v84 op_sel_hi:[1,0,0]
	v_mul_i32_i24_e32 v83, v83, v142
	v_mul_i32_i24_e32 v79, v79, v154
	s_delay_alu instid0(VALU_DEP_3) | instskip(SKIP_1) | instid1(VALU_DEP_1)
	v_fmac_f32_e32 v27, v188, v85
	v_mul_i32_i24_e32 v85, v0, v158
	v_mad_i32_i24 v85, v43, v156, v85
	s_delay_alu instid0(VALU_DEP_1) | instskip(NEXT) | instid1(VALU_DEP_1)
	v_add3_u32 v85, v85, v86, v87
	v_add3_u32 v85, v85, v88, v92
	s_delay_alu instid0(VALU_DEP_1) | instskip(NEXT) | instid1(VALU_DEP_1)
	v_add3_u32 v85, v85, v89, v90
	v_add3_u32 v85, v85, v91, v96
	;; [unrolled: 3-line block ×7, first 2 shown]
	s_delay_alu instid0(VALU_DEP_1) | instskip(NEXT) | instid1(VALU_DEP_1)
	v_add3_u32 v85, v85, v254, v255
	v_cvt_f32_i32_e32 v85, v85
	s_delay_alu instid0(VALU_DEP_1) | instskip(NEXT) | instid1(VALU_DEP_1)
	v_fma_mix_f32 v85, v19, v85, -v84 op_sel_hi:[1,0,0]
	v_fmac_f32_e32 v26, v155, v85
	v_mul_i32_i24_e32 v0, v0, v125
	s_delay_alu instid0(VALU_DEP_1) | instskip(NEXT) | instid1(VALU_DEP_1)
	v_mad_i32_i24 v0, v43, v123, v0
	v_add3_u32 v0, v0, v32, v33
	s_delay_alu instid0(VALU_DEP_1) | instskip(NEXT) | instid1(VALU_DEP_1)
	v_add3_u32 v0, v0, v41, v49
	v_add3_u32 v0, v0, v45, v46
	s_delay_alu instid0(VALU_DEP_1) | instskip(NEXT) | instid1(VALU_DEP_1)
	v_add3_u32 v0, v0, v47, v57
	;; [unrolled: 3-line block ×7, first 2 shown]
	v_add3_u32 v0, v0, v83, v79
	ds_load_b128 v[76:79], v116 offset:7168
	ds_load_b128 v[110:113], v116 offset:7184
	v_add_nc_u32_e32 v116, 32, v116
	v_cvt_f32_i32_e32 v0, v0
	s_delay_alu instid0(VALU_DEP_1) | instskip(NEXT) | instid1(VALU_DEP_1)
	v_fma_mix_f32 v0, v19, v0, -v84 op_sel_hi:[1,0,0]
	v_fmac_f32_e32 v25, v122, v0
	v_lshrrev_b32_e32 v0, 16, v20
	s_waitcnt lgkmcnt(1)
	v_bfe_i32 v255, v76, 0, 8
	s_delay_alu instid0(VALU_DEP_2)
	v_cvt_f32_f16_e32 v0, v0
	v_bfe_i32 v33, v76, 8, 8
	v_bfe_i32 v98, v76, 16, 8
	s_waitcnt lgkmcnt(0)
	v_bfe_i32 v254, v110, 0, 8
	v_ashrrev_i32_e32 v105, 24, v76
	v_mul_f32_e32 v19, 0x41000000, v0
	v_mul_i32_i24_e32 v0, v255, v224
	v_bfe_i32 v109, v77, 0, 8
	v_mul_i32_i24_e32 v41, v33, v225
	v_mul_i32_i24_e32 v70, v98, v227
	v_bfe_i32 v106, v110, 8, 8
	v_mad_i32_i24 v0, v254, v222, v0
	v_bfe_i32 v107, v110, 16, 8
	v_mul_i32_i24_e32 v75, v105, v228
	v_mul_i32_i24_e32 v83, v109, v231
	v_ashrrev_i32_e32 v108, 24, v110
	v_add3_u32 v0, v0, v41, v70
	v_bfe_i32 v46, v111, 0, 8
	v_mul_i32_i24_e32 v80, v106, v229
	v_mul_i32_i24_e32 v81, v107, v223
	v_bfe_i32 v32, v77, 8, 8
	v_add3_u32 v0, v0, v75, v83
	v_bfe_i32 v43, v77, 16, 8
	v_mul_i32_i24_e32 v82, v108, v230
	v_mul_i32_i24_e32 v87, v46, v236
	v_ashrrev_i32_e32 v45, 24, v77
	v_add3_u32 v0, v0, v80, v81
	v_bfe_i32 v51, v78, 0, 8
	v_mul_i32_i24_e32 v84, v32, v232
	v_mul_i32_i24_e32 v85, v43, v233
	v_bfe_i32 v47, v111, 8, 8
	v_add3_u32 v0, v0, v82, v87
	;; [unrolled: 10-line block ×6, first 2 shown]
	v_ashrrev_i32_e32 v79, 24, v113
	v_mul_i32_i24_e32 v103, v73, v250
	v_mul_i32_i24_e32 v110, v77, v252
	v_mul_i32_i24_e32 v111, v78, v241
	v_add3_u32 v0, v0, v101, v102
	v_mul_i32_i24_e32 v112, v79, v253
	v_mul_i32_i24_e32 v41, v33, v192
	v_mul_i32_i24_e32 v70, v98, v194
	v_mul_i32_i24_e32 v75, v105, v195
	v_add3_u32 v0, v0, v103, v110
	v_mul_i32_i24_e32 v83, v109, v199
	;; [unrolled: 5-line block ×3, first 2 shown]
	v_mul_i32_i24_e32 v84, v32, v200
	v_mul_i32_i24_e32 v85, v43, v201
	;; [unrolled: 1-line block ×3, first 2 shown]
	v_cvt_f32_i32_e32 v0, v0
	v_mul_i32_i24_e32 v91, v51, v207
	v_mul_i32_i24_e32 v88, v47, v205
	;; [unrolled: 1-line block ×4, first 2 shown]
	v_fma_mix_f32 v0, v20, v0, -v19 op_sel_hi:[1,0,0]
	v_mul_i32_i24_e32 v95, v57, v212
	v_mul_i32_i24_e32 v92, v52, v208
	;; [unrolled: 1-line block ×4, first 2 shown]
	v_fmac_f32_e32 v24, v197, v0
	v_mul_i32_i24_e32 v0, v255, v191
	v_mul_i32_i24_e32 v100, v69, v215
	;; [unrolled: 1-line block ×5, first 2 shown]
	v_mad_i32_i24 v0, v254, v189, v0
	v_mul_i32_i24_e32 v104, v76, v219
	v_mul_i32_i24_e32 v101, v71, v216
	v_mul_i32_i24_e32 v102, v72, v217
	v_mul_i32_i24_e32 v103, v73, v218
	v_add3_u32 v0, v0, v41, v70
	v_mul_i32_i24_e32 v110, v77, v220
	v_mul_i32_i24_e32 v111, v78, v209
	v_mul_i32_i24_e32 v112, v79, v221
	v_mul_i32_i24_e32 v41, v33, v159
	v_add3_u32 v0, v0, v75, v83
	v_mul_i32_i24_e32 v70, v98, v161
	v_mul_i32_i24_e32 v75, v105, v162
	v_mul_i32_i24_e32 v83, v109, v165
	v_mul_i32_i24_e32 v130, v106, v130
	v_add3_u32 v0, v0, v80, v81
	v_mul_i32_i24_e32 v80, v106, v163
	v_mul_i32_i24_e32 v81, v107, v157
	;; [unrolled: 1-line block ×3, first 2 shown]
	s_delay_alu instid0(VALU_DEP_4) | instskip(SKIP_2) | instid1(VALU_DEP_3)
	v_add3_u32 v0, v0, v82, v87
	v_mul_i32_i24_e32 v82, v108, v164
	v_mul_i32_i24_e32 v87, v46, v170
	v_add3_u32 v0, v0, v84, v85
	v_mul_i32_i24_e32 v84, v32, v166
	v_mul_i32_i24_e32 v85, v43, v167
	s_delay_alu instid0(VALU_DEP_3) | instskip(SKIP_2) | instid1(VALU_DEP_3)
	v_add3_u32 v0, v0, v86, v91
	v_mul_i32_i24_e32 v86, v45, v168
	v_mul_i32_i24_e32 v91, v51, v173
	v_add3_u32 v0, v0, v88, v89
	v_mul_i32_i24_e32 v88, v47, v171
	v_mul_i32_i24_e32 v89, v49, v160
	s_delay_alu instid0(VALU_DEP_3)
	v_add3_u32 v0, v0, v90, v95
	v_mul_i32_i24_e32 v90, v50, v172
	v_mul_i32_i24_e32 v95, v57, v178
	;; [unrolled: 1-line block ×4, first 2 shown]
	v_add3_u32 v0, v0, v92, v93
	v_mul_i32_i24_e32 v92, v52, v174
	v_mul_i32_i24_e32 v93, v53, v176
	s_delay_alu instid0(VALU_DEP_3) | instskip(SKIP_2) | instid1(VALU_DEP_3)
	v_add3_u32 v0, v0, v94, v100
	v_mul_i32_i24_e32 v94, v55, v177
	v_mul_i32_i24_e32 v100, v69, v181
	v_add3_u32 v0, v0, v96, v97
	v_mul_i32_i24_e32 v96, v58, v179
	v_mul_i32_i24_e32 v97, v62, v169
	s_delay_alu instid0(VALU_DEP_3) | instskip(SKIP_2) | instid1(VALU_DEP_3)
	v_add3_u32 v0, v0, v99, v104
	v_mul_i32_i24_e32 v99, v67, v180
	v_mul_i32_i24_e32 v104, v76, v185
	;; [unrolled: 7-line block ×3, first 2 shown]
	v_add3_u32 v0, v0, v111, v112
	v_mul_i32_i24_e32 v111, v78, v175
	v_mul_i32_i24_e32 v112, v79, v187
	s_delay_alu instid0(VALU_DEP_3) | instskip(NEXT) | instid1(VALU_DEP_1)
	v_cvt_f32_i32_e32 v0, v0
	v_fma_mix_f32 v0, v20, v0, -v19 op_sel_hi:[1,0,0]
	s_delay_alu instid0(VALU_DEP_1) | instskip(SKIP_1) | instid1(VALU_DEP_1)
	v_fmac_f32_e32 v23, v188, v0
	v_mul_i32_i24_e32 v0, v255, v158
	v_mad_i32_i24 v0, v254, v156, v0
	s_delay_alu instid0(VALU_DEP_1)
	v_add3_u32 v0, v0, v41, v70
	v_mul_i32_i24_e32 v41, v33, v126
	v_mul_i32_i24_e32 v70, v98, v128
	v_mul_i32_i24_e32 v128, v108, v131
	v_mul_i32_i24_e32 v126, v43, v134
	v_add3_u32 v0, v0, v75, v83
	v_mul_i32_i24_e32 v75, v105, v129
	v_mul_i32_i24_e32 v129, v46, v137
	v_mul_i32_i24_e32 v108, v49, v127
	v_mul_i32_i24_e32 v98, v52, v141
	;; [unrolled: 5-line block ×4, first 2 shown]
	v_add3_u32 v0, v0, v84, v85
	v_mul_i32_i24_e32 v43, v73, v151
	v_mul_i32_i24_e32 v45, v77, v153
	;; [unrolled: 1-line block ×3, first 2 shown]
	s_delay_alu instid0(VALU_DEP_4) | instskip(NEXT) | instid1(VALU_DEP_1)
	v_add3_u32 v0, v0, v86, v91
	v_add3_u32 v0, v0, v88, v89
	s_delay_alu instid0(VALU_DEP_1) | instskip(NEXT) | instid1(VALU_DEP_1)
	v_add3_u32 v0, v0, v90, v95
	v_add3_u32 v0, v0, v92, v93
	s_delay_alu instid0(VALU_DEP_1) | instskip(NEXT) | instid1(VALU_DEP_1)
	v_add3_u32 v0, v0, v94, v100
	v_add3_u32 v0, v0, v96, v97
	s_delay_alu instid0(VALU_DEP_1) | instskip(NEXT) | instid1(VALU_DEP_1)
	v_add3_u32 v0, v0, v99, v104
	v_add3_u32 v0, v0, v101, v102
	s_delay_alu instid0(VALU_DEP_1) | instskip(NEXT) | instid1(VALU_DEP_1)
	v_add3_u32 v0, v0, v103, v110
	v_add3_u32 v0, v0, v111, v112
	s_delay_alu instid0(VALU_DEP_1) | instskip(NEXT) | instid1(VALU_DEP_1)
	v_cvt_f32_i32_e32 v0, v0
	v_fma_mix_f32 v0, v20, v0, -v19 op_sel_hi:[1,0,0]
	s_delay_alu instid0(VALU_DEP_1)
	v_fmac_f32_e32 v22, v155, v0
	v_mul_i32_i24_e32 v0, v255, v125
	v_mul_i32_i24_e32 v155, v107, v124
	;; [unrolled: 1-line block ×5, first 2 shown]
	v_mad_i32_i24 v0, v254, v123, v0
	v_mul_i32_i24_e32 v51, v58, v146
	v_mul_i32_i24_e32 v47, v72, v150
	;; [unrolled: 1-line block ×3, first 2 shown]
	s_delay_alu instid0(VALU_DEP_4) | instskip(NEXT) | instid1(VALU_DEP_1)
	v_add3_u32 v0, v0, v41, v70
	v_add3_u32 v0, v0, v75, v80
	s_delay_alu instid0(VALU_DEP_1) | instskip(NEXT) | instid1(VALU_DEP_1)
	v_add3_u32 v0, v0, v130, v155
	v_add3_u32 v0, v0, v128, v129
	s_delay_alu instid0(VALU_DEP_1) | instskip(NEXT) | instid1(VALU_DEP_1)
	;; [unrolled: 3-line block ×7, first 2 shown]
	v_add3_u32 v0, v0, v32, v33
	v_cvt_f32_i32_e32 v0, v0
	s_delay_alu instid0(VALU_DEP_1) | instskip(NEXT) | instid1(VALU_DEP_1)
	v_fma_mix_f32 v0, v20, v0, -v19 op_sel_hi:[1,0,0]
	v_fmac_f32_e32 v21, v122, v0
	s_cbranch_scc1 .LBB118_7
; %bb.8:                                ;   in Loop: Header=BB118_6 Depth=1
	s_or_b32 s7, s5, 4
	s_delay_alu instid0(SALU_CYCLE_1)
	s_cmp_ge_i32 s7, s4
	s_barrier
	buffer_gl0_inv
	s_cbranch_scc1 .LBB118_5
; %bb.9:                                ;   in Loop: Header=BB118_6 Depth=1
	s_clause 0x1
	scratch_load_b32 v0, off, off offset:216
	scratch_load_b32 v19, off, off offset:4
	s_mov_b32 s7, 12
	s_waitcnt vmcnt(1)
	v_add_nc_u32_e32 v0, s5, v0
	s_waitcnt vmcnt(0)
	s_delay_alu instid0(VALU_DEP_1)
	v_add_nc_u32_e32 v32, v0, v19
	scratch_load_b32 v19, off, off offset:12 ; 4-byte Folded Reload
	s_waitcnt vmcnt(0)
	v_add_nc_u32_e32 v41, v0, v19
	scratch_load_b32 v19, off, off offset:20 ; 4-byte Folded Reload
	s_waitcnt vmcnt(0)
	v_add_nc_u32_e32 v43, v0, v19
	scratch_load_b32 v19, off, off offset:28 ; 4-byte Folded Reload
	v_mad_i64_i32 v[45:46], null, v43, 36, v[16:17]
	scratch_load_b32 v43, off, off offset:44 ; 4-byte Folded Reload
	s_waitcnt vmcnt(1)
	v_add_nc_u32_e32 v47, v0, v19
	v_mad_i64_i32 v[19:20], null, v32, 36, v[16:17]
	v_mad_i64_i32 v[32:33], null, v41, 36, v[16:17]
	scratch_load_b32 v41, off, off offset:36 ; 4-byte Folded Reload
	s_waitcnt vmcnt(1)
	v_add_nc_u32_e32 v43, v0, v43
	v_mad_i64_i32 v[49:50], null, v47, 36, v[16:17]
	s_delay_alu instid0(VALU_DEP_2) | instskip(SKIP_3) | instid1(VALU_DEP_1)
	v_mad_i64_i32 v[57:58], null, v43, 36, v[16:17]
	scratch_load_b32 v43, off, off offset:60 ; 4-byte Folded Reload
	s_waitcnt vmcnt(1)
	v_add_nc_u32_e32 v41, v0, v41
	v_mad_i64_i32 v[51:52], null, v41, 36, v[16:17]
	scratch_load_b32 v41, off, off offset:52 ; 4-byte Folded Reload
	s_waitcnt vmcnt(0)
	v_add_nc_u32_e32 v41, v0, v41
	v_add_nc_u32_e32 v0, v0, v43
	v_add_nc_u32_e32 v43, 4, v114
	s_delay_alu instid0(VALU_DEP_3) | instskip(NEXT) | instid1(VALU_DEP_3)
	v_mad_i64_i32 v[71:72], null, v41, 36, v[16:17]
	v_mad_i64_i32 v[76:77], null, v0, 36, v[16:17]
	s_delay_alu instid0(VALU_DEP_3)
	v_mad_u64_u32 v[78:79], null, v43, 36, s[2:3]
	s_clause 0x8
	global_load_b32 v0, v[19:20], off offset:4
	global_load_b32 v19, v[32:33], off offset:4
	;; [unrolled: 1-line block ×8, first 2 shown]
	global_load_b32 v46, v[78:79], off
	s_clause 0x7
	scratch_load_b32 v114, off, off offset:72
	scratch_load_b32 v115, off, off offset:68
	;; [unrolled: 1-line block ×8, first 2 shown]
	s_waitcnt vmcnt(0)
	ds_store_b32 v47, v0
	scratch_load_b32 v0, off, off offset:16 ; 4-byte Folded Reload
	s_waitcnt vmcnt(0)
	ds_store_b32 v0, v19
	scratch_load_b32 v0, off, off offset:24 ; 4-byte Folded Reload
	;; [unrolled: 3-line block ×7, first 2 shown]
	s_waitcnt vmcnt(0)
	ds_store_b32 v0, v45
	scratch_load_b32 v0, off, off           ; 4-byte Folded Reload
	s_waitcnt vmcnt(0)
	ds_store_b32 v0, v46
	s_waitcnt lgkmcnt(0)
	s_barrier
	buffer_gl0_inv
.LBB118_10:                             ;   Parent Loop BB118_6 Depth=1
                                        ; =>  This Inner Loop Header: Depth=2
	ds_load_b128 v[49:52], v115
	ds_load_b128 v[76:79], v115 offset:16
	ds_load_2addr_b32 v[19:20], v114 offset1:32
	s_add_i32 s7, s7, 4
	s_delay_alu instid0(SALU_CYCLE_1)
	s_cmp_lt_u32 s7, 28
	s_waitcnt lgkmcnt(2)
	v_bfe_i32 v0, v49, 0, 8
	s_waitcnt lgkmcnt(1)
	v_bfe_i32 v46, v76, 0, 8
	s_waitcnt lgkmcnt(0)
	v_lshrrev_b32_e32 v32, 16, v19
	v_bfe_i32 v55, v50, 0, 8
	v_bfe_i32 v62, v77, 0, 8
	;; [unrolled: 1-line block ×4, first 2 shown]
	v_cvt_f32_f16_e32 v32, v32
	v_bfe_i32 v43, v49, 16, 8
	v_ashrrev_i32_e32 v45, 24, v49
	v_bfe_i32 v75, v78, 0, 8
	v_bfe_i32 v80, v52, 0, 8
	v_mul_f32_e32 v86, 0x41000000, v32
	ds_load_b32 v196, v117
	ds_load_2addr_b32 v[32:33], v116 offset1:1
	v_bfe_i32 v47, v76, 8, 8
	v_bfe_i32 v49, v76, 16, 8
	v_ashrrev_i32_e32 v53, 24, v76
	v_bfe_i32 v57, v50, 8, 8
	v_bfe_i32 v58, v50, 16, 8
	v_ashrrev_i32_e32 v50, 24, v50
	v_bfe_i32 v67, v77, 8, 8
	v_bfe_i32 v83, v79, 0, 8
	;; [unrolled: 1-line block ×3, first 2 shown]
	v_ashrrev_i32_e32 v70, 24, v77
	v_bfe_i32 v72, v51, 8, 8
	v_bfe_i32 v73, v51, 16, 8
	v_ashrrev_i32_e32 v51, 24, v51
	v_bfe_i32 v76, v78, 8, 8
	v_bfe_i32 v77, v78, 16, 8
	;; [unrolled: 3-line block ×3, first 2 shown]
	v_ashrrev_i32_e32 v52, 24, v52
	s_waitcnt lgkmcnt(0)
	v_bfe_u32 v222, v32, 20, 4
	v_and_b32_e32 v223, 15, v32
	v_bfe_u32 v224, v32, 8, 4
	v_bfe_u32 v226, v32, 16, 4
	;; [unrolled: 1-line block ×5, first 2 shown]
	v_lshrrev_b32_e32 v229, 28, v32
	v_bfe_u32 v225, v33, 20, 4
	v_and_b32_e32 v230, 15, v33
	v_bfe_u32 v231, v33, 8, 4
	v_bfe_u32 v232, v33, 16, 4
	;; [unrolled: 1-line block ×5, first 2 shown]
	v_lshrrev_b32_e32 v237, 28, v33
	ds_load_2addr_b32 v[32:33], v116 offset0:2 offset1:3
	v_mul_i32_i24_e32 v87, v223, v0
	v_mul_i32_i24_e32 v94, v230, v55
	v_mul_i32_i24_e32 v98, v235, v62
	v_mul_i32_i24_e32 v88, v224, v41
	v_mul_i32_i24_e32 v89, v226, v43
	v_mad_i32_i24 v87, v221, v46, v87
	v_mul_i32_i24_e32 v90, v227, v45
	v_mul_i32_i24_e32 v91, v228, v47
	;; [unrolled: 1-line block ×4, first 2 shown]
	v_add3_u32 v87, v87, v94, v98
	v_mul_i32_i24_e32 v95, v231, v57
	v_mul_i32_i24_e32 v96, v232, v58
	;; [unrolled: 1-line block ×6, first 2 shown]
	v_bfe_i32 v84, v79, 8, 8
	v_bfe_i32 v85, v79, 16, 8
	s_waitcnt lgkmcnt(0)
	v_and_b32_e32 v238, 15, v32
	v_bfe_u32 v243, v32, 4, 4
	v_and_b32_e32 v246, 15, v33
	v_bfe_u32 v250, v33, 4, 4
	v_bfe_u32 v239, v32, 8, 4
	v_mul_i32_i24_e32 v102, v238, v71
	v_mul_i32_i24_e32 v106, v243, v75
	;; [unrolled: 1-line block ×4, first 2 shown]
	v_bfe_u32 v241, v32, 16, 4
	v_add3_u32 v87, v87, v102, v88
	v_mul_i32_i24_e32 v103, v239, v72
	v_bfe_u32 v242, v32, 24, 4
	v_bfe_u32 v244, v32, 12, 4
	v_mul_i32_i24_e32 v104, v241, v73
	v_add3_u32 v87, v87, v89, v90
	v_bfe_u32 v233, v32, 20, 4
	v_mul_i32_i24_e32 v105, v242, v51
	v_mul_i32_i24_e32 v107, v244, v76
	v_lshrrev_b32_e32 v245, 28, v32
	v_add3_u32 v87, v87, v106, v109
	v_mul_i32_i24_e32 v108, v233, v77
	v_bfe_u32 v247, v33, 8, 4
	v_bfe_u32 v248, v33, 16, 4
	v_mul_i32_i24_e32 v32, v245, v78
	v_add3_u32 v87, v87, v91, v92
	v_bfe_u32 v249, v33, 24, 4
	v_mul_i32_i24_e32 v110, v247, v81
	v_mul_i32_i24_e32 v111, v248, v82
	v_bfe_u32 v251, v33, 12, 4
	v_add3_u32 v87, v87, v93, v95
	v_ashrrev_i32_e32 v79, 24, v79
	v_bfe_u32 v240, v33, 20, 4
	v_mul_i32_i24_e32 v112, v249, v52
	v_mul_i32_i24_e32 v121, v251, v84
	v_add3_u32 v87, v87, v96, v97
	v_lshrrev_b32_e32 v252, 28, v33
	v_mul_i32_i24_e32 v122, v240, v85
	v_add_nc_u32_e32 v117, 4, v117
	s_delay_alu instid0(VALU_DEP_4) | instskip(NEXT) | instid1(VALU_DEP_4)
	v_add3_u32 v87, v87, v113, v99
	v_mul_i32_i24_e32 v33, v252, v79
	s_delay_alu instid0(VALU_DEP_2) | instskip(NEXT) | instid1(VALU_DEP_1)
	v_add3_u32 v87, v87, v100, v101
	v_add3_u32 v87, v87, v103, v104
	s_delay_alu instid0(VALU_DEP_1) | instskip(NEXT) | instid1(VALU_DEP_1)
	v_add3_u32 v87, v87, v105, v107
	v_add3_u32 v32, v87, v108, v32
	s_delay_alu instid0(VALU_DEP_1) | instskip(NEXT) | instid1(VALU_DEP_1)
	;; [unrolled: 3-line block ×3, first 2 shown]
	v_add3_u32 v32, v32, v122, v33
	v_cvt_f32_i32_e32 v32, v32
	s_delay_alu instid0(VALU_DEP_1) | instskip(NEXT) | instid1(VALU_DEP_1)
	v_fma_mix_f32 v32, v19, v32, -v86 op_sel_hi:[1,0,0]
	v_fmac_f32_e32 v35, v196, v32
	v_add_nc_u32_e32 v32, 0x1080, v116
	ds_load_b32 v187, v118
	ds_load_2addr_b32 v[32:33], v32 offset1:1
	v_add_nc_u32_e32 v118, 4, v118
	s_waitcnt lgkmcnt(0)
	v_bfe_u32 v189, v32, 20, 4
	v_and_b32_e32 v190, 15, v32
	v_bfe_u32 v191, v32, 8, 4
	v_bfe_u32 v193, v32, 16, 4
	;; [unrolled: 1-line block ×5, first 2 shown]
	v_lshrrev_b32_e32 v197, 28, v32
	v_add_nc_u32_e32 v32, 0x1088, v116
	v_bfe_u32 v192, v33, 20, 4
	v_and_b32_e32 v198, 15, v33
	v_bfe_u32 v199, v33, 8, 4
	v_bfe_u32 v200, v33, 16, 4
	;; [unrolled: 1-line block ×5, first 2 shown]
	v_lshrrev_b32_e32 v205, 28, v33
	ds_load_2addr_b32 v[32:33], v32 offset1:1
	v_mul_i32_i24_e32 v87, v190, v0
	v_mul_i32_i24_e32 v94, v198, v55
	;; [unrolled: 1-line block ×5, first 2 shown]
	v_mad_i32_i24 v87, v188, v46, v87
	v_mul_i32_i24_e32 v90, v194, v45
	v_mul_i32_i24_e32 v91, v195, v47
	;; [unrolled: 1-line block ×4, first 2 shown]
	v_add3_u32 v87, v87, v94, v98
	v_mul_i32_i24_e32 v95, v199, v57
	v_mul_i32_i24_e32 v96, v200, v58
	;; [unrolled: 1-line block ×6, first 2 shown]
	s_waitcnt lgkmcnt(0)
	v_and_b32_e32 v206, 15, v32
	v_bfe_u32 v211, v32, 4, 4
	v_and_b32_e32 v214, 15, v33
	v_bfe_u32 v218, v33, 4, 4
	v_bfe_u32 v207, v32, 8, 4
	v_mul_i32_i24_e32 v102, v206, v71
	v_mul_i32_i24_e32 v106, v211, v75
	;; [unrolled: 1-line block ×4, first 2 shown]
	v_bfe_u32 v209, v32, 16, 4
	v_add3_u32 v87, v87, v102, v88
	v_mul_i32_i24_e32 v103, v207, v72
	v_bfe_u32 v210, v32, 24, 4
	v_bfe_u32 v212, v32, 12, 4
	v_mul_i32_i24_e32 v104, v209, v73
	v_add3_u32 v87, v87, v89, v90
	v_bfe_u32 v202, v32, 20, 4
	v_mul_i32_i24_e32 v105, v210, v51
	v_mul_i32_i24_e32 v107, v212, v76
	v_lshrrev_b32_e32 v213, 28, v32
	v_add3_u32 v87, v87, v106, v109
	v_mul_i32_i24_e32 v108, v202, v77
	v_bfe_u32 v215, v33, 8, 4
	v_bfe_u32 v216, v33, 16, 4
	v_mul_i32_i24_e32 v32, v213, v78
	v_add3_u32 v87, v87, v91, v92
	v_bfe_u32 v217, v33, 24, 4
	v_mul_i32_i24_e32 v110, v215, v81
	v_mul_i32_i24_e32 v111, v216, v82
	v_bfe_u32 v219, v33, 12, 4
	v_add3_u32 v87, v87, v93, v95
	v_bfe_u32 v208, v33, 20, 4
	v_mul_i32_i24_e32 v112, v217, v52
	v_lshrrev_b32_e32 v220, 28, v33
	v_mul_i32_i24_e32 v121, v219, v84
	v_add3_u32 v87, v87, v96, v97
	v_mul_i32_i24_e32 v122, v208, v85
	s_delay_alu instid0(VALU_DEP_4) | instskip(NEXT) | instid1(VALU_DEP_3)
	v_mul_i32_i24_e32 v33, v220, v79
	v_add3_u32 v87, v87, v113, v99
	s_delay_alu instid0(VALU_DEP_1) | instskip(NEXT) | instid1(VALU_DEP_1)
	v_add3_u32 v87, v87, v100, v101
	v_add3_u32 v87, v87, v103, v104
	s_delay_alu instid0(VALU_DEP_1) | instskip(NEXT) | instid1(VALU_DEP_1)
	v_add3_u32 v87, v87, v105, v107
	;; [unrolled: 3-line block ×4, first 2 shown]
	v_cvt_f32_i32_e32 v32, v32
	s_delay_alu instid0(VALU_DEP_1) | instskip(NEXT) | instid1(VALU_DEP_1)
	v_fma_mix_f32 v32, v19, v32, -v86 op_sel_hi:[1,0,0]
	v_fmac_f32_e32 v74, v187, v32
	v_add_nc_u32_e32 v32, 0x2100, v116
	ds_load_b32 v154, v119
	ds_load_2addr_b32 v[32:33], v32 offset1:1
	v_add_nc_u32_e32 v119, 4, v119
	s_waitcnt lgkmcnt(0)
	v_bfe_u32 v156, v32, 20, 4
	v_and_b32_e32 v157, 15, v32
	v_bfe_u32 v158, v32, 8, 4
	v_bfe_u32 v160, v32, 16, 4
	v_bfe_u32 v161, v32, 24, 4
	v_bfe_u32 v155, v32, 4, 4
	v_bfe_u32 v162, v32, 12, 4
	v_lshrrev_b32_e32 v163, 28, v32
	v_add_nc_u32_e32 v32, 0x2108, v116
	v_bfe_u32 v159, v33, 20, 4
	v_and_b32_e32 v164, 15, v33
	v_bfe_u32 v165, v33, 8, 4
	v_bfe_u32 v166, v33, 16, 4
	;; [unrolled: 1-line block ×5, first 2 shown]
	v_lshrrev_b32_e32 v171, 28, v33
	ds_load_2addr_b32 v[32:33], v32 offset1:1
	v_mul_i32_i24_e32 v87, v157, v0
	v_mul_i32_i24_e32 v94, v164, v55
	;; [unrolled: 1-line block ×5, first 2 shown]
	v_mad_i32_i24 v87, v155, v46, v87
	v_mul_i32_i24_e32 v90, v161, v45
	v_mul_i32_i24_e32 v91, v162, v47
	;; [unrolled: 1-line block ×4, first 2 shown]
	v_add3_u32 v87, v87, v94, v98
	v_mul_i32_i24_e32 v95, v165, v57
	v_mul_i32_i24_e32 v96, v166, v58
	;; [unrolled: 1-line block ×6, first 2 shown]
	s_waitcnt lgkmcnt(0)
	v_and_b32_e32 v172, 15, v32
	v_bfe_u32 v177, v32, 4, 4
	v_and_b32_e32 v180, 15, v33
	v_bfe_u32 v184, v33, 4, 4
	v_bfe_u32 v173, v32, 8, 4
	v_mul_i32_i24_e32 v102, v172, v71
	v_mul_i32_i24_e32 v106, v177, v75
	;; [unrolled: 1-line block ×4, first 2 shown]
	v_bfe_u32 v175, v32, 16, 4
	v_add3_u32 v87, v87, v102, v88
	v_mul_i32_i24_e32 v103, v173, v72
	v_bfe_u32 v176, v32, 24, 4
	v_bfe_u32 v178, v32, 12, 4
	v_mul_i32_i24_e32 v104, v175, v73
	v_add3_u32 v87, v87, v89, v90
	v_bfe_u32 v168, v32, 20, 4
	v_mul_i32_i24_e32 v105, v176, v51
	v_mul_i32_i24_e32 v107, v178, v76
	v_lshrrev_b32_e32 v179, 28, v32
	v_add3_u32 v87, v87, v106, v109
	v_mul_i32_i24_e32 v108, v168, v77
	v_bfe_u32 v181, v33, 8, 4
	v_bfe_u32 v182, v33, 16, 4
	v_mul_i32_i24_e32 v32, v179, v78
	v_add3_u32 v87, v87, v91, v92
	v_bfe_u32 v183, v33, 24, 4
	v_mul_i32_i24_e32 v110, v181, v81
	v_mul_i32_i24_e32 v111, v182, v82
	v_bfe_u32 v185, v33, 12, 4
	v_add3_u32 v87, v87, v93, v95
	v_bfe_u32 v174, v33, 20, 4
	v_mul_i32_i24_e32 v112, v183, v52
	v_lshrrev_b32_e32 v186, 28, v33
	v_mul_i32_i24_e32 v121, v185, v84
	v_add3_u32 v87, v87, v96, v97
	v_mul_i32_i24_e32 v122, v174, v85
	s_delay_alu instid0(VALU_DEP_4) | instskip(NEXT) | instid1(VALU_DEP_3)
	v_mul_i32_i24_e32 v33, v186, v79
	v_add3_u32 v87, v87, v113, v99
	s_delay_alu instid0(VALU_DEP_1) | instskip(NEXT) | instid1(VALU_DEP_1)
	v_add3_u32 v87, v87, v100, v101
	v_add3_u32 v87, v87, v103, v104
	s_delay_alu instid0(VALU_DEP_1) | instskip(NEXT) | instid1(VALU_DEP_1)
	v_add3_u32 v87, v87, v105, v107
	;; [unrolled: 3-line block ×4, first 2 shown]
	v_cvt_f32_i32_e32 v32, v32
	s_delay_alu instid0(VALU_DEP_1) | instskip(NEXT) | instid1(VALU_DEP_1)
	v_fma_mix_f32 v32, v19, v32, -v86 op_sel_hi:[1,0,0]
	v_fmac_f32_e32 v68, v154, v32
	v_add_nc_u32_e32 v32, 0x3180, v116
	ds_load_b32 v121, v120
	ds_load_2addr_b32 v[32:33], v32 offset1:1
	v_add_nc_u32_e32 v120, 4, v120
	s_waitcnt lgkmcnt(0)
	v_bfe_u32 v123, v32, 20, 4
	v_and_b32_e32 v124, 15, v32
	v_bfe_u32 v125, v32, 8, 4
	v_bfe_u32 v127, v32, 16, 4
	;; [unrolled: 1-line block ×5, first 2 shown]
	v_lshrrev_b32_e32 v130, 28, v32
	v_add_nc_u32_e32 v32, 0x3188, v116
	v_bfe_u32 v126, v33, 20, 4
	v_and_b32_e32 v131, 15, v33
	v_bfe_u32 v132, v33, 8, 4
	v_bfe_u32 v133, v33, 16, 4
	;; [unrolled: 1-line block ×5, first 2 shown]
	v_lshrrev_b32_e32 v138, 28, v33
	ds_load_2addr_b32 v[32:33], v32 offset1:1
	v_mul_i32_i24_e32 v0, v124, v0
	v_mul_i32_i24_e32 v55, v131, v55
	v_mul_i32_i24_e32 v62, v136, v62
	v_mul_i32_i24_e32 v41, v125, v41
	v_mul_i32_i24_e32 v43, v127, v43
	v_mad_i32_i24 v0, v122, v46, v0
	v_mul_i32_i24_e32 v45, v128, v45
	v_mul_i32_i24_e32 v47, v129, v47
	;; [unrolled: 1-line block ×4, first 2 shown]
	v_add3_u32 v0, v0, v55, v62
	v_mul_i32_i24_e32 v57, v132, v57
	v_mul_i32_i24_e32 v58, v133, v58
	;; [unrolled: 1-line block ×6, first 2 shown]
	v_add_nc_u32_e32 v116, 16, v116
	s_waitcnt lgkmcnt(0)
	v_and_b32_e32 v139, 15, v32
	v_bfe_u32 v144, v32, 4, 4
	v_lshrrev_b32_e32 v146, 28, v32
	v_and_b32_e32 v147, 15, v33
	v_bfe_u32 v135, v32, 20, 4
	v_mul_i32_i24_e32 v71, v139, v71
	v_bfe_u32 v140, v32, 8, 4
	v_bfe_u32 v142, v32, 16, 4
	;; [unrolled: 1-line block ×3, first 2 shown]
	v_mul_i32_i24_e32 v75, v144, v75
	v_add3_u32 v0, v0, v71, v41
	v_bfe_u32 v145, v32, 12, 4
	v_mul_i32_i24_e32 v32, v146, v78
	v_mul_i32_i24_e32 v78, v147, v80
	v_bfe_u32 v148, v33, 8, 4
	v_add3_u32 v0, v0, v43, v45
	v_bfe_u32 v149, v33, 16, 4
	v_bfe_u32 v151, v33, 4, 4
	v_mul_i32_i24_e32 v72, v140, v72
	v_mul_i32_i24_e32 v80, v148, v81
	v_add3_u32 v0, v0, v75, v78
	v_mul_i32_i24_e32 v81, v149, v82
	v_mul_i32_i24_e32 v82, v151, v83
	;; [unrolled: 1-line block ×4, first 2 shown]
	v_add3_u32 v0, v0, v47, v49
	v_mul_i32_i24_e32 v76, v145, v76
	v_mul_i32_i24_e32 v77, v135, v77
	v_bfe_u32 v150, v33, 24, 4
	v_bfe_u32 v152, v33, 12, 4
	v_add3_u32 v0, v0, v53, v57
	v_bfe_u32 v141, v33, 20, 4
	v_lshrrev_b32_e32 v153, 28, v33
	v_mul_i32_i24_e32 v52, v150, v52
	v_mul_i32_i24_e32 v83, v152, v84
	v_add3_u32 v0, v0, v58, v50
	v_mul_i32_i24_e32 v84, v141, v85
	v_mul_i32_i24_e32 v33, v153, v79
	s_delay_alu instid0(VALU_DEP_3) | instskip(NEXT) | instid1(VALU_DEP_1)
	v_add3_u32 v0, v0, v82, v67
	v_add3_u32 v0, v0, v69, v70
	s_delay_alu instid0(VALU_DEP_1) | instskip(NEXT) | instid1(VALU_DEP_1)
	v_add3_u32 v0, v0, v72, v73
	v_add3_u32 v0, v0, v51, v76
	s_delay_alu instid0(VALU_DEP_1) | instskip(NEXT) | instid1(VALU_DEP_1)
	v_add3_u32 v0, v0, v77, v32
	v_add3_u32 v0, v0, v80, v81
	s_delay_alu instid0(VALU_DEP_1) | instskip(SKIP_4) | instid1(VALU_DEP_2)
	v_add3_u32 v0, v0, v52, v83
	ds_load_b128 v[49:52], v115 offset:1024
	ds_load_b128 v[76:79], v115 offset:1040
	v_lshrrev_b32_e32 v83, 16, v20
	v_add3_u32 v0, v0, v84, v33
	v_cvt_f32_f16_e32 v83, v83
	s_delay_alu instid0(VALU_DEP_2) | instskip(NEXT) | instid1(VALU_DEP_2)
	v_cvt_f32_i32_e32 v0, v0
	v_mul_f32_e32 v83, 0x41000000, v83
	s_delay_alu instid0(VALU_DEP_2) | instskip(NEXT) | instid1(VALU_DEP_1)
	v_fma_mix_f32 v0, v19, v0, -v86 op_sel_hi:[1,0,0]
	v_fmac_f32_e32 v66, v121, v0
	s_waitcnt lgkmcnt(1)
	v_bfe_i32 v0, v49, 0, 8
	v_bfe_i32 v19, v49, 8, 8
	;; [unrolled: 1-line block ×3, first 2 shown]
	s_waitcnt lgkmcnt(0)
	v_bfe_i32 v41, v76, 0, 8
	v_ashrrev_i32_e32 v33, 24, v49
	v_mul_i32_i24_e32 v84, v0, v223
	v_bfe_i32 v47, v50, 0, 8
	v_mul_i32_i24_e32 v85, v19, v224
	v_mul_i32_i24_e32 v86, v32, v226
	v_bfe_i32 v43, v76, 8, 8
	v_mad_i32_i24 v84, v41, v221, v84
	v_bfe_i32 v45, v76, 16, 8
	v_mul_i32_i24_e32 v87, v33, v227
	v_mul_i32_i24_e32 v91, v47, v230
	v_ashrrev_i32_e32 v46, 24, v76
	v_add3_u32 v84, v84, v85, v86
	v_bfe_i32 v55, v77, 0, 8
	v_mul_i32_i24_e32 v88, v43, v228
	v_mul_i32_i24_e32 v89, v45, v222
	v_bfe_i32 v49, v50, 8, 8
	v_add3_u32 v84, v84, v87, v91
	v_bfe_i32 v53, v50, 16, 8
	v_mul_i32_i24_e32 v90, v46, v229
	v_mul_i32_i24_e32 v95, v55, v235
	v_ashrrev_i32_e32 v50, 24, v50
	v_add3_u32 v84, v84, v88, v89
	v_bfe_i32 v67, v51, 0, 8
	v_mul_i32_i24_e32 v92, v49, v231
	v_mul_i32_i24_e32 v93, v53, v232
	v_bfe_i32 v57, v77, 8, 8
	v_add3_u32 v84, v84, v90, v95
	;; [unrolled: 10-line block ×6, first 2 shown]
	v_ashrrev_i32_e32 v79, 24, v79
	v_mul_i32_i24_e32 v110, v52, v249
	v_mul_i32_i24_e32 v112, v81, v251
	v_mul_i32_i24_e32 v113, v82, v240
	v_add3_u32 v84, v84, v108, v109
	v_mul_i32_i24_e32 v253, v79, v252
	v_mul_i32_i24_e32 v85, v19, v191
	v_mul_i32_i24_e32 v86, v32, v193
	v_mul_i32_i24_e32 v87, v33, v194
	v_add3_u32 v84, v84, v110, v112
	v_mul_i32_i24_e32 v91, v47, v198
	;; [unrolled: 5-line block ×3, first 2 shown]
	v_mul_i32_i24_e32 v92, v49, v199
	v_mul_i32_i24_e32 v93, v53, v200
	;; [unrolled: 1-line block ×3, first 2 shown]
	v_cvt_f32_i32_e32 v84, v84
	v_mul_i32_i24_e32 v99, v67, v206
	v_mul_i32_i24_e32 v96, v57, v204
	;; [unrolled: 1-line block ×4, first 2 shown]
	v_fma_mix_f32 v84, v20, v84, -v83 op_sel_hi:[1,0,0]
	v_mul_i32_i24_e32 v103, v71, v211
	v_mul_i32_i24_e32 v100, v69, v207
	;; [unrolled: 1-line block ×4, first 2 shown]
	v_fmac_f32_e32 v65, v196, v84
	v_mul_i32_i24_e32 v84, v0, v190
	v_mul_i32_i24_e32 v107, v76, v214
	;; [unrolled: 1-line block ×5, first 2 shown]
	v_mad_i32_i24 v84, v41, v188, v84
	v_mul_i32_i24_e32 v111, v80, v218
	v_mul_i32_i24_e32 v108, v77, v215
	v_mul_i32_i24_e32 v109, v78, v216
	v_mul_i32_i24_e32 v110, v52, v217
	v_add3_u32 v84, v84, v85, v86
	v_mul_i32_i24_e32 v112, v81, v219
	v_mul_i32_i24_e32 v113, v82, v208
	v_mul_i32_i24_e32 v253, v79, v220
	v_mul_i32_i24_e32 v85, v19, v158
	v_add3_u32 v84, v84, v87, v91
	;; [unrolled: 5-line block ×15, first 2 shown]
	v_mul_i32_i24_e32 v112, v81, v185
	v_mul_i32_i24_e32 v52, v52, v150
	;; [unrolled: 1-line block ×4, first 2 shown]
	v_cvt_f32_i32_e32 v84, v84
	v_mul_i32_i24_e32 v253, v79, v186
	v_mul_i32_i24_e32 v82, v82, v141
	v_mul_i32_i24_e32 v79, v79, v153
	s_delay_alu instid0(VALU_DEP_4) | instskip(NEXT) | instid1(VALU_DEP_1)
	v_fma_mix_f32 v84, v20, v84, -v83 op_sel_hi:[1,0,0]
	v_fmac_f32_e32 v64, v187, v84
	v_mul_i32_i24_e32 v84, v0, v157
	v_mul_i32_i24_e32 v0, v0, v124
	s_delay_alu instid0(VALU_DEP_2) | instskip(NEXT) | instid1(VALU_DEP_2)
	v_mad_i32_i24 v84, v41, v155, v84
	v_mad_i32_i24 v0, v41, v122, v0
	s_delay_alu instid0(VALU_DEP_2) | instskip(NEXT) | instid1(VALU_DEP_2)
	v_add3_u32 v84, v84, v85, v86
	v_add3_u32 v0, v0, v19, v32
	s_delay_alu instid0(VALU_DEP_2) | instskip(NEXT) | instid1(VALU_DEP_2)
	v_add3_u32 v84, v84, v87, v91
	v_add3_u32 v0, v0, v33, v47
	;; [unrolled: 3-line block ×15, first 2 shown]
	s_delay_alu instid0(VALU_DEP_2) | instskip(NEXT) | instid1(VALU_DEP_2)
	v_cvt_f32_i32_e32 v84, v84
	v_cvt_f32_i32_e32 v0, v0
	s_delay_alu instid0(VALU_DEP_2) | instskip(NEXT) | instid1(VALU_DEP_2)
	v_fma_mix_f32 v84, v20, v84, -v83 op_sel_hi:[1,0,0]
	v_fma_mix_f32 v0, v20, v0, -v83 op_sel_hi:[1,0,0]
	ds_load_b128 v[49:52], v115 offset:2048
	ds_load_b128 v[76:79], v115 offset:2064
	ds_load_2addr_b32 v[19:20], v114 offset0:64 offset1:96
	v_fmac_f32_e32 v63, v154, v84
	v_fmac_f32_e32 v61, v121, v0
	s_waitcnt lgkmcnt(2)
	v_bfe_i32 v0, v49, 0, 8
	v_bfe_i32 v32, v49, 8, 8
	;; [unrolled: 1-line block ×3, first 2 shown]
	s_waitcnt lgkmcnt(1)
	v_bfe_i32 v43, v76, 0, 8
	v_ashrrev_i32_e32 v41, 24, v49
	v_mul_i32_i24_e32 v85, v0, v223
	v_bfe_i32 v49, v50, 0, 8
	v_mul_i32_i24_e32 v86, v32, v224
	v_mul_i32_i24_e32 v87, v33, v226
	v_bfe_i32 v45, v76, 8, 8
	v_mad_i32_i24 v85, v43, v221, v85
	v_bfe_i32 v46, v76, 16, 8
	v_mul_i32_i24_e32 v88, v41, v227
	v_mul_i32_i24_e32 v92, v49, v230
	v_ashrrev_i32_e32 v47, 24, v76
	v_add3_u32 v85, v85, v86, v87
	v_bfe_i32 v57, v77, 0, 8
	v_mul_i32_i24_e32 v89, v45, v228
	v_mul_i32_i24_e32 v90, v46, v222
	v_bfe_i32 v53, v50, 8, 8
	v_add3_u32 v85, v85, v88, v92
	v_bfe_i32 v55, v50, 16, 8
	v_mul_i32_i24_e32 v91, v47, v229
	v_mul_i32_i24_e32 v96, v57, v235
	v_ashrrev_i32_e32 v50, 24, v50
	v_add3_u32 v85, v85, v89, v90
	v_bfe_i32 v69, v51, 0, 8
	v_mul_i32_i24_e32 v93, v53, v231
	v_mul_i32_i24_e32 v94, v55, v232
	v_bfe_i32 v58, v77, 8, 8
	v_add3_u32 v85, v85, v91, v96
	v_bfe_i32 v62, v77, 16, 8
	v_mul_i32_i24_e32 v95, v50, v234
	v_mul_i32_i24_e32 v100, v69, v238
	v_ashrrev_i32_e32 v67, 24, v77
	v_add3_u32 v85, v85, v93, v94
	v_bfe_i32 v72, v78, 0, 8
	v_mul_i32_i24_e32 v97, v58, v236
	v_mul_i32_i24_e32 v98, v62, v225
	v_bfe_i32 v70, v51, 8, 8
	v_add3_u32 v85, v85, v95, v100
	v_bfe_i32 v71, v51, 16, 8
	v_mul_i32_i24_e32 v99, v67, v237
	v_mul_i32_i24_e32 v104, v72, v243
	v_ashrrev_i32_e32 v51, 24, v51
	v_add3_u32 v85, v85, v97, v98
	v_bfe_i32 v77, v52, 0, 8
	v_mul_i32_i24_e32 v101, v70, v239
	v_mul_i32_i24_e32 v102, v71, v241
	v_bfe_i32 v73, v78, 8, 8
	v_add3_u32 v85, v85, v99, v104
	v_bfe_i32 v75, v78, 16, 8
	v_mul_i32_i24_e32 v103, v51, v242
	v_mul_i32_i24_e32 v108, v77, v246
	v_ashrrev_i32_e32 v76, 24, v78
	v_add3_u32 v85, v85, v101, v102
	v_bfe_i32 v81, v79, 0, 8
	v_mul_i32_i24_e32 v105, v73, v244
	v_mul_i32_i24_e32 v106, v75, v233
	v_bfe_i32 v78, v52, 8, 8
	v_add3_u32 v85, v85, v103, v108
	v_bfe_i32 v80, v52, 16, 8
	v_mul_i32_i24_e32 v107, v76, v245
	v_mul_i32_i24_e32 v112, v81, v250
	v_ashrrev_i32_e32 v52, 24, v52
	v_add3_u32 v85, v85, v105, v106
	v_bfe_i32 v82, v79, 8, 8
	v_mul_i32_i24_e32 v109, v78, v247
	v_mul_i32_i24_e32 v110, v80, v248
	v_bfe_i32 v83, v79, 16, 8
	v_add3_u32 v85, v85, v107, v112
	v_ashrrev_i32_e32 v79, 24, v79
	v_mul_i32_i24_e32 v111, v52, v249
	v_mul_i32_i24_e32 v113, v82, v251
	s_waitcnt lgkmcnt(0)
	v_lshrrev_b32_e32 v84, 16, v19
	v_add3_u32 v85, v85, v109, v110
	v_mul_i32_i24_e32 v253, v83, v240
	v_mul_i32_i24_e32 v254, v79, v252
	;; [unrolled: 1-line block ×3, first 2 shown]
	v_cvt_f32_f16_e32 v84, v84
	v_add3_u32 v85, v85, v111, v113
	v_mul_i32_i24_e32 v87, v33, v193
	v_mul_i32_i24_e32 v88, v41, v194
	v_mul_i32_i24_e32 v92, v49, v198
	v_mul_f32_e32 v84, 0x41000000, v84
	v_add3_u32 v85, v85, v253, v254
	v_mul_i32_i24_e32 v89, v45, v195
	v_mul_i32_i24_e32 v90, v46, v189
	;; [unrolled: 1-line block ×4, first 2 shown]
	v_cvt_f32_i32_e32 v85, v85
	v_mul_i32_i24_e32 v93, v53, v199
	v_mul_i32_i24_e32 v94, v55, v200
	v_mul_i32_i24_e32 v95, v50, v201
	v_mul_i32_i24_e32 v100, v69, v206
	v_fma_mix_f32 v85, v19, v85, -v84 op_sel_hi:[1,0,0]
	v_mul_i32_i24_e32 v97, v58, v204
	v_mul_i32_i24_e32 v98, v62, v192
	;; [unrolled: 1-line block ×4, first 2 shown]
	v_fmac_f32_e32 v60, v196, v85
	v_mul_i32_i24_e32 v85, v0, v190
	v_mul_i32_i24_e32 v101, v70, v207
	;; [unrolled: 1-line block ×5, first 2 shown]
	v_mad_i32_i24 v85, v43, v188, v85
	v_mul_i32_i24_e32 v105, v73, v212
	v_mul_i32_i24_e32 v106, v75, v202
	v_mul_i32_i24_e32 v107, v76, v213
	v_mul_i32_i24_e32 v112, v81, v218
	v_add3_u32 v85, v85, v86, v87
	v_mul_i32_i24_e32 v109, v78, v215
	v_mul_i32_i24_e32 v110, v80, v216
	v_mul_i32_i24_e32 v111, v52, v217
	v_mul_i32_i24_e32 v113, v82, v219
	v_add3_u32 v85, v85, v88, v92
	;; [unrolled: 5-line block ×15, first 2 shown]
	v_mul_i32_i24_e32 v78, v78, v148
	v_mul_i32_i24_e32 v80, v80, v149
	;; [unrolled: 1-line block ×4, first 2 shown]
	v_cvt_f32_i32_e32 v85, v85
	v_mul_i32_i24_e32 v52, v52, v150
	v_mul_i32_i24_e32 v82, v82, v152
	;; [unrolled: 1-line block ×4, first 2 shown]
	v_fma_mix_f32 v85, v19, v85, -v84 op_sel_hi:[1,0,0]
	v_mul_i32_i24_e32 v83, v83, v141
	v_mul_i32_i24_e32 v79, v79, v153
	s_delay_alu instid0(VALU_DEP_3) | instskip(SKIP_2) | instid1(VALU_DEP_2)
	v_fmac_f32_e32 v59, v187, v85
	v_mul_i32_i24_e32 v85, v0, v157
	v_mul_i32_i24_e32 v0, v0, v124
	v_mad_i32_i24 v85, v43, v155, v85
	s_delay_alu instid0(VALU_DEP_2) | instskip(NEXT) | instid1(VALU_DEP_2)
	v_mad_i32_i24 v0, v43, v122, v0
	v_add3_u32 v85, v85, v86, v87
	s_delay_alu instid0(VALU_DEP_2) | instskip(NEXT) | instid1(VALU_DEP_2)
	v_add3_u32 v0, v0, v32, v33
	v_add3_u32 v85, v85, v88, v92
	s_delay_alu instid0(VALU_DEP_2) | instskip(NEXT) | instid1(VALU_DEP_2)
	v_add3_u32 v0, v0, v41, v49
	;; [unrolled: 3-line block ×14, first 2 shown]
	v_add3_u32 v85, v85, v253, v254
	s_delay_alu instid0(VALU_DEP_2)
	v_add3_u32 v0, v0, v83, v79
	ds_load_b128 v[49:52], v115 offset:3072
	ds_load_b128 v[76:79], v115 offset:3088
	v_lshrrev_b32_e32 v83, 16, v20
	v_cvt_f32_i32_e32 v85, v85
	v_cvt_f32_i32_e32 v0, v0
	s_delay_alu instid0(VALU_DEP_3) | instskip(NEXT) | instid1(VALU_DEP_3)
	v_cvt_f32_f16_e32 v83, v83
	v_fma_mix_f32 v85, v19, v85, -v84 op_sel_hi:[1,0,0]
	s_delay_alu instid0(VALU_DEP_3) | instskip(NEXT) | instid1(VALU_DEP_2)
	v_fma_mix_f32 v0, v19, v0, -v84 op_sel_hi:[1,0,0]
	v_dual_mul_f32 v83, 0x41000000, v83 :: v_dual_fmac_f32 v56, v154, v85
	s_delay_alu instid0(VALU_DEP_2)
	v_fmac_f32_e32 v54, v121, v0
	s_waitcnt lgkmcnt(1)
	v_bfe_i32 v0, v49, 0, 8
	v_bfe_i32 v19, v49, 8, 8
	;; [unrolled: 1-line block ×3, first 2 shown]
	s_waitcnt lgkmcnt(0)
	v_bfe_i32 v41, v76, 0, 8
	v_ashrrev_i32_e32 v33, 24, v49
	v_mul_i32_i24_e32 v84, v0, v223
	v_bfe_i32 v47, v50, 0, 8
	v_mul_i32_i24_e32 v85, v19, v224
	v_mul_i32_i24_e32 v86, v32, v226
	v_bfe_i32 v43, v76, 8, 8
	v_mad_i32_i24 v84, v41, v221, v84
	v_bfe_i32 v45, v76, 16, 8
	v_mul_i32_i24_e32 v87, v33, v227
	v_mul_i32_i24_e32 v91, v47, v230
	v_ashrrev_i32_e32 v46, 24, v76
	v_add3_u32 v84, v84, v85, v86
	v_bfe_i32 v55, v77, 0, 8
	v_mul_i32_i24_e32 v88, v43, v228
	v_mul_i32_i24_e32 v89, v45, v222
	v_bfe_i32 v49, v50, 8, 8
	v_add3_u32 v84, v84, v87, v91
	v_bfe_i32 v53, v50, 16, 8
	v_mul_i32_i24_e32 v90, v46, v229
	v_mul_i32_i24_e32 v95, v55, v235
	v_ashrrev_i32_e32 v50, 24, v50
	v_add3_u32 v84, v84, v88, v89
	v_bfe_i32 v67, v51, 0, 8
	v_mul_i32_i24_e32 v92, v49, v231
	v_mul_i32_i24_e32 v93, v53, v232
	v_bfe_i32 v57, v77, 8, 8
	v_add3_u32 v84, v84, v90, v95
	;; [unrolled: 10-line block ×6, first 2 shown]
	v_ashrrev_i32_e32 v79, 24, v79
	v_mul_i32_i24_e32 v110, v52, v249
	v_mul_i32_i24_e32 v112, v81, v251
	v_mul_i32_i24_e32 v113, v82, v240
	v_add3_u32 v84, v84, v108, v109
	v_mul_i32_i24_e32 v253, v79, v252
	v_mul_i32_i24_e32 v85, v19, v191
	v_mul_i32_i24_e32 v86, v32, v193
	v_mul_i32_i24_e32 v87, v33, v194
	v_add3_u32 v84, v84, v110, v112
	v_mul_i32_i24_e32 v91, v47, v198
	;; [unrolled: 5-line block ×3, first 2 shown]
	v_mul_i32_i24_e32 v92, v49, v199
	v_mul_i32_i24_e32 v93, v53, v200
	v_mul_i32_i24_e32 v94, v50, v201
	v_cvt_f32_i32_e32 v84, v84
	v_mul_i32_i24_e32 v99, v67, v206
	v_mul_i32_i24_e32 v96, v57, v204
	;; [unrolled: 1-line block ×4, first 2 shown]
	v_fma_mix_f32 v84, v20, v84, -v83 op_sel_hi:[1,0,0]
	v_mul_i32_i24_e32 v103, v71, v211
	v_mul_i32_i24_e32 v100, v69, v207
	;; [unrolled: 1-line block ×4, first 2 shown]
	v_fmac_f32_e32 v48, v196, v84
	v_mul_i32_i24_e32 v84, v0, v190
	v_mul_i32_i24_e32 v107, v76, v214
	v_mul_i32_i24_e32 v104, v72, v212
	v_mul_i32_i24_e32 v105, v73, v202
	v_mul_i32_i24_e32 v106, v75, v213
	v_mad_i32_i24 v84, v41, v188, v84
	v_mul_i32_i24_e32 v111, v80, v218
	v_mul_i32_i24_e32 v108, v77, v215
	v_mul_i32_i24_e32 v109, v78, v216
	v_mul_i32_i24_e32 v110, v52, v217
	v_add3_u32 v84, v84, v85, v86
	v_mul_i32_i24_e32 v112, v81, v219
	v_mul_i32_i24_e32 v113, v82, v208
	v_mul_i32_i24_e32 v253, v79, v220
	v_mul_i32_i24_e32 v85, v19, v158
	v_add3_u32 v84, v84, v87, v91
	;; [unrolled: 5-line block ×15, first 2 shown]
	v_mul_i32_i24_e32 v112, v81, v185
	v_mul_i32_i24_e32 v52, v52, v150
	;; [unrolled: 1-line block ×4, first 2 shown]
	v_cvt_f32_i32_e32 v84, v84
	v_mul_i32_i24_e32 v253, v79, v186
	v_mul_i32_i24_e32 v82, v82, v141
	;; [unrolled: 1-line block ×3, first 2 shown]
	s_delay_alu instid0(VALU_DEP_4) | instskip(NEXT) | instid1(VALU_DEP_1)
	v_fma_mix_f32 v84, v20, v84, -v83 op_sel_hi:[1,0,0]
	v_fmac_f32_e32 v44, v187, v84
	v_mul_i32_i24_e32 v84, v0, v157
	v_mul_i32_i24_e32 v0, v0, v124
	s_delay_alu instid0(VALU_DEP_2) | instskip(NEXT) | instid1(VALU_DEP_2)
	v_mad_i32_i24 v84, v41, v155, v84
	v_mad_i32_i24 v0, v41, v122, v0
	s_delay_alu instid0(VALU_DEP_2) | instskip(NEXT) | instid1(VALU_DEP_2)
	v_add3_u32 v84, v84, v85, v86
	v_add3_u32 v0, v0, v19, v32
	s_delay_alu instid0(VALU_DEP_2) | instskip(NEXT) | instid1(VALU_DEP_2)
	v_add3_u32 v84, v84, v87, v91
	v_add3_u32 v0, v0, v33, v47
	;; [unrolled: 3-line block ×15, first 2 shown]
	s_delay_alu instid0(VALU_DEP_2) | instskip(NEXT) | instid1(VALU_DEP_2)
	v_cvt_f32_i32_e32 v84, v84
	v_cvt_f32_i32_e32 v0, v0
	s_delay_alu instid0(VALU_DEP_2) | instskip(NEXT) | instid1(VALU_DEP_2)
	v_fma_mix_f32 v84, v20, v84, -v83 op_sel_hi:[1,0,0]
	v_fma_mix_f32 v0, v20, v0, -v83 op_sel_hi:[1,0,0]
	ds_load_b128 v[49:52], v115 offset:4096
	ds_load_b128 v[76:79], v115 offset:4112
	ds_load_2addr_b32 v[19:20], v114 offset0:128 offset1:160
	v_fmac_f32_e32 v42, v154, v84
	v_fmac_f32_e32 v40, v121, v0
	s_waitcnt lgkmcnt(2)
	v_bfe_i32 v0, v49, 0, 8
	v_bfe_i32 v32, v49, 8, 8
	;; [unrolled: 1-line block ×3, first 2 shown]
	s_waitcnt lgkmcnt(1)
	v_bfe_i32 v43, v76, 0, 8
	v_ashrrev_i32_e32 v41, 24, v49
	v_mul_i32_i24_e32 v85, v0, v223
	v_bfe_i32 v49, v50, 0, 8
	v_mul_i32_i24_e32 v86, v32, v224
	v_mul_i32_i24_e32 v87, v33, v226
	v_bfe_i32 v45, v76, 8, 8
	v_mad_i32_i24 v85, v43, v221, v85
	v_bfe_i32 v46, v76, 16, 8
	v_mul_i32_i24_e32 v88, v41, v227
	v_mul_i32_i24_e32 v92, v49, v230
	v_ashrrev_i32_e32 v47, 24, v76
	v_add3_u32 v85, v85, v86, v87
	v_bfe_i32 v57, v77, 0, 8
	v_mul_i32_i24_e32 v89, v45, v228
	v_mul_i32_i24_e32 v90, v46, v222
	v_bfe_i32 v53, v50, 8, 8
	v_add3_u32 v85, v85, v88, v92
	v_bfe_i32 v55, v50, 16, 8
	v_mul_i32_i24_e32 v91, v47, v229
	v_mul_i32_i24_e32 v96, v57, v235
	v_ashrrev_i32_e32 v50, 24, v50
	v_add3_u32 v85, v85, v89, v90
	v_bfe_i32 v69, v51, 0, 8
	v_mul_i32_i24_e32 v93, v53, v231
	v_mul_i32_i24_e32 v94, v55, v232
	v_bfe_i32 v58, v77, 8, 8
	v_add3_u32 v85, v85, v91, v96
	;; [unrolled: 10-line block ×6, first 2 shown]
	v_ashrrev_i32_e32 v79, 24, v79
	v_mul_i32_i24_e32 v111, v52, v249
	v_mul_i32_i24_e32 v113, v82, v251
	s_waitcnt lgkmcnt(0)
	v_lshrrev_b32_e32 v84, 16, v19
	v_add3_u32 v85, v85, v109, v110
	v_mul_i32_i24_e32 v253, v83, v240
	v_mul_i32_i24_e32 v254, v79, v252
	v_mul_i32_i24_e32 v86, v32, v191
	v_cvt_f32_f16_e32 v84, v84
	v_add3_u32 v85, v85, v111, v113
	v_mul_i32_i24_e32 v87, v33, v193
	v_mul_i32_i24_e32 v88, v41, v194
	;; [unrolled: 1-line block ×3, first 2 shown]
	v_mul_f32_e32 v84, 0x41000000, v84
	v_add3_u32 v85, v85, v253, v254
	v_mul_i32_i24_e32 v89, v45, v195
	v_mul_i32_i24_e32 v90, v46, v189
	;; [unrolled: 1-line block ×4, first 2 shown]
	v_cvt_f32_i32_e32 v85, v85
	v_mul_i32_i24_e32 v93, v53, v199
	v_mul_i32_i24_e32 v94, v55, v200
	v_mul_i32_i24_e32 v95, v50, v201
	v_mul_i32_i24_e32 v100, v69, v206
	v_fma_mix_f32 v85, v19, v85, -v84 op_sel_hi:[1,0,0]
	v_mul_i32_i24_e32 v97, v58, v204
	v_mul_i32_i24_e32 v98, v62, v192
	;; [unrolled: 1-line block ×4, first 2 shown]
	v_fmac_f32_e32 v39, v196, v85
	v_mul_i32_i24_e32 v85, v0, v190
	v_mul_i32_i24_e32 v101, v70, v207
	;; [unrolled: 1-line block ×5, first 2 shown]
	v_mad_i32_i24 v85, v43, v188, v85
	v_mul_i32_i24_e32 v105, v73, v212
	v_mul_i32_i24_e32 v106, v75, v202
	v_mul_i32_i24_e32 v107, v76, v213
	v_mul_i32_i24_e32 v112, v81, v218
	v_add3_u32 v85, v85, v86, v87
	v_mul_i32_i24_e32 v109, v78, v215
	v_mul_i32_i24_e32 v110, v80, v216
	v_mul_i32_i24_e32 v111, v52, v217
	v_mul_i32_i24_e32 v113, v82, v219
	v_add3_u32 v85, v85, v88, v92
	;; [unrolled: 5-line block ×15, first 2 shown]
	v_mul_i32_i24_e32 v80, v80, v149
	v_mul_i32_i24_e32 v111, v52, v183
	;; [unrolled: 1-line block ×4, first 2 shown]
	v_cvt_f32_i32_e32 v85, v85
	v_mul_i32_i24_e32 v82, v82, v152
	v_mul_i32_i24_e32 v253, v83, v174
	;; [unrolled: 1-line block ×4, first 2 shown]
	v_fma_mix_f32 v85, v19, v85, -v84 op_sel_hi:[1,0,0]
	v_mul_i32_i24_e32 v79, v79, v153
	s_delay_alu instid0(VALU_DEP_2) | instskip(SKIP_3) | instid1(VALU_DEP_3)
	v_fmac_f32_e32 v38, v187, v85
	v_mul_i32_i24_e32 v85, v0, v157
	v_mul_i32_i24_e32 v0, v0, v124
	v_mul_i32_i24_e32 v69, v69, v139
	v_mad_i32_i24 v85, v43, v155, v85
	s_delay_alu instid0(VALU_DEP_3) | instskip(NEXT) | instid1(VALU_DEP_2)
	v_mad_i32_i24 v0, v43, v122, v0
	v_add3_u32 v85, v85, v86, v87
	s_delay_alu instid0(VALU_DEP_2) | instskip(NEXT) | instid1(VALU_DEP_2)
	v_add3_u32 v0, v0, v32, v33
	v_add3_u32 v85, v85, v88, v92
	s_delay_alu instid0(VALU_DEP_2) | instskip(NEXT) | instid1(VALU_DEP_2)
	v_add3_u32 v0, v0, v41, v49
	;; [unrolled: 3-line block ×14, first 2 shown]
	v_add3_u32 v85, v85, v253, v254
	s_delay_alu instid0(VALU_DEP_2)
	v_add3_u32 v0, v0, v83, v79
	ds_load_b128 v[49:52], v115 offset:5120
	ds_load_b128 v[76:79], v115 offset:5136
	v_lshrrev_b32_e32 v83, 16, v20
	v_cvt_f32_i32_e32 v85, v85
	v_cvt_f32_i32_e32 v0, v0
	s_delay_alu instid0(VALU_DEP_3) | instskip(NEXT) | instid1(VALU_DEP_3)
	v_cvt_f32_f16_e32 v83, v83
	v_fma_mix_f32 v85, v19, v85, -v84 op_sel_hi:[1,0,0]
	s_delay_alu instid0(VALU_DEP_3) | instskip(NEXT) | instid1(VALU_DEP_3)
	v_fma_mix_f32 v0, v19, v0, -v84 op_sel_hi:[1,0,0]
	v_mul_f32_e32 v83, 0x41000000, v83
	s_delay_alu instid0(VALU_DEP_2)
	v_dual_fmac_f32 v37, v154, v85 :: v_dual_fmac_f32 v36, v121, v0
	s_waitcnt lgkmcnt(1)
	v_bfe_i32 v0, v49, 0, 8
	v_bfe_i32 v19, v49, 8, 8
	;; [unrolled: 1-line block ×3, first 2 shown]
	s_waitcnt lgkmcnt(0)
	v_bfe_i32 v41, v76, 0, 8
	v_ashrrev_i32_e32 v33, 24, v49
	v_mul_i32_i24_e32 v84, v0, v223
	v_bfe_i32 v47, v50, 0, 8
	v_mul_i32_i24_e32 v85, v19, v224
	v_mul_i32_i24_e32 v86, v32, v226
	v_bfe_i32 v43, v76, 8, 8
	v_mad_i32_i24 v84, v41, v221, v84
	v_bfe_i32 v45, v76, 16, 8
	v_mul_i32_i24_e32 v87, v33, v227
	v_mul_i32_i24_e32 v91, v47, v230
	v_ashrrev_i32_e32 v46, 24, v76
	v_add3_u32 v84, v84, v85, v86
	v_bfe_i32 v55, v77, 0, 8
	v_mul_i32_i24_e32 v88, v43, v228
	v_mul_i32_i24_e32 v89, v45, v222
	v_bfe_i32 v49, v50, 8, 8
	v_add3_u32 v84, v84, v87, v91
	v_bfe_i32 v53, v50, 16, 8
	v_mul_i32_i24_e32 v90, v46, v229
	v_mul_i32_i24_e32 v95, v55, v235
	v_ashrrev_i32_e32 v50, 24, v50
	v_add3_u32 v84, v84, v88, v89
	v_bfe_i32 v67, v51, 0, 8
	v_mul_i32_i24_e32 v92, v49, v231
	v_mul_i32_i24_e32 v93, v53, v232
	v_bfe_i32 v57, v77, 8, 8
	v_add3_u32 v84, v84, v90, v95
	;; [unrolled: 10-line block ×6, first 2 shown]
	v_ashrrev_i32_e32 v79, 24, v79
	v_mul_i32_i24_e32 v110, v52, v249
	v_mul_i32_i24_e32 v112, v81, v251
	v_mul_i32_i24_e32 v113, v82, v240
	v_add3_u32 v84, v84, v108, v109
	v_mul_i32_i24_e32 v253, v79, v252
	v_mul_i32_i24_e32 v85, v19, v191
	v_mul_i32_i24_e32 v86, v32, v193
	v_mul_i32_i24_e32 v87, v33, v194
	v_add3_u32 v84, v84, v110, v112
	v_mul_i32_i24_e32 v91, v47, v198
	;; [unrolled: 5-line block ×3, first 2 shown]
	v_mul_i32_i24_e32 v92, v49, v199
	v_mul_i32_i24_e32 v93, v53, v200
	;; [unrolled: 1-line block ×3, first 2 shown]
	v_cvt_f32_i32_e32 v84, v84
	v_mul_i32_i24_e32 v99, v67, v206
	v_mul_i32_i24_e32 v96, v57, v204
	;; [unrolled: 1-line block ×4, first 2 shown]
	v_fma_mix_f32 v84, v20, v84, -v83 op_sel_hi:[1,0,0]
	v_mul_i32_i24_e32 v103, v71, v211
	v_mul_i32_i24_e32 v100, v69, v207
	;; [unrolled: 1-line block ×4, first 2 shown]
	v_fmac_f32_e32 v34, v196, v84
	v_mul_i32_i24_e32 v84, v0, v190
	v_mul_i32_i24_e32 v107, v76, v214
	;; [unrolled: 1-line block ×5, first 2 shown]
	v_mad_i32_i24 v84, v41, v188, v84
	v_mul_i32_i24_e32 v111, v80, v218
	v_mul_i32_i24_e32 v108, v77, v215
	v_mul_i32_i24_e32 v109, v78, v216
	v_mul_i32_i24_e32 v110, v52, v217
	v_add3_u32 v84, v84, v85, v86
	v_mul_i32_i24_e32 v112, v81, v219
	v_mul_i32_i24_e32 v113, v82, v208
	v_mul_i32_i24_e32 v253, v79, v220
	v_mul_i32_i24_e32 v85, v19, v158
	v_add3_u32 v84, v84, v87, v91
	;; [unrolled: 5-line block ×15, first 2 shown]
	v_mul_i32_i24_e32 v81, v81, v152
	v_mul_i32_i24_e32 v113, v82, v174
	;; [unrolled: 1-line block ×4, first 2 shown]
	v_cvt_f32_i32_e32 v84, v84
	v_mul_i32_i24_e32 v79, v79, v153
	s_delay_alu instid0(VALU_DEP_2) | instskip(NEXT) | instid1(VALU_DEP_1)
	v_fma_mix_f32 v84, v20, v84, -v83 op_sel_hi:[1,0,0]
	v_fmac_f32_e32 v31, v187, v84
	v_mul_i32_i24_e32 v84, v0, v157
	v_mul_i32_i24_e32 v0, v0, v124
	;; [unrolled: 1-line block ×4, first 2 shown]
	s_delay_alu instid0(VALU_DEP_4) | instskip(NEXT) | instid1(VALU_DEP_4)
	v_mad_i32_i24 v84, v41, v155, v84
	v_mad_i32_i24 v0, v41, v122, v0
	s_delay_alu instid0(VALU_DEP_2) | instskip(NEXT) | instid1(VALU_DEP_2)
	v_add3_u32 v84, v84, v85, v86
	v_add3_u32 v0, v0, v19, v32
	s_delay_alu instid0(VALU_DEP_2) | instskip(NEXT) | instid1(VALU_DEP_2)
	v_add3_u32 v84, v84, v87, v91
	v_add3_u32 v0, v0, v33, v47
	;; [unrolled: 3-line block ×15, first 2 shown]
	s_delay_alu instid0(VALU_DEP_2) | instskip(NEXT) | instid1(VALU_DEP_2)
	v_cvt_f32_i32_e32 v84, v84
	v_cvt_f32_i32_e32 v0, v0
	s_delay_alu instid0(VALU_DEP_2) | instskip(NEXT) | instid1(VALU_DEP_2)
	v_fma_mix_f32 v84, v20, v84, -v83 op_sel_hi:[1,0,0]
	v_fma_mix_f32 v0, v20, v0, -v83 op_sel_hi:[1,0,0]
	ds_load_b128 v[49:52], v115 offset:6144
	ds_load_b128 v[76:79], v115 offset:6160
	ds_load_2addr_b32 v[19:20], v114 offset0:192 offset1:224
	v_add_nc_u32_e32 v114, 4, v114
	v_fmac_f32_e32 v30, v154, v84
	v_fmac_f32_e32 v29, v121, v0
	s_waitcnt lgkmcnt(2)
	v_bfe_i32 v0, v49, 0, 8
	v_bfe_i32 v32, v49, 8, 8
	;; [unrolled: 1-line block ×3, first 2 shown]
	s_waitcnt lgkmcnt(1)
	v_bfe_i32 v43, v76, 0, 8
	v_ashrrev_i32_e32 v41, 24, v49
	v_mul_i32_i24_e32 v85, v0, v223
	v_bfe_i32 v49, v50, 0, 8
	v_mul_i32_i24_e32 v86, v32, v224
	v_mul_i32_i24_e32 v87, v33, v226
	v_bfe_i32 v45, v76, 8, 8
	v_mad_i32_i24 v85, v43, v221, v85
	v_bfe_i32 v46, v76, 16, 8
	v_mul_i32_i24_e32 v88, v41, v227
	v_mul_i32_i24_e32 v92, v49, v230
	v_ashrrev_i32_e32 v47, 24, v76
	v_add3_u32 v85, v85, v86, v87
	v_bfe_i32 v57, v77, 0, 8
	v_mul_i32_i24_e32 v89, v45, v228
	v_mul_i32_i24_e32 v90, v46, v222
	v_bfe_i32 v53, v50, 8, 8
	v_add3_u32 v85, v85, v88, v92
	v_bfe_i32 v55, v50, 16, 8
	v_mul_i32_i24_e32 v91, v47, v229
	v_mul_i32_i24_e32 v96, v57, v235
	v_ashrrev_i32_e32 v50, 24, v50
	v_add3_u32 v85, v85, v89, v90
	v_bfe_i32 v69, v51, 0, 8
	v_mul_i32_i24_e32 v93, v53, v231
	v_mul_i32_i24_e32 v94, v55, v232
	v_bfe_i32 v58, v77, 8, 8
	v_add3_u32 v85, v85, v91, v96
	;; [unrolled: 10-line block ×6, first 2 shown]
	v_ashrrev_i32_e32 v79, 24, v79
	v_mul_i32_i24_e32 v111, v52, v249
	v_mul_i32_i24_e32 v113, v82, v251
	s_waitcnt lgkmcnt(0)
	v_lshrrev_b32_e32 v84, 16, v19
	v_add3_u32 v85, v85, v109, v110
	v_mul_i32_i24_e32 v253, v83, v240
	v_mul_i32_i24_e32 v254, v79, v252
	v_mul_i32_i24_e32 v86, v32, v191
	v_cvt_f32_f16_e32 v84, v84
	v_add3_u32 v85, v85, v111, v113
	v_mul_i32_i24_e32 v87, v33, v193
	v_mul_i32_i24_e32 v88, v41, v194
	;; [unrolled: 1-line block ×3, first 2 shown]
	v_mul_f32_e32 v84, 0x41000000, v84
	v_add3_u32 v85, v85, v253, v254
	v_mul_i32_i24_e32 v89, v45, v195
	v_mul_i32_i24_e32 v90, v46, v189
	;; [unrolled: 1-line block ×4, first 2 shown]
	v_cvt_f32_i32_e32 v85, v85
	v_mul_i32_i24_e32 v93, v53, v199
	v_mul_i32_i24_e32 v94, v55, v200
	;; [unrolled: 1-line block ×4, first 2 shown]
	v_fma_mix_f32 v85, v19, v85, -v84 op_sel_hi:[1,0,0]
	v_mul_i32_i24_e32 v97, v58, v204
	v_mul_i32_i24_e32 v98, v62, v192
	;; [unrolled: 1-line block ×4, first 2 shown]
	v_fmac_f32_e32 v28, v196, v85
	v_mul_i32_i24_e32 v85, v0, v190
	v_mul_i32_i24_e32 v101, v70, v207
	v_mul_i32_i24_e32 v102, v71, v209
	v_mul_i32_i24_e32 v103, v51, v210
	v_mul_i32_i24_e32 v108, v77, v214
	v_mad_i32_i24 v85, v43, v188, v85
	v_mul_i32_i24_e32 v105, v73, v212
	v_mul_i32_i24_e32 v106, v75, v202
	v_mul_i32_i24_e32 v107, v76, v213
	v_mul_i32_i24_e32 v112, v81, v218
	v_add3_u32 v85, v85, v86, v87
	v_mul_i32_i24_e32 v109, v78, v215
	v_mul_i32_i24_e32 v110, v80, v216
	v_mul_i32_i24_e32 v111, v52, v217
	v_mul_i32_i24_e32 v113, v82, v219
	v_add3_u32 v85, v85, v88, v92
	;; [unrolled: 5-line block ×15, first 2 shown]
	v_mul_i32_i24_e32 v78, v78, v148
	v_mul_i32_i24_e32 v80, v80, v149
	;; [unrolled: 1-line block ×4, first 2 shown]
	v_cvt_f32_i32_e32 v85, v85
	v_mul_i32_i24_e32 v52, v52, v150
	v_mul_i32_i24_e32 v82, v82, v152
	;; [unrolled: 1-line block ×4, first 2 shown]
	v_fma_mix_f32 v85, v19, v85, -v84 op_sel_hi:[1,0,0]
	v_mul_i32_i24_e32 v83, v83, v141
	v_mul_i32_i24_e32 v79, v79, v153
	s_delay_alu instid0(VALU_DEP_3) | instskip(SKIP_2) | instid1(VALU_DEP_2)
	v_fmac_f32_e32 v27, v187, v85
	v_mul_i32_i24_e32 v85, v0, v157
	v_mul_i32_i24_e32 v0, v0, v124
	v_mad_i32_i24 v85, v43, v155, v85
	s_delay_alu instid0(VALU_DEP_2) | instskip(NEXT) | instid1(VALU_DEP_2)
	v_mad_i32_i24 v0, v43, v122, v0
	v_add3_u32 v85, v85, v86, v87
	s_delay_alu instid0(VALU_DEP_2) | instskip(NEXT) | instid1(VALU_DEP_2)
	v_add3_u32 v0, v0, v32, v33
	v_add3_u32 v85, v85, v88, v92
	s_delay_alu instid0(VALU_DEP_2) | instskip(NEXT) | instid1(VALU_DEP_2)
	v_add3_u32 v0, v0, v41, v49
	;; [unrolled: 3-line block ×14, first 2 shown]
	v_add3_u32 v85, v85, v253, v254
	s_delay_alu instid0(VALU_DEP_2)
	v_add3_u32 v0, v0, v83, v79
	ds_load_b128 v[76:79], v115 offset:7168
	ds_load_b128 v[108:111], v115 offset:7184
	v_add_nc_u32_e32 v115, 32, v115
	v_cvt_f32_i32_e32 v85, v85
	v_cvt_f32_i32_e32 v0, v0
	s_delay_alu instid0(VALU_DEP_2) | instskip(NEXT) | instid1(VALU_DEP_2)
	v_fma_mix_f32 v85, v19, v85, -v84 op_sel_hi:[1,0,0]
	v_fma_mix_f32 v0, v19, v0, -v84 op_sel_hi:[1,0,0]
	s_delay_alu instid0(VALU_DEP_1) | instskip(SKIP_3) | instid1(VALU_DEP_2)
	v_dual_fmac_f32 v26, v154, v85 :: v_dual_fmac_f32 v25, v121, v0
	v_lshrrev_b32_e32 v0, 16, v20
	s_waitcnt lgkmcnt(1)
	v_bfe_i32 v33, v76, 0, 8
	v_cvt_f32_f16_e32 v0, v0
	v_bfe_i32 v98, v76, 8, 8
	v_bfe_i32 v105, v76, 16, 8
	s_waitcnt lgkmcnt(0)
	v_bfe_i32 v253, v108, 0, 8
	v_ashrrev_i32_e32 v254, 24, v76
	v_mul_f32_e32 v19, 0x41000000, v0
	v_mul_i32_i24_e32 v0, v33, v223
	v_bfe_i32 v32, v77, 0, 8
	v_mul_i32_i24_e32 v41, v98, v224
	v_mul_i32_i24_e32 v70, v105, v226
	v_bfe_i32 v106, v108, 8, 8
	v_mad_i32_i24 v0, v253, v221, v0
	v_bfe_i32 v107, v108, 16, 8
	v_mul_i32_i24_e32 v75, v254, v227
	v_mul_i32_i24_e32 v83, v32, v230
	v_ashrrev_i32_e32 v108, 24, v108
	v_add3_u32 v0, v0, v41, v70
	v_bfe_i32 v47, v109, 0, 8
	v_mul_i32_i24_e32 v80, v106, v228
	v_mul_i32_i24_e32 v81, v107, v222
	v_bfe_i32 v43, v77, 8, 8
	v_add3_u32 v0, v0, v75, v83
	v_bfe_i32 v45, v77, 16, 8
	v_mul_i32_i24_e32 v82, v108, v229
	v_mul_i32_i24_e32 v87, v47, v235
	v_ashrrev_i32_e32 v46, 24, v77
	v_add3_u32 v0, v0, v80, v81
	v_bfe_i32 v51, v78, 0, 8
	v_mul_i32_i24_e32 v84, v43, v231
	v_mul_i32_i24_e32 v85, v45, v232
	v_bfe_i32 v49, v109, 8, 8
	v_add3_u32 v0, v0, v82, v87
	;; [unrolled: 10-line block ×6, first 2 shown]
	v_ashrrev_i32_e32 v79, 24, v111
	v_mul_i32_i24_e32 v103, v73, v249
	v_mul_i32_i24_e32 v110, v77, v251
	v_mul_i32_i24_e32 v111, v78, v240
	v_add3_u32 v0, v0, v101, v102
	v_mul_i32_i24_e32 v112, v79, v252
	v_mul_i32_i24_e32 v41, v98, v191
	v_mul_i32_i24_e32 v70, v105, v193
	v_mul_i32_i24_e32 v75, v254, v194
	v_add3_u32 v0, v0, v103, v110
	v_mul_i32_i24_e32 v83, v32, v198
	;; [unrolled: 5-line block ×3, first 2 shown]
	v_mul_i32_i24_e32 v84, v43, v199
	v_mul_i32_i24_e32 v85, v45, v200
	;; [unrolled: 1-line block ×3, first 2 shown]
	v_cvt_f32_i32_e32 v0, v0
	v_mul_i32_i24_e32 v91, v51, v206
	v_mul_i32_i24_e32 v88, v49, v204
	;; [unrolled: 1-line block ×4, first 2 shown]
	v_fma_mix_f32 v0, v20, v0, -v19 op_sel_hi:[1,0,0]
	v_mul_i32_i24_e32 v95, v57, v211
	v_mul_i32_i24_e32 v92, v52, v207
	;; [unrolled: 1-line block ×4, first 2 shown]
	v_fmac_f32_e32 v24, v196, v0
	v_mul_i32_i24_e32 v0, v33, v190
	v_mul_i32_i24_e32 v100, v69, v214
	;; [unrolled: 1-line block ×5, first 2 shown]
	v_mad_i32_i24 v0, v253, v188, v0
	v_mul_i32_i24_e32 v104, v76, v218
	v_mul_i32_i24_e32 v101, v71, v215
	v_mul_i32_i24_e32 v102, v72, v216
	v_mul_i32_i24_e32 v103, v73, v217
	v_add3_u32 v0, v0, v41, v70
	v_mul_i32_i24_e32 v110, v77, v219
	v_mul_i32_i24_e32 v111, v78, v208
	v_mul_i32_i24_e32 v112, v79, v220
	v_mul_i32_i24_e32 v41, v98, v158
	v_add3_u32 v0, v0, v75, v83
	;; [unrolled: 5-line block ×3, first 2 shown]
	v_mul_i32_i24_e32 v80, v106, v162
	v_mul_i32_i24_e32 v81, v107, v156
	;; [unrolled: 1-line block ×3, first 2 shown]
	s_delay_alu instid0(VALU_DEP_4) | instskip(SKIP_2) | instid1(VALU_DEP_3)
	v_add3_u32 v0, v0, v82, v87
	v_mul_i32_i24_e32 v82, v108, v163
	v_mul_i32_i24_e32 v87, v47, v169
	v_add3_u32 v0, v0, v84, v85
	v_mul_i32_i24_e32 v84, v43, v165
	v_mul_i32_i24_e32 v85, v45, v166
	s_delay_alu instid0(VALU_DEP_3) | instskip(SKIP_2) | instid1(VALU_DEP_3)
	v_add3_u32 v0, v0, v86, v91
	v_mul_i32_i24_e32 v86, v46, v167
	v_mul_i32_i24_e32 v91, v51, v172
	v_add3_u32 v0, v0, v88, v89
	v_mul_i32_i24_e32 v88, v49, v170
	v_mul_i32_i24_e32 v89, v50, v159
	s_delay_alu instid0(VALU_DEP_3)
	v_add3_u32 v0, v0, v90, v95
	v_mul_i32_i24_e32 v90, v109, v171
	v_mul_i32_i24_e32 v95, v57, v177
	;; [unrolled: 1-line block ×4, first 2 shown]
	v_add3_u32 v0, v0, v92, v93
	v_mul_i32_i24_e32 v92, v52, v173
	v_mul_i32_i24_e32 v93, v53, v175
	;; [unrolled: 1-line block ×3, first 2 shown]
	s_delay_alu instid0(VALU_DEP_4) | instskip(SKIP_2) | instid1(VALU_DEP_3)
	v_add3_u32 v0, v0, v94, v100
	v_mul_i32_i24_e32 v94, v55, v176
	v_mul_i32_i24_e32 v100, v69, v180
	v_add3_u32 v0, v0, v96, v97
	v_mul_i32_i24_e32 v96, v58, v178
	v_mul_i32_i24_e32 v97, v62, v168
	s_delay_alu instid0(VALU_DEP_3) | instskip(SKIP_2) | instid1(VALU_DEP_3)
	v_add3_u32 v0, v0, v99, v104
	v_mul_i32_i24_e32 v99, v67, v179
	v_mul_i32_i24_e32 v104, v76, v184
	v_add3_u32 v0, v0, v101, v102
	v_mul_i32_i24_e32 v101, v71, v181
	v_mul_i32_i24_e32 v102, v72, v182
	s_delay_alu instid0(VALU_DEP_3) | instskip(SKIP_2) | instid1(VALU_DEP_3)
	v_add3_u32 v0, v0, v103, v110
	v_mul_i32_i24_e32 v103, v73, v183
	v_mul_i32_i24_e32 v110, v77, v185
	v_add3_u32 v0, v0, v111, v112
	v_mul_i32_i24_e32 v111, v78, v174
	v_mul_i32_i24_e32 v112, v79, v186
	s_delay_alu instid0(VALU_DEP_3) | instskip(NEXT) | instid1(VALU_DEP_1)
	v_cvt_f32_i32_e32 v0, v0
	v_fma_mix_f32 v0, v20, v0, -v19 op_sel_hi:[1,0,0]
	s_delay_alu instid0(VALU_DEP_1) | instskip(SKIP_1) | instid1(VALU_DEP_1)
	v_fmac_f32_e32 v23, v187, v0
	v_mul_i32_i24_e32 v0, v33, v157
	v_mad_i32_i24 v0, v253, v155, v0
	s_delay_alu instid0(VALU_DEP_1)
	v_add3_u32 v0, v0, v41, v70
	v_mul_i32_i24_e32 v41, v98, v125
	v_mul_i32_i24_e32 v70, v105, v127
	v_mul_i32_i24_e32 v127, v108, v130
	v_mul_i32_i24_e32 v125, v45, v133
	v_add3_u32 v0, v0, v75, v83
	v_mul_i32_i24_e32 v75, v254, v128
	v_mul_i32_i24_e32 v128, v47, v136
	v_mul_i32_i24_e32 v108, v50, v126
	v_mul_i32_i24_e32 v98, v52, v140
	;; [unrolled: 5-line block ×4, first 2 shown]
	v_add3_u32 v0, v0, v84, v85
	v_mul_i32_i24_e32 v32, v78, v141
	s_delay_alu instid0(VALU_DEP_2) | instskip(NEXT) | instid1(VALU_DEP_1)
	v_add3_u32 v0, v0, v86, v91
	v_add3_u32 v0, v0, v88, v89
	s_delay_alu instid0(VALU_DEP_1) | instskip(NEXT) | instid1(VALU_DEP_1)
	v_add3_u32 v0, v0, v90, v95
	v_add3_u32 v0, v0, v92, v93
	s_delay_alu instid0(VALU_DEP_1) | instskip(NEXT) | instid1(VALU_DEP_1)
	;; [unrolled: 3-line block ×5, first 2 shown]
	v_cvt_f32_i32_e32 v0, v0
	v_fma_mix_f32 v0, v20, v0, -v19 op_sel_hi:[1,0,0]
	s_delay_alu instid0(VALU_DEP_1)
	v_fmac_f32_e32 v22, v154, v0
	v_mul_i32_i24_e32 v0, v33, v124
	v_mul_i32_i24_e32 v154, v107, v123
	;; [unrolled: 1-line block ×5, first 2 shown]
	v_mad_i32_i24 v0, v253, v122, v0
	v_mul_i32_i24_e32 v49, v67, v146
	v_mul_i32_i24_e32 v46, v71, v148
	;; [unrolled: 1-line block ×4, first 2 shown]
	v_add3_u32 v0, v0, v41, v70
	s_delay_alu instid0(VALU_DEP_1) | instskip(NEXT) | instid1(VALU_DEP_1)
	v_add3_u32 v0, v0, v75, v80
	v_add3_u32 v0, v0, v129, v154
	s_delay_alu instid0(VALU_DEP_1) | instskip(NEXT) | instid1(VALU_DEP_1)
	v_add3_u32 v0, v0, v127, v128
	v_add3_u32 v0, v0, v124, v125
	s_delay_alu instid0(VALU_DEP_1) | instskip(NEXT) | instid1(VALU_DEP_1)
	v_add3_u32 v0, v0, v123, v109
	v_add3_u32 v0, v0, v107, v108
	s_delay_alu instid0(VALU_DEP_1) | instskip(NEXT) | instid1(VALU_DEP_1)
	v_add3_u32 v0, v0, v106, v57
	v_add3_u32 v0, v0, v98, v105
	s_delay_alu instid0(VALU_DEP_1) | instskip(NEXT) | instid1(VALU_DEP_1)
	v_add3_u32 v0, v0, v53, v55
	v_add3_u32 v0, v0, v51, v52
	s_delay_alu instid0(VALU_DEP_1) | instskip(NEXT) | instid1(VALU_DEP_1)
	v_add3_u32 v0, v0, v49, v50
	v_add3_u32 v0, v0, v46, v47
	s_delay_alu instid0(VALU_DEP_1) | instskip(NEXT) | instid1(VALU_DEP_1)
	v_add3_u32 v0, v0, v43, v45
	v_add3_u32 v0, v0, v32, v33
	s_delay_alu instid0(VALU_DEP_1) | instskip(NEXT) | instid1(VALU_DEP_1)
	v_cvt_f32_i32_e32 v0, v0
	v_fma_mix_f32 v0, v20, v0, -v19 op_sel_hi:[1,0,0]
	s_delay_alu instid0(VALU_DEP_1)
	v_fmac_f32_e32 v21, v121, v0
	s_cbranch_scc1 .LBB118_10
; %bb.11:                               ;   in Loop: Header=BB118_6 Depth=1
	s_barrier
	buffer_gl0_inv
	s_branch .LBB118_5
.LBB118_12:
	s_clause 0x2
	scratch_load_b32 v1, off, off offset:240
	scratch_load_b32 v0, off, off offset:244
	;; [unrolled: 1-line block ×3, first 2 shown]
.LBB118_13:
	s_mov_b32 s0, exec_lo
	s_waitcnt vmcnt(0)
	v_cmpx_gt_u32_e64 s6, v4
	s_cbranch_execz .LBB118_64
; %bb.14:
	v_add_nc_u32_e32 v0, s12, v0
	v_mul_lo_u32 v5, v4, s10
	s_delay_alu instid0(VALU_DEP_2)
	v_cmp_gt_u32_e32 vcc_lo, s10, v0
	s_and_saveexec_b32 s1, vcc_lo
	s_cbranch_execz .LBB118_16
; %bb.15:
	s_delay_alu instid0(VALU_DEP_2) | instskip(NEXT) | instid1(VALU_DEP_1)
	v_dual_mov_b32 v3, 0 :: v_dual_add_nc_u32 v2, v0, v5
	v_lshlrev_b64 v[2:3], 2, v[2:3]
	s_waitcnt lgkmcnt(0)
	s_delay_alu instid0(VALU_DEP_1) | instskip(NEXT) | instid1(VALU_DEP_1)
	v_add_co_u32 v2, s0, s8, v2
	v_add_co_ci_u32_e64 v3, s0, s9, v3, s0
	global_store_b32 v[2:3], v35, off
.LBB118_16:
	s_or_b32 exec_lo, exec_lo, s1
	v_add_nc_u32_e32 v2, 32, v0
	s_delay_alu instid0(VALU_DEP_1) | instskip(NEXT) | instid1(VALU_DEP_1)
	v_cmp_gt_u32_e64 s0, s10, v2
	s_and_saveexec_b32 s2, s0
	s_cbranch_execz .LBB118_18
; %bb.17:
	v_dual_mov_b32 v4, 0 :: v_dual_add_nc_u32 v3, v2, v5
	s_delay_alu instid0(VALU_DEP_1) | instskip(SKIP_1) | instid1(VALU_DEP_1)
	v_lshlrev_b64 v[3:4], 2, v[3:4]
	s_waitcnt lgkmcnt(0)
	v_add_co_u32 v3, s1, s8, v3
	s_delay_alu instid0(VALU_DEP_1)
	v_add_co_ci_u32_e64 v4, s1, s9, v4, s1
	global_store_b32 v[3:4], v74, off
.LBB118_18:
	s_or_b32 exec_lo, exec_lo, s2
	v_add_nc_u32_e32 v3, 64, v0
	s_delay_alu instid0(VALU_DEP_1) | instskip(NEXT) | instid1(VALU_DEP_1)
	v_cmp_gt_u32_e64 s1, s10, v3
	s_and_saveexec_b32 s3, s1
	s_cbranch_execz .LBB118_20
; %bb.19:
	v_dual_mov_b32 v7, 0 :: v_dual_add_nc_u32 v6, v3, v5
	s_delay_alu instid0(VALU_DEP_1) | instskip(SKIP_1) | instid1(VALU_DEP_1)
	v_lshlrev_b64 v[6:7], 2, v[6:7]
	s_waitcnt lgkmcnt(0)
	v_add_co_u32 v6, s2, s8, v6
	s_delay_alu instid0(VALU_DEP_1)
	v_add_co_ci_u32_e64 v7, s2, s9, v7, s2
	global_store_b32 v[6:7], v68, off
.LBB118_20:
	;; [unrolled: 16-line block ×3, first 2 shown]
	s_or_b32 exec_lo, exec_lo, s4
	v_add3_u32 v5, v1, s11, 8
	s_delay_alu instid0(VALU_DEP_1) | instskip(NEXT) | instid1(VALU_DEP_1)
	v_cmp_gt_u32_e64 s3, s6, v5
	s_and_b32 exec_lo, exec_lo, s3
	s_cbranch_execz .LBB118_64
; %bb.23:
	v_mul_lo_u32 v5, v5, s10
	s_and_saveexec_b32 s4, vcc_lo
	s_cbranch_execnz .LBB118_65
; %bb.24:
	s_or_b32 exec_lo, exec_lo, s4
	s_and_saveexec_b32 s4, s0
	s_cbranch_execnz .LBB118_66
.LBB118_25:
	s_or_b32 exec_lo, exec_lo, s4
	s_and_saveexec_b32 s4, s1
	s_cbranch_execnz .LBB118_67
.LBB118_26:
	s_or_b32 exec_lo, exec_lo, s4
	s_and_saveexec_b32 s4, s2
	s_cbranch_execz .LBB118_28
.LBB118_27:
	v_dual_mov_b32 v6, 0 :: v_dual_add_nc_u32 v5, v5, v4
	s_delay_alu instid0(VALU_DEP_1) | instskip(SKIP_1) | instid1(VALU_DEP_1)
	v_lshlrev_b64 v[5:6], 2, v[5:6]
	s_waitcnt lgkmcnt(0)
	v_add_co_u32 v5, s3, s8, v5
	s_delay_alu instid0(VALU_DEP_1)
	v_add_co_ci_u32_e64 v6, s3, s9, v6, s3
	global_store_b32 v[5:6], v61, off
.LBB118_28:
	s_or_b32 exec_lo, exec_lo, s4
	v_add3_u32 v5, v1, s11, 16
	s_delay_alu instid0(VALU_DEP_1) | instskip(NEXT) | instid1(VALU_DEP_1)
	v_cmp_gt_u32_e64 s3, s6, v5
	s_and_b32 exec_lo, exec_lo, s3
	s_cbranch_execz .LBB118_64
; %bb.29:
	v_mul_lo_u32 v5, v5, s10
	s_and_saveexec_b32 s4, vcc_lo
	s_cbranch_execnz .LBB118_68
; %bb.30:
	s_or_b32 exec_lo, exec_lo, s4
	s_and_saveexec_b32 s4, s0
	s_cbranch_execnz .LBB118_69
.LBB118_31:
	s_or_b32 exec_lo, exec_lo, s4
	s_and_saveexec_b32 s4, s1
	s_cbranch_execnz .LBB118_70
.LBB118_32:
	s_or_b32 exec_lo, exec_lo, s4
	s_and_saveexec_b32 s4, s2
	s_cbranch_execz .LBB118_34
.LBB118_33:
	v_dual_mov_b32 v6, 0 :: v_dual_add_nc_u32 v5, v5, v4
	s_delay_alu instid0(VALU_DEP_1) | instskip(SKIP_1) | instid1(VALU_DEP_1)
	v_lshlrev_b64 v[5:6], 2, v[5:6]
	s_waitcnt lgkmcnt(0)
	v_add_co_u32 v5, s3, s8, v5
	s_delay_alu instid0(VALU_DEP_1)
	v_add_co_ci_u32_e64 v6, s3, s9, v6, s3
	global_store_b32 v[5:6], v54, off
.LBB118_34:
	s_or_b32 exec_lo, exec_lo, s4
	v_add3_u32 v5, v1, s11, 24
	s_delay_alu instid0(VALU_DEP_1) | instskip(NEXT) | instid1(VALU_DEP_1)
	v_cmp_gt_u32_e64 s3, s6, v5
	s_and_b32 exec_lo, exec_lo, s3
	s_cbranch_execz .LBB118_64
; %bb.35:
	v_mul_lo_u32 v5, v5, s10
	s_and_saveexec_b32 s4, vcc_lo
	s_cbranch_execnz .LBB118_71
; %bb.36:
	s_or_b32 exec_lo, exec_lo, s4
	s_and_saveexec_b32 s4, s0
	s_cbranch_execnz .LBB118_72
.LBB118_37:
	s_or_b32 exec_lo, exec_lo, s4
	s_and_saveexec_b32 s4, s1
	s_cbranch_execnz .LBB118_73
.LBB118_38:
	s_or_b32 exec_lo, exec_lo, s4
	s_and_saveexec_b32 s4, s2
	s_cbranch_execz .LBB118_40
.LBB118_39:
	v_dual_mov_b32 v6, 0 :: v_dual_add_nc_u32 v5, v5, v4
	s_delay_alu instid0(VALU_DEP_1) | instskip(SKIP_1) | instid1(VALU_DEP_1)
	v_lshlrev_b64 v[5:6], 2, v[5:6]
	s_waitcnt lgkmcnt(0)
	v_add_co_u32 v5, s3, s8, v5
	s_delay_alu instid0(VALU_DEP_1)
	v_add_co_ci_u32_e64 v6, s3, s9, v6, s3
	global_store_b32 v[5:6], v40, off
.LBB118_40:
	s_or_b32 exec_lo, exec_lo, s4
	v_add3_u32 v5, v1, s11, 32
	s_delay_alu instid0(VALU_DEP_1) | instskip(NEXT) | instid1(VALU_DEP_1)
	v_cmp_gt_u32_e64 s3, s6, v5
	s_and_b32 exec_lo, exec_lo, s3
	s_cbranch_execz .LBB118_64
; %bb.41:
	v_mul_lo_u32 v5, v5, s10
	s_and_saveexec_b32 s4, vcc_lo
	s_cbranch_execnz .LBB118_74
; %bb.42:
	s_or_b32 exec_lo, exec_lo, s4
	s_and_saveexec_b32 s4, s0
	s_cbranch_execnz .LBB118_75
.LBB118_43:
	s_or_b32 exec_lo, exec_lo, s4
	s_and_saveexec_b32 s4, s1
	s_cbranch_execnz .LBB118_76
.LBB118_44:
	s_or_b32 exec_lo, exec_lo, s4
	s_and_saveexec_b32 s4, s2
	s_cbranch_execz .LBB118_46
.LBB118_45:
	v_dual_mov_b32 v6, 0 :: v_dual_add_nc_u32 v5, v5, v4
	s_delay_alu instid0(VALU_DEP_1) | instskip(SKIP_1) | instid1(VALU_DEP_1)
	v_lshlrev_b64 v[5:6], 2, v[5:6]
	s_waitcnt lgkmcnt(0)
	v_add_co_u32 v5, s3, s8, v5
	s_delay_alu instid0(VALU_DEP_1)
	v_add_co_ci_u32_e64 v6, s3, s9, v6, s3
	global_store_b32 v[5:6], v36, off
.LBB118_46:
	s_or_b32 exec_lo, exec_lo, s4
	v_add3_u32 v5, v1, s11, 40
	s_delay_alu instid0(VALU_DEP_1) | instskip(NEXT) | instid1(VALU_DEP_1)
	v_cmp_gt_u32_e64 s3, s6, v5
	s_and_b32 exec_lo, exec_lo, s3
	s_cbranch_execz .LBB118_64
; %bb.47:
	v_mul_lo_u32 v5, v5, s10
	s_and_saveexec_b32 s4, vcc_lo
	s_cbranch_execnz .LBB118_77
; %bb.48:
	s_or_b32 exec_lo, exec_lo, s4
	s_and_saveexec_b32 s4, s0
	s_cbranch_execnz .LBB118_78
.LBB118_49:
	s_or_b32 exec_lo, exec_lo, s4
	s_and_saveexec_b32 s4, s1
	s_cbranch_execnz .LBB118_79
.LBB118_50:
	s_or_b32 exec_lo, exec_lo, s4
	s_and_saveexec_b32 s4, s2
	s_cbranch_execz .LBB118_52
.LBB118_51:
	v_dual_mov_b32 v6, 0 :: v_dual_add_nc_u32 v5, v5, v4
	s_delay_alu instid0(VALU_DEP_1) | instskip(SKIP_1) | instid1(VALU_DEP_1)
	v_lshlrev_b64 v[5:6], 2, v[5:6]
	s_waitcnt lgkmcnt(0)
	v_add_co_u32 v5, s3, s8, v5
	s_delay_alu instid0(VALU_DEP_1)
	v_add_co_ci_u32_e64 v6, s3, s9, v6, s3
	global_store_b32 v[5:6], v29, off
.LBB118_52:
	s_or_b32 exec_lo, exec_lo, s4
	v_add3_u32 v5, v1, s11, 48
	s_delay_alu instid0(VALU_DEP_1) | instskip(NEXT) | instid1(VALU_DEP_1)
	v_cmp_gt_u32_e64 s3, s6, v5
	s_and_b32 exec_lo, exec_lo, s3
	s_cbranch_execz .LBB118_64
; %bb.53:
	v_mul_lo_u32 v5, v5, s10
	s_and_saveexec_b32 s4, vcc_lo
	s_cbranch_execnz .LBB118_80
; %bb.54:
	s_or_b32 exec_lo, exec_lo, s4
	s_and_saveexec_b32 s4, s0
	s_cbranch_execnz .LBB118_81
.LBB118_55:
	s_or_b32 exec_lo, exec_lo, s4
	s_and_saveexec_b32 s4, s1
	s_cbranch_execnz .LBB118_82
.LBB118_56:
	s_or_b32 exec_lo, exec_lo, s4
	s_and_saveexec_b32 s4, s2
	s_cbranch_execz .LBB118_58
.LBB118_57:
	v_dual_mov_b32 v6, 0 :: v_dual_add_nc_u32 v5, v5, v4
	s_delay_alu instid0(VALU_DEP_1) | instskip(SKIP_1) | instid1(VALU_DEP_1)
	v_lshlrev_b64 v[5:6], 2, v[5:6]
	s_waitcnt lgkmcnt(0)
	v_add_co_u32 v5, s3, s8, v5
	s_delay_alu instid0(VALU_DEP_1)
	v_add_co_ci_u32_e64 v6, s3, s9, v6, s3
	global_store_b32 v[5:6], v25, off
.LBB118_58:
	s_or_b32 exec_lo, exec_lo, s4
	v_add3_u32 v1, v1, s11, 56
	s_delay_alu instid0(VALU_DEP_1) | instskip(NEXT) | instid1(VALU_DEP_1)
	v_cmp_gt_u32_e64 s3, s6, v1
	s_and_b32 exec_lo, exec_lo, s3
	s_cbranch_execz .LBB118_64
; %bb.59:
	v_mul_lo_u32 v1, v1, s10
	s_and_saveexec_b32 s3, vcc_lo
	s_cbranch_execnz .LBB118_83
; %bb.60:
	s_or_b32 exec_lo, exec_lo, s3
	s_and_saveexec_b32 s3, s0
	s_cbranch_execnz .LBB118_84
.LBB118_61:
	s_or_b32 exec_lo, exec_lo, s3
	s_and_saveexec_b32 s0, s1
	s_cbranch_execnz .LBB118_85
.LBB118_62:
	s_or_b32 exec_lo, exec_lo, s0
	s_delay_alu instid0(SALU_CYCLE_1)
	s_and_b32 exec_lo, exec_lo, s2
	s_cbranch_execz .LBB118_64
.LBB118_63:
	v_dual_mov_b32 v1, 0 :: v_dual_add_nc_u32 v0, v1, v4
	s_delay_alu instid0(VALU_DEP_1) | instskip(SKIP_1) | instid1(VALU_DEP_1)
	v_lshlrev_b64 v[0:1], 2, v[0:1]
	s_waitcnt lgkmcnt(0)
	v_add_co_u32 v0, vcc_lo, s8, v0
	s_delay_alu instid0(VALU_DEP_2)
	v_add_co_ci_u32_e32 v1, vcc_lo, s9, v1, vcc_lo
	global_store_b32 v[0:1], v21, off
.LBB118_64:
	s_nop 0
	s_sendmsg sendmsg(MSG_DEALLOC_VGPRS)
	s_endpgm
.LBB118_65:
	s_delay_alu instid0(VALU_DEP_1) | instskip(NEXT) | instid1(VALU_DEP_1)
	v_dual_mov_b32 v7, 0 :: v_dual_add_nc_u32 v6, v5, v0
	v_lshlrev_b64 v[6:7], 2, v[6:7]
	s_waitcnt lgkmcnt(0)
	s_delay_alu instid0(VALU_DEP_1) | instskip(NEXT) | instid1(VALU_DEP_1)
	v_add_co_u32 v6, s3, s8, v6
	v_add_co_ci_u32_e64 v7, s3, s9, v7, s3
	global_store_b32 v[6:7], v65, off
	s_or_b32 exec_lo, exec_lo, s4
	s_and_saveexec_b32 s4, s0
	s_cbranch_execz .LBB118_25
.LBB118_66:
	s_delay_alu instid0(VALU_DEP_1) | instskip(NEXT) | instid1(VALU_DEP_1)
	v_dual_mov_b32 v7, 0 :: v_dual_add_nc_u32 v6, v5, v2
	v_lshlrev_b64 v[6:7], 2, v[6:7]
	s_waitcnt lgkmcnt(0)
	s_delay_alu instid0(VALU_DEP_1) | instskip(NEXT) | instid1(VALU_DEP_1)
	v_add_co_u32 v6, s3, s8, v6
	v_add_co_ci_u32_e64 v7, s3, s9, v7, s3
	global_store_b32 v[6:7], v64, off
	s_or_b32 exec_lo, exec_lo, s4
	s_and_saveexec_b32 s4, s1
	s_cbranch_execz .LBB118_26
.LBB118_67:
	v_dual_mov_b32 v7, 0 :: v_dual_add_nc_u32 v6, v5, v3
	s_delay_alu instid0(VALU_DEP_1) | instskip(SKIP_1) | instid1(VALU_DEP_1)
	v_lshlrev_b64 v[6:7], 2, v[6:7]
	s_waitcnt lgkmcnt(0)
	v_add_co_u32 v6, s3, s8, v6
	s_delay_alu instid0(VALU_DEP_1)
	v_add_co_ci_u32_e64 v7, s3, s9, v7, s3
	global_store_b32 v[6:7], v63, off
	s_or_b32 exec_lo, exec_lo, s4
	s_and_saveexec_b32 s4, s2
	s_cbranch_execnz .LBB118_27
	s_branch .LBB118_28
.LBB118_68:
	s_delay_alu instid0(VALU_DEP_1) | instskip(NEXT) | instid1(VALU_DEP_1)
	v_dual_mov_b32 v7, 0 :: v_dual_add_nc_u32 v6, v5, v0
	v_lshlrev_b64 v[6:7], 2, v[6:7]
	s_waitcnt lgkmcnt(0)
	s_delay_alu instid0(VALU_DEP_1) | instskip(NEXT) | instid1(VALU_DEP_1)
	v_add_co_u32 v6, s3, s8, v6
	v_add_co_ci_u32_e64 v7, s3, s9, v7, s3
	global_store_b32 v[6:7], v60, off
	s_or_b32 exec_lo, exec_lo, s4
	s_and_saveexec_b32 s4, s0
	s_cbranch_execz .LBB118_31
.LBB118_69:
	s_delay_alu instid0(VALU_DEP_1) | instskip(NEXT) | instid1(VALU_DEP_1)
	v_dual_mov_b32 v7, 0 :: v_dual_add_nc_u32 v6, v5, v2
	v_lshlrev_b64 v[6:7], 2, v[6:7]
	s_waitcnt lgkmcnt(0)
	s_delay_alu instid0(VALU_DEP_1) | instskip(NEXT) | instid1(VALU_DEP_1)
	v_add_co_u32 v6, s3, s8, v6
	v_add_co_ci_u32_e64 v7, s3, s9, v7, s3
	global_store_b32 v[6:7], v59, off
	s_or_b32 exec_lo, exec_lo, s4
	s_and_saveexec_b32 s4, s1
	s_cbranch_execz .LBB118_32
.LBB118_70:
	v_dual_mov_b32 v7, 0 :: v_dual_add_nc_u32 v6, v5, v3
	s_delay_alu instid0(VALU_DEP_1) | instskip(SKIP_1) | instid1(VALU_DEP_1)
	v_lshlrev_b64 v[6:7], 2, v[6:7]
	s_waitcnt lgkmcnt(0)
	v_add_co_u32 v6, s3, s8, v6
	s_delay_alu instid0(VALU_DEP_1)
	v_add_co_ci_u32_e64 v7, s3, s9, v7, s3
	global_store_b32 v[6:7], v56, off
	s_or_b32 exec_lo, exec_lo, s4
	s_and_saveexec_b32 s4, s2
	s_cbranch_execnz .LBB118_33
	s_branch .LBB118_34
.LBB118_71:
	s_delay_alu instid0(VALU_DEP_1) | instskip(NEXT) | instid1(VALU_DEP_1)
	v_dual_mov_b32 v7, 0 :: v_dual_add_nc_u32 v6, v5, v0
	v_lshlrev_b64 v[6:7], 2, v[6:7]
	s_waitcnt lgkmcnt(0)
	s_delay_alu instid0(VALU_DEP_1) | instskip(NEXT) | instid1(VALU_DEP_1)
	v_add_co_u32 v6, s3, s8, v6
	v_add_co_ci_u32_e64 v7, s3, s9, v7, s3
	global_store_b32 v[6:7], v48, off
	s_or_b32 exec_lo, exec_lo, s4
	s_and_saveexec_b32 s4, s0
	s_cbranch_execz .LBB118_37
.LBB118_72:
	s_delay_alu instid0(VALU_DEP_1) | instskip(NEXT) | instid1(VALU_DEP_1)
	v_dual_mov_b32 v7, 0 :: v_dual_add_nc_u32 v6, v5, v2
	v_lshlrev_b64 v[6:7], 2, v[6:7]
	s_waitcnt lgkmcnt(0)
	s_delay_alu instid0(VALU_DEP_1) | instskip(NEXT) | instid1(VALU_DEP_1)
	v_add_co_u32 v6, s3, s8, v6
	v_add_co_ci_u32_e64 v7, s3, s9, v7, s3
	global_store_b32 v[6:7], v44, off
	s_or_b32 exec_lo, exec_lo, s4
	s_and_saveexec_b32 s4, s1
	s_cbranch_execz .LBB118_38
.LBB118_73:
	v_dual_mov_b32 v7, 0 :: v_dual_add_nc_u32 v6, v5, v3
	s_delay_alu instid0(VALU_DEP_1) | instskip(SKIP_1) | instid1(VALU_DEP_1)
	v_lshlrev_b64 v[6:7], 2, v[6:7]
	s_waitcnt lgkmcnt(0)
	v_add_co_u32 v6, s3, s8, v6
	s_delay_alu instid0(VALU_DEP_1)
	v_add_co_ci_u32_e64 v7, s3, s9, v7, s3
	global_store_b32 v[6:7], v42, off
	s_or_b32 exec_lo, exec_lo, s4
	s_and_saveexec_b32 s4, s2
	s_cbranch_execnz .LBB118_39
	s_branch .LBB118_40
.LBB118_74:
	s_delay_alu instid0(VALU_DEP_1) | instskip(NEXT) | instid1(VALU_DEP_1)
	v_dual_mov_b32 v7, 0 :: v_dual_add_nc_u32 v6, v5, v0
	v_lshlrev_b64 v[6:7], 2, v[6:7]
	s_waitcnt lgkmcnt(0)
	s_delay_alu instid0(VALU_DEP_1) | instskip(NEXT) | instid1(VALU_DEP_1)
	v_add_co_u32 v6, s3, s8, v6
	v_add_co_ci_u32_e64 v7, s3, s9, v7, s3
	global_store_b32 v[6:7], v39, off
	s_or_b32 exec_lo, exec_lo, s4
	s_and_saveexec_b32 s4, s0
	s_cbranch_execz .LBB118_43
.LBB118_75:
	s_delay_alu instid0(VALU_DEP_1) | instskip(NEXT) | instid1(VALU_DEP_1)
	v_dual_mov_b32 v7, 0 :: v_dual_add_nc_u32 v6, v5, v2
	v_lshlrev_b64 v[6:7], 2, v[6:7]
	s_waitcnt lgkmcnt(0)
	s_delay_alu instid0(VALU_DEP_1) | instskip(NEXT) | instid1(VALU_DEP_1)
	v_add_co_u32 v6, s3, s8, v6
	v_add_co_ci_u32_e64 v7, s3, s9, v7, s3
	global_store_b32 v[6:7], v38, off
	s_or_b32 exec_lo, exec_lo, s4
	s_and_saveexec_b32 s4, s1
	s_cbranch_execz .LBB118_44
.LBB118_76:
	v_dual_mov_b32 v7, 0 :: v_dual_add_nc_u32 v6, v5, v3
	s_delay_alu instid0(VALU_DEP_1) | instskip(SKIP_1) | instid1(VALU_DEP_1)
	v_lshlrev_b64 v[6:7], 2, v[6:7]
	s_waitcnt lgkmcnt(0)
	v_add_co_u32 v6, s3, s8, v6
	s_delay_alu instid0(VALU_DEP_1)
	v_add_co_ci_u32_e64 v7, s3, s9, v7, s3
	global_store_b32 v[6:7], v37, off
	s_or_b32 exec_lo, exec_lo, s4
	s_and_saveexec_b32 s4, s2
	s_cbranch_execnz .LBB118_45
	s_branch .LBB118_46
.LBB118_77:
	s_delay_alu instid0(VALU_DEP_1) | instskip(NEXT) | instid1(VALU_DEP_1)
	v_dual_mov_b32 v7, 0 :: v_dual_add_nc_u32 v6, v5, v0
	v_lshlrev_b64 v[6:7], 2, v[6:7]
	s_waitcnt lgkmcnt(0)
	s_delay_alu instid0(VALU_DEP_1) | instskip(NEXT) | instid1(VALU_DEP_1)
	v_add_co_u32 v6, s3, s8, v6
	v_add_co_ci_u32_e64 v7, s3, s9, v7, s3
	global_store_b32 v[6:7], v34, off
	s_or_b32 exec_lo, exec_lo, s4
	s_and_saveexec_b32 s4, s0
	s_cbranch_execz .LBB118_49
.LBB118_78:
	s_delay_alu instid0(VALU_DEP_1) | instskip(NEXT) | instid1(VALU_DEP_1)
	v_dual_mov_b32 v7, 0 :: v_dual_add_nc_u32 v6, v5, v2
	v_lshlrev_b64 v[6:7], 2, v[6:7]
	s_waitcnt lgkmcnt(0)
	s_delay_alu instid0(VALU_DEP_1) | instskip(NEXT) | instid1(VALU_DEP_1)
	v_add_co_u32 v6, s3, s8, v6
	v_add_co_ci_u32_e64 v7, s3, s9, v7, s3
	global_store_b32 v[6:7], v31, off
	s_or_b32 exec_lo, exec_lo, s4
	s_and_saveexec_b32 s4, s1
	s_cbranch_execz .LBB118_50
.LBB118_79:
	v_dual_mov_b32 v7, 0 :: v_dual_add_nc_u32 v6, v5, v3
	s_delay_alu instid0(VALU_DEP_1) | instskip(SKIP_1) | instid1(VALU_DEP_1)
	v_lshlrev_b64 v[6:7], 2, v[6:7]
	s_waitcnt lgkmcnt(0)
	v_add_co_u32 v6, s3, s8, v6
	s_delay_alu instid0(VALU_DEP_1)
	v_add_co_ci_u32_e64 v7, s3, s9, v7, s3
	global_store_b32 v[6:7], v30, off
	s_or_b32 exec_lo, exec_lo, s4
	s_and_saveexec_b32 s4, s2
	s_cbranch_execnz .LBB118_51
	s_branch .LBB118_52
.LBB118_80:
	s_delay_alu instid0(VALU_DEP_1) | instskip(NEXT) | instid1(VALU_DEP_1)
	v_dual_mov_b32 v7, 0 :: v_dual_add_nc_u32 v6, v5, v0
	v_lshlrev_b64 v[6:7], 2, v[6:7]
	s_waitcnt lgkmcnt(0)
	s_delay_alu instid0(VALU_DEP_1) | instskip(NEXT) | instid1(VALU_DEP_1)
	v_add_co_u32 v6, s3, s8, v6
	v_add_co_ci_u32_e64 v7, s3, s9, v7, s3
	global_store_b32 v[6:7], v28, off
	s_or_b32 exec_lo, exec_lo, s4
	s_and_saveexec_b32 s4, s0
	s_cbranch_execz .LBB118_55
.LBB118_81:
	s_delay_alu instid0(VALU_DEP_1) | instskip(NEXT) | instid1(VALU_DEP_1)
	v_dual_mov_b32 v7, 0 :: v_dual_add_nc_u32 v6, v5, v2
	v_lshlrev_b64 v[6:7], 2, v[6:7]
	s_waitcnt lgkmcnt(0)
	s_delay_alu instid0(VALU_DEP_1) | instskip(NEXT) | instid1(VALU_DEP_1)
	v_add_co_u32 v6, s3, s8, v6
	v_add_co_ci_u32_e64 v7, s3, s9, v7, s3
	global_store_b32 v[6:7], v27, off
	s_or_b32 exec_lo, exec_lo, s4
	s_and_saveexec_b32 s4, s1
	s_cbranch_execz .LBB118_56
.LBB118_82:
	v_dual_mov_b32 v7, 0 :: v_dual_add_nc_u32 v6, v5, v3
	s_delay_alu instid0(VALU_DEP_1) | instskip(SKIP_1) | instid1(VALU_DEP_1)
	v_lshlrev_b64 v[6:7], 2, v[6:7]
	s_waitcnt lgkmcnt(0)
	v_add_co_u32 v6, s3, s8, v6
	s_delay_alu instid0(VALU_DEP_1)
	v_add_co_ci_u32_e64 v7, s3, s9, v7, s3
	global_store_b32 v[6:7], v26, off
	s_or_b32 exec_lo, exec_lo, s4
	s_and_saveexec_b32 s4, s2
	s_cbranch_execnz .LBB118_57
	s_branch .LBB118_58
.LBB118_83:
	s_delay_alu instid0(VALU_DEP_1) | instskip(NEXT) | instid1(VALU_DEP_1)
	v_dual_mov_b32 v6, 0 :: v_dual_add_nc_u32 v5, v1, v0
	v_lshlrev_b64 v[5:6], 2, v[5:6]
	s_waitcnt lgkmcnt(0)
	s_delay_alu instid0(VALU_DEP_1) | instskip(NEXT) | instid1(VALU_DEP_2)
	v_add_co_u32 v5, vcc_lo, s8, v5
	v_add_co_ci_u32_e32 v6, vcc_lo, s9, v6, vcc_lo
	global_store_b32 v[5:6], v24, off
	s_or_b32 exec_lo, exec_lo, s3
	s_and_saveexec_b32 s3, s0
	s_cbranch_execz .LBB118_61
.LBB118_84:
	s_delay_alu instid0(VALU_DEP_1) | instskip(NEXT) | instid1(VALU_DEP_1)
	v_dual_mov_b32 v6, 0 :: v_dual_add_nc_u32 v5, v1, v2
	v_lshlrev_b64 v[5:6], 2, v[5:6]
	s_waitcnt lgkmcnt(0)
	s_delay_alu instid0(VALU_DEP_1) | instskip(NEXT) | instid1(VALU_DEP_2)
	v_add_co_u32 v5, vcc_lo, s8, v5
	v_add_co_ci_u32_e32 v6, vcc_lo, s9, v6, vcc_lo
	global_store_b32 v[5:6], v23, off
	s_or_b32 exec_lo, exec_lo, s3
	s_and_saveexec_b32 s0, s1
	s_cbranch_execz .LBB118_62
.LBB118_85:
	v_dual_mov_b32 v3, 0 :: v_dual_add_nc_u32 v2, v1, v3
	s_delay_alu instid0(VALU_DEP_1) | instskip(SKIP_1) | instid1(VALU_DEP_1)
	v_lshlrev_b64 v[2:3], 2, v[2:3]
	s_waitcnt lgkmcnt(0)
	v_add_co_u32 v2, vcc_lo, s8, v2
	s_delay_alu instid0(VALU_DEP_2) | instskip(SKIP_2) | instid1(SALU_CYCLE_1)
	v_add_co_ci_u32_e32 v3, vcc_lo, s9, v3, vcc_lo
	global_store_b32 v[2:3], v22, off
	s_or_b32 exec_lo, exec_lo, s0
	s_and_b32 exec_lo, exec_lo, s2
	s_cbranch_execnz .LBB118_63
	s_branch .LBB118_64
	.section	.rodata,"a",@progbits
	.p2align	6, 0x0
	.amdhsa_kernel _ZL12mul_mat_q4_0IfLb1EEvPKvS1_PT_iiiii
		.amdhsa_group_segment_fixed_size 30336
		.amdhsa_private_segment_fixed_size 256
		.amdhsa_kernarg_size 44
		.amdhsa_user_sgpr_count 14
		.amdhsa_user_sgpr_dispatch_ptr 0
		.amdhsa_user_sgpr_queue_ptr 0
		.amdhsa_user_sgpr_kernarg_segment_ptr 1
		.amdhsa_user_sgpr_dispatch_id 0
		.amdhsa_user_sgpr_private_segment_size 0
		.amdhsa_wavefront_size32 1
		.amdhsa_uses_dynamic_stack 0
		.amdhsa_enable_private_segment 1
		.amdhsa_system_sgpr_workgroup_id_x 1
		.amdhsa_system_sgpr_workgroup_id_y 1
		.amdhsa_system_sgpr_workgroup_id_z 0
		.amdhsa_system_sgpr_workgroup_info 0
		.amdhsa_system_vgpr_workitem_id 1
		.amdhsa_next_free_vgpr 256
		.amdhsa_next_free_sgpr 16
		.amdhsa_reserve_vcc 1
		.amdhsa_float_round_mode_32 0
		.amdhsa_float_round_mode_16_64 0
		.amdhsa_float_denorm_mode_32 3
		.amdhsa_float_denorm_mode_16_64 3
		.amdhsa_dx10_clamp 1
		.amdhsa_ieee_mode 1
		.amdhsa_fp16_overflow 0
		.amdhsa_workgroup_processor_mode 1
		.amdhsa_memory_ordered 1
		.amdhsa_forward_progress 0
		.amdhsa_shared_vgpr_count 0
		.amdhsa_exception_fp_ieee_invalid_op 0
		.amdhsa_exception_fp_denorm_src 0
		.amdhsa_exception_fp_ieee_div_zero 0
		.amdhsa_exception_fp_ieee_overflow 0
		.amdhsa_exception_fp_ieee_underflow 0
		.amdhsa_exception_fp_ieee_inexact 0
		.amdhsa_exception_int_div_zero 0
	.end_amdhsa_kernel
	.section	.text._ZL12mul_mat_q4_0IfLb1EEvPKvS1_PT_iiiii,"axG",@progbits,_ZL12mul_mat_q4_0IfLb1EEvPKvS1_PT_iiiii,comdat
.Lfunc_end118:
	.size	_ZL12mul_mat_q4_0IfLb1EEvPKvS1_PT_iiiii, .Lfunc_end118-_ZL12mul_mat_q4_0IfLb1EEvPKvS1_PT_iiiii
                                        ; -- End function
	.section	.AMDGPU.csdata,"",@progbits
; Kernel info:
; codeLenInByte = 32228
; NumSgprs: 18
; NumVgprs: 256
; ScratchSize: 256
; MemoryBound: 0
; FloatMode: 240
; IeeeMode: 1
; LDSByteSize: 30336 bytes/workgroup (compile time only)
; SGPRBlocks: 2
; VGPRBlocks: 31
; NumSGPRsForWavesPerEU: 18
; NumVGPRsForWavesPerEU: 256
; Occupancy: 5
; WaveLimiterHint : 0
; COMPUTE_PGM_RSRC2:SCRATCH_EN: 1
; COMPUTE_PGM_RSRC2:USER_SGPR: 14
; COMPUTE_PGM_RSRC2:TRAP_HANDLER: 0
; COMPUTE_PGM_RSRC2:TGID_X_EN: 1
; COMPUTE_PGM_RSRC2:TGID_Y_EN: 1
; COMPUTE_PGM_RSRC2:TGID_Z_EN: 0
; COMPUTE_PGM_RSRC2:TIDIG_COMP_CNT: 1
	.section	.text._ZL12mul_mat_q4_1IfLb0EEvPKvS1_PT_iiiii,"axG",@progbits,_ZL12mul_mat_q4_1IfLb0EEvPKvS1_PT_iiiii,comdat
	.globl	_ZL12mul_mat_q4_1IfLb0EEvPKvS1_PT_iiiii ; -- Begin function _ZL12mul_mat_q4_1IfLb0EEvPKvS1_PT_iiiii
	.p2align	8
	.type	_ZL12mul_mat_q4_1IfLb0EEvPKvS1_PT_iiiii,@function
_ZL12mul_mat_q4_1IfLb0EEvPKvS1_PT_iiiii: ; @_ZL12mul_mat_q4_1IfLb0EEvPKvS1_PT_iiiii
; %bb.0:
	s_clause 0x1
	s_load_b32 s11, s[0:1], 0x18
	s_load_b128 s[4:7], s[0:1], 0x20
	v_bfe_u32 v39, v0, 10, 10
	v_and_b32_e32 v40, 0x3ff, v0
	s_waitcnt lgkmcnt(0)
	s_lshl_b32 s7, s15, 6
	s_cmp_gt_i32 s11, 31
	s_cbranch_scc1 .LBB119_2
; %bb.1:
	v_bfe_u32 v1, v0, 10, 10
	v_and_b32_e32 v0, 0x3ff, v0
	s_mov_b32 s2, 0
	s_mov_b32 s3, 0
	s_delay_alu instid0(VALU_DEP_2)
	v_add_nc_u32_e32 v2, s7, v1
	s_branch .LBB119_3
.LBB119_2:
	s_mov_b32 s2, -1
                                        ; implicit-def: $sgpr3
                                        ; implicit-def: $vgpr1
                                        ; implicit-def: $vgpr0
                                        ; implicit-def: $vgpr2
.LBB119_3:
	s_load_b64 s[8:9], s[0:1], 0x10
	v_dual_mov_b32 v5, s3 :: v_dual_mov_b32 v28, s3
	v_dual_mov_b32 v9, s3 :: v_dual_mov_b32 v6, s3
	;; [unrolled: 1-line block ×15, first 2 shown]
	v_mov_b32_e32 v27, s3
	v_mov_b32_e32 v31, s3
	s_and_not1_b32 vcc_lo, exec_lo, s2
	s_lshl_b32 s10, s14, 7
	s_cbranch_vccnz .LBB119_13
; %bb.4:
	s_load_b128 s[0:3], s[0:1], 0x0
	s_ashr_i32 s12, s11, 31
	s_ashr_i32 s13, s5, 31
	s_lshr_b32 s12, s12, 27
	s_lshr_b32 s13, s13, 27
	s_add_i32 s11, s11, s12
	v_dual_mov_b32 v32, 0 :: v_dual_add_nc_u32 v13, s7, v39
	s_add_i32 s12, s5, s13
	s_ashr_i32 s5, s11, 5
	s_ashr_i32 s12, s12, 5
	s_mul_i32 s13, s5, s10
	v_add_nc_u32_e32 v4, 16, v13
	v_dual_mov_b32 v47, 0 :: v_dual_add_nc_u32 v8, 24, v13
	v_dual_mov_b32 v35, 0 :: v_dual_add_nc_u32 v10, 32, v13
	s_mul_hi_i32 s14, s13, 20
	s_mul_i32 s13, s13, 20
	v_add_nc_u32_e32 v14, 48, v13
	s_waitcnt lgkmcnt(0)
	s_add_u32 s0, s0, s13
	s_addc_u32 s1, s1, s14
	s_add_i32 s13, s4, -1
	v_cvt_f64_u32_e32 v[4:5], v4
	v_cvt_f64_i32_e32 v[6:7], s13
	v_cvt_f64_u32_e32 v[8:9], v8
	v_cvt_f64_u32_e32 v[10:11], v10
	;; [unrolled: 1-line block ×3, first 2 shown]
	v_dual_mov_b32 v36, 0 :: v_dual_lshlrev_b32 v19, 2, v40
	v_lshrrev_b32_e32 v24, 2, v40
	v_and_b32_e32 v23, 7, v40
	v_lshrrev_b32_e32 v22, 3, v40
	s_delay_alu instid0(VALU_DEP_4)
	v_and_b32_e32 v25, 12, v19
	v_and_b32_e32 v18, 3, v40
	v_mul_lo_u32 v27, s5, v39
	s_clause 0x3
	scratch_store_b32 off, v23, off offset:16
	scratch_store_b32 off, v24, off offset:12
	;; [unrolled: 1-line block ×4, first 2 shown]
	v_lshl_add_u32 v24, v39, 3, v24
	v_add_nc_u32_e32 v2, 8, v13
	v_add_nc_u32_e32 v12, 40, v13
	;; [unrolled: 1-line block ×3, first 2 shown]
	v_mad_u32_u24 v26, 0x84, v39, v19
	v_dual_mov_b32 v38, 0 :: v_dual_lshlrev_b32 v25, 2, v18
	v_and_b32_e32 v24, 63, v24
	v_cvt_f64_u32_e32 v[0:1], v13
	v_cvt_f64_u32_e32 v[2:3], v2
	;; [unrolled: 1-line block ×3, first 2 shown]
	v_add_nc_u32_e32 v28, 0x420, v26
	s_clause 0x1
	scratch_store_b32 off, v27, off offset:32
	scratch_store_b32 off, v13, off offset:240
	v_mov_b32_e32 v37, 0
	s_lshl_b32 s14, s5, 3
	scratch_store_b32 off, v28, off offset:40 ; 4-byte Folded Spill
	v_add_nc_u32_e32 v28, 0x840, v26
	v_dual_mov_b32 v34, 0 :: v_dual_add_nc_u32 v27, s14, v27
	v_dual_mov_b32 v33, 0 :: v_dual_and_b32 v20, 31, v40
	v_min_f64 v[4:5], v[4:5], v[6:7]
	v_min_f64 v[8:9], v[8:9], v[6:7]
	;; [unrolled: 1-line block ×4, first 2 shown]
	scratch_store_b32 off, v28, off offset:44 ; 4-byte Folded Spill
	v_add_nc_u32_e32 v28, 0xc60, v26
	v_lshlrev_b32_e32 v21, 7, v39
	v_lshl_add_u32 v22, v39, 2, v22
	v_lshlrev_b32_e32 v23, 2, v23
	s_and_not1_b32 s11, s11, 31
	scratch_store_b32 off, v28, off offset:48 ; 4-byte Folded Spill
	v_add_nc_u32_e32 v28, 0x1080, v26
	s_clause 0x1
	scratch_store_b32 off, v28, off offset:52
	scratch_store_b32 off, v27, off offset:36
	v_add_nc_u32_e32 v27, s14, v27
	v_add_nc_u32_e32 v28, 0x14a0, v26
	v_lshl_or_b32 v20, v20, 2, v21
	v_mul_lo_u32 v30, s5, v22
	v_and_b32_e32 v19, 28, v19
	scratch_store_b32 off, v27, off offset:56 ; 4-byte Folded Spill
	v_add_nc_u32_e32 v27, s14, v27
	v_min_f64 v[0:1], v[0:1], v[6:7]
	v_min_f64 v[2:3], v[2:3], v[6:7]
	v_add_nc_u32_e32 v29, 0x4200, v20
	v_add_nc_u32_e32 v73, 0x4e00, v20
	;; [unrolled: 1-line block ×6, first 2 shown]
	v_lshl_add_u32 v104, v39, 4, 0x7280
	v_cvt_i32_f64_e32 v4, v[4:5]
	v_cvt_i32_f64_e32 v5, v[8:9]
	v_cvt_i32_f64_e32 v8, v[10:11]
	v_cvt_i32_f64_e32 v11, v[14:15]
	v_lshl_or_b32 v14, v24, 4, v25
	v_mov_b32_e32 v25, 0
	v_cvt_f64_u32_e32 v[12:13], v12
	s_delay_alu instid0(VALU_DEP_3)
	v_dual_mov_b32 v14, 0 :: v_dual_add_nc_u32 v83, 0x7280, v14
	v_mul_lo_u32 v88, s12, v4
	v_mul_lo_u32 v89, s12, v5
	v_add_nc_u32_e32 v4, 64, v40
	v_mul_lo_u32 v93, s12, v11
	v_mul_u32_u24_e32 v11, 0x84, v40
	v_add_nc_u32_e32 v5, 32, v40
	v_min_f64 v[12:13], v[12:13], v[6:7]
	v_min_f64 v[6:7], v[16:17], v[6:7]
	v_add_nc_u32_e32 v16, 0x18c0, v26
	scratch_store_b32 off, v28, off offset:64 ; 4-byte Folded Spill
	v_add_nc_u32_e32 v17, 0x2100, v26
	v_mul_lo_u32 v90, s12, v8
	v_and_b32_e32 v4, 0x1fc, v4
	scratch_store_b32 off, v16, off offset:68 ; 4-byte Folded Spill
	v_add_nc_u32_e32 v16, 0x1ce0, v26
	s_clause 0x2
	scratch_store_b32 off, v16, off offset:72
	scratch_store_b32 off, v27, off offset:60
	scratch_store_b32 off, v17, off offset:80
	v_add_nc_u32_e32 v17, 0x2520, v26
	v_add_nc_u32_e32 v16, s14, v27
	v_and_b32_e32 v8, 0x1fc, v5
	v_lshrrev_b32_e32 v5, 3, v5
	scratch_store_b32 off, v17, off offset:84 ; 4-byte Folded Spill
	v_add_nc_u32_e32 v17, 0x2940, v26
	scratch_store_b32 off, v17, off offset:88 ; 4-byte Folded Spill
	v_add_nc_u32_e32 v17, 0x2d60, v26
	s_clause 0x1
	scratch_store_b32 off, v17, off offset:92
	scratch_store_b32 off, v16, off offset:76
	v_add_nc_u32_e32 v17, 0x3180, v26
	v_add_nc_u32_e32 v16, s14, v16
	scratch_store_b32 off, v17, off offset:100 ; 4-byte Folded Spill
	v_add_nc_u32_e32 v17, 0x35a0, v26
	v_add_nc_u32_e32 v27, s14, v16
	v_cvt_i32_f64_e32 v6, v[6:7]
	v_cvt_i32_f64_e32 v9, v[12:13]
	scratch_store_b32 off, v17, off offset:104 ; 4-byte Folded Spill
	v_add_nc_u32_e32 v17, 0x39c0, v26
	s_clause 0x1
	scratch_store_b32 off, v17, off offset:108
	scratch_store_b32 off, v26, off offset:28
	v_add_nc_u32_e32 v17, 0x3de0, v26
	v_add_nc_u32_e32 v28, s14, v27
	s_clause 0x4
	scratch_store_b32 off, v17, off offset:112
	scratch_store_b32 off, v16, off offset:96
	;; [unrolled: 1-line block ×3, first 2 shown]
	scratch_store_b32 off, v29, off
	scratch_store_b32 off, v28, off offset:124
	v_add_nc_u32_e32 v28, s14, v28
	v_add_nc_u32_e32 v29, 0x4600, v20
	v_and_b32_e32 v16, 0x7fc, v22
	v_add_nc_u32_e32 v26, 32, v22
	v_lshlrev_b32_e32 v17, 5, v22
	v_add_nc_u32_e32 v31, s14, v28
	s_clause 0x1
	scratch_store_b32 off, v29, off offset:4
	scratch_store_b32 off, v30, off offset:120
	v_add_nc_u32_e32 v29, 0x4a00, v20
	v_add_nc_u32_e32 v27, 64, v22
	;; [unrolled: 1-line block ×3, first 2 shown]
	v_add3_u32 v10, v16, v23, 0x6200
	v_lshlrev_b32_e32 v7, 5, v26
	scratch_store_b32 off, v29, off offset:8 ; 4-byte Folded Spill
	v_cvt_i32_f64_e32 v29, v[2:3]
	v_add_nc_u32_e32 v3, s14, v31
	scratch_store_b32 off, v28, off offset:128 ; 4-byte Folded Spill
	v_cvt_i32_f64_e32 v28, v[0:1]
	v_and_b32_e32 v0, 0xffc, v26
	v_and_b32_e32 v2, 0xffc, v22
	v_add_nc_u32_e32 v16, s14, v3
	v_and_b32_e32 v1, 0xffc, v27
	v_lshlrev_b32_e32 v13, 5, v22
	v_add3_u32 v15, v0, v23, 0x6200
	v_add3_u32 v22, v2, v23, 0x6200
	v_add_nc_u32_e32 v0, s14, v16
	scratch_store_b32 off, v3, off offset:136 ; 4-byte Folded Spill
	v_or_b32_e32 v3, s7, v24
	v_add_nc_u32_e32 v2, s11, v30
	s_clause 0x1
	scratch_store_b32 off, v31, off offset:132
	scratch_store_b32 off, v16, off offset:140
	v_add3_u32 v16, v1, v23, 0x6200
	v_add_nc_u32_e32 v23, s14, v0
	scratch_store_b32 off, v0, off offset:144 ; 4-byte Folded Spill
	v_mov_b32_e32 v30, 0
	v_add_co_u32 v0, s15, s2, v19
	scratch_store_b32 off, v23, off offset:152 ; 4-byte Folded Spill
	v_min_i32_e32 v19, s13, v3
	v_add_nc_u32_e32 v24, s11, v2
	scratch_store_b32 off, v2, off offset:148 ; 4-byte Folded Spill
	v_add_nc_u32_e32 v23, s14, v23
	v_mul_lo_u32 v95, s12, v6
	v_mad_u64_u32 v[2:3], null, v19, s12, v[18:19]
	scratch_store_b32 off, v24, off offset:156 ; 4-byte Folded Spill
	v_add_nc_u32_e32 v3, s11, v24
	s_clause 0x1
	scratch_store_b32 off, v3, off offset:164
	scratch_store_b32 off, v23, off offset:160
	v_add_nc_u32_e32 v3, s14, v23
	v_lshlrev_b32_e32 v6, 5, v40
	scratch_store_b32 off, v5, off offset:208 ; 4-byte Folded Spill
	v_mul_lo_u32 v91, s12, v9
	v_and_b32_e32 v9, 0xfc, v40
	scratch_store_b32 off, v3, off offset:168 ; 4-byte Folded Spill
	v_add_nc_u32_e32 v3, 0x60, v40
	v_add_nc_u32_e32 v4, v6, v4
	;; [unrolled: 1-line block ×3, first 2 shown]
	scratch_store_b32 off, v39, off offset:232 ; 4-byte Folded Spill
	v_lshlrev_b32_e32 v12, 5, v27
	v_and_b32_e32 v3, 0x1fc, v3
	v_mul_lo_u32 v86, s12, v28
	v_mul_lo_u32 v87, s12, v29
	v_add_co_ci_u32_e64 v1, null, s3, 0, s15
	s_delay_alu instid0(VALU_DEP_4) | instskip(SKIP_3) | instid1(VALU_DEP_4)
	v_add_nc_u32_e32 v3, v6, v3
	v_dual_mov_b32 v31, 0 :: v_dual_add_nc_u32 v6, v6, v9
	v_mov_b32_e32 v27, 0
	v_mov_b32_e32 v19, 0
	v_add_nc_u32_e32 v5, 0x6e00, v3
	scratch_store_b32 off, v11, off offset:172 ; 4-byte Folded Spill
	v_add_nc_u32_e32 v3, 0x6e10, v3
	v_mov_b32_e32 v11, 0
	v_mov_b32_e32 v29, 0
	scratch_store_b32 off, v5, off offset:176 ; 4-byte Folded Spill
	v_dual_mov_b32 v24, 0 :: v_dual_add_nc_u32 v5, 0x6a00, v4
	v_mov_b32_e32 v18, 0
	v_dual_mov_b32 v28, 0 :: v_dual_mov_b32 v23, 0
	scratch_store_b32 off, v5, off offset:180 ; 4-byte Folded Spill
	v_add_nc_u32_e32 v5, 0x6600, v8
	v_mov_b32_e32 v9, 0
	s_mov_b32 s11, 0
	scratch_store_b32 off, v5, off offset:184 ; 4-byte Folded Spill
	v_add_nc_u32_e32 v5, 0x6200, v6
	s_clause 0x2
	scratch_store_b32 off, v5, off offset:188
	scratch_store_b32 off, v3, off offset:212
	;; [unrolled: 1-line block ×3, first 2 shown]
	v_mad_u32_u24 v3, 0x84, v40, 64
	v_mov_b32_e32 v5, 0
	scratch_store_b32 off, v3, off offset:216 ; 4-byte Folded Spill
	v_add_nc_u32_e32 v3, 0x6a10, v4
	scratch_store_b32 off, v3, off offset:220 ; 4-byte Folded Spill
	v_dual_mov_b32 v8, 0 :: v_dual_add_nc_u32 v3, 0x6610, v8
	scratch_store_b32 off, v3, off offset:224 ; 4-byte Folded Spill
	v_dual_mov_b32 v6, 0 :: v_dual_add_nc_u32 v3, 0x6210, v6
	;; [unrolled: 2-line block ×3, first 2 shown]
	v_mov_b32_e32 v17, 0
	scratch_store_b32 off, v3, off offset:192 ; 4-byte Folded Spill
	v_add_nc_u32_e32 v3, v15, v7
	v_mov_b32_e32 v15, 0
	v_mov_b32_e32 v7, 0
	scratch_store_b32 off, v3, off offset:196 ; 4-byte Folded Spill
	v_dual_mov_b32 v16, 0 :: v_dual_add_nc_u32 v3, v16, v12
	v_dual_mov_b32 v12, 0 :: v_dual_add_nc_u32 v103, 0x4200, v21
	scratch_store_b32 off, v3, off offset:200 ; 4-byte Folded Spill
	v_dual_mov_b32 v22, 0 :: v_dual_add_nc_u32 v3, v22, v13
	v_mov_b32_e32 v13, 0
	scratch_store_b32 off, v3, off offset:204 ; 4-byte Folded Spill
	s_branch .LBB119_6
.LBB119_5:                              ;   in Loop: Header=BB119_6 Depth=1
	s_add_i32 s11, s11, 8
	s_delay_alu instid0(SALU_CYCLE_1)
	s_cmp_ge_i32 s11, s5
	s_cbranch_scc1 .LBB119_12
.LBB119_6:                              ; =>This Loop Header: Depth=1
                                        ;     Child Loop BB119_7 Depth 2
                                        ;     Child Loop BB119_10 Depth 2
	s_clause 0x1
	scratch_load_b32 v20, off, off offset:12
	scratch_load_b32 v26, off, off offset:32
	s_mul_i32 s12, s11, 20
	s_mul_hi_u32 s13, s11, 20
	s_add_u32 s12, s0, s12
	s_addc_u32 s13, s1, s13
	v_dual_mov_b32 v115, v104 :: v_dual_mov_b32 v116, v103
	s_waitcnt vmcnt(1)
	v_mad_u64_u32 v[3:4], null, v20, 20, s[12:13]
	scratch_load_b32 v20, off, off offset:24 ; 4-byte Folded Reload
	s_waitcnt vmcnt(0)
	v_add_co_u32 v3, vcc_lo, v3, v20
	v_add_co_ci_u32_e32 v4, vcc_lo, 0, v4, vcc_lo
	s_delay_alu instid0(VALU_DEP_2) | instskip(NEXT) | instid1(VALU_DEP_2)
	v_add_co_u32 v3, vcc_lo, v3, 4
	v_add_co_ci_u32_e32 v4, vcc_lo, 0, v4, vcc_lo
	s_delay_alu instid0(VALU_DEP_1)
	v_mad_u64_u32 v[20:21], null, v26, 20, v[3:4]
	scratch_load_b32 v26, off, off offset:36 ; 4-byte Folded Reload
	s_waitcnt vmcnt(0)
	v_mad_u64_u32 v[48:49], null, v26, 20, v[3:4]
	scratch_load_b32 v26, off, off offset:56 ; 4-byte Folded Reload
	s_waitcnt vmcnt(0)
	v_mad_u64_u32 v[53:54], null, v26, 20, v[3:4]
	scratch_load_b32 v26, off, off offset:60 ; 4-byte Folded Reload
	s_waitcnt vmcnt(0)
	v_mad_u64_u32 v[57:58], null, v26, 20, v[3:4]
	scratch_load_b32 v26, off, off offset:76 ; 4-byte Folded Reload
	s_waitcnt vmcnt(0)
	v_mad_u64_u32 v[59:60], null, v26, 20, v[3:4]
	scratch_load_b32 v26, off, off offset:96 ; 4-byte Folded Reload
	s_waitcnt vmcnt(0)
	v_mad_u64_u32 v[62:63], null, v26, 20, v[3:4]
	scratch_load_b32 v26, off, off offset:116 ; 4-byte Folded Reload
	s_waitcnt vmcnt(0)
	v_mad_u64_u32 v[64:65], null, v26, 20, v[3:4]
	scratch_load_b32 v26, off, off offset:124 ; 4-byte Folded Reload
	s_waitcnt vmcnt(0)
	v_mad_u64_u32 v[105:106], null, v26, 20, v[3:4]
	s_clause 0x7
	global_load_b32 v26, v[20:21], off
	global_load_b32 v42, v[48:49], off
	global_load_b32 v46, v[53:54], off
	global_load_b32 v50, v[57:58], off
	global_load_b32 v55, v[59:60], off
	global_load_b32 v84, v[62:63], off
	global_load_b32 v98, v[64:65], off
	global_load_b32 v122, v[105:106], off
	scratch_load_b32 v39, off, off offset:128 ; 4-byte Folded Reload
	s_waitcnt vmcnt(0)
	v_mad_u64_u32 v[20:21], null, v39, 20, v[3:4]
	scratch_load_b32 v39, off, off offset:132 ; 4-byte Folded Reload
	s_waitcnt vmcnt(0)
	v_mad_u64_u32 v[48:49], null, v39, 20, v[3:4]
	;; [unrolled: 3-line block ×6, first 2 shown]
	scratch_load_b32 v39, off, off offset:152 ; 4-byte Folded Reload
	s_mov_b32 s12, -4
	s_waitcnt vmcnt(0)
	v_mad_u64_u32 v[64:65], null, v39, 20, v[3:4]
	scratch_load_b32 v39, off, off offset:160 ; 4-byte Folded Reload
	s_waitcnt vmcnt(0)
	v_mad_u64_u32 v[105:106], null, v39, 20, v[3:4]
	scratch_load_b32 v39, off, off offset:168 ; 4-byte Folded Reload
	;; [unrolled: 3-line block ×7, first 2 shown]
	s_clause 0xb
	global_load_b32 v123, v[20:21], off
	global_load_b32 v124, v[48:49], off
	;; [unrolled: 1-line block ×12, first 2 shown]
	v_add_nc_u32_e32 v114, s11, v2
	s_waitcnt vmcnt(12)
	v_add_nc_u32_e32 v62, s11, v39
	s_delay_alu instid0(VALU_DEP_1)
	v_add_nc_u32_e32 v20, v62, v86
	v_add_nc_u32_e32 v48, v62, v87
	;; [unrolled: 1-line block ×5, first 2 shown]
	v_mad_i64_i32 v[3:4], null, v20, 36, v[0:1]
	v_add_nc_u32_e32 v63, v62, v91
	v_mad_i64_i32 v[20:21], null, v48, 36, v[0:1]
	v_add_nc_u32_e32 v64, v62, v93
	;; [unrolled: 2-line block ×3, first 2 shown]
	v_mad_i64_i32 v[53:54], null, v57, 36, v[0:1]
	v_mad_i64_i32 v[57:58], null, v59, 36, v[0:1]
	;; [unrolled: 1-line block ×5, first 2 shown]
	v_mad_u64_u32 v[105:106], null, v114, 36, s[2:3]
	s_clause 0x8
	global_load_b32 v3, v[3:4], off offset:4
	global_load_b32 v4, v[20:21], off offset:4
	;; [unrolled: 1-line block ×8, first 2 shown]
	global_load_b32 v57, v[105:106], off
	s_clause 0x5
	scratch_load_b32 v117, off, off offset:172
	scratch_load_b32 v118, off, off offset:188
	;; [unrolled: 1-line block ×6, first 2 shown]
	s_waitcnt vmcnt(0)
	ds_store_b32 v39, v26
	scratch_load_b32 v26, off, off offset:40 ; 4-byte Folded Reload
	s_waitcnt vmcnt(0)
	ds_store_b32 v26, v42
	scratch_load_b32 v26, off, off offset:44 ; 4-byte Folded Reload
	;; [unrolled: 3-line block ×19, first 2 shown]
	s_waitcnt vmcnt(0)
	ds_store_b32 v26, v111
	scratch_load_b32 v26, off, off          ; 4-byte Folded Reload
	s_waitcnt vmcnt(0)
	ds_store_b32 v26, v3
	scratch_load_b32 v3, off, off offset:4  ; 4-byte Folded Reload
	s_waitcnt vmcnt(0)
	ds_store_b32 v3, v4
	scratch_load_b32 v3, off, off offset:8  ; 4-byte Folded Reload
	s_waitcnt vmcnt(0)
	ds_store_b32 v3, v20
	ds_store_b32 v73, v21
	;; [unrolled: 1-line block ×7, first 2 shown]
	s_waitcnt lgkmcnt(0)
	s_waitcnt_vscnt null, 0x0
	s_barrier
	buffer_gl0_inv
.LBB119_7:                              ;   Parent Loop BB119_6 Depth=1
                                        ; =>  This Inner Loop Header: Depth=2
	ds_load_b128 v[57:60], v116
	ds_load_b128 v[62:65], v116 offset:16
	ds_load_2addr_b32 v[3:4], v115 offset1:32
	ds_load_b32 v152, v118
	ds_load_2addr_b32 v[20:21], v117 offset1:1
	v_add_nc_u32_e32 v118, 4, v118
	s_add_i32 s12, s12, 4
	s_delay_alu instid0(SALU_CYCLE_1)
	s_cmp_lt_u32 s12, 12
	s_waitcnt lgkmcnt(4)
	v_bfe_i32 v26, v57, 0, 8
	s_waitcnt lgkmcnt(3)
	v_bfe_i32 v49, v62, 0, 8
	v_bfe_i32 v55, v58, 0, 8
	s_waitcnt lgkmcnt(0)
	v_bfe_u32 v155, v20, 20, 4
	v_and_b32_e32 v156, 15, v20
	v_bfe_u32 v157, v20, 8, 4
	v_bfe_u32 v159, v20, 16, 4
	;; [unrolled: 1-line block ×5, first 2 shown]
	v_lshrrev_b32_e32 v162, 28, v20
	v_bfe_u32 v158, v21, 20, 4
	v_and_b32_e32 v163, 15, v21
	v_bfe_u32 v164, v21, 8, 4
	v_bfe_u32 v165, v21, 16, 4
	;; [unrolled: 1-line block ×5, first 2 shown]
	v_lshrrev_b32_e32 v171, 28, v21
	ds_load_2addr_b32 v[20:21], v117 offset0:2 offset1:3
	v_bfe_i32 v84, v63, 0, 8
	v_mul_i32_i24_e32 v122, v156, v26
	v_bfe_i32 v42, v57, 8, 8
	v_bfe_i32 v106, v59, 0, 8
	v_mul_i32_i24_e32 v129, v163, v55
	v_mul_i32_i24_e32 v133, v168, v84
	v_mad_i32_i24 v122, v153, v49, v122
	v_bfe_i32 v46, v57, 16, 8
	v_ashrrev_i32_e32 v48, 24, v57
	v_mul_i32_i24_e32 v123, v157, v42
	v_bfe_i32 v109, v64, 0, 8
	v_add3_u32 v122, v122, v129, v133
	v_bfe_i32 v112, v60, 0, 8
	v_mul_i32_i24_e32 v124, v159, v46
	v_mul_i32_i24_e32 v125, v160, v48
	v_bfe_i32 v50, v62, 8, 8
	v_bfe_i32 v53, v62, 16, 8
	v_ashrrev_i32_e32 v54, 24, v62
	v_bfe_i32 v57, v58, 8, 8
	s_waitcnt lgkmcnt(0)
	v_and_b32_e32 v172, 15, v20
	v_bfe_u32 v177, v20, 4, 4
	v_and_b32_e32 v181, 15, v21
	v_mul_i32_i24_e32 v126, v161, v50
	v_mul_i32_i24_e32 v127, v155, v53
	;; [unrolled: 1-line block ×5, first 2 shown]
	v_bfe_i32 v62, v58, 16, 8
	v_ashrrev_i32_e32 v58, 24, v58
	v_add3_u32 v122, v122, v137, v123
	v_mul_i32_i24_e32 v128, v162, v54
	v_mul_i32_i24_e32 v130, v164, v57
	v_bfe_i32 v98, v63, 8, 8
	v_bfe_i32 v150, v65, 0, 8
	v_add3_u32 v122, v122, v124, v125
	v_mul_i32_i24_e32 v131, v165, v62
	v_mul_i32_i24_e32 v132, v167, v58
	v_bfe_u32 v185, v21, 4, 4
	v_bfe_i32 v105, v63, 16, 8
	v_add3_u32 v122, v122, v141, v144
	v_ashrrev_i32_e32 v63, 24, v63
	v_mul_i32_i24_e32 v134, v169, v98
	v_mul_i32_i24_e32 v149, v185, v150
	v_bfe_i32 v107, v59, 8, 8
	v_add3_u32 v122, v122, v126, v127
	v_bfe_i32 v108, v59, 16, 8
	v_mul_i32_i24_e32 v135, v158, v105
	v_mul_i32_i24_e32 v136, v171, v63
	v_bfe_u32 v173, v20, 8, 4
	v_add3_u32 v122, v122, v128, v130
	v_bfe_u32 v175, v20, 16, 4
	v_ashrrev_i32_e32 v59, 24, v59
	v_bfe_i32 v110, v64, 8, 8
	v_mul_i32_i24_e32 v138, v173, v107
	v_add3_u32 v122, v122, v131, v132
	v_mul_i32_i24_e32 v139, v175, v108
	v_bfe_u32 v176, v20, 24, 4
	v_bfe_u32 v178, v20, 12, 4
	v_bfe_i32 v111, v64, 16, 8
	v_add3_u32 v122, v122, v149, v134
	v_ashrrev_i32_e32 v64, 24, v64
	v_bfe_u32 v166, v20, 20, 4
	v_mul_i32_i24_e32 v140, v176, v59
	v_mul_i32_i24_e32 v142, v178, v110
	v_add3_u32 v122, v122, v135, v136
	v_lshrrev_b32_e32 v179, 28, v20
	v_bfe_i32 v113, v60, 8, 8
	v_bfe_i32 v148, v60, 16, 8
	v_mul_i32_i24_e32 v143, v166, v111
	v_add3_u32 v122, v122, v138, v139
	v_mul_i32_i24_e32 v20, v179, v64
	v_bfe_u32 v182, v21, 8, 4
	v_bfe_u32 v183, v21, 16, 4
	v_ashrrev_i32_e32 v60, 24, v60
	v_add3_u32 v122, v122, v140, v142
	v_bfe_i32 v151, v65, 8, 8
	v_mul_i32_i24_e32 v145, v182, v113
	v_mul_i32_i24_e32 v146, v183, v148
	v_bfe_u32 v184, v21, 24, 4
	v_bfe_u32 v186, v21, 12, 4
	v_add3_u32 v20, v122, v143, v20
	v_bfe_i32 v254, v65, 16, 8
	v_ashrrev_i32_e32 v65, 24, v65
	v_bfe_u32 v174, v21, 20, 4
	v_mul_i32_i24_e32 v147, v184, v60
	v_mul_i32_i24_e32 v154, v186, v151
	v_lshrrev_b32_e32 v188, 28, v21
	v_add3_u32 v20, v20, v145, v146
	v_mul_i32_i24_e32 v170, v174, v254
	s_delay_alu instid0(VALU_DEP_3) | instskip(NEXT) | instid1(VALU_DEP_3)
	v_mul_i32_i24_e32 v21, v188, v65
	v_add3_u32 v20, v20, v147, v154
	s_delay_alu instid0(VALU_DEP_1) | instskip(SKIP_1) | instid1(VALU_DEP_2)
	v_add3_u32 v20, v20, v170, v21
	v_pk_mul_f16 v21, v3, v152
	v_cvt_f32_i32_e32 v20, v20
	s_delay_alu instid0(VALU_DEP_1) | instskip(NEXT) | instid1(VALU_DEP_1)
	v_fma_mix_f32 v20, v21, v20, v21 op_sel:[0,0,1] op_sel_hi:[1,0,1]
	v_add_f32_e32 v32, v32, v20
	v_add_nc_u32_e32 v20, 0x1080, v117
	ds_load_b32 v154, v119
	ds_load_2addr_b32 v[20:21], v20 offset1:1
	v_add_nc_u32_e32 v119, 4, v119
	s_waitcnt lgkmcnt(0)
	v_bfe_u32 v187, v20, 20, 4
	v_and_b32_e32 v189, 15, v20
	v_bfe_u32 v190, v20, 8, 4
	v_bfe_u32 v192, v20, 16, 4
	;; [unrolled: 1-line block ×5, first 2 shown]
	v_lshrrev_b32_e32 v195, 28, v20
	v_add_nc_u32_e32 v20, 0x1088, v117
	v_bfe_u32 v191, v21, 20, 4
	v_and_b32_e32 v196, 15, v21
	v_bfe_u32 v197, v21, 8, 4
	v_bfe_u32 v198, v21, 16, 4
	;; [unrolled: 1-line block ×5, first 2 shown]
	v_lshrrev_b32_e32 v203, 28, v21
	ds_load_2addr_b32 v[20:21], v20 offset1:1
	v_mul_i32_i24_e32 v122, v189, v26
	v_mul_i32_i24_e32 v129, v196, v55
	;; [unrolled: 1-line block ×5, first 2 shown]
	v_mad_i32_i24 v122, v170, v49, v122
	v_mul_i32_i24_e32 v125, v193, v48
	v_mul_i32_i24_e32 v126, v194, v50
	;; [unrolled: 1-line block ×4, first 2 shown]
	v_add3_u32 v122, v122, v129, v133
	v_mul_i32_i24_e32 v130, v197, v57
	v_mul_i32_i24_e32 v131, v198, v62
	;; [unrolled: 1-line block ×6, first 2 shown]
	s_waitcnt lgkmcnt(0)
	v_and_b32_e32 v205, 15, v20
	v_bfe_u32 v210, v20, 4, 4
	v_and_b32_e32 v213, 15, v21
	v_bfe_u32 v217, v21, 4, 4
	v_bfe_u32 v206, v20, 8, 4
	v_mul_i32_i24_e32 v137, v205, v106
	v_mul_i32_i24_e32 v141, v210, v109
	;; [unrolled: 1-line block ×4, first 2 shown]
	v_bfe_u32 v208, v20, 16, 4
	v_add3_u32 v122, v122, v137, v123
	v_mul_i32_i24_e32 v138, v206, v107
	v_bfe_u32 v209, v20, 24, 4
	v_bfe_u32 v211, v20, 12, 4
	v_mul_i32_i24_e32 v139, v208, v108
	v_add3_u32 v122, v122, v124, v125
	v_bfe_u32 v200, v20, 20, 4
	v_mul_i32_i24_e32 v140, v209, v59
	v_mul_i32_i24_e32 v142, v211, v110
	v_lshrrev_b32_e32 v212, 28, v20
	v_add3_u32 v122, v122, v141, v144
	v_mul_i32_i24_e32 v143, v200, v111
	v_bfe_u32 v214, v21, 8, 4
	v_bfe_u32 v215, v21, 16, 4
	v_mul_i32_i24_e32 v20, v212, v64
	v_add3_u32 v122, v122, v126, v127
	v_bfe_u32 v216, v21, 24, 4
	v_mul_i32_i24_e32 v145, v214, v113
	v_mul_i32_i24_e32 v146, v215, v148
	v_bfe_u32 v218, v21, 12, 4
	v_add3_u32 v122, v122, v128, v130
	v_bfe_u32 v207, v21, 20, 4
	v_mul_i32_i24_e32 v147, v216, v60
	v_lshrrev_b32_e32 v220, 28, v21
	v_mul_i32_i24_e32 v180, v218, v151
	v_add3_u32 v122, v122, v131, v132
	v_mul_i32_i24_e32 v204, v207, v254
	s_delay_alu instid0(VALU_DEP_4) | instskip(NEXT) | instid1(VALU_DEP_3)
	v_mul_i32_i24_e32 v21, v220, v65
	v_add3_u32 v122, v122, v149, v134
	s_delay_alu instid0(VALU_DEP_1) | instskip(NEXT) | instid1(VALU_DEP_1)
	v_add3_u32 v122, v122, v135, v136
	v_add3_u32 v122, v122, v138, v139
	s_delay_alu instid0(VALU_DEP_1) | instskip(NEXT) | instid1(VALU_DEP_1)
	v_add3_u32 v122, v122, v140, v142
	;; [unrolled: 3-line block ×3, first 2 shown]
	v_add3_u32 v20, v20, v147, v180
	s_delay_alu instid0(VALU_DEP_1) | instskip(SKIP_1) | instid1(VALU_DEP_2)
	v_add3_u32 v20, v20, v204, v21
	v_pk_mul_f16 v21, v3, v154
	v_cvt_f32_i32_e32 v20, v20
	s_delay_alu instid0(VALU_DEP_1) | instskip(NEXT) | instid1(VALU_DEP_1)
	v_fma_mix_f32 v20, v21, v20, v21 op_sel:[0,0,1] op_sel_hi:[1,0,1]
	v_dual_add_f32 v47, v47, v20 :: v_dual_add_nc_u32 v20, 0x2100, v117
	ds_load_b32 v180, v120
	ds_load_2addr_b32 v[20:21], v20 offset1:1
	v_add_nc_u32_e32 v120, 4, v120
	s_waitcnt lgkmcnt(0)
	v_bfe_u32 v219, v20, 20, 4
	v_and_b32_e32 v221, 15, v20
	v_bfe_u32 v222, v20, 8, 4
	v_bfe_u32 v224, v20, 16, 4
	;; [unrolled: 1-line block ×5, first 2 shown]
	v_lshrrev_b32_e32 v227, 28, v20
	v_add_nc_u32_e32 v20, 0x2108, v117
	v_bfe_u32 v223, v21, 20, 4
	v_and_b32_e32 v228, 15, v21
	v_bfe_u32 v229, v21, 8, 4
	v_bfe_u32 v230, v21, 16, 4
	;; [unrolled: 1-line block ×5, first 2 shown]
	v_lshrrev_b32_e32 v235, 28, v21
	ds_load_2addr_b32 v[20:21], v20 offset1:1
	v_mul_i32_i24_e32 v122, v221, v26
	v_mul_i32_i24_e32 v129, v228, v55
	;; [unrolled: 1-line block ×5, first 2 shown]
	v_mad_i32_i24 v122, v204, v49, v122
	v_mul_i32_i24_e32 v125, v225, v48
	v_mul_i32_i24_e32 v126, v226, v50
	;; [unrolled: 1-line block ×4, first 2 shown]
	v_add3_u32 v122, v122, v129, v133
	v_mul_i32_i24_e32 v130, v229, v57
	v_mul_i32_i24_e32 v131, v230, v62
	;; [unrolled: 1-line block ×6, first 2 shown]
	s_waitcnt lgkmcnt(0)
	v_and_b32_e32 v236, 15, v20
	v_bfe_u32 v241, v20, 4, 4
	v_and_b32_e32 v244, 15, v21
	v_bfe_u32 v248, v21, 4, 4
	v_bfe_u32 v237, v20, 8, 4
	v_mul_i32_i24_e32 v137, v236, v106
	v_mul_i32_i24_e32 v141, v241, v109
	;; [unrolled: 1-line block ×4, first 2 shown]
	v_bfe_u32 v239, v20, 16, 4
	v_add3_u32 v122, v122, v137, v123
	v_mul_i32_i24_e32 v138, v237, v107
	v_bfe_u32 v240, v20, 24, 4
	v_bfe_u32 v242, v20, 12, 4
	v_mul_i32_i24_e32 v139, v239, v108
	v_add3_u32 v122, v122, v124, v125
	v_bfe_u32 v232, v20, 20, 4
	v_mul_i32_i24_e32 v140, v240, v59
	v_mul_i32_i24_e32 v142, v242, v110
	v_lshrrev_b32_e32 v243, 28, v20
	v_add3_u32 v122, v122, v141, v144
	v_mul_i32_i24_e32 v143, v232, v111
	v_bfe_u32 v245, v21, 8, 4
	v_bfe_u32 v246, v21, 16, 4
	v_mul_i32_i24_e32 v20, v243, v64
	v_add3_u32 v122, v122, v126, v127
	v_bfe_u32 v247, v21, 24, 4
	v_mul_i32_i24_e32 v145, v245, v113
	v_mul_i32_i24_e32 v146, v246, v148
	v_bfe_u32 v249, v21, 12, 4
	v_add3_u32 v122, v122, v128, v130
	v_bfe_u32 v238, v21, 20, 4
	v_mul_i32_i24_e32 v147, v247, v60
	v_lshrrev_b32_e32 v250, 28, v21
	v_mul_i32_i24_e32 v251, v249, v151
	v_add3_u32 v122, v122, v131, v132
	v_mul_i32_i24_e32 v252, v238, v254
	s_delay_alu instid0(VALU_DEP_4) | instskip(NEXT) | instid1(VALU_DEP_3)
	v_mul_i32_i24_e32 v21, v250, v65
	v_add3_u32 v122, v122, v149, v134
	s_delay_alu instid0(VALU_DEP_1) | instskip(NEXT) | instid1(VALU_DEP_1)
	v_add3_u32 v122, v122, v135, v136
	v_add3_u32 v122, v122, v138, v139
	s_delay_alu instid0(VALU_DEP_1) | instskip(NEXT) | instid1(VALU_DEP_1)
	v_add3_u32 v122, v122, v140, v142
	;; [unrolled: 3-line block ×3, first 2 shown]
	v_add3_u32 v20, v20, v147, v251
	s_delay_alu instid0(VALU_DEP_1) | instskip(SKIP_1) | instid1(VALU_DEP_2)
	v_add3_u32 v20, v20, v252, v21
	v_pk_mul_f16 v21, v3, v180
	v_cvt_f32_i32_e32 v20, v20
	s_delay_alu instid0(VALU_DEP_1) | instskip(NEXT) | instid1(VALU_DEP_1)
	v_fma_mix_f32 v20, v21, v20, v21 op_sel:[0,0,1] op_sel_hi:[1,0,1]
	v_add_f32_e32 v38, v38, v20
	v_add_nc_u32_e32 v20, 0x3180, v117
	ds_load_b32 v122, v121
	ds_load_2addr_b32 v[20:21], v20 offset1:1
	v_add_nc_u32_e32 v121, 4, v121
	s_waitcnt lgkmcnt(1)
	v_pk_mul_f16 v3, v3, v122
	s_waitcnt lgkmcnt(0)
	v_bfe_u32 v124, v20, 20, 4
	v_and_b32_e32 v251, 15, v20
	v_bfe_u32 v252, v20, 8, 4
	v_bfe_u32 v253, v20, 16, 4
	;; [unrolled: 1-line block ×5, first 2 shown]
	v_lshrrev_b32_e32 v128, 28, v20
	v_add_nc_u32_e32 v20, 0x3188, v117
	v_bfe_u32 v125, v21, 20, 4
	v_and_b32_e32 v129, 15, v21
	v_bfe_u32 v130, v21, 8, 4
	v_bfe_u32 v131, v21, 16, 4
	;; [unrolled: 1-line block ×5, first 2 shown]
	v_lshrrev_b32_e32 v136, 28, v21
	ds_load_2addr_b32 v[20:21], v20 offset1:1
	v_mul_i32_i24_e32 v26, v251, v26
	v_mul_i32_i24_e32 v55, v129, v55
	;; [unrolled: 1-line block ×5, first 2 shown]
	v_mad_i32_i24 v26, v123, v49, v26
	v_mul_i32_i24_e32 v48, v126, v48
	v_mul_i32_i24_e32 v50, v127, v50
	;; [unrolled: 1-line block ×4, first 2 shown]
	v_add3_u32 v26, v26, v55, v84
	v_mul_i32_i24_e32 v57, v130, v57
	v_mul_i32_i24_e32 v62, v131, v62
	;; [unrolled: 1-line block ×6, first 2 shown]
	v_add_nc_u32_e32 v117, 16, v117
	s_waitcnt lgkmcnt(0)
	v_and_b32_e32 v137, 15, v20
	v_bfe_u32 v142, v20, 4, 4
	v_lshrrev_b32_e32 v144, 28, v20
	v_and_b32_e32 v145, 15, v21
	v_bfe_u32 v133, v20, 20, 4
	v_mul_i32_i24_e32 v106, v137, v106
	v_bfe_u32 v138, v20, 8, 4
	v_bfe_u32 v140, v20, 16, 4
	;; [unrolled: 1-line block ×3, first 2 shown]
	v_mul_i32_i24_e32 v109, v142, v109
	v_add3_u32 v26, v26, v106, v42
	v_bfe_u32 v143, v20, 12, 4
	v_mul_i32_i24_e32 v20, v144, v64
	v_mul_i32_i24_e32 v64, v145, v112
	v_bfe_u32 v149, v21, 4, 4
	v_add3_u32 v26, v26, v46, v48
	v_mul_i32_i24_e32 v107, v138, v107
	v_mul_i32_i24_e32 v108, v140, v108
	;; [unrolled: 1-line block ×4, first 2 shown]
	v_add3_u32 v26, v26, v109, v64
	v_mul_i32_i24_e32 v110, v143, v110
	v_mul_i32_i24_e32 v111, v133, v111
	v_bfe_u32 v146, v21, 8, 4
	v_bfe_u32 v147, v21, 16, 4
	v_add3_u32 v26, v26, v50, v53
	v_bfe_u32 v150, v21, 12, 4
	v_bfe_u32 v139, v21, 20, 4
	v_mul_i32_i24_e32 v112, v146, v113
	v_mul_i32_i24_e32 v113, v147, v148
	v_add3_u32 v26, v26, v54, v57
	v_bfe_u32 v148, v21, 24, 4
	v_mul_i32_i24_e32 v85, v150, v151
	v_lshrrev_b32_e32 v151, 28, v21
	v_mul_i32_i24_e32 v254, v139, v254
	v_add3_u32 v26, v26, v62, v58
	v_mul_i32_i24_e32 v60, v148, v60
	s_delay_alu instid0(VALU_DEP_4) | instskip(NEXT) | instid1(VALU_DEP_3)
	v_mul_i32_i24_e32 v21, v151, v65
	v_add3_u32 v26, v26, v255, v98
	s_delay_alu instid0(VALU_DEP_1) | instskip(NEXT) | instid1(VALU_DEP_1)
	v_add3_u32 v26, v26, v105, v63
	v_add3_u32 v26, v26, v107, v108
	s_delay_alu instid0(VALU_DEP_1) | instskip(NEXT) | instid1(VALU_DEP_1)
	v_add3_u32 v26, v26, v59, v110
	;; [unrolled: 3-line block ×3, first 2 shown]
	v_add3_u32 v20, v20, v60, v85
	ds_load_b128 v[57:60], v116 offset:1024
	ds_load_b128 v[62:65], v116 offset:1040
	v_add3_u32 v20, v20, v254, v21
	s_delay_alu instid0(VALU_DEP_1) | instskip(NEXT) | instid1(VALU_DEP_1)
	v_cvt_f32_i32_e32 v20, v20
	v_fma_mix_f32 v3, v3, v20, v3 op_sel:[0,0,1] op_sel_hi:[1,0,1]
	s_delay_alu instid0(VALU_DEP_1)
	v_add_f32_e32 v37, v37, v3
	s_waitcnt lgkmcnt(1)
	v_bfe_i32 v3, v57, 0, 8
	v_bfe_i32 v20, v57, 8, 8
	;; [unrolled: 1-line block ×3, first 2 shown]
	s_waitcnt lgkmcnt(0)
	v_bfe_i32 v42, v62, 0, 8
	v_ashrrev_i32_e32 v26, 24, v57
	v_mul_i32_i24_e32 v254, v3, v156
	v_bfe_i32 v50, v58, 0, 8
	v_mul_i32_i24_e32 v255, v20, v157
	v_mul_i32_i24_e32 v97, v21, v159
	v_bfe_i32 v46, v62, 8, 8
	v_mad_i32_i24 v254, v42, v153, v254
	v_bfe_i32 v48, v62, 16, 8
	v_mul_i32_i24_e32 v99, v26, v160
	v_mul_i32_i24_e32 v39, v50, v163
	v_ashrrev_i32_e32 v49, 24, v62
	v_add3_u32 v97, v254, v255, v97
	v_bfe_i32 v57, v63, 0, 8
	v_mul_i32_i24_e32 v100, v46, v161
	v_mul_i32_i24_e32 v101, v48, v155
	v_bfe_i32 v53, v58, 8, 8
	v_add3_u32 v39, v97, v99, v39
	v_bfe_i32 v54, v58, 16, 8
	v_mul_i32_i24_e32 v102, v49, v162
	v_mul_i32_i24_e32 v45, v57, v168
	v_ashrrev_i32_e32 v55, 24, v58
	v_add3_u32 v39, v39, v100, v101
	v_bfe_i32 v84, v59, 0, 8
	v_mul_i32_i24_e32 v40, v53, v164
	v_mul_i32_i24_e32 v41, v54, v165
	v_bfe_i32 v58, v63, 8, 8
	v_add3_u32 v39, v39, v102, v45
	v_bfe_i32 v62, v63, 16, 8
	v_mul_i32_i24_e32 v44, v55, v167
	v_mul_i32_i24_e32 v61, v84, v172
	v_ashrrev_i32_e32 v63, 24, v63
	v_add3_u32 v39, v39, v40, v41
	v_bfe_i32 v105, v64, 0, 8
	v_mul_i32_i24_e32 v51, v58, v169
	v_mul_i32_i24_e32 v52, v62, v158
	v_bfe_i32 v85, v59, 8, 8
	v_add3_u32 v39, v39, v44, v61
	v_bfe_i32 v98, v59, 16, 8
	v_mul_i32_i24_e32 v56, v63, v171
	v_mul_i32_i24_e32 v70, v105, v177
	v_ashrrev_i32_e32 v59, 24, v59
	v_add3_u32 v39, v39, v51, v52
	v_bfe_i32 v108, v60, 0, 8
	v_mul_i32_i24_e32 v66, v85, v173
	v_mul_i32_i24_e32 v67, v98, v175
	v_bfe_i32 v106, v64, 8, 8
	v_add3_u32 v39, v39, v56, v70
	v_bfe_i32 v107, v64, 16, 8
	v_mul_i32_i24_e32 v68, v59, v176
	v_mul_i32_i24_e32 v78, v108, v181
	v_ashrrev_i32_e32 v64, 24, v64
	v_add3_u32 v39, v39, v66, v67
	v_bfe_i32 v111, v65, 0, 8
	v_mul_i32_i24_e32 v75, v106, v178
	v_mul_i32_i24_e32 v76, v107, v166
	v_bfe_i32 v109, v60, 8, 8
	v_add3_u32 v39, v39, v68, v78
	v_bfe_i32 v110, v60, 16, 8
	v_mul_i32_i24_e32 v77, v64, v179
	v_mul_i32_i24_e32 v82, v111, v185
	v_ashrrev_i32_e32 v60, 24, v60
	v_add3_u32 v39, v39, v75, v76
	v_bfe_i32 v112, v65, 8, 8
	v_mul_i32_i24_e32 v79, v109, v182
	v_mul_i32_i24_e32 v80, v110, v183
	v_bfe_i32 v113, v65, 16, 8
	v_add3_u32 v39, v39, v77, v82
	v_ashrrev_i32_e32 v65, 24, v65
	v_mul_i32_i24_e32 v81, v60, v184
	v_mul_i32_i24_e32 v43, v112, v186
	v_mul_i32_i24_e32 v69, v113, v174
	v_add3_u32 v39, v39, v79, v80
	v_mul_i32_i24_e32 v71, v65, v188
	v_pk_mul_f16 v40, v152, v4
	v_mul_i32_i24_e32 v41, v21, v192
	v_mul_i32_i24_e32 v52, v50, v196
	v_add3_u32 v39, v39, v81, v43
	v_mul_i32_i24_e32 v43, v26, v193
	v_mul_i32_i24_e32 v44, v46, v194
	v_mul_i32_i24_e32 v45, v48, v187
	v_mul_i32_i24_e32 v51, v49, v195
	v_add3_u32 v39, v39, v69, v71
	v_mul_i32_i24_e32 v67, v57, v201
	v_mul_i32_i24_e32 v56, v53, v197
	;; [unrolled: 1-line block ×4, first 2 shown]
	v_cvt_f32_i32_e32 v39, v39
	v_mul_i32_i24_e32 v71, v84, v205
	v_mul_i32_i24_e32 v68, v58, v202
	;; [unrolled: 1-line block ×4, first 2 shown]
	v_fma_mix_f32 v39, v40, v39, v40 op_sel:[0,0,1] op_sel_hi:[1,0,1]
	v_mul_i32_i24_e32 v40, v20, v190
	v_mul_i32_i24_e32 v78, v105, v210
	v_mul_i32_i24_e32 v75, v85, v206
	v_mul_i32_i24_e32 v76, v98, v208
	v_add_f32_e32 v36, v36, v39
	v_mul_i32_i24_e32 v39, v3, v189
	v_mul_i32_i24_e32 v77, v59, v209
	;; [unrolled: 1-line block ×5, first 2 shown]
	v_mad_i32_i24 v39, v42, v170, v39
	v_mul_i32_i24_e32 v81, v64, v212
	v_mul_i32_i24_e32 v101, v111, v217
	;; [unrolled: 1-line block ×4, first 2 shown]
	v_add3_u32 v39, v39, v40, v41
	v_mul_i32_i24_e32 v100, v60, v216
	v_mul_i32_i24_e32 v102, v112, v218
	;; [unrolled: 1-line block ×4, first 2 shown]
	v_add3_u32 v39, v39, v43, v52
	v_pk_mul_f16 v40, v154, v4
	v_mul_i32_i24_e32 v41, v21, v224
	v_mul_i32_i24_e32 v43, v26, v225
	;; [unrolled: 1-line block ×3, first 2 shown]
	v_add3_u32 v39, v39, v44, v45
	v_mul_i32_i24_e32 v44, v46, v226
	v_mul_i32_i24_e32 v45, v48, v219
	;; [unrolled: 1-line block ×4, first 2 shown]
	v_add3_u32 v39, v39, v51, v67
	v_mul_i32_i24_e32 v51, v49, v227
	v_mul_i32_i24_e32 v67, v57, v233
	s_delay_alu instid0(VALU_DEP_3) | instskip(SKIP_2) | instid1(VALU_DEP_3)
	v_add3_u32 v39, v39, v56, v61
	v_mul_i32_i24_e32 v56, v53, v229
	v_mul_i32_i24_e32 v61, v54, v230
	v_add3_u32 v39, v39, v66, v71
	v_mul_i32_i24_e32 v66, v55, v231
	v_mul_i32_i24_e32 v71, v84, v236
	s_delay_alu instid0(VALU_DEP_3) | instskip(SKIP_2) | instid1(VALU_DEP_3)
	v_add3_u32 v39, v39, v68, v69
	v_mul_i32_i24_e32 v68, v58, v234
	v_mul_i32_i24_e32 v69, v62, v223
	;; [unrolled: 7-line block ×5, first 2 shown]
	v_add3_u32 v39, v39, v100, v102
	v_mul_i32_i24_e32 v100, v60, v247
	v_mul_i32_i24_e32 v102, v112, v249
	;; [unrolled: 1-line block ×3, first 2 shown]
	s_delay_alu instid0(VALU_DEP_4) | instskip(SKIP_3) | instid1(VALU_DEP_4)
	v_add3_u32 v39, v39, v254, v255
	v_mul_i32_i24_e32 v254, v113, v238
	v_mul_i32_i24_e32 v255, v65, v250
	;; [unrolled: 1-line block ×3, first 2 shown]
	v_cvt_f32_i32_e32 v39, v39
	s_delay_alu instid0(VALU_DEP_1) | instskip(SKIP_2) | instid1(VALU_DEP_3)
	v_fma_mix_f32 v39, v40, v39, v40 op_sel:[0,0,1] op_sel_hi:[1,0,1]
	v_mul_i32_i24_e32 v40, v20, v222
	v_mul_i32_i24_e32 v20, v20, v252
	v_add_f32_e32 v35, v35, v39
	v_mul_i32_i24_e32 v39, v3, v221
	v_mul_i32_i24_e32 v3, v3, v251
	s_delay_alu instid0(VALU_DEP_2) | instskip(NEXT) | instid1(VALU_DEP_2)
	v_mad_i32_i24 v39, v42, v204, v39
	v_mad_i32_i24 v3, v42, v123, v3
	s_delay_alu instid0(VALU_DEP_2) | instskip(SKIP_1) | instid1(VALU_DEP_3)
	v_add3_u32 v39, v39, v40, v41
	v_pk_mul_f16 v40, v180, v4
	v_add3_u32 v3, v3, v20, v21
	v_mul_i32_i24_e32 v41, v49, v128
	v_mul_i32_i24_e32 v49, v58, v135
	v_add3_u32 v39, v39, v43, v52
	v_mul_i32_i24_e32 v43, v50, v129
	v_mul_i32_i24_e32 v52, v84, v137
	;; [unrolled: 1-line block ×4, first 2 shown]
	v_add3_u32 v39, v39, v44, v45
	v_add3_u32 v3, v3, v26, v43
	v_mul_i32_i24_e32 v44, v53, v130
	v_mul_i32_i24_e32 v45, v54, v131
	;; [unrolled: 1-line block ×3, first 2 shown]
	v_add3_u32 v39, v39, v51, v67
	v_mul_i32_i24_e32 v51, v63, v136
	v_mul_i32_i24_e32 v54, v98, v140
	;; [unrolled: 1-line block ×4, first 2 shown]
	v_add3_u32 v39, v39, v56, v61
	v_mul_i32_i24_e32 v56, v105, v142
	v_mul_i32_i24_e32 v61, v108, v145
	;; [unrolled: 1-line block ×3, first 2 shown]
	v_pk_mul_f16 v4, v122, v4
	v_add3_u32 v39, v39, v66, v71
	v_mul_i32_i24_e32 v66, v112, v150
	s_delay_alu instid0(VALU_DEP_2) | instskip(NEXT) | instid1(VALU_DEP_1)
	v_add3_u32 v39, v39, v68, v69
	v_add3_u32 v39, v39, v70, v78
	s_delay_alu instid0(VALU_DEP_1) | instskip(NEXT) | instid1(VALU_DEP_1)
	v_add3_u32 v39, v39, v75, v76
	v_add3_u32 v39, v39, v77, v82
	s_delay_alu instid0(VALU_DEP_1) | instskip(NEXT) | instid1(VALU_DEP_1)
	;; [unrolled: 3-line block ×4, first 2 shown]
	v_add3_u32 v39, v39, v254, v255
	v_cvt_f32_i32_e32 v39, v39
	s_delay_alu instid0(VALU_DEP_1) | instskip(SKIP_3) | instid1(VALU_DEP_4)
	v_fma_mix_f32 v39, v40, v39, v40 op_sel:[0,0,1] op_sel_hi:[1,0,1]
	v_mul_i32_i24_e32 v40, v48, v124
	v_mul_i32_i24_e32 v48, v57, v134
	v_mul_i32_i24_e32 v57, v106, v143
	v_add_f32_e32 v34, v34, v39
	v_mul_i32_i24_e32 v39, v46, v127
	v_mul_i32_i24_e32 v46, v55, v132
	;; [unrolled: 1-line block ×5, first 2 shown]
	v_add3_u32 v3, v3, v39, v40
	s_delay_alu instid0(VALU_DEP_1) | instskip(NEXT) | instid1(VALU_DEP_1)
	v_add3_u32 v3, v3, v41, v48
	v_add3_u32 v3, v3, v44, v45
	s_delay_alu instid0(VALU_DEP_1) | instskip(NEXT) | instid1(VALU_DEP_1)
	v_add3_u32 v3, v3, v46, v52
	;; [unrolled: 3-line block ×6, first 2 shown]
	v_add3_u32 v3, v3, v67, v65
	s_delay_alu instid0(VALU_DEP_1) | instskip(NEXT) | instid1(VALU_DEP_1)
	v_cvt_f32_i32_e32 v3, v3
	v_fma_mix_f32 v3, v4, v3, v4 op_sel:[0,0,1] op_sel_hi:[1,0,1]
	s_delay_alu instid0(VALU_DEP_1)
	v_add_f32_e32 v33, v33, v3
	ds_load_b128 v[57:60], v116 offset:2048
	ds_load_b128 v[62:65], v116 offset:2064
	ds_load_2addr_b32 v[3:4], v115 offset0:64 offset1:96
	s_waitcnt lgkmcnt(2)
	v_bfe_i32 v20, v57, 0, 8
	v_bfe_i32 v21, v57, 8, 8
	;; [unrolled: 1-line block ×3, first 2 shown]
	s_waitcnt lgkmcnt(1)
	v_bfe_i32 v40, v62, 0, 8
	v_ashrrev_i32_e32 v39, 24, v57
	v_mul_i32_i24_e32 v69, v20, v156
	v_bfe_i32 v44, v58, 0, 8
	v_mul_i32_i24_e32 v70, v21, v157
	v_mul_i32_i24_e32 v71, v26, v159
	v_bfe_i32 v41, v62, 8, 8
	v_mad_i32_i24 v69, v40, v153, v69
	v_bfe_i32 v42, v62, 16, 8
	v_mul_i32_i24_e32 v75, v39, v160
	v_mul_i32_i24_e32 v79, v44, v163
	v_ashrrev_i32_e32 v43, 24, v62
	v_add3_u32 v69, v69, v70, v71
	v_bfe_i32 v49, v63, 0, 8
	v_mul_i32_i24_e32 v76, v41, v161
	v_mul_i32_i24_e32 v77, v42, v155
	v_bfe_i32 v45, v58, 8, 8
	v_add3_u32 v69, v69, v75, v79
	v_bfe_i32 v46, v58, 16, 8
	v_mul_i32_i24_e32 v78, v43, v162
	v_mul_i32_i24_e32 v84, v49, v168
	v_ashrrev_i32_e32 v48, 24, v58
	v_add3_u32 v69, v69, v76, v77
	v_bfe_i32 v53, v59, 0, 8
	v_mul_i32_i24_e32 v80, v45, v164
	v_mul_i32_i24_e32 v81, v46, v165
	v_bfe_i32 v50, v63, 8, 8
	v_add3_u32 v69, v69, v78, v84
	;; [unrolled: 10-line block ×6, first 2 shown]
	v_ashrrev_i32_e32 v65, 24, v65
	v_mul_i32_i24_e32 v112, v60, v184
	v_mul_i32_i24_e32 v254, v67, v186
	;; [unrolled: 1-line block ×3, first 2 shown]
	v_add3_u32 v69, v69, v110, v111
	v_mul_i32_i24_e32 v72, v65, v188
	s_waitcnt lgkmcnt(0)
	v_pk_mul_f16 v70, v152, v3
	v_mul_i32_i24_e32 v71, v26, v192
	v_mul_i32_i24_e32 v78, v44, v196
	v_add3_u32 v69, v69, v112, v254
	v_mul_i32_i24_e32 v75, v41, v194
	v_mul_i32_i24_e32 v76, v42, v187
	;; [unrolled: 1-line block ×4, first 2 shown]
	v_add3_u32 v69, v69, v255, v72
	v_mul_i32_i24_e32 v72, v39, v193
	v_mul_i32_i24_e32 v79, v45, v197
	;; [unrolled: 1-line block ×4, first 2 shown]
	v_cvt_f32_i32_e32 v69, v69
	v_mul_i32_i24_e32 v98, v53, v205
	v_mul_i32_i24_e32 v84, v50, v202
	;; [unrolled: 1-line block ×4, first 2 shown]
	v_fma_mix_f32 v69, v70, v69, v70 op_sel:[0,0,1] op_sel_hi:[1,0,1]
	v_mul_i32_i24_e32 v70, v21, v190
	v_mul_i32_i24_e32 v102, v57, v210
	;; [unrolled: 1-line block ×4, first 2 shown]
	v_add_f32_e32 v31, v31, v69
	v_mul_i32_i24_e32 v69, v20, v189
	v_mul_i32_i24_e32 v101, v56, v209
	v_mul_i32_i24_e32 v108, v62, v213
	v_mul_i32_i24_e32 v105, v58, v211
	v_mul_i32_i24_e32 v106, v59, v200
	v_mad_i32_i24 v69, v40, v170, v69
	v_mul_i32_i24_e32 v107, v61, v212
	v_mul_i32_i24_e32 v112, v66, v217
	;; [unrolled: 1-line block ×4, first 2 shown]
	v_add3_u32 v69, v69, v70, v71
	v_mul_i32_i24_e32 v111, v60, v216
	v_mul_i32_i24_e32 v113, v67, v218
	;; [unrolled: 1-line block ×4, first 2 shown]
	v_add3_u32 v69, v69, v72, v78
	v_pk_mul_f16 v70, v154, v3
	v_mul_i32_i24_e32 v71, v26, v224
	v_mul_i32_i24_e32 v26, v26, v253
	v_mul_i32_i24_e32 v72, v39, v225
	v_add3_u32 v69, v69, v75, v76
	v_mul_i32_i24_e32 v78, v44, v228
	v_mul_i32_i24_e32 v39, v39, v126
	v_mul_i32_i24_e32 v44, v44, v129
	v_mul_i32_i24_e32 v75, v41, v226
	v_add3_u32 v69, v69, v77, v82
	v_mul_i32_i24_e32 v76, v42, v219
	;; [unrolled: 5-line block ×13, first 2 shown]
	v_mul_i32_i24_e32 v60, v60, v148
	v_mul_i32_i24_e32 v67, v67, v150
	;; [unrolled: 1-line block ×3, first 2 shown]
	v_cvt_f32_i32_e32 v69, v69
	v_mul_i32_i24_e32 v255, v65, v250
	v_mul_i32_i24_e32 v68, v68, v139
	v_mul_i32_i24_e32 v65, v65, v151
	s_delay_alu instid0(VALU_DEP_4) | instskip(SKIP_2) | instid1(VALU_DEP_3)
	v_fma_mix_f32 v69, v70, v69, v70 op_sel:[0,0,1] op_sel_hi:[1,0,1]
	v_mul_i32_i24_e32 v70, v21, v222
	v_mul_i32_i24_e32 v21, v21, v252
	v_add_f32_e32 v30, v30, v69
	v_mul_i32_i24_e32 v69, v20, v221
	v_mul_i32_i24_e32 v20, v20, v251
	s_delay_alu instid0(VALU_DEP_2) | instskip(NEXT) | instid1(VALU_DEP_2)
	v_mad_i32_i24 v69, v40, v204, v69
	v_mad_i32_i24 v20, v40, v123, v20
	s_delay_alu instid0(VALU_DEP_2) | instskip(NEXT) | instid1(VALU_DEP_2)
	v_add3_u32 v69, v69, v70, v71
	v_add3_u32 v20, v20, v21, v26
	v_pk_mul_f16 v70, v180, v3
	v_pk_mul_f16 v3, v122, v3
	s_delay_alu instid0(VALU_DEP_4) | instskip(NEXT) | instid1(VALU_DEP_4)
	v_add3_u32 v69, v69, v72, v78
	v_add3_u32 v20, v20, v39, v44
	s_delay_alu instid0(VALU_DEP_2) | instskip(NEXT) | instid1(VALU_DEP_2)
	v_add3_u32 v69, v69, v75, v76
	v_add3_u32 v20, v20, v41, v42
	s_delay_alu instid0(VALU_DEP_2) | instskip(NEXT) | instid1(VALU_DEP_2)
	;; [unrolled: 3-line block ×13, first 2 shown]
	v_add3_u32 v69, v69, v254, v255
	v_add3_u32 v20, v20, v68, v65
	ds_load_b128 v[57:60], v116 offset:3072
	ds_load_b128 v[62:65], v116 offset:3088
	v_cvt_f32_i32_e32 v69, v69
	v_cvt_f32_i32_e32 v20, v20
	s_delay_alu instid0(VALU_DEP_2) | instskip(NEXT) | instid1(VALU_DEP_2)
	v_fma_mix_f32 v69, v70, v69, v70 op_sel:[0,0,1] op_sel_hi:[1,0,1]
	v_fma_mix_f32 v3, v3, v20, v3 op_sel:[0,0,1] op_sel_hi:[1,0,1]
	s_delay_alu instid0(VALU_DEP_1)
	v_dual_add_f32 v29, v29, v69 :: v_dual_add_f32 v28, v28, v3
	s_waitcnt lgkmcnt(1)
	v_bfe_i32 v3, v57, 0, 8
	v_bfe_i32 v20, v57, 8, 8
	;; [unrolled: 1-line block ×3, first 2 shown]
	s_waitcnt lgkmcnt(0)
	v_bfe_i32 v39, v62, 0, 8
	v_ashrrev_i32_e32 v26, 24, v57
	v_mul_i32_i24_e32 v68, v3, v156
	v_bfe_i32 v43, v58, 0, 8
	v_mul_i32_i24_e32 v69, v20, v157
	v_mul_i32_i24_e32 v70, v21, v159
	v_bfe_i32 v40, v62, 8, 8
	v_mad_i32_i24 v68, v39, v153, v68
	v_bfe_i32 v41, v62, 16, 8
	v_mul_i32_i24_e32 v71, v26, v160
	v_mul_i32_i24_e32 v77, v43, v163
	v_ashrrev_i32_e32 v42, 24, v62
	v_add3_u32 v68, v68, v69, v70
	v_bfe_i32 v48, v63, 0, 8
	v_mul_i32_i24_e32 v72, v40, v161
	v_mul_i32_i24_e32 v75, v41, v155
	v_bfe_i32 v44, v58, 8, 8
	v_add3_u32 v68, v68, v71, v77
	v_bfe_i32 v45, v58, 16, 8
	v_mul_i32_i24_e32 v76, v42, v162
	v_mul_i32_i24_e32 v81, v48, v168
	v_ashrrev_i32_e32 v46, 24, v58
	v_add3_u32 v68, v68, v72, v75
	v_bfe_i32 v52, v59, 0, 8
	v_mul_i32_i24_e32 v78, v44, v164
	v_mul_i32_i24_e32 v79, v45, v165
	v_bfe_i32 v49, v63, 8, 8
	v_add3_u32 v68, v68, v76, v81
	;; [unrolled: 10-line block ×6, first 2 shown]
	v_ashrrev_i32_e32 v65, 24, v65
	v_mul_i32_i24_e32 v110, v60, v184
	v_mul_i32_i24_e32 v112, v66, v186
	;; [unrolled: 1-line block ×3, first 2 shown]
	v_add3_u32 v68, v68, v108, v109
	v_mul_i32_i24_e32 v254, v65, v188
	v_pk_mul_f16 v69, v152, v4
	v_mul_i32_i24_e32 v70, v21, v192
	v_mul_i32_i24_e32 v71, v26, v193
	v_add3_u32 v68, v68, v110, v112
	v_mul_i32_i24_e32 v77, v43, v196
	v_mul_i32_i24_e32 v72, v40, v194
	;; [unrolled: 1-line block ×4, first 2 shown]
	v_add3_u32 v68, v68, v113, v254
	v_mul_i32_i24_e32 v81, v48, v201
	v_mul_i32_i24_e32 v78, v44, v197
	;; [unrolled: 1-line block ×4, first 2 shown]
	v_cvt_f32_i32_e32 v68, v68
	v_mul_i32_i24_e32 v97, v52, v205
	v_mul_i32_i24_e32 v82, v49, v202
	;; [unrolled: 1-line block ×4, first 2 shown]
	v_fma_mix_f32 v68, v69, v68, v69 op_sel:[0,0,1] op_sel_hi:[1,0,1]
	v_mul_i32_i24_e32 v69, v20, v190
	v_mul_i32_i24_e32 v101, v56, v210
	v_mul_i32_i24_e32 v98, v53, v206
	v_mul_i32_i24_e32 v99, v54, v208
	v_add_f32_e32 v27, v27, v68
	v_mul_i32_i24_e32 v68, v3, v189
	v_mul_i32_i24_e32 v100, v55, v209
	v_mul_i32_i24_e32 v107, v61, v213
	v_mul_i32_i24_e32 v102, v57, v211
	v_mul_i32_i24_e32 v105, v58, v200
	v_mad_i32_i24 v68, v39, v170, v68
	v_mul_i32_i24_e32 v106, v59, v212
	v_mul_i32_i24_e32 v111, v64, v217
	v_mul_i32_i24_e32 v108, v62, v214
	v_mul_i32_i24_e32 v109, v63, v215
	v_add3_u32 v68, v68, v69, v70
	v_mul_i32_i24_e32 v110, v60, v216
	v_mul_i32_i24_e32 v112, v66, v218
	;; [unrolled: 1-line block ×4, first 2 shown]
	v_add3_u32 v68, v68, v71, v77
	v_pk_mul_f16 v69, v154, v4
	v_mul_i32_i24_e32 v70, v21, v224
	v_mul_i32_i24_e32 v71, v26, v225
	v_mul_i32_i24_e32 v77, v43, v228
	v_add3_u32 v68, v68, v72, v75
	v_mul_i32_i24_e32 v72, v40, v226
	v_mul_i32_i24_e32 v75, v41, v219
	v_mul_i32_i24_e32 v21, v21, v253
	v_mul_i32_i24_e32 v26, v26, v126
	v_add3_u32 v68, v68, v76, v81
	v_mul_i32_i24_e32 v76, v42, v227
	;; [unrolled: 5-line block ×13, first 2 shown]
	v_mul_i32_i24_e32 v254, v65, v250
	v_mul_i32_i24_e32 v60, v60, v148
	;; [unrolled: 1-line block ×3, first 2 shown]
	v_cvt_f32_i32_e32 v68, v68
	v_mul_i32_i24_e32 v67, v67, v139
	v_mul_i32_i24_e32 v65, v65, v151
	s_delay_alu instid0(VALU_DEP_3) | instskip(SKIP_2) | instid1(VALU_DEP_3)
	v_fma_mix_f32 v68, v69, v68, v69 op_sel:[0,0,1] op_sel_hi:[1,0,1]
	v_mul_i32_i24_e32 v69, v20, v222
	v_mul_i32_i24_e32 v20, v20, v252
	v_add_f32_e32 v25, v25, v68
	v_mul_i32_i24_e32 v68, v3, v221
	v_mul_i32_i24_e32 v3, v3, v251
	s_delay_alu instid0(VALU_DEP_2) | instskip(NEXT) | instid1(VALU_DEP_2)
	v_mad_i32_i24 v68, v39, v204, v68
	v_mad_i32_i24 v3, v39, v123, v3
	s_delay_alu instid0(VALU_DEP_2) | instskip(SKIP_1) | instid1(VALU_DEP_3)
	v_add3_u32 v68, v68, v69, v70
	v_pk_mul_f16 v69, v180, v4
	v_add3_u32 v3, v3, v20, v21
	v_pk_mul_f16 v4, v122, v4
	s_delay_alu instid0(VALU_DEP_4) | instskip(NEXT) | instid1(VALU_DEP_1)
	v_add3_u32 v68, v68, v71, v77
	v_add3_u32 v68, v68, v72, v75
	s_delay_alu instid0(VALU_DEP_1) | instskip(NEXT) | instid1(VALU_DEP_1)
	v_add3_u32 v68, v68, v76, v81
	v_add3_u32 v68, v68, v78, v79
	s_delay_alu instid0(VALU_DEP_1) | instskip(NEXT) | instid1(VALU_DEP_1)
	;; [unrolled: 3-line block ×7, first 2 shown]
	v_cvt_f32_i32_e32 v68, v68
	v_fma_mix_f32 v68, v69, v68, v69 op_sel:[0,0,1] op_sel_hi:[1,0,1]
	s_delay_alu instid0(VALU_DEP_1) | instskip(SKIP_1) | instid1(VALU_DEP_1)
	v_add_f32_e32 v24, v24, v68
	v_mul_i32_i24_e32 v43, v43, v129
	v_add3_u32 v3, v3, v26, v43
	s_delay_alu instid0(VALU_DEP_1) | instskip(NEXT) | instid1(VALU_DEP_1)
	v_add3_u32 v3, v3, v40, v41
	v_add3_u32 v3, v3, v42, v48
	s_delay_alu instid0(VALU_DEP_1) | instskip(NEXT) | instid1(VALU_DEP_1)
	v_add3_u32 v3, v3, v44, v45
	;; [unrolled: 3-line block ×7, first 2 shown]
	v_cvt_f32_i32_e32 v3, v3
	s_delay_alu instid0(VALU_DEP_1) | instskip(NEXT) | instid1(VALU_DEP_1)
	v_fma_mix_f32 v3, v4, v3, v4 op_sel:[0,0,1] op_sel_hi:[1,0,1]
	v_add_f32_e32 v23, v23, v3
	ds_load_b128 v[57:60], v116 offset:4096
	ds_load_b128 v[62:65], v116 offset:4112
	ds_load_2addr_b32 v[3:4], v115 offset0:128 offset1:160
	s_waitcnt lgkmcnt(2)
	v_bfe_i32 v20, v57, 0, 8
	v_bfe_i32 v21, v57, 8, 8
	;; [unrolled: 1-line block ×3, first 2 shown]
	s_waitcnt lgkmcnt(1)
	v_bfe_i32 v40, v62, 0, 8
	v_ashrrev_i32_e32 v39, 24, v57
	v_mul_i32_i24_e32 v69, v20, v156
	v_bfe_i32 v44, v58, 0, 8
	v_mul_i32_i24_e32 v70, v21, v157
	v_mul_i32_i24_e32 v71, v26, v159
	v_bfe_i32 v41, v62, 8, 8
	v_mad_i32_i24 v69, v40, v153, v69
	v_bfe_i32 v42, v62, 16, 8
	v_mul_i32_i24_e32 v72, v39, v160
	v_mul_i32_i24_e32 v78, v44, v163
	v_ashrrev_i32_e32 v43, 24, v62
	v_add3_u32 v69, v69, v70, v71
	v_bfe_i32 v49, v63, 0, 8
	v_mul_i32_i24_e32 v75, v41, v161
	v_mul_i32_i24_e32 v76, v42, v155
	v_bfe_i32 v45, v58, 8, 8
	v_add3_u32 v69, v69, v72, v78
	v_bfe_i32 v46, v58, 16, 8
	v_mul_i32_i24_e32 v77, v43, v162
	v_mul_i32_i24_e32 v82, v49, v168
	v_ashrrev_i32_e32 v48, 24, v58
	v_add3_u32 v69, v69, v75, v76
	v_bfe_i32 v53, v59, 0, 8
	v_mul_i32_i24_e32 v79, v45, v164
	v_mul_i32_i24_e32 v80, v46, v165
	v_bfe_i32 v50, v63, 8, 8
	v_add3_u32 v69, v69, v77, v82
	;; [unrolled: 10-line block ×6, first 2 shown]
	v_ashrrev_i32_e32 v65, 24, v65
	v_mul_i32_i24_e32 v111, v60, v184
	v_mul_i32_i24_e32 v113, v67, v186
	;; [unrolled: 1-line block ×3, first 2 shown]
	v_add3_u32 v69, v69, v109, v110
	v_mul_i32_i24_e32 v255, v65, v188
	s_waitcnt lgkmcnt(0)
	v_pk_mul_f16 v70, v152, v3
	v_mul_i32_i24_e32 v71, v26, v192
	v_mul_i32_i24_e32 v72, v39, v193
	v_add3_u32 v69, v69, v111, v113
	v_mul_i32_i24_e32 v78, v44, v196
	v_mul_i32_i24_e32 v75, v41, v194
	;; [unrolled: 1-line block ×4, first 2 shown]
	v_add3_u32 v69, v69, v254, v255
	v_mul_i32_i24_e32 v82, v49, v201
	v_mul_i32_i24_e32 v79, v45, v197
	;; [unrolled: 1-line block ×4, first 2 shown]
	v_cvt_f32_i32_e32 v69, v69
	v_mul_i32_i24_e32 v98, v53, v205
	v_mul_i32_i24_e32 v84, v50, v202
	;; [unrolled: 1-line block ×4, first 2 shown]
	v_fma_mix_f32 v69, v70, v69, v70 op_sel:[0,0,1] op_sel_hi:[1,0,1]
	v_mul_i32_i24_e32 v70, v21, v190
	v_mul_i32_i24_e32 v102, v57, v210
	;; [unrolled: 1-line block ×4, first 2 shown]
	v_add_f32_e32 v22, v22, v69
	v_mul_i32_i24_e32 v69, v20, v189
	v_mul_i32_i24_e32 v101, v56, v209
	;; [unrolled: 1-line block ×5, first 2 shown]
	v_mad_i32_i24 v69, v40, v170, v69
	v_mul_i32_i24_e32 v107, v61, v212
	v_mul_i32_i24_e32 v112, v66, v217
	;; [unrolled: 1-line block ×4, first 2 shown]
	v_add3_u32 v69, v69, v70, v71
	v_mul_i32_i24_e32 v111, v60, v216
	v_mul_i32_i24_e32 v113, v67, v218
	v_mul_i32_i24_e32 v254, v68, v207
	v_mul_i32_i24_e32 v255, v65, v220
	v_add3_u32 v69, v69, v72, v78
	v_pk_mul_f16 v70, v154, v3
	v_mul_i32_i24_e32 v71, v26, v224
	v_mul_i32_i24_e32 v72, v39, v225
	v_mul_i32_i24_e32 v78, v44, v228
	v_add3_u32 v69, v69, v75, v76
	v_mul_i32_i24_e32 v75, v41, v226
	v_mul_i32_i24_e32 v76, v42, v219
	v_mul_i32_i24_e32 v26, v26, v253
	v_mul_i32_i24_e32 v39, v39, v126
	v_add3_u32 v69, v69, v77, v82
	v_mul_i32_i24_e32 v77, v43, v227
	;; [unrolled: 5-line block ×13, first 2 shown]
	v_mul_i32_i24_e32 v255, v65, v250
	v_mul_i32_i24_e32 v60, v60, v148
	;; [unrolled: 1-line block ×3, first 2 shown]
	v_cvt_f32_i32_e32 v69, v69
	v_mul_i32_i24_e32 v68, v68, v139
	v_mul_i32_i24_e32 v65, v65, v151
	s_delay_alu instid0(VALU_DEP_3) | instskip(SKIP_2) | instid1(VALU_DEP_3)
	v_fma_mix_f32 v69, v70, v69, v70 op_sel:[0,0,1] op_sel_hi:[1,0,1]
	v_mul_i32_i24_e32 v70, v21, v222
	v_mul_i32_i24_e32 v21, v21, v252
	v_add_f32_e32 v19, v19, v69
	v_mul_i32_i24_e32 v69, v20, v221
	v_mul_i32_i24_e32 v20, v20, v251
	s_delay_alu instid0(VALU_DEP_2) | instskip(NEXT) | instid1(VALU_DEP_2)
	v_mad_i32_i24 v69, v40, v204, v69
	v_mad_i32_i24 v20, v40, v123, v20
	s_delay_alu instid0(VALU_DEP_2) | instskip(NEXT) | instid1(VALU_DEP_2)
	v_add3_u32 v69, v69, v70, v71
	v_add3_u32 v20, v20, v21, v26
	v_pk_mul_f16 v70, v180, v3
	v_pk_mul_f16 v3, v122, v3
	s_delay_alu instid0(VALU_DEP_4) | instskip(NEXT) | instid1(VALU_DEP_4)
	v_add3_u32 v69, v69, v72, v78
	v_add3_u32 v20, v20, v39, v44
	s_delay_alu instid0(VALU_DEP_2) | instskip(NEXT) | instid1(VALU_DEP_2)
	v_add3_u32 v69, v69, v75, v76
	v_add3_u32 v20, v20, v41, v42
	s_delay_alu instid0(VALU_DEP_2) | instskip(NEXT) | instid1(VALU_DEP_2)
	;; [unrolled: 3-line block ×3, first 2 shown]
	v_add3_u32 v69, v69, v79, v80
	v_add3_u32 v20, v20, v45, v46
	s_delay_alu instid0(VALU_DEP_2) | instskip(NEXT) | instid1(VALU_DEP_1)
	v_add3_u32 v69, v69, v81, v98
	v_add3_u32 v69, v69, v84, v85
	s_delay_alu instid0(VALU_DEP_1) | instskip(NEXT) | instid1(VALU_DEP_1)
	v_add3_u32 v69, v69, v97, v102
	v_add3_u32 v69, v69, v99, v100
	s_delay_alu instid0(VALU_DEP_1) | instskip(NEXT) | instid1(VALU_DEP_1)
	;; [unrolled: 3-line block ×5, first 2 shown]
	v_cvt_f32_i32_e32 v69, v69
	v_fma_mix_f32 v69, v70, v69, v70 op_sel:[0,0,1] op_sel_hi:[1,0,1]
	s_delay_alu instid0(VALU_DEP_1) | instskip(SKIP_1) | instid1(VALU_DEP_1)
	v_add_f32_e32 v18, v18, v69
	v_mul_i32_i24_e32 v53, v53, v137
	v_add3_u32 v20, v20, v48, v53
	s_delay_alu instid0(VALU_DEP_1) | instskip(NEXT) | instid1(VALU_DEP_1)
	v_add3_u32 v20, v20, v50, v51
	v_add3_u32 v20, v20, v52, v57
	s_delay_alu instid0(VALU_DEP_1) | instskip(NEXT) | instid1(VALU_DEP_1)
	v_add3_u32 v20, v20, v54, v55
	;; [unrolled: 3-line block ×4, first 2 shown]
	v_add3_u32 v20, v20, v60, v67
	s_delay_alu instid0(VALU_DEP_1) | instskip(SKIP_3) | instid1(VALU_DEP_1)
	v_add3_u32 v20, v20, v68, v65
	ds_load_b128 v[57:60], v116 offset:5120
	ds_load_b128 v[62:65], v116 offset:5136
	v_cvt_f32_i32_e32 v20, v20
	v_fma_mix_f32 v3, v3, v20, v3 op_sel:[0,0,1] op_sel_hi:[1,0,1]
	s_delay_alu instid0(VALU_DEP_1)
	v_add_f32_e32 v17, v17, v3
	s_waitcnt lgkmcnt(1)
	v_bfe_i32 v3, v57, 0, 8
	v_bfe_i32 v20, v57, 8, 8
	;; [unrolled: 1-line block ×3, first 2 shown]
	s_waitcnt lgkmcnt(0)
	v_bfe_i32 v39, v62, 0, 8
	v_ashrrev_i32_e32 v26, 24, v57
	v_mul_i32_i24_e32 v68, v3, v156
	v_bfe_i32 v43, v58, 0, 8
	v_mul_i32_i24_e32 v69, v20, v157
	v_mul_i32_i24_e32 v70, v21, v159
	v_bfe_i32 v40, v62, 8, 8
	v_mad_i32_i24 v68, v39, v153, v68
	v_bfe_i32 v41, v62, 16, 8
	v_mul_i32_i24_e32 v71, v26, v160
	v_mul_i32_i24_e32 v77, v43, v163
	v_ashrrev_i32_e32 v42, 24, v62
	v_add3_u32 v68, v68, v69, v70
	v_bfe_i32 v48, v63, 0, 8
	v_mul_i32_i24_e32 v72, v40, v161
	v_mul_i32_i24_e32 v75, v41, v155
	v_bfe_i32 v44, v58, 8, 8
	v_add3_u32 v68, v68, v71, v77
	v_bfe_i32 v45, v58, 16, 8
	v_mul_i32_i24_e32 v76, v42, v162
	v_mul_i32_i24_e32 v81, v48, v168
	v_ashrrev_i32_e32 v46, 24, v58
	v_add3_u32 v68, v68, v72, v75
	v_bfe_i32 v52, v59, 0, 8
	v_mul_i32_i24_e32 v78, v44, v164
	v_mul_i32_i24_e32 v79, v45, v165
	v_bfe_i32 v49, v63, 8, 8
	v_add3_u32 v68, v68, v76, v81
	;; [unrolled: 10-line block ×6, first 2 shown]
	v_ashrrev_i32_e32 v65, 24, v65
	v_mul_i32_i24_e32 v110, v60, v184
	v_mul_i32_i24_e32 v112, v66, v186
	;; [unrolled: 1-line block ×3, first 2 shown]
	v_add3_u32 v68, v68, v108, v109
	v_mul_i32_i24_e32 v254, v65, v188
	v_pk_mul_f16 v69, v152, v4
	v_mul_i32_i24_e32 v70, v21, v192
	v_mul_i32_i24_e32 v71, v26, v193
	v_add3_u32 v68, v68, v110, v112
	v_mul_i32_i24_e32 v77, v43, v196
	v_mul_i32_i24_e32 v72, v40, v194
	;; [unrolled: 1-line block ×4, first 2 shown]
	v_add3_u32 v68, v68, v113, v254
	v_mul_i32_i24_e32 v81, v48, v201
	v_mul_i32_i24_e32 v78, v44, v197
	;; [unrolled: 1-line block ×4, first 2 shown]
	v_cvt_f32_i32_e32 v68, v68
	v_mul_i32_i24_e32 v97, v52, v205
	v_mul_i32_i24_e32 v82, v49, v202
	;; [unrolled: 1-line block ×4, first 2 shown]
	v_fma_mix_f32 v68, v69, v68, v69 op_sel:[0,0,1] op_sel_hi:[1,0,1]
	v_mul_i32_i24_e32 v69, v20, v190
	v_mul_i32_i24_e32 v101, v56, v210
	;; [unrolled: 1-line block ×4, first 2 shown]
	v_add_f32_e32 v16, v16, v68
	v_mul_i32_i24_e32 v68, v3, v189
	v_mul_i32_i24_e32 v100, v55, v209
	;; [unrolled: 1-line block ×5, first 2 shown]
	v_mad_i32_i24 v68, v39, v170, v68
	v_mul_i32_i24_e32 v106, v59, v212
	v_mul_i32_i24_e32 v111, v64, v217
	;; [unrolled: 1-line block ×4, first 2 shown]
	v_add3_u32 v68, v68, v69, v70
	v_mul_i32_i24_e32 v110, v60, v216
	v_mul_i32_i24_e32 v112, v66, v218
	;; [unrolled: 1-line block ×4, first 2 shown]
	v_add3_u32 v68, v68, v71, v77
	v_pk_mul_f16 v69, v154, v4
	v_mul_i32_i24_e32 v70, v21, v224
	v_mul_i32_i24_e32 v21, v21, v253
	v_mul_i32_i24_e32 v71, v26, v225
	v_add3_u32 v68, v68, v72, v75
	v_mul_i32_i24_e32 v77, v43, v228
	v_mul_i32_i24_e32 v26, v26, v126
	v_mul_i32_i24_e32 v43, v43, v129
	v_mul_i32_i24_e32 v72, v40, v226
	v_add3_u32 v68, v68, v76, v81
	v_mul_i32_i24_e32 v75, v41, v219
	;; [unrolled: 5-line block ×13, first 2 shown]
	v_mul_i32_i24_e32 v113, v67, v238
	v_mul_i32_i24_e32 v254, v65, v250
	v_mul_i32_i24_e32 v67, v67, v139
	v_cvt_f32_i32_e32 v68, v68
	v_mul_i32_i24_e32 v65, v65, v151
	s_delay_alu instid0(VALU_DEP_2) | instskip(SKIP_2) | instid1(VALU_DEP_3)
	v_fma_mix_f32 v68, v69, v68, v69 op_sel:[0,0,1] op_sel_hi:[1,0,1]
	v_mul_i32_i24_e32 v69, v20, v222
	v_mul_i32_i24_e32 v20, v20, v252
	v_add_f32_e32 v15, v15, v68
	v_mul_i32_i24_e32 v68, v3, v221
	v_mul_i32_i24_e32 v3, v3, v251
	;; [unrolled: 1-line block ×4, first 2 shown]
	s_delay_alu instid0(VALU_DEP_4) | instskip(NEXT) | instid1(VALU_DEP_4)
	v_mad_i32_i24 v68, v39, v204, v68
	v_mad_i32_i24 v3, v39, v123, v3
	s_delay_alu instid0(VALU_DEP_2) | instskip(NEXT) | instid1(VALU_DEP_2)
	v_add3_u32 v68, v68, v69, v70
	v_add3_u32 v3, v3, v20, v21
	v_pk_mul_f16 v69, v180, v4
	v_pk_mul_f16 v4, v122, v4
	s_delay_alu instid0(VALU_DEP_4) | instskip(NEXT) | instid1(VALU_DEP_4)
	v_add3_u32 v68, v68, v71, v77
	v_add3_u32 v3, v3, v26, v43
	s_delay_alu instid0(VALU_DEP_2) | instskip(NEXT) | instid1(VALU_DEP_2)
	v_add3_u32 v68, v68, v72, v75
	v_add3_u32 v3, v3, v40, v41
	s_delay_alu instid0(VALU_DEP_2) | instskip(NEXT) | instid1(VALU_DEP_2)
	;; [unrolled: 3-line block ×14, first 2 shown]
	v_cvt_f32_i32_e32 v68, v68
	v_cvt_f32_i32_e32 v3, v3
	s_delay_alu instid0(VALU_DEP_2) | instskip(NEXT) | instid1(VALU_DEP_2)
	v_fma_mix_f32 v68, v69, v68, v69 op_sel:[0,0,1] op_sel_hi:[1,0,1]
	v_fma_mix_f32 v3, v4, v3, v4 op_sel:[0,0,1] op_sel_hi:[1,0,1]
	s_delay_alu instid0(VALU_DEP_1)
	v_dual_add_f32 v14, v14, v68 :: v_dual_add_f32 v13, v13, v3
	ds_load_b128 v[57:60], v116 offset:6144
	ds_load_b128 v[62:65], v116 offset:6160
	ds_load_2addr_b32 v[3:4], v115 offset0:192 offset1:224
	v_add_nc_u32_e32 v115, 4, v115
	s_waitcnt lgkmcnt(2)
	v_bfe_i32 v20, v57, 0, 8
	v_bfe_i32 v21, v57, 8, 8
	;; [unrolled: 1-line block ×3, first 2 shown]
	s_waitcnt lgkmcnt(1)
	v_bfe_i32 v40, v62, 0, 8
	v_ashrrev_i32_e32 v39, 24, v57
	v_mul_i32_i24_e32 v69, v20, v156
	v_bfe_i32 v44, v58, 0, 8
	v_mul_i32_i24_e32 v70, v21, v157
	v_mul_i32_i24_e32 v71, v26, v159
	v_bfe_i32 v41, v62, 8, 8
	v_mad_i32_i24 v69, v40, v153, v69
	v_bfe_i32 v42, v62, 16, 8
	v_mul_i32_i24_e32 v72, v39, v160
	v_mul_i32_i24_e32 v78, v44, v163
	v_ashrrev_i32_e32 v43, 24, v62
	v_add3_u32 v69, v69, v70, v71
	v_bfe_i32 v49, v63, 0, 8
	v_mul_i32_i24_e32 v75, v41, v161
	v_mul_i32_i24_e32 v76, v42, v155
	v_bfe_i32 v45, v58, 8, 8
	v_add3_u32 v69, v69, v72, v78
	v_bfe_i32 v46, v58, 16, 8
	v_mul_i32_i24_e32 v77, v43, v162
	v_mul_i32_i24_e32 v82, v49, v168
	v_ashrrev_i32_e32 v48, 24, v58
	v_add3_u32 v69, v69, v75, v76
	v_bfe_i32 v53, v59, 0, 8
	v_mul_i32_i24_e32 v79, v45, v164
	v_mul_i32_i24_e32 v80, v46, v165
	v_bfe_i32 v50, v63, 8, 8
	v_add3_u32 v69, v69, v77, v82
	;; [unrolled: 10-line block ×6, first 2 shown]
	v_ashrrev_i32_e32 v65, 24, v65
	v_mul_i32_i24_e32 v111, v60, v184
	v_mul_i32_i24_e32 v113, v67, v186
	;; [unrolled: 1-line block ×3, first 2 shown]
	v_add3_u32 v69, v69, v109, v110
	v_mul_i32_i24_e32 v255, v65, v188
	s_waitcnt lgkmcnt(0)
	v_pk_mul_f16 v70, v152, v3
	v_mul_i32_i24_e32 v71, v26, v192
	v_mul_i32_i24_e32 v72, v39, v193
	v_add3_u32 v69, v69, v111, v113
	v_mul_i32_i24_e32 v78, v44, v196
	v_mul_i32_i24_e32 v75, v41, v194
	;; [unrolled: 1-line block ×4, first 2 shown]
	v_add3_u32 v69, v69, v254, v255
	v_mul_i32_i24_e32 v82, v49, v201
	v_mul_i32_i24_e32 v79, v45, v197
	;; [unrolled: 1-line block ×4, first 2 shown]
	v_cvt_f32_i32_e32 v69, v69
	v_mul_i32_i24_e32 v98, v53, v205
	v_mul_i32_i24_e32 v84, v50, v202
	;; [unrolled: 1-line block ×4, first 2 shown]
	v_fma_mix_f32 v69, v70, v69, v70 op_sel:[0,0,1] op_sel_hi:[1,0,1]
	v_mul_i32_i24_e32 v70, v21, v190
	v_mul_i32_i24_e32 v102, v57, v210
	;; [unrolled: 1-line block ×4, first 2 shown]
	v_add_f32_e32 v12, v12, v69
	v_mul_i32_i24_e32 v69, v20, v189
	v_mul_i32_i24_e32 v101, v56, v209
	;; [unrolled: 1-line block ×5, first 2 shown]
	v_mad_i32_i24 v69, v40, v170, v69
	v_mul_i32_i24_e32 v107, v61, v212
	v_mul_i32_i24_e32 v112, v66, v217
	;; [unrolled: 1-line block ×4, first 2 shown]
	v_add3_u32 v69, v69, v70, v71
	v_mul_i32_i24_e32 v111, v60, v216
	v_mul_i32_i24_e32 v113, v67, v218
	;; [unrolled: 1-line block ×4, first 2 shown]
	v_add3_u32 v69, v69, v72, v78
	v_pk_mul_f16 v70, v154, v3
	v_mul_i32_i24_e32 v71, v26, v224
	v_mul_i32_i24_e32 v26, v26, v253
	v_mul_i32_i24_e32 v72, v39, v225
	v_add3_u32 v69, v69, v75, v76
	v_mul_i32_i24_e32 v78, v44, v228
	v_mul_i32_i24_e32 v39, v39, v126
	v_mul_i32_i24_e32 v44, v44, v129
	v_mul_i32_i24_e32 v75, v41, v226
	v_add3_u32 v69, v69, v77, v82
	v_mul_i32_i24_e32 v76, v42, v219
	;; [unrolled: 5-line block ×13, first 2 shown]
	v_mul_i32_i24_e32 v60, v60, v148
	v_mul_i32_i24_e32 v67, v67, v150
	v_mul_i32_i24_e32 v254, v68, v238
	v_cvt_f32_i32_e32 v69, v69
	v_mul_i32_i24_e32 v255, v65, v250
	v_mul_i32_i24_e32 v68, v68, v139
	;; [unrolled: 1-line block ×3, first 2 shown]
	s_delay_alu instid0(VALU_DEP_4) | instskip(SKIP_2) | instid1(VALU_DEP_3)
	v_fma_mix_f32 v69, v70, v69, v70 op_sel:[0,0,1] op_sel_hi:[1,0,1]
	v_mul_i32_i24_e32 v70, v21, v222
	v_mul_i32_i24_e32 v21, v21, v252
	v_add_f32_e32 v11, v11, v69
	v_mul_i32_i24_e32 v69, v20, v221
	v_mul_i32_i24_e32 v20, v20, v251
	s_delay_alu instid0(VALU_DEP_2) | instskip(NEXT) | instid1(VALU_DEP_2)
	v_mad_i32_i24 v69, v40, v204, v69
	v_mad_i32_i24 v20, v40, v123, v20
	s_delay_alu instid0(VALU_DEP_2) | instskip(NEXT) | instid1(VALU_DEP_2)
	v_add3_u32 v69, v69, v70, v71
	v_add3_u32 v20, v20, v21, v26
	v_pk_mul_f16 v70, v180, v3
	v_pk_mul_f16 v3, v122, v3
	s_delay_alu instid0(VALU_DEP_4) | instskip(NEXT) | instid1(VALU_DEP_4)
	v_add3_u32 v69, v69, v72, v78
	v_add3_u32 v20, v20, v39, v44
	s_delay_alu instid0(VALU_DEP_2) | instskip(NEXT) | instid1(VALU_DEP_2)
	v_add3_u32 v69, v69, v75, v76
	v_add3_u32 v20, v20, v41, v42
	s_delay_alu instid0(VALU_DEP_2) | instskip(NEXT) | instid1(VALU_DEP_2)
	v_add3_u32 v69, v69, v77, v82
	v_add3_u32 v20, v20, v43, v49
	s_delay_alu instid0(VALU_DEP_2) | instskip(NEXT) | instid1(VALU_DEP_2)
	v_add3_u32 v69, v69, v79, v80
	v_add3_u32 v20, v20, v45, v46
	s_delay_alu instid0(VALU_DEP_2) | instskip(NEXT) | instid1(VALU_DEP_2)
	v_add3_u32 v69, v69, v81, v98
	v_add3_u32 v20, v20, v48, v53
	s_delay_alu instid0(VALU_DEP_2) | instskip(NEXT) | instid1(VALU_DEP_2)
	v_add3_u32 v69, v69, v84, v85
	v_add3_u32 v20, v20, v50, v51
	s_delay_alu instid0(VALU_DEP_2) | instskip(NEXT) | instid1(VALU_DEP_2)
	v_add3_u32 v69, v69, v97, v102
	v_add3_u32 v20, v20, v52, v57
	s_delay_alu instid0(VALU_DEP_2) | instskip(NEXT) | instid1(VALU_DEP_2)
	v_add3_u32 v69, v69, v99, v100
	v_add3_u32 v20, v20, v54, v55
	s_delay_alu instid0(VALU_DEP_2) | instskip(NEXT) | instid1(VALU_DEP_2)
	v_add3_u32 v69, v69, v101, v108
	v_add3_u32 v20, v20, v56, v62
	s_delay_alu instid0(VALU_DEP_2) | instskip(NEXT) | instid1(VALU_DEP_2)
	v_add3_u32 v69, v69, v105, v106
	v_add3_u32 v20, v20, v58, v59
	s_delay_alu instid0(VALU_DEP_2) | instskip(NEXT) | instid1(VALU_DEP_2)
	v_add3_u32 v69, v69, v107, v112
	v_add3_u32 v20, v20, v61, v66
	s_delay_alu instid0(VALU_DEP_2) | instskip(NEXT) | instid1(VALU_DEP_2)
	v_add3_u32 v69, v69, v109, v110
	v_add3_u32 v20, v20, v63, v64
	s_delay_alu instid0(VALU_DEP_2) | instskip(NEXT) | instid1(VALU_DEP_2)
	v_add3_u32 v69, v69, v111, v113
	v_add3_u32 v20, v20, v60, v67
	s_delay_alu instid0(VALU_DEP_2) | instskip(NEXT) | instid1(VALU_DEP_2)
	v_add3_u32 v69, v69, v254, v255
	v_add3_u32 v20, v20, v68, v65
	ds_load_b128 v[62:65], v116 offset:7168
	ds_load_b128 v[110:113], v116 offset:7184
	v_add_nc_u32_e32 v116, 32, v116
	v_cvt_f32_i32_e32 v69, v69
	v_cvt_f32_i32_e32 v20, v20
	s_delay_alu instid0(VALU_DEP_2) | instskip(NEXT) | instid1(VALU_DEP_2)
	v_fma_mix_f32 v69, v70, v69, v70 op_sel:[0,0,1] op_sel_hi:[1,0,1]
	v_fma_mix_f32 v3, v3, v20, v3 op_sel:[0,0,1] op_sel_hi:[1,0,1]
	s_delay_alu instid0(VALU_DEP_1)
	v_dual_add_f32 v10, v10, v69 :: v_dual_add_f32 v9, v9, v3
	s_waitcnt lgkmcnt(1)
	v_bfe_i32 v39, v62, 0, 8
	v_bfe_i32 v40, v62, 8, 8
	;; [unrolled: 1-line block ×3, first 2 shown]
	s_waitcnt lgkmcnt(0)
	v_bfe_i32 v3, v110, 0, 8
	v_ashrrev_i32_e32 v254, 24, v62
	v_mul_i32_i24_e32 v43, v39, v156
	v_bfe_i32 v98, v63, 0, 8
	v_mul_i32_i24_e32 v44, v40, v157
	v_mul_i32_i24_e32 v45, v41, v159
	v_bfe_i32 v255, v110, 8, 8
	v_mad_i32_i24 v43, v3, v153, v43
	v_bfe_i32 v20, v110, 16, 8
	v_mul_i32_i24_e32 v51, v254, v160
	v_mul_i32_i24_e32 v66, v98, v163
	v_ashrrev_i32_e32 v21, 24, v110
	v_add3_u32 v43, v43, v44, v45
	v_bfe_i32 v108, v111, 0, 8
	v_mul_i32_i24_e32 v52, v255, v161
	v_mul_i32_i24_e32 v56, v20, v155
	v_bfe_i32 v105, v63, 8, 8
	v_add3_u32 v43, v43, v51, v66
	v_bfe_i32 v106, v63, 16, 8
	v_mul_i32_i24_e32 v61, v21, v162
	v_mul_i32_i24_e32 v70, v108, v168
	v_ashrrev_i32_e32 v107, 24, v63
	v_add3_u32 v43, v43, v52, v56
	v_bfe_i32 v46, v64, 0, 8
	v_mul_i32_i24_e32 v67, v105, v164
	v_mul_i32_i24_e32 v68, v106, v165
	v_bfe_i32 v109, v111, 8, 8
	v_add3_u32 v43, v43, v61, v70
	;; [unrolled: 10-line block ×6, first 2 shown]
	v_ashrrev_i32_e32 v84, 24, v113
	v_mul_i32_i24_e32 v101, v62, v184
	v_mul_i32_i24_e32 v110, v64, v186
	;; [unrolled: 1-line block ×3, first 2 shown]
	v_add3_u32 v43, v43, v99, v100
	v_mul_i32_i24_e32 v112, v84, v188
	v_pk_mul_f16 v44, v152, v4
	v_mul_i32_i24_e32 v45, v41, v192
	v_mul_i32_i24_e32 v51, v254, v193
	v_add3_u32 v43, v43, v101, v110
	v_mul_i32_i24_e32 v66, v98, v196
	v_mul_i32_i24_e32 v52, v255, v194
	;; [unrolled: 1-line block ×4, first 2 shown]
	v_add3_u32 v43, v43, v111, v112
	v_mul_i32_i24_e32 v70, v108, v201
	v_mul_i32_i24_e32 v67, v105, v197
	;; [unrolled: 1-line block ×4, first 2 shown]
	v_cvt_f32_i32_e32 v43, v43
	v_mul_i32_i24_e32 v76, v46, v205
	v_mul_i32_i24_e32 v71, v109, v202
	;; [unrolled: 1-line block ×4, first 2 shown]
	v_fma_mix_f32 v43, v44, v43, v44 op_sel:[0,0,1] op_sel_hi:[1,0,1]
	v_mul_i32_i24_e32 v44, v40, v190
	v_mul_i32_i24_e32 v80, v53, v210
	;; [unrolled: 1-line block ×4, first 2 shown]
	v_add_f32_e32 v8, v8, v43
	v_mul_i32_i24_e32 v43, v39, v189
	v_mul_i32_i24_e32 v79, v50, v209
	;; [unrolled: 1-line block ×5, first 2 shown]
	v_mad_i32_i24 v43, v3, v170, v43
	v_mul_i32_i24_e32 v85, v57, v212
	v_mul_i32_i24_e32 v102, v63, v217
	;; [unrolled: 1-line block ×4, first 2 shown]
	v_add3_u32 v43, v43, v44, v45
	v_mul_i32_i24_e32 v101, v62, v216
	v_mul_i32_i24_e32 v110, v64, v218
	v_mul_i32_i24_e32 v111, v65, v207
	v_mul_i32_i24_e32 v112, v84, v220
	v_add3_u32 v43, v43, v51, v66
	v_pk_mul_f16 v44, v154, v4
	v_mul_i32_i24_e32 v45, v41, v224
	v_mul_i32_i24_e32 v51, v254, v225
	v_mul_i32_i24_e32 v66, v98, v228
	v_add3_u32 v43, v43, v52, v56
	v_mul_i32_i24_e32 v52, v255, v226
	v_mul_i32_i24_e32 v56, v20, v219
	v_mul_i32_i24_e32 v152, v39, v251
	v_mul_i32_i24_e32 v153, v40, v252
	v_add3_u32 v43, v43, v61, v70
	v_mul_i32_i24_e32 v61, v21, v227
	;; [unrolled: 5-line block ×4, first 2 shown]
	v_mul_i32_i24_e32 v76, v46, v236
	v_mul_i32_i24_e32 v46, v46, v137
	s_delay_alu instid0(VALU_DEP_4) | instskip(SKIP_3) | instid1(VALU_DEP_4)
	v_add3_u32 v43, v43, v71, v72
	v_mul_i32_i24_e32 v71, v109, v234
	v_mul_i32_i24_e32 v72, v26, v223
	v_mul_i32_i24_e32 v26, v26, v125
	v_add3_u32 v43, v43, v75, v80
	v_mul_i32_i24_e32 v75, v42, v235
	v_mul_i32_i24_e32 v80, v53, v241
	v_mul_i32_i24_e32 v42, v42, v136
	v_mul_i32_i24_e32 v53, v53, v142
	v_add3_u32 v43, v43, v77, v78
	v_mul_i32_i24_e32 v77, v48, v237
	;; [unrolled: 5-line block ×3, first 2 shown]
	v_mul_i32_i24_e32 v97, v58, v244
	v_mul_i32_i24_e32 v50, v50, v141
	s_delay_alu instid0(VALU_DEP_4)
	v_add3_u32 v43, v43, v81, v82
	v_mul_i32_i24_e32 v81, v54, v242
	v_mul_i32_i24_e32 v82, v55, v232
	;; [unrolled: 1-line block ×4, first 2 shown]
	v_add3_u32 v43, v43, v85, v102
	v_mul_i32_i24_e32 v85, v57, v243
	v_mul_i32_i24_e32 v102, v63, v248
	s_delay_alu instid0(VALU_DEP_3) | instskip(SKIP_2) | instid1(VALU_DEP_3)
	v_add3_u32 v43, v43, v99, v100
	v_mul_i32_i24_e32 v99, v59, v245
	v_mul_i32_i24_e32 v100, v60, v246
	v_add3_u32 v43, v43, v101, v110
	v_mul_i32_i24_e32 v101, v62, v247
	v_mul_i32_i24_e32 v110, v64, v249
	s_delay_alu instid0(VALU_DEP_3) | instskip(SKIP_2) | instid1(VALU_DEP_3)
	v_add3_u32 v43, v43, v111, v112
	v_mul_i32_i24_e32 v111, v65, v238
	v_mul_i32_i24_e32 v112, v84, v250
	v_cvt_f32_i32_e32 v43, v43
	s_delay_alu instid0(VALU_DEP_1) | instskip(SKIP_2) | instid1(VALU_DEP_3)
	v_fma_mix_f32 v43, v44, v43, v44 op_sel:[0,0,1] op_sel_hi:[1,0,1]
	v_mul_i32_i24_e32 v44, v40, v222
	v_mul_i32_i24_e32 v40, v255, v127
	v_add_f32_e32 v7, v7, v43
	v_mul_i32_i24_e32 v43, v39, v221
	v_mul_i32_i24_e32 v39, v254, v126
	s_delay_alu instid0(VALU_DEP_2) | instskip(SKIP_1) | instid1(VALU_DEP_2)
	v_mad_i32_i24 v43, v3, v204, v43
	v_mad_i32_i24 v3, v3, v123, v152
	v_add3_u32 v43, v43, v44, v45
	s_delay_alu instid0(VALU_DEP_2)
	v_add3_u32 v3, v3, v153, v154
	v_pk_mul_f16 v44, v180, v4
	v_mul_i32_i24_e32 v45, v107, v132
	v_pk_mul_f16 v4, v122, v4
	v_add3_u32 v43, v43, v51, v66
	v_add3_u32 v3, v3, v39, v41
	v_mul_i32_i24_e32 v51, v108, v134
	s_delay_alu instid0(VALU_DEP_3) | instskip(NEXT) | instid1(VALU_DEP_3)
	v_add3_u32 v43, v43, v52, v56
	v_add3_u32 v3, v3, v40, v20
	v_mul_i32_i24_e32 v52, v109, v135
	v_mul_i32_i24_e32 v56, v57, v144
	;; [unrolled: 1-line block ×3, first 2 shown]
	v_add3_u32 v43, v43, v61, v70
	v_add3_u32 v3, v3, v21, v51
	v_mul_i32_i24_e32 v61, v63, v149
	v_mul_i32_i24_e32 v58, v59, v146
	;; [unrolled: 1-line block ×3, first 2 shown]
	v_add3_u32 v43, v43, v67, v68
	v_mul_i32_i24_e32 v60, v62, v148
	v_mul_i32_i24_e32 v62, v64, v150
	;; [unrolled: 1-line block ×4, first 2 shown]
	v_add3_u32 v43, v43, v69, v76
	s_delay_alu instid0(VALU_DEP_1) | instskip(NEXT) | instid1(VALU_DEP_1)
	v_add3_u32 v43, v43, v71, v72
	v_add3_u32 v43, v43, v75, v80
	s_delay_alu instid0(VALU_DEP_1) | instskip(NEXT) | instid1(VALU_DEP_1)
	v_add3_u32 v43, v43, v77, v78
	;; [unrolled: 3-line block ×5, first 2 shown]
	v_cvt_f32_i32_e32 v43, v43
	s_delay_alu instid0(VALU_DEP_1) | instskip(SKIP_1) | instid1(VALU_DEP_2)
	v_fma_mix_f32 v43, v44, v43, v44 op_sel:[0,0,1] op_sel_hi:[1,0,1]
	v_mul_i32_i24_e32 v44, v106, v131
	v_add_f32_e32 v6, v6, v43
	v_mul_i32_i24_e32 v43, v105, v130
	s_delay_alu instid0(VALU_DEP_1) | instskip(NEXT) | instid1(VALU_DEP_1)
	v_add3_u32 v3, v3, v43, v44
	v_add3_u32 v3, v3, v45, v46
	s_delay_alu instid0(VALU_DEP_1) | instskip(NEXT) | instid1(VALU_DEP_1)
	v_add3_u32 v3, v3, v52, v26
	v_add3_u32 v3, v3, v42, v53
	;; [unrolled: 3-line block ×5, first 2 shown]
	s_delay_alu instid0(VALU_DEP_1) | instskip(NEXT) | instid1(VALU_DEP_1)
	v_add3_u32 v3, v3, v63, v64
	v_cvt_f32_i32_e32 v3, v3
	s_delay_alu instid0(VALU_DEP_1) | instskip(NEXT) | instid1(VALU_DEP_1)
	v_fma_mix_f32 v3, v4, v3, v4 op_sel:[0,0,1] op_sel_hi:[1,0,1]
	v_add_f32_e32 v5, v5, v3
	s_cbranch_scc1 .LBB119_7
; %bb.8:                                ;   in Loop: Header=BB119_6 Depth=1
	s_or_b32 s12, s11, 4
	s_delay_alu instid0(SALU_CYCLE_1)
	s_cmp_ge_i32 s12, s5
	s_barrier
	buffer_gl0_inv
	s_cbranch_scc1 .LBB119_5
; %bb.9:                                ;   in Loop: Header=BB119_6 Depth=1
	scratch_load_b32 v3, off, off offset:208 ; 4-byte Folded Reload
	s_mov_b32 s12, 12
	s_waitcnt vmcnt(0)
	v_dual_mov_b32 v115, v103 :: v_dual_add_nc_u32 v26, s11, v3
	s_delay_alu instid0(VALU_DEP_1) | instskip(SKIP_3) | instid1(VALU_DEP_4)
	v_add_nc_u32_e32 v40, v26, v88
	v_add_nc_u32_e32 v20, v26, v86
	v_add_nc_u32_e32 v39, v26, v87
	v_add_nc_u32_e32 v41, v26, v89
	v_mad_i64_i32 v[48:49], null, v40, 36, v[0:1]
	v_add_nc_u32_e32 v40, v26, v91
	v_mad_i64_i32 v[3:4], null, v20, 36, v[0:1]
	s_delay_alu instid0(VALU_DEP_4) | instskip(NEXT) | instid1(VALU_DEP_3)
	v_mad_i64_i32 v[53:54], null, v41, 36, v[0:1]
	v_mad_i64_i32 v[59:60], null, v40, 36, v[0:1]
	v_add_nc_u32_e32 v40, 4, v114
	v_mov_b32_e32 v114, v104
	v_mad_i64_i32 v[20:21], null, v39, 36, v[0:1]
	v_add_nc_u32_e32 v39, v26, v90
	s_delay_alu instid0(VALU_DEP_4) | instskip(NEXT) | instid1(VALU_DEP_2)
	v_mad_u64_u32 v[105:106], null, v40, 36, s[2:3]
	v_mad_i64_i32 v[57:58], null, v39, 36, v[0:1]
	v_add_nc_u32_e32 v39, v26, v93
	v_add_nc_u32_e32 v26, v26, v95
	s_delay_alu instid0(VALU_DEP_2) | instskip(NEXT) | instid1(VALU_DEP_2)
	v_mad_i64_i32 v[62:63], null, v39, 36, v[0:1]
	v_mad_i64_i32 v[64:65], null, v26, 36, v[0:1]
	s_clause 0x8
	global_load_b32 v3, v[3:4], off offset:4
	global_load_b32 v4, v[20:21], off offset:4
	;; [unrolled: 1-line block ×8, first 2 shown]
	global_load_b32 v42, v[105:106], off
	s_clause 0x5
	scratch_load_b32 v116, off, off offset:228
	scratch_load_b32 v117, off, off offset:224
	;; [unrolled: 1-line block ×5, first 2 shown]
	scratch_load_b32 v43, off, off
	s_waitcnt vmcnt(0)
	ds_store_b32 v43, v3
	scratch_load_b32 v3, off, off offset:4  ; 4-byte Folded Reload
	s_waitcnt vmcnt(0)
	ds_store_b32 v3, v4
	scratch_load_b32 v3, off, off offset:8  ; 4-byte Folded Reload
	s_waitcnt vmcnt(0)
	ds_store_b32 v3, v20
	ds_store_b32 v73, v21
	;; [unrolled: 1-line block ×7, first 2 shown]
	s_waitcnt lgkmcnt(0)
	s_barrier
	buffer_gl0_inv
.LBB119_10:                             ;   Parent Loop BB119_6 Depth=1
                                        ; =>  This Inner Loop Header: Depth=2
	ds_load_b128 v[57:60], v115
	ds_load_b128 v[62:65], v115 offset:16
	ds_load_2addr_b32 v[3:4], v114 offset1:32
	ds_load_b32 v151, v116
	ds_load_2addr_b32 v[20:21], v119 offset1:1
	v_add_nc_u32_e32 v116, 4, v116
	s_add_i32 s12, s12, 4
	s_delay_alu instid0(SALU_CYCLE_1)
	s_cmp_lt_u32 s12, 28
	s_waitcnt lgkmcnt(4)
	v_bfe_i32 v26, v57, 0, 8
	s_waitcnt lgkmcnt(3)
	v_bfe_i32 v42, v62, 0, 8
	v_bfe_i32 v46, v58, 0, 8
	s_waitcnt lgkmcnt(0)
	v_bfe_u32 v154, v20, 20, 4
	v_and_b32_e32 v155, 15, v20
	v_bfe_u32 v156, v20, 8, 4
	v_bfe_u32 v158, v20, 16, 4
	;; [unrolled: 1-line block ×5, first 2 shown]
	v_lshrrev_b32_e32 v161, 28, v20
	v_bfe_u32 v157, v21, 20, 4
	v_and_b32_e32 v162, 15, v21
	v_bfe_u32 v163, v21, 8, 4
	v_bfe_u32 v164, v21, 16, 4
	;; [unrolled: 1-line block ×5, first 2 shown]
	v_lshrrev_b32_e32 v170, 28, v21
	ds_load_2addr_b32 v[20:21], v119 offset0:2 offset1:3
	v_bfe_i32 v51, v63, 0, 8
	v_mul_i32_i24_e32 v71, v155, v26
	v_bfe_i32 v39, v57, 8, 8
	v_bfe_i32 v55, v59, 0, 8
	v_mul_i32_i24_e32 v80, v162, v46
	v_mul_i32_i24_e32 v85, v167, v51
	v_mad_i32_i24 v71, v152, v42, v71
	v_bfe_i32 v40, v57, 16, 8
	v_ashrrev_i32_e32 v41, 24, v57
	v_mul_i32_i24_e32 v72, v156, v39
	v_bfe_i32 v43, v62, 8, 8
	v_add3_u32 v71, v71, v80, v85
	v_bfe_i32 v44, v62, 16, 8
	v_ashrrev_i32_e32 v45, 24, v62
	v_bfe_i32 v48, v58, 8, 8
	v_bfe_i32 v49, v58, 16, 8
	v_ashrrev_i32_e32 v50, 24, v58
	v_bfe_i32 v52, v63, 8, 8
	v_bfe_i32 v53, v63, 16, 8
	s_waitcnt lgkmcnt(0)
	v_and_b32_e32 v171, 15, v20
	v_ashrrev_i32_e32 v54, 24, v63
	v_bfe_i32 v56, v59, 8, 8
	v_bfe_i32 v57, v59, 16, 8
	v_ashrrev_i32_e32 v58, 24, v59
	v_mul_i32_i24_e32 v100, v171, v55
	v_bfe_i32 v59, v64, 0, 8
	v_bfe_i32 v61, v64, 8, 8
	;; [unrolled: 1-line block ×3, first 2 shown]
	v_ashrrev_i32_e32 v63, 24, v64
	v_bfe_i32 v64, v60, 0, 8
	v_mul_i32_i24_e32 v75, v158, v40
	v_mul_i32_i24_e32 v76, v159, v41
	v_bfe_u32 v176, v20, 4, 4
	v_and_b32_e32 v180, 15, v21
	v_add3_u32 v71, v71, v100, v72
	v_mul_i32_i24_e32 v77, v160, v43
	v_mul_i32_i24_e32 v78, v154, v44
	;; [unrolled: 1-line block ×4, first 2 shown]
	v_add3_u32 v71, v71, v75, v76
	v_mul_i32_i24_e32 v79, v161, v45
	v_mul_i32_i24_e32 v81, v163, v48
	v_bfe_i32 v68, v65, 0, 8
	v_mul_i32_i24_e32 v82, v164, v49
	v_add3_u32 v71, v71, v106, v109
	v_mul_i32_i24_e32 v84, v166, v50
	v_bfe_u32 v184, v21, 4, 4
	v_mul_i32_i24_e32 v97, v168, v52
	v_mul_i32_i24_e32 v98, v157, v53
	v_add3_u32 v71, v71, v77, v78
	v_mul_i32_i24_e32 v99, v170, v54
	v_mul_i32_i24_e32 v113, v184, v68
	v_bfe_u32 v172, v20, 8, 4
	v_bfe_u32 v174, v20, 16, 4
	v_add3_u32 v71, v71, v79, v81
	v_bfe_u32 v175, v20, 24, 4
	v_bfe_u32 v177, v20, 12, 4
	v_mul_i32_i24_e32 v101, v172, v56
	v_mul_i32_i24_e32 v102, v174, v57
	v_add3_u32 v71, v71, v82, v84
	v_bfe_u32 v165, v20, 20, 4
	v_mul_i32_i24_e32 v105, v175, v58
	v_mul_i32_i24_e32 v107, v177, v61
	v_lshrrev_b32_e32 v178, 28, v20
	v_add3_u32 v71, v71, v113, v97
	v_bfe_i32 v66, v60, 8, 8
	v_bfe_i32 v67, v60, 16, 8
	v_mul_i32_i24_e32 v108, v165, v62
	v_mul_i32_i24_e32 v20, v178, v63
	v_add3_u32 v71, v71, v98, v99
	v_bfe_u32 v181, v21, 8, 4
	v_bfe_u32 v182, v21, 16, 4
	v_ashrrev_i32_e32 v60, 24, v60
	v_bfe_i32 v69, v65, 8, 8
	v_add3_u32 v71, v71, v101, v102
	v_mul_i32_i24_e32 v110, v181, v66
	v_mul_i32_i24_e32 v111, v182, v67
	v_bfe_u32 v183, v21, 24, 4
	v_bfe_u32 v185, v21, 12, 4
	v_add3_u32 v71, v71, v105, v107
	v_bfe_i32 v70, v65, 16, 8
	v_ashrrev_i32_e32 v65, 24, v65
	v_bfe_u32 v173, v21, 20, 4
	v_mul_i32_i24_e32 v112, v183, v60
	v_add3_u32 v20, v71, v108, v20
	v_mul_i32_i24_e32 v121, v185, v69
	v_lshrrev_b32_e32 v187, 28, v21
	v_mul_i32_i24_e32 v122, v173, v70
	s_delay_alu instid0(VALU_DEP_4) | instskip(NEXT) | instid1(VALU_DEP_3)
	v_add3_u32 v20, v20, v110, v111
	v_mul_i32_i24_e32 v21, v187, v65
	s_delay_alu instid0(VALU_DEP_2) | instskip(NEXT) | instid1(VALU_DEP_1)
	v_add3_u32 v20, v20, v112, v121
	v_add3_u32 v20, v20, v122, v21
	v_pk_mul_f16 v21, v3, v151
	s_delay_alu instid0(VALU_DEP_2) | instskip(NEXT) | instid1(VALU_DEP_1)
	v_cvt_f32_i32_e32 v20, v20
	v_fma_mix_f32 v20, v21, v20, v21 op_sel:[0,0,1] op_sel_hi:[1,0,1]
	s_delay_alu instid0(VALU_DEP_1)
	v_add_f32_e32 v32, v32, v20
	v_add_nc_u32_e32 v20, 0x1080, v119
	ds_load_b32 v153, v117
	ds_load_2addr_b32 v[20:21], v20 offset1:1
	v_add_nc_u32_e32 v117, 4, v117
	s_waitcnt lgkmcnt(0)
	v_bfe_u32 v186, v20, 20, 4
	v_and_b32_e32 v188, 15, v20
	v_bfe_u32 v189, v20, 8, 4
	v_bfe_u32 v191, v20, 16, 4
	;; [unrolled: 1-line block ×5, first 2 shown]
	v_lshrrev_b32_e32 v194, 28, v20
	v_add_nc_u32_e32 v20, 0x1088, v119
	v_bfe_u32 v190, v21, 20, 4
	v_and_b32_e32 v195, 15, v21
	v_bfe_u32 v196, v21, 8, 4
	v_bfe_u32 v197, v21, 16, 4
	;; [unrolled: 1-line block ×5, first 2 shown]
	v_lshrrev_b32_e32 v202, 28, v21
	ds_load_2addr_b32 v[20:21], v20 offset1:1
	v_mul_i32_i24_e32 v71, v188, v26
	v_mul_i32_i24_e32 v80, v195, v46
	;; [unrolled: 1-line block ×5, first 2 shown]
	v_mad_i32_i24 v71, v169, v42, v71
	v_mul_i32_i24_e32 v76, v192, v41
	v_mul_i32_i24_e32 v77, v193, v43
	;; [unrolled: 1-line block ×4, first 2 shown]
	v_add3_u32 v71, v71, v80, v85
	v_mul_i32_i24_e32 v81, v196, v48
	v_mul_i32_i24_e32 v82, v197, v49
	;; [unrolled: 1-line block ×6, first 2 shown]
	s_waitcnt lgkmcnt(0)
	v_and_b32_e32 v204, 15, v20
	v_bfe_u32 v209, v20, 4, 4
	v_and_b32_e32 v212, 15, v21
	v_bfe_u32 v216, v21, 4, 4
	v_bfe_u32 v205, v20, 8, 4
	v_mul_i32_i24_e32 v100, v204, v55
	v_mul_i32_i24_e32 v106, v209, v59
	v_mul_i32_i24_e32 v109, v212, v64
	v_mul_i32_i24_e32 v113, v216, v68
	v_bfe_u32 v207, v20, 16, 4
	v_add3_u32 v71, v71, v100, v72
	v_mul_i32_i24_e32 v101, v205, v56
	v_bfe_u32 v208, v20, 24, 4
	v_bfe_u32 v210, v20, 12, 4
	v_mul_i32_i24_e32 v102, v207, v57
	v_add3_u32 v71, v71, v75, v76
	v_bfe_u32 v199, v20, 20, 4
	v_mul_i32_i24_e32 v105, v208, v58
	v_mul_i32_i24_e32 v107, v210, v61
	v_lshrrev_b32_e32 v211, 28, v20
	v_add3_u32 v71, v71, v106, v109
	v_mul_i32_i24_e32 v108, v199, v62
	v_bfe_u32 v213, v21, 8, 4
	v_bfe_u32 v214, v21, 16, 4
	v_mul_i32_i24_e32 v20, v211, v63
	v_add3_u32 v71, v71, v77, v78
	v_bfe_u32 v215, v21, 24, 4
	v_mul_i32_i24_e32 v110, v213, v66
	v_mul_i32_i24_e32 v111, v214, v67
	v_bfe_u32 v217, v21, 12, 4
	v_add3_u32 v71, v71, v79, v81
	v_bfe_u32 v206, v21, 20, 4
	v_mul_i32_i24_e32 v112, v215, v60
	v_lshrrev_b32_e32 v219, 28, v21
	v_mul_i32_i24_e32 v121, v217, v69
	v_add3_u32 v71, v71, v82, v84
	v_mul_i32_i24_e32 v122, v206, v70
	s_delay_alu instid0(VALU_DEP_4) | instskip(NEXT) | instid1(VALU_DEP_3)
	v_mul_i32_i24_e32 v21, v219, v65
	v_add3_u32 v71, v71, v113, v97
	s_delay_alu instid0(VALU_DEP_1) | instskip(NEXT) | instid1(VALU_DEP_1)
	v_add3_u32 v71, v71, v98, v99
	v_add3_u32 v71, v71, v101, v102
	s_delay_alu instid0(VALU_DEP_1) | instskip(NEXT) | instid1(VALU_DEP_1)
	v_add3_u32 v71, v71, v105, v107
	;; [unrolled: 3-line block ×3, first 2 shown]
	v_add3_u32 v20, v20, v112, v121
	s_delay_alu instid0(VALU_DEP_1) | instskip(SKIP_1) | instid1(VALU_DEP_2)
	v_add3_u32 v20, v20, v122, v21
	v_pk_mul_f16 v21, v3, v153
	v_cvt_f32_i32_e32 v20, v20
	s_delay_alu instid0(VALU_DEP_1) | instskip(NEXT) | instid1(VALU_DEP_1)
	v_fma_mix_f32 v20, v21, v20, v21 op_sel:[0,0,1] op_sel_hi:[1,0,1]
	v_dual_add_f32 v47, v47, v20 :: v_dual_add_nc_u32 v20, 0x2100, v119
	ds_load_b32 v179, v118
	ds_load_2addr_b32 v[20:21], v20 offset1:1
	v_add_nc_u32_e32 v118, 4, v118
	s_waitcnt lgkmcnt(0)
	v_bfe_u32 v218, v20, 20, 4
	v_and_b32_e32 v220, 15, v20
	v_bfe_u32 v221, v20, 8, 4
	v_bfe_u32 v223, v20, 16, 4
	;; [unrolled: 1-line block ×5, first 2 shown]
	v_lshrrev_b32_e32 v226, 28, v20
	v_add_nc_u32_e32 v20, 0x2108, v119
	v_bfe_u32 v222, v21, 20, 4
	v_and_b32_e32 v227, 15, v21
	v_bfe_u32 v228, v21, 8, 4
	v_bfe_u32 v229, v21, 16, 4
	;; [unrolled: 1-line block ×5, first 2 shown]
	v_lshrrev_b32_e32 v234, 28, v21
	ds_load_2addr_b32 v[20:21], v20 offset1:1
	v_mul_i32_i24_e32 v71, v220, v26
	v_mul_i32_i24_e32 v80, v227, v46
	;; [unrolled: 1-line block ×5, first 2 shown]
	v_mad_i32_i24 v71, v203, v42, v71
	v_mul_i32_i24_e32 v76, v224, v41
	v_mul_i32_i24_e32 v77, v225, v43
	;; [unrolled: 1-line block ×4, first 2 shown]
	v_add3_u32 v71, v71, v80, v85
	v_mul_i32_i24_e32 v81, v228, v48
	v_mul_i32_i24_e32 v82, v229, v49
	v_mul_i32_i24_e32 v84, v230, v50
	v_mul_i32_i24_e32 v97, v233, v52
	v_mul_i32_i24_e32 v98, v222, v53
	v_mul_i32_i24_e32 v99, v234, v54
	s_waitcnt lgkmcnt(0)
	v_and_b32_e32 v235, 15, v20
	v_bfe_u32 v240, v20, 4, 4
	v_and_b32_e32 v243, 15, v21
	v_bfe_u32 v247, v21, 4, 4
	v_bfe_u32 v236, v20, 8, 4
	v_mul_i32_i24_e32 v100, v235, v55
	v_mul_i32_i24_e32 v106, v240, v59
	;; [unrolled: 1-line block ×4, first 2 shown]
	v_bfe_u32 v238, v20, 16, 4
	v_add3_u32 v71, v71, v100, v72
	v_mul_i32_i24_e32 v101, v236, v56
	v_bfe_u32 v239, v20, 24, 4
	v_bfe_u32 v241, v20, 12, 4
	v_mul_i32_i24_e32 v102, v238, v57
	v_add3_u32 v71, v71, v75, v76
	v_bfe_u32 v231, v20, 20, 4
	v_mul_i32_i24_e32 v105, v239, v58
	v_mul_i32_i24_e32 v107, v241, v61
	v_lshrrev_b32_e32 v242, 28, v20
	v_add3_u32 v71, v71, v106, v109
	v_mul_i32_i24_e32 v108, v231, v62
	v_bfe_u32 v244, v21, 8, 4
	v_bfe_u32 v245, v21, 16, 4
	v_mul_i32_i24_e32 v20, v242, v63
	v_add3_u32 v71, v71, v77, v78
	v_bfe_u32 v246, v21, 24, 4
	v_mul_i32_i24_e32 v110, v244, v66
	v_mul_i32_i24_e32 v111, v245, v67
	v_bfe_u32 v248, v21, 12, 4
	v_add3_u32 v71, v71, v79, v81
	v_bfe_u32 v237, v21, 20, 4
	v_mul_i32_i24_e32 v112, v246, v60
	v_lshrrev_b32_e32 v249, 28, v21
	v_mul_i32_i24_e32 v121, v248, v69
	v_add3_u32 v71, v71, v82, v84
	v_mul_i32_i24_e32 v122, v237, v70
	s_delay_alu instid0(VALU_DEP_4) | instskip(NEXT) | instid1(VALU_DEP_3)
	v_mul_i32_i24_e32 v21, v249, v65
	v_add3_u32 v71, v71, v113, v97
	s_delay_alu instid0(VALU_DEP_1) | instskip(NEXT) | instid1(VALU_DEP_1)
	v_add3_u32 v71, v71, v98, v99
	v_add3_u32 v71, v71, v101, v102
	s_delay_alu instid0(VALU_DEP_1) | instskip(NEXT) | instid1(VALU_DEP_1)
	v_add3_u32 v71, v71, v105, v107
	;; [unrolled: 3-line block ×3, first 2 shown]
	v_add3_u32 v20, v20, v112, v121
	s_delay_alu instid0(VALU_DEP_1) | instskip(SKIP_1) | instid1(VALU_DEP_2)
	v_add3_u32 v20, v20, v122, v21
	v_pk_mul_f16 v21, v3, v179
	v_cvt_f32_i32_e32 v20, v20
	s_delay_alu instid0(VALU_DEP_1) | instskip(NEXT) | instid1(VALU_DEP_1)
	v_fma_mix_f32 v20, v21, v20, v21 op_sel:[0,0,1] op_sel_hi:[1,0,1]
	v_add_f32_e32 v38, v38, v20
	v_add_nc_u32_e32 v20, 0x3180, v119
	ds_load_b32 v121, v120
	ds_load_2addr_b32 v[20:21], v20 offset1:1
	v_add_nc_u32_e32 v120, 4, v120
	s_waitcnt lgkmcnt(1)
	v_pk_mul_f16 v3, v3, v121
	s_waitcnt lgkmcnt(0)
	v_bfe_u32 v123, v20, 20, 4
	v_and_b32_e32 v250, 15, v20
	v_bfe_u32 v251, v20, 8, 4
	v_bfe_u32 v252, v20, 16, 4
	;; [unrolled: 1-line block ×5, first 2 shown]
	v_lshrrev_b32_e32 v127, 28, v20
	v_add_nc_u32_e32 v20, 0x3188, v119
	v_bfe_u32 v124, v21, 20, 4
	v_and_b32_e32 v128, 15, v21
	v_bfe_u32 v129, v21, 8, 4
	v_bfe_u32 v130, v21, 16, 4
	;; [unrolled: 1-line block ×5, first 2 shown]
	v_lshrrev_b32_e32 v135, 28, v21
	ds_load_2addr_b32 v[20:21], v20 offset1:1
	v_mul_i32_i24_e32 v26, v250, v26
	v_mul_i32_i24_e32 v46, v128, v46
	;; [unrolled: 1-line block ×5, first 2 shown]
	v_mad_i32_i24 v26, v122, v42, v26
	v_mul_i32_i24_e32 v41, v125, v41
	v_mul_i32_i24_e32 v43, v126, v43
	;; [unrolled: 1-line block ×4, first 2 shown]
	v_add3_u32 v26, v26, v46, v51
	v_mul_i32_i24_e32 v48, v129, v48
	v_mul_i32_i24_e32 v49, v130, v49
	;; [unrolled: 1-line block ×6, first 2 shown]
	v_add_nc_u32_e32 v119, 16, v119
	s_waitcnt lgkmcnt(0)
	v_and_b32_e32 v136, 15, v20
	v_bfe_u32 v141, v20, 4, 4
	v_lshrrev_b32_e32 v143, 28, v20
	v_and_b32_e32 v144, 15, v21
	v_bfe_u32 v132, v20, 20, 4
	v_mul_i32_i24_e32 v55, v136, v55
	v_bfe_u32 v137, v20, 8, 4
	v_bfe_u32 v139, v20, 16, 4
	v_bfe_u32 v140, v20, 24, 4
	v_mul_i32_i24_e32 v59, v141, v59
	v_add3_u32 v26, v26, v55, v39
	v_bfe_u32 v142, v20, 12, 4
	v_mul_i32_i24_e32 v20, v143, v63
	v_mul_i32_i24_e32 v63, v144, v64
	v_bfe_u32 v145, v21, 8, 4
	v_add3_u32 v26, v26, v40, v41
	v_bfe_u32 v146, v21, 16, 4
	v_bfe_u32 v148, v21, 4, 4
	v_mul_i32_i24_e32 v56, v137, v56
	v_mul_i32_i24_e32 v64, v145, v66
	v_add3_u32 v26, v26, v59, v63
	v_mul_i32_i24_e32 v66, v146, v67
	v_mul_i32_i24_e32 v67, v148, v68
	v_mul_i32_i24_e32 v57, v139, v57
	v_mul_i32_i24_e32 v58, v140, v58
	v_add3_u32 v26, v26, v43, v44
	v_mul_i32_i24_e32 v61, v142, v61
	v_mul_i32_i24_e32 v62, v132, v62
	v_bfe_u32 v147, v21, 24, 4
	v_bfe_u32 v149, v21, 12, 4
	v_add3_u32 v26, v26, v45, v48
	v_bfe_u32 v138, v21, 20, 4
	v_lshrrev_b32_e32 v150, 28, v21
	v_mul_i32_i24_e32 v60, v147, v60
	v_mul_i32_i24_e32 v68, v149, v69
	v_add3_u32 v26, v26, v49, v50
	v_mul_i32_i24_e32 v69, v138, v70
	v_mul_i32_i24_e32 v21, v150, v65
	s_delay_alu instid0(VALU_DEP_3) | instskip(NEXT) | instid1(VALU_DEP_1)
	v_add3_u32 v26, v26, v67, v52
	v_add3_u32 v26, v26, v53, v54
	s_delay_alu instid0(VALU_DEP_1) | instskip(NEXT) | instid1(VALU_DEP_1)
	v_add3_u32 v26, v26, v56, v57
	v_add3_u32 v26, v26, v58, v61
	s_delay_alu instid0(VALU_DEP_1) | instskip(NEXT) | instid1(VALU_DEP_1)
	v_add3_u32 v20, v26, v62, v20
	v_add3_u32 v20, v20, v64, v66
	s_delay_alu instid0(VALU_DEP_1) | instskip(SKIP_3) | instid1(VALU_DEP_1)
	v_add3_u32 v20, v20, v60, v68
	ds_load_b128 v[57:60], v115 offset:1024
	ds_load_b128 v[62:65], v115 offset:1040
	v_add3_u32 v20, v20, v69, v21
	v_cvt_f32_i32_e32 v20, v20
	s_delay_alu instid0(VALU_DEP_1) | instskip(NEXT) | instid1(VALU_DEP_1)
	v_fma_mix_f32 v3, v3, v20, v3 op_sel:[0,0,1] op_sel_hi:[1,0,1]
	v_add_f32_e32 v37, v37, v3
	s_waitcnt lgkmcnt(1)
	v_bfe_i32 v3, v57, 0, 8
	v_bfe_i32 v20, v57, 8, 8
	v_bfe_i32 v21, v57, 16, 8
	s_waitcnt lgkmcnt(0)
	v_bfe_i32 v39, v62, 0, 8
	v_ashrrev_i32_e32 v26, 24, v57
	v_mul_i32_i24_e32 v68, v3, v155
	v_bfe_i32 v43, v58, 0, 8
	v_mul_i32_i24_e32 v69, v20, v156
	v_mul_i32_i24_e32 v70, v21, v158
	v_bfe_i32 v40, v62, 8, 8
	v_mad_i32_i24 v68, v39, v152, v68
	v_bfe_i32 v41, v62, 16, 8
	v_mul_i32_i24_e32 v71, v26, v159
	v_mul_i32_i24_e32 v77, v43, v162
	v_ashrrev_i32_e32 v42, 24, v62
	v_add3_u32 v68, v68, v69, v70
	v_bfe_i32 v48, v63, 0, 8
	v_mul_i32_i24_e32 v72, v40, v160
	v_mul_i32_i24_e32 v75, v41, v154
	v_bfe_i32 v44, v58, 8, 8
	v_add3_u32 v68, v68, v71, v77
	v_bfe_i32 v45, v58, 16, 8
	v_mul_i32_i24_e32 v76, v42, v161
	v_mul_i32_i24_e32 v81, v48, v167
	v_ashrrev_i32_e32 v46, 24, v58
	v_add3_u32 v68, v68, v72, v75
	v_bfe_i32 v52, v59, 0, 8
	v_mul_i32_i24_e32 v78, v44, v163
	v_mul_i32_i24_e32 v79, v45, v164
	v_bfe_i32 v49, v63, 8, 8
	v_add3_u32 v68, v68, v76, v81
	;; [unrolled: 10-line block ×6, first 2 shown]
	v_ashrrev_i32_e32 v65, 24, v65
	v_mul_i32_i24_e32 v110, v60, v183
	v_mul_i32_i24_e32 v112, v66, v185
	;; [unrolled: 1-line block ×3, first 2 shown]
	v_add3_u32 v68, v68, v108, v109
	v_mul_i32_i24_e32 v253, v65, v187
	v_pk_mul_f16 v69, v151, v4
	v_mul_i32_i24_e32 v70, v21, v191
	v_mul_i32_i24_e32 v71, v26, v192
	v_add3_u32 v68, v68, v110, v112
	v_mul_i32_i24_e32 v77, v43, v195
	v_mul_i32_i24_e32 v72, v40, v193
	v_mul_i32_i24_e32 v75, v41, v186
	v_mul_i32_i24_e32 v76, v42, v194
	v_add3_u32 v68, v68, v113, v253
	v_mul_i32_i24_e32 v81, v48, v200
	v_mul_i32_i24_e32 v78, v44, v196
	;; [unrolled: 1-line block ×4, first 2 shown]
	v_cvt_f32_i32_e32 v68, v68
	v_mul_i32_i24_e32 v97, v52, v204
	v_mul_i32_i24_e32 v82, v49, v201
	v_mul_i32_i24_e32 v84, v50, v190
	v_mul_i32_i24_e32 v85, v51, v202
	v_fma_mix_f32 v68, v69, v68, v69 op_sel:[0,0,1] op_sel_hi:[1,0,1]
	v_mul_i32_i24_e32 v69, v20, v189
	v_mul_i32_i24_e32 v101, v56, v209
	;; [unrolled: 1-line block ×4, first 2 shown]
	v_add_f32_e32 v36, v36, v68
	v_mul_i32_i24_e32 v68, v3, v188
	v_mul_i32_i24_e32 v100, v55, v208
	;; [unrolled: 1-line block ×5, first 2 shown]
	v_mad_i32_i24 v68, v39, v169, v68
	v_mul_i32_i24_e32 v106, v59, v211
	v_mul_i32_i24_e32 v111, v64, v216
	;; [unrolled: 1-line block ×4, first 2 shown]
	v_add3_u32 v68, v68, v69, v70
	v_mul_i32_i24_e32 v110, v60, v215
	v_mul_i32_i24_e32 v112, v66, v217
	;; [unrolled: 1-line block ×4, first 2 shown]
	v_add3_u32 v68, v68, v71, v77
	v_pk_mul_f16 v69, v153, v4
	v_mul_i32_i24_e32 v70, v21, v223
	v_mul_i32_i24_e32 v21, v21, v252
	v_mul_i32_i24_e32 v71, v26, v224
	v_add3_u32 v68, v68, v72, v75
	v_mul_i32_i24_e32 v77, v43, v227
	v_mul_i32_i24_e32 v26, v26, v125
	v_mul_i32_i24_e32 v43, v43, v128
	v_mul_i32_i24_e32 v72, v40, v225
	v_add3_u32 v68, v68, v76, v81
	v_mul_i32_i24_e32 v75, v41, v218
	;; [unrolled: 5-line block ×13, first 2 shown]
	v_mul_i32_i24_e32 v60, v60, v147
	v_mul_i32_i24_e32 v66, v66, v149
	;; [unrolled: 1-line block ×3, first 2 shown]
	v_cvt_f32_i32_e32 v68, v68
	v_mul_i32_i24_e32 v253, v65, v249
	v_mul_i32_i24_e32 v67, v67, v138
	;; [unrolled: 1-line block ×3, first 2 shown]
	s_delay_alu instid0(VALU_DEP_4) | instskip(SKIP_2) | instid1(VALU_DEP_3)
	v_fma_mix_f32 v68, v69, v68, v69 op_sel:[0,0,1] op_sel_hi:[1,0,1]
	v_mul_i32_i24_e32 v69, v20, v221
	v_mul_i32_i24_e32 v20, v20, v251
	v_add_f32_e32 v35, v35, v68
	v_mul_i32_i24_e32 v68, v3, v220
	v_mul_i32_i24_e32 v3, v3, v250
	s_delay_alu instid0(VALU_DEP_2) | instskip(NEXT) | instid1(VALU_DEP_2)
	v_mad_i32_i24 v68, v39, v203, v68
	v_mad_i32_i24 v3, v39, v122, v3
	s_delay_alu instid0(VALU_DEP_2) | instskip(NEXT) | instid1(VALU_DEP_2)
	v_add3_u32 v68, v68, v69, v70
	v_add3_u32 v3, v3, v20, v21
	v_pk_mul_f16 v69, v179, v4
	v_pk_mul_f16 v4, v121, v4
	s_delay_alu instid0(VALU_DEP_4) | instskip(NEXT) | instid1(VALU_DEP_4)
	v_add3_u32 v68, v68, v71, v77
	v_add3_u32 v3, v3, v26, v43
	s_delay_alu instid0(VALU_DEP_2) | instskip(NEXT) | instid1(VALU_DEP_2)
	v_add3_u32 v68, v68, v72, v75
	v_add3_u32 v3, v3, v40, v41
	s_delay_alu instid0(VALU_DEP_2) | instskip(NEXT) | instid1(VALU_DEP_2)
	;; [unrolled: 3-line block ×14, first 2 shown]
	v_cvt_f32_i32_e32 v68, v68
	v_cvt_f32_i32_e32 v3, v3
	s_delay_alu instid0(VALU_DEP_2) | instskip(NEXT) | instid1(VALU_DEP_2)
	v_fma_mix_f32 v68, v69, v68, v69 op_sel:[0,0,1] op_sel_hi:[1,0,1]
	v_fma_mix_f32 v3, v4, v3, v4 op_sel:[0,0,1] op_sel_hi:[1,0,1]
	s_delay_alu instid0(VALU_DEP_1)
	v_dual_add_f32 v34, v34, v68 :: v_dual_add_f32 v33, v33, v3
	ds_load_b128 v[57:60], v115 offset:2048
	ds_load_b128 v[62:65], v115 offset:2064
	ds_load_2addr_b32 v[3:4], v114 offset0:64 offset1:96
	s_waitcnt lgkmcnt(2)
	v_bfe_i32 v20, v57, 0, 8
	v_bfe_i32 v21, v57, 8, 8
	v_bfe_i32 v26, v57, 16, 8
	s_waitcnt lgkmcnt(1)
	v_bfe_i32 v40, v62, 0, 8
	v_ashrrev_i32_e32 v39, 24, v57
	v_mul_i32_i24_e32 v69, v20, v155
	v_bfe_i32 v44, v58, 0, 8
	v_mul_i32_i24_e32 v70, v21, v156
	v_mul_i32_i24_e32 v71, v26, v158
	v_bfe_i32 v41, v62, 8, 8
	v_mad_i32_i24 v69, v40, v152, v69
	v_bfe_i32 v42, v62, 16, 8
	v_mul_i32_i24_e32 v72, v39, v159
	v_mul_i32_i24_e32 v78, v44, v162
	v_ashrrev_i32_e32 v43, 24, v62
	v_add3_u32 v69, v69, v70, v71
	v_bfe_i32 v49, v63, 0, 8
	v_mul_i32_i24_e32 v75, v41, v160
	v_mul_i32_i24_e32 v76, v42, v154
	v_bfe_i32 v45, v58, 8, 8
	v_add3_u32 v69, v69, v72, v78
	v_bfe_i32 v46, v58, 16, 8
	v_mul_i32_i24_e32 v77, v43, v161
	v_mul_i32_i24_e32 v82, v49, v167
	v_ashrrev_i32_e32 v48, 24, v58
	v_add3_u32 v69, v69, v75, v76
	v_bfe_i32 v53, v59, 0, 8
	v_mul_i32_i24_e32 v79, v45, v163
	v_mul_i32_i24_e32 v80, v46, v164
	v_bfe_i32 v50, v63, 8, 8
	v_add3_u32 v69, v69, v77, v82
	;; [unrolled: 10-line block ×6, first 2 shown]
	v_ashrrev_i32_e32 v65, 24, v65
	v_mul_i32_i24_e32 v111, v60, v183
	v_mul_i32_i24_e32 v113, v67, v185
	;; [unrolled: 1-line block ×3, first 2 shown]
	v_add3_u32 v69, v69, v109, v110
	v_mul_i32_i24_e32 v254, v65, v187
	s_waitcnt lgkmcnt(0)
	v_pk_mul_f16 v70, v151, v3
	v_mul_i32_i24_e32 v71, v26, v191
	v_mul_i32_i24_e32 v72, v39, v192
	v_add3_u32 v69, v69, v111, v113
	v_mul_i32_i24_e32 v78, v44, v195
	v_mul_i32_i24_e32 v75, v41, v193
	v_mul_i32_i24_e32 v76, v42, v186
	v_mul_i32_i24_e32 v77, v43, v194
	v_add3_u32 v69, v69, v253, v254
	v_mul_i32_i24_e32 v82, v49, v200
	v_mul_i32_i24_e32 v79, v45, v196
	;; [unrolled: 1-line block ×4, first 2 shown]
	v_cvt_f32_i32_e32 v69, v69
	v_mul_i32_i24_e32 v98, v53, v204
	v_mul_i32_i24_e32 v84, v50, v201
	;; [unrolled: 1-line block ×4, first 2 shown]
	v_fma_mix_f32 v69, v70, v69, v70 op_sel:[0,0,1] op_sel_hi:[1,0,1]
	v_mul_i32_i24_e32 v70, v21, v189
	v_mul_i32_i24_e32 v102, v57, v209
	;; [unrolled: 1-line block ×4, first 2 shown]
	v_add_f32_e32 v31, v31, v69
	v_mul_i32_i24_e32 v69, v20, v188
	v_mul_i32_i24_e32 v101, v56, v208
	;; [unrolled: 1-line block ×5, first 2 shown]
	v_mad_i32_i24 v69, v40, v169, v69
	v_mul_i32_i24_e32 v107, v61, v211
	v_mul_i32_i24_e32 v112, v66, v216
	;; [unrolled: 1-line block ×4, first 2 shown]
	v_add3_u32 v69, v69, v70, v71
	v_mul_i32_i24_e32 v111, v60, v215
	v_mul_i32_i24_e32 v113, v67, v217
	;; [unrolled: 1-line block ×4, first 2 shown]
	v_add3_u32 v69, v69, v72, v78
	v_pk_mul_f16 v70, v153, v3
	v_mul_i32_i24_e32 v71, v26, v223
	v_mul_i32_i24_e32 v26, v26, v252
	v_mul_i32_i24_e32 v72, v39, v224
	v_add3_u32 v69, v69, v75, v76
	v_mul_i32_i24_e32 v78, v44, v227
	v_mul_i32_i24_e32 v39, v39, v125
	v_mul_i32_i24_e32 v44, v44, v128
	v_mul_i32_i24_e32 v75, v41, v225
	v_add3_u32 v69, v69, v77, v82
	v_mul_i32_i24_e32 v76, v42, v218
	;; [unrolled: 5-line block ×13, first 2 shown]
	v_mul_i32_i24_e32 v60, v60, v147
	v_mul_i32_i24_e32 v67, v67, v149
	;; [unrolled: 1-line block ×3, first 2 shown]
	v_cvt_f32_i32_e32 v69, v69
	v_mul_i32_i24_e32 v254, v65, v249
	v_mul_i32_i24_e32 v68, v68, v138
	;; [unrolled: 1-line block ×3, first 2 shown]
	s_delay_alu instid0(VALU_DEP_4) | instskip(SKIP_2) | instid1(VALU_DEP_3)
	v_fma_mix_f32 v69, v70, v69, v70 op_sel:[0,0,1] op_sel_hi:[1,0,1]
	v_mul_i32_i24_e32 v70, v21, v221
	v_mul_i32_i24_e32 v21, v21, v251
	v_add_f32_e32 v30, v30, v69
	v_mul_i32_i24_e32 v69, v20, v220
	v_mul_i32_i24_e32 v20, v20, v250
	s_delay_alu instid0(VALU_DEP_2) | instskip(NEXT) | instid1(VALU_DEP_2)
	v_mad_i32_i24 v69, v40, v203, v69
	v_mad_i32_i24 v20, v40, v122, v20
	s_delay_alu instid0(VALU_DEP_2) | instskip(NEXT) | instid1(VALU_DEP_2)
	v_add3_u32 v69, v69, v70, v71
	v_add3_u32 v20, v20, v21, v26
	v_pk_mul_f16 v70, v179, v3
	v_pk_mul_f16 v3, v121, v3
	s_delay_alu instid0(VALU_DEP_4) | instskip(NEXT) | instid1(VALU_DEP_4)
	v_add3_u32 v69, v69, v72, v78
	v_add3_u32 v20, v20, v39, v44
	s_delay_alu instid0(VALU_DEP_2) | instskip(NEXT) | instid1(VALU_DEP_2)
	v_add3_u32 v69, v69, v75, v76
	v_add3_u32 v20, v20, v41, v42
	s_delay_alu instid0(VALU_DEP_2) | instskip(NEXT) | instid1(VALU_DEP_2)
	;; [unrolled: 3-line block ×13, first 2 shown]
	v_add3_u32 v69, v69, v253, v254
	v_add3_u32 v20, v20, v68, v65
	ds_load_b128 v[57:60], v115 offset:3072
	ds_load_b128 v[62:65], v115 offset:3088
	v_cvt_f32_i32_e32 v69, v69
	v_cvt_f32_i32_e32 v20, v20
	s_delay_alu instid0(VALU_DEP_2) | instskip(NEXT) | instid1(VALU_DEP_2)
	v_fma_mix_f32 v69, v70, v69, v70 op_sel:[0,0,1] op_sel_hi:[1,0,1]
	v_fma_mix_f32 v3, v3, v20, v3 op_sel:[0,0,1] op_sel_hi:[1,0,1]
	s_delay_alu instid0(VALU_DEP_1)
	v_dual_add_f32 v29, v29, v69 :: v_dual_add_f32 v28, v28, v3
	s_waitcnt lgkmcnt(1)
	v_bfe_i32 v3, v57, 0, 8
	v_bfe_i32 v20, v57, 8, 8
	;; [unrolled: 1-line block ×3, first 2 shown]
	s_waitcnt lgkmcnt(0)
	v_bfe_i32 v39, v62, 0, 8
	v_ashrrev_i32_e32 v26, 24, v57
	v_mul_i32_i24_e32 v68, v3, v155
	v_bfe_i32 v43, v58, 0, 8
	v_mul_i32_i24_e32 v69, v20, v156
	v_mul_i32_i24_e32 v70, v21, v158
	v_bfe_i32 v40, v62, 8, 8
	v_mad_i32_i24 v68, v39, v152, v68
	v_bfe_i32 v41, v62, 16, 8
	v_mul_i32_i24_e32 v71, v26, v159
	v_mul_i32_i24_e32 v77, v43, v162
	v_ashrrev_i32_e32 v42, 24, v62
	v_add3_u32 v68, v68, v69, v70
	v_bfe_i32 v48, v63, 0, 8
	v_mul_i32_i24_e32 v72, v40, v160
	v_mul_i32_i24_e32 v75, v41, v154
	v_bfe_i32 v44, v58, 8, 8
	v_add3_u32 v68, v68, v71, v77
	v_bfe_i32 v45, v58, 16, 8
	v_mul_i32_i24_e32 v76, v42, v161
	v_mul_i32_i24_e32 v81, v48, v167
	v_ashrrev_i32_e32 v46, 24, v58
	v_add3_u32 v68, v68, v72, v75
	v_bfe_i32 v52, v59, 0, 8
	v_mul_i32_i24_e32 v78, v44, v163
	v_mul_i32_i24_e32 v79, v45, v164
	v_bfe_i32 v49, v63, 8, 8
	v_add3_u32 v68, v68, v76, v81
	;; [unrolled: 10-line block ×6, first 2 shown]
	v_ashrrev_i32_e32 v65, 24, v65
	v_mul_i32_i24_e32 v110, v60, v183
	v_mul_i32_i24_e32 v112, v66, v185
	;; [unrolled: 1-line block ×3, first 2 shown]
	v_add3_u32 v68, v68, v108, v109
	v_mul_i32_i24_e32 v253, v65, v187
	v_pk_mul_f16 v69, v151, v4
	v_mul_i32_i24_e32 v70, v21, v191
	v_mul_i32_i24_e32 v71, v26, v192
	v_add3_u32 v68, v68, v110, v112
	v_mul_i32_i24_e32 v77, v43, v195
	v_mul_i32_i24_e32 v72, v40, v193
	;; [unrolled: 1-line block ×4, first 2 shown]
	v_add3_u32 v68, v68, v113, v253
	v_mul_i32_i24_e32 v81, v48, v200
	v_mul_i32_i24_e32 v78, v44, v196
	;; [unrolled: 1-line block ×4, first 2 shown]
	v_cvt_f32_i32_e32 v68, v68
	v_mul_i32_i24_e32 v97, v52, v204
	v_mul_i32_i24_e32 v82, v49, v201
	;; [unrolled: 1-line block ×4, first 2 shown]
	v_fma_mix_f32 v68, v69, v68, v69 op_sel:[0,0,1] op_sel_hi:[1,0,1]
	v_mul_i32_i24_e32 v69, v20, v189
	v_mul_i32_i24_e32 v101, v56, v209
	v_mul_i32_i24_e32 v98, v53, v205
	v_mul_i32_i24_e32 v99, v54, v207
	v_add_f32_e32 v27, v27, v68
	v_mul_i32_i24_e32 v68, v3, v188
	v_mul_i32_i24_e32 v100, v55, v208
	v_mul_i32_i24_e32 v107, v61, v212
	v_mul_i32_i24_e32 v102, v57, v210
	v_mul_i32_i24_e32 v105, v58, v199
	v_mad_i32_i24 v68, v39, v169, v68
	v_mul_i32_i24_e32 v106, v59, v211
	v_mul_i32_i24_e32 v111, v64, v216
	;; [unrolled: 1-line block ×4, first 2 shown]
	v_add3_u32 v68, v68, v69, v70
	v_mul_i32_i24_e32 v110, v60, v215
	v_mul_i32_i24_e32 v112, v66, v217
	;; [unrolled: 1-line block ×4, first 2 shown]
	v_add3_u32 v68, v68, v71, v77
	v_pk_mul_f16 v69, v153, v4
	v_mul_i32_i24_e32 v70, v21, v223
	v_mul_i32_i24_e32 v21, v21, v252
	v_mul_i32_i24_e32 v71, v26, v224
	v_add3_u32 v68, v68, v72, v75
	v_mul_i32_i24_e32 v77, v43, v227
	v_mul_i32_i24_e32 v26, v26, v125
	v_mul_i32_i24_e32 v43, v43, v128
	v_mul_i32_i24_e32 v72, v40, v225
	v_add3_u32 v68, v68, v76, v81
	v_mul_i32_i24_e32 v75, v41, v218
	;; [unrolled: 5-line block ×13, first 2 shown]
	v_mul_i32_i24_e32 v60, v60, v147
	v_mul_i32_i24_e32 v66, v66, v149
	;; [unrolled: 1-line block ×3, first 2 shown]
	v_cvt_f32_i32_e32 v68, v68
	v_mul_i32_i24_e32 v253, v65, v249
	v_mul_i32_i24_e32 v67, v67, v138
	;; [unrolled: 1-line block ×3, first 2 shown]
	s_delay_alu instid0(VALU_DEP_4) | instskip(SKIP_2) | instid1(VALU_DEP_3)
	v_fma_mix_f32 v68, v69, v68, v69 op_sel:[0,0,1] op_sel_hi:[1,0,1]
	v_mul_i32_i24_e32 v69, v20, v221
	v_mul_i32_i24_e32 v20, v20, v251
	v_add_f32_e32 v25, v25, v68
	v_mul_i32_i24_e32 v68, v3, v220
	v_mul_i32_i24_e32 v3, v3, v250
	s_delay_alu instid0(VALU_DEP_2) | instskip(NEXT) | instid1(VALU_DEP_2)
	v_mad_i32_i24 v68, v39, v203, v68
	v_mad_i32_i24 v3, v39, v122, v3
	s_delay_alu instid0(VALU_DEP_2) | instskip(NEXT) | instid1(VALU_DEP_2)
	v_add3_u32 v68, v68, v69, v70
	v_add3_u32 v3, v3, v20, v21
	v_pk_mul_f16 v69, v179, v4
	v_pk_mul_f16 v4, v121, v4
	s_delay_alu instid0(VALU_DEP_4) | instskip(NEXT) | instid1(VALU_DEP_4)
	v_add3_u32 v68, v68, v71, v77
	v_add3_u32 v3, v3, v26, v43
	s_delay_alu instid0(VALU_DEP_2) | instskip(NEXT) | instid1(VALU_DEP_2)
	v_add3_u32 v68, v68, v72, v75
	v_add3_u32 v3, v3, v40, v41
	s_delay_alu instid0(VALU_DEP_2) | instskip(NEXT) | instid1(VALU_DEP_2)
	;; [unrolled: 3-line block ×14, first 2 shown]
	v_cvt_f32_i32_e32 v68, v68
	v_cvt_f32_i32_e32 v3, v3
	s_delay_alu instid0(VALU_DEP_2) | instskip(NEXT) | instid1(VALU_DEP_2)
	v_fma_mix_f32 v68, v69, v68, v69 op_sel:[0,0,1] op_sel_hi:[1,0,1]
	v_fma_mix_f32 v3, v4, v3, v4 op_sel:[0,0,1] op_sel_hi:[1,0,1]
	s_delay_alu instid0(VALU_DEP_1)
	v_dual_add_f32 v24, v24, v68 :: v_dual_add_f32 v23, v23, v3
	ds_load_b128 v[57:60], v115 offset:4096
	ds_load_b128 v[62:65], v115 offset:4112
	ds_load_2addr_b32 v[3:4], v114 offset0:128 offset1:160
	s_waitcnt lgkmcnt(2)
	v_bfe_i32 v20, v57, 0, 8
	v_bfe_i32 v21, v57, 8, 8
	;; [unrolled: 1-line block ×3, first 2 shown]
	s_waitcnt lgkmcnt(1)
	v_bfe_i32 v40, v62, 0, 8
	v_ashrrev_i32_e32 v39, 24, v57
	v_mul_i32_i24_e32 v69, v20, v155
	v_bfe_i32 v44, v58, 0, 8
	v_mul_i32_i24_e32 v70, v21, v156
	v_mul_i32_i24_e32 v71, v26, v158
	v_bfe_i32 v41, v62, 8, 8
	v_mad_i32_i24 v69, v40, v152, v69
	v_bfe_i32 v42, v62, 16, 8
	v_mul_i32_i24_e32 v72, v39, v159
	v_mul_i32_i24_e32 v78, v44, v162
	v_ashrrev_i32_e32 v43, 24, v62
	v_add3_u32 v69, v69, v70, v71
	v_bfe_i32 v49, v63, 0, 8
	v_mul_i32_i24_e32 v75, v41, v160
	v_mul_i32_i24_e32 v76, v42, v154
	v_bfe_i32 v45, v58, 8, 8
	v_add3_u32 v69, v69, v72, v78
	v_bfe_i32 v46, v58, 16, 8
	v_mul_i32_i24_e32 v77, v43, v161
	v_mul_i32_i24_e32 v82, v49, v167
	v_ashrrev_i32_e32 v48, 24, v58
	v_add3_u32 v69, v69, v75, v76
	v_bfe_i32 v53, v59, 0, 8
	v_mul_i32_i24_e32 v79, v45, v163
	v_mul_i32_i24_e32 v80, v46, v164
	v_bfe_i32 v50, v63, 8, 8
	v_add3_u32 v69, v69, v77, v82
	;; [unrolled: 10-line block ×6, first 2 shown]
	v_ashrrev_i32_e32 v65, 24, v65
	v_mul_i32_i24_e32 v111, v60, v183
	v_mul_i32_i24_e32 v113, v67, v185
	;; [unrolled: 1-line block ×3, first 2 shown]
	v_add3_u32 v69, v69, v109, v110
	v_mul_i32_i24_e32 v254, v65, v187
	s_waitcnt lgkmcnt(0)
	v_pk_mul_f16 v70, v151, v3
	v_mul_i32_i24_e32 v71, v26, v191
	v_mul_i32_i24_e32 v72, v39, v192
	v_add3_u32 v69, v69, v111, v113
	v_mul_i32_i24_e32 v78, v44, v195
	v_mul_i32_i24_e32 v75, v41, v193
	;; [unrolled: 1-line block ×4, first 2 shown]
	v_add3_u32 v69, v69, v253, v254
	v_mul_i32_i24_e32 v82, v49, v200
	v_mul_i32_i24_e32 v79, v45, v196
	;; [unrolled: 1-line block ×4, first 2 shown]
	v_cvt_f32_i32_e32 v69, v69
	v_mul_i32_i24_e32 v98, v53, v204
	v_mul_i32_i24_e32 v84, v50, v201
	;; [unrolled: 1-line block ×4, first 2 shown]
	v_fma_mix_f32 v69, v70, v69, v70 op_sel:[0,0,1] op_sel_hi:[1,0,1]
	v_mul_i32_i24_e32 v70, v21, v189
	v_mul_i32_i24_e32 v102, v57, v209
	;; [unrolled: 1-line block ×4, first 2 shown]
	v_add_f32_e32 v22, v22, v69
	v_mul_i32_i24_e32 v69, v20, v188
	v_mul_i32_i24_e32 v101, v56, v208
	;; [unrolled: 1-line block ×5, first 2 shown]
	v_mad_i32_i24 v69, v40, v169, v69
	v_mul_i32_i24_e32 v107, v61, v211
	v_mul_i32_i24_e32 v112, v66, v216
	;; [unrolled: 1-line block ×4, first 2 shown]
	v_add3_u32 v69, v69, v70, v71
	v_mul_i32_i24_e32 v111, v60, v215
	v_mul_i32_i24_e32 v113, v67, v217
	;; [unrolled: 1-line block ×4, first 2 shown]
	v_add3_u32 v69, v69, v72, v78
	v_pk_mul_f16 v70, v153, v3
	v_mul_i32_i24_e32 v71, v26, v223
	v_mul_i32_i24_e32 v26, v26, v252
	v_mul_i32_i24_e32 v72, v39, v224
	v_add3_u32 v69, v69, v75, v76
	v_mul_i32_i24_e32 v78, v44, v227
	v_mul_i32_i24_e32 v39, v39, v125
	v_mul_i32_i24_e32 v44, v44, v128
	v_mul_i32_i24_e32 v75, v41, v225
	v_add3_u32 v69, v69, v77, v82
	v_mul_i32_i24_e32 v76, v42, v218
	;; [unrolled: 5-line block ×13, first 2 shown]
	v_mul_i32_i24_e32 v60, v60, v147
	v_mul_i32_i24_e32 v67, v67, v149
	;; [unrolled: 1-line block ×3, first 2 shown]
	v_cvt_f32_i32_e32 v69, v69
	v_mul_i32_i24_e32 v254, v65, v249
	v_mul_i32_i24_e32 v68, v68, v138
	;; [unrolled: 1-line block ×3, first 2 shown]
	s_delay_alu instid0(VALU_DEP_4) | instskip(SKIP_2) | instid1(VALU_DEP_3)
	v_fma_mix_f32 v69, v70, v69, v70 op_sel:[0,0,1] op_sel_hi:[1,0,1]
	v_mul_i32_i24_e32 v70, v21, v221
	v_mul_i32_i24_e32 v21, v21, v251
	v_add_f32_e32 v19, v19, v69
	v_mul_i32_i24_e32 v69, v20, v220
	v_mul_i32_i24_e32 v20, v20, v250
	s_delay_alu instid0(VALU_DEP_2) | instskip(NEXT) | instid1(VALU_DEP_2)
	v_mad_i32_i24 v69, v40, v203, v69
	v_mad_i32_i24 v20, v40, v122, v20
	s_delay_alu instid0(VALU_DEP_2) | instskip(NEXT) | instid1(VALU_DEP_2)
	v_add3_u32 v69, v69, v70, v71
	v_add3_u32 v20, v20, v21, v26
	v_pk_mul_f16 v70, v179, v3
	v_pk_mul_f16 v3, v121, v3
	s_delay_alu instid0(VALU_DEP_4) | instskip(NEXT) | instid1(VALU_DEP_4)
	v_add3_u32 v69, v69, v72, v78
	v_add3_u32 v20, v20, v39, v44
	s_delay_alu instid0(VALU_DEP_2) | instskip(NEXT) | instid1(VALU_DEP_2)
	v_add3_u32 v69, v69, v75, v76
	v_add3_u32 v20, v20, v41, v42
	s_delay_alu instid0(VALU_DEP_2) | instskip(NEXT) | instid1(VALU_DEP_2)
	v_add3_u32 v69, v69, v77, v82
	v_add3_u32 v20, v20, v43, v49
	s_delay_alu instid0(VALU_DEP_2) | instskip(NEXT) | instid1(VALU_DEP_2)
	v_add3_u32 v69, v69, v79, v80
	v_add3_u32 v20, v20, v45, v46
	s_delay_alu instid0(VALU_DEP_2) | instskip(NEXT) | instid1(VALU_DEP_2)
	v_add3_u32 v69, v69, v81, v98
	v_add3_u32 v20, v20, v48, v53
	s_delay_alu instid0(VALU_DEP_2) | instskip(NEXT) | instid1(VALU_DEP_2)
	v_add3_u32 v69, v69, v84, v85
	v_add3_u32 v20, v20, v50, v51
	s_delay_alu instid0(VALU_DEP_2) | instskip(NEXT) | instid1(VALU_DEP_2)
	v_add3_u32 v69, v69, v97, v102
	v_add3_u32 v20, v20, v52, v57
	s_delay_alu instid0(VALU_DEP_2) | instskip(NEXT) | instid1(VALU_DEP_2)
	v_add3_u32 v69, v69, v99, v100
	v_add3_u32 v20, v20, v54, v55
	s_delay_alu instid0(VALU_DEP_2) | instskip(NEXT) | instid1(VALU_DEP_2)
	v_add3_u32 v69, v69, v101, v108
	v_add3_u32 v20, v20, v56, v62
	s_delay_alu instid0(VALU_DEP_2) | instskip(NEXT) | instid1(VALU_DEP_2)
	v_add3_u32 v69, v69, v105, v106
	v_add3_u32 v20, v20, v58, v59
	s_delay_alu instid0(VALU_DEP_2) | instskip(NEXT) | instid1(VALU_DEP_2)
	v_add3_u32 v69, v69, v107, v112
	v_add3_u32 v20, v20, v61, v66
	s_delay_alu instid0(VALU_DEP_2) | instskip(NEXT) | instid1(VALU_DEP_2)
	v_add3_u32 v69, v69, v109, v110
	v_add3_u32 v20, v20, v63, v64
	s_delay_alu instid0(VALU_DEP_2) | instskip(NEXT) | instid1(VALU_DEP_2)
	v_add3_u32 v69, v69, v111, v113
	v_add3_u32 v20, v20, v60, v67
	s_delay_alu instid0(VALU_DEP_2) | instskip(NEXT) | instid1(VALU_DEP_2)
	v_add3_u32 v69, v69, v253, v254
	v_add3_u32 v20, v20, v68, v65
	ds_load_b128 v[57:60], v115 offset:5120
	ds_load_b128 v[62:65], v115 offset:5136
	v_cvt_f32_i32_e32 v69, v69
	v_cvt_f32_i32_e32 v20, v20
	s_delay_alu instid0(VALU_DEP_2) | instskip(NEXT) | instid1(VALU_DEP_2)
	v_fma_mix_f32 v69, v70, v69, v70 op_sel:[0,0,1] op_sel_hi:[1,0,1]
	v_fma_mix_f32 v3, v3, v20, v3 op_sel:[0,0,1] op_sel_hi:[1,0,1]
	s_delay_alu instid0(VALU_DEP_1)
	v_dual_add_f32 v18, v18, v69 :: v_dual_add_f32 v17, v17, v3
	s_waitcnt lgkmcnt(1)
	v_bfe_i32 v3, v57, 0, 8
	v_bfe_i32 v20, v57, 8, 8
	;; [unrolled: 1-line block ×3, first 2 shown]
	s_waitcnt lgkmcnt(0)
	v_bfe_i32 v39, v62, 0, 8
	v_ashrrev_i32_e32 v26, 24, v57
	v_mul_i32_i24_e32 v68, v3, v155
	v_bfe_i32 v43, v58, 0, 8
	v_mul_i32_i24_e32 v69, v20, v156
	v_mul_i32_i24_e32 v70, v21, v158
	v_bfe_i32 v40, v62, 8, 8
	v_mad_i32_i24 v68, v39, v152, v68
	v_bfe_i32 v41, v62, 16, 8
	v_mul_i32_i24_e32 v71, v26, v159
	v_mul_i32_i24_e32 v77, v43, v162
	v_ashrrev_i32_e32 v42, 24, v62
	v_add3_u32 v68, v68, v69, v70
	v_bfe_i32 v48, v63, 0, 8
	v_mul_i32_i24_e32 v72, v40, v160
	v_mul_i32_i24_e32 v75, v41, v154
	v_bfe_i32 v44, v58, 8, 8
	v_add3_u32 v68, v68, v71, v77
	v_bfe_i32 v45, v58, 16, 8
	v_mul_i32_i24_e32 v76, v42, v161
	v_mul_i32_i24_e32 v81, v48, v167
	v_ashrrev_i32_e32 v46, 24, v58
	v_add3_u32 v68, v68, v72, v75
	v_bfe_i32 v52, v59, 0, 8
	v_mul_i32_i24_e32 v78, v44, v163
	v_mul_i32_i24_e32 v79, v45, v164
	v_bfe_i32 v49, v63, 8, 8
	v_add3_u32 v68, v68, v76, v81
	;; [unrolled: 10-line block ×6, first 2 shown]
	v_ashrrev_i32_e32 v65, 24, v65
	v_mul_i32_i24_e32 v110, v60, v183
	v_mul_i32_i24_e32 v112, v66, v185
	;; [unrolled: 1-line block ×3, first 2 shown]
	v_add3_u32 v68, v68, v108, v109
	v_mul_i32_i24_e32 v253, v65, v187
	v_pk_mul_f16 v69, v151, v4
	v_mul_i32_i24_e32 v70, v21, v191
	v_mul_i32_i24_e32 v71, v26, v192
	v_add3_u32 v68, v68, v110, v112
	v_mul_i32_i24_e32 v77, v43, v195
	v_mul_i32_i24_e32 v72, v40, v193
	;; [unrolled: 1-line block ×4, first 2 shown]
	v_add3_u32 v68, v68, v113, v253
	v_mul_i32_i24_e32 v81, v48, v200
	v_mul_i32_i24_e32 v78, v44, v196
	;; [unrolled: 1-line block ×4, first 2 shown]
	v_cvt_f32_i32_e32 v68, v68
	v_mul_i32_i24_e32 v97, v52, v204
	v_mul_i32_i24_e32 v82, v49, v201
	;; [unrolled: 1-line block ×4, first 2 shown]
	v_fma_mix_f32 v68, v69, v68, v69 op_sel:[0,0,1] op_sel_hi:[1,0,1]
	v_mul_i32_i24_e32 v69, v20, v189
	v_mul_i32_i24_e32 v101, v56, v209
	;; [unrolled: 1-line block ×4, first 2 shown]
	v_add_f32_e32 v16, v16, v68
	v_mul_i32_i24_e32 v68, v3, v188
	v_mul_i32_i24_e32 v100, v55, v208
	;; [unrolled: 1-line block ×5, first 2 shown]
	v_mad_i32_i24 v68, v39, v169, v68
	v_mul_i32_i24_e32 v106, v59, v211
	v_mul_i32_i24_e32 v111, v64, v216
	;; [unrolled: 1-line block ×4, first 2 shown]
	v_add3_u32 v68, v68, v69, v70
	v_mul_i32_i24_e32 v110, v60, v215
	v_mul_i32_i24_e32 v112, v66, v217
	v_mul_i32_i24_e32 v113, v67, v206
	v_mul_i32_i24_e32 v253, v65, v219
	v_add3_u32 v68, v68, v71, v77
	v_pk_mul_f16 v69, v153, v4
	v_mul_i32_i24_e32 v70, v21, v223
	v_mul_i32_i24_e32 v21, v21, v252
	v_mul_i32_i24_e32 v71, v26, v224
	v_add3_u32 v68, v68, v72, v75
	v_mul_i32_i24_e32 v77, v43, v227
	v_mul_i32_i24_e32 v26, v26, v125
	v_mul_i32_i24_e32 v43, v43, v128
	v_mul_i32_i24_e32 v72, v40, v225
	v_add3_u32 v68, v68, v76, v81
	v_mul_i32_i24_e32 v75, v41, v218
	;; [unrolled: 5-line block ×13, first 2 shown]
	v_mul_i32_i24_e32 v60, v60, v147
	v_mul_i32_i24_e32 v66, v66, v149
	;; [unrolled: 1-line block ×3, first 2 shown]
	v_cvt_f32_i32_e32 v68, v68
	v_mul_i32_i24_e32 v253, v65, v249
	v_mul_i32_i24_e32 v67, v67, v138
	;; [unrolled: 1-line block ×3, first 2 shown]
	s_delay_alu instid0(VALU_DEP_4) | instskip(SKIP_2) | instid1(VALU_DEP_3)
	v_fma_mix_f32 v68, v69, v68, v69 op_sel:[0,0,1] op_sel_hi:[1,0,1]
	v_mul_i32_i24_e32 v69, v20, v221
	v_mul_i32_i24_e32 v20, v20, v251
	v_add_f32_e32 v15, v15, v68
	v_mul_i32_i24_e32 v68, v3, v220
	v_mul_i32_i24_e32 v3, v3, v250
	s_delay_alu instid0(VALU_DEP_2) | instskip(NEXT) | instid1(VALU_DEP_2)
	v_mad_i32_i24 v68, v39, v203, v68
	v_mad_i32_i24 v3, v39, v122, v3
	s_delay_alu instid0(VALU_DEP_2) | instskip(NEXT) | instid1(VALU_DEP_2)
	v_add3_u32 v68, v68, v69, v70
	v_add3_u32 v3, v3, v20, v21
	v_pk_mul_f16 v69, v179, v4
	v_pk_mul_f16 v4, v121, v4
	s_delay_alu instid0(VALU_DEP_4) | instskip(NEXT) | instid1(VALU_DEP_4)
	v_add3_u32 v68, v68, v71, v77
	v_add3_u32 v3, v3, v26, v43
	s_delay_alu instid0(VALU_DEP_2) | instskip(NEXT) | instid1(VALU_DEP_2)
	v_add3_u32 v68, v68, v72, v75
	v_add3_u32 v3, v3, v40, v41
	s_delay_alu instid0(VALU_DEP_2) | instskip(NEXT) | instid1(VALU_DEP_2)
	;; [unrolled: 3-line block ×14, first 2 shown]
	v_cvt_f32_i32_e32 v68, v68
	v_cvt_f32_i32_e32 v3, v3
	s_delay_alu instid0(VALU_DEP_2) | instskip(NEXT) | instid1(VALU_DEP_2)
	v_fma_mix_f32 v68, v69, v68, v69 op_sel:[0,0,1] op_sel_hi:[1,0,1]
	v_fma_mix_f32 v3, v4, v3, v4 op_sel:[0,0,1] op_sel_hi:[1,0,1]
	s_delay_alu instid0(VALU_DEP_1)
	v_dual_add_f32 v14, v14, v68 :: v_dual_add_f32 v13, v13, v3
	ds_load_b128 v[57:60], v115 offset:6144
	ds_load_b128 v[62:65], v115 offset:6160
	ds_load_2addr_b32 v[3:4], v114 offset0:192 offset1:224
	v_add_nc_u32_e32 v114, 4, v114
	s_waitcnt lgkmcnt(2)
	v_bfe_i32 v20, v57, 0, 8
	v_bfe_i32 v21, v57, 8, 8
	;; [unrolled: 1-line block ×3, first 2 shown]
	s_waitcnt lgkmcnt(1)
	v_bfe_i32 v40, v62, 0, 8
	v_ashrrev_i32_e32 v39, 24, v57
	v_mul_i32_i24_e32 v69, v20, v155
	v_bfe_i32 v44, v58, 0, 8
	v_mul_i32_i24_e32 v70, v21, v156
	v_mul_i32_i24_e32 v71, v26, v158
	v_bfe_i32 v41, v62, 8, 8
	v_mad_i32_i24 v69, v40, v152, v69
	v_bfe_i32 v42, v62, 16, 8
	v_mul_i32_i24_e32 v72, v39, v159
	v_mul_i32_i24_e32 v78, v44, v162
	v_ashrrev_i32_e32 v43, 24, v62
	v_add3_u32 v69, v69, v70, v71
	v_bfe_i32 v49, v63, 0, 8
	v_mul_i32_i24_e32 v75, v41, v160
	v_mul_i32_i24_e32 v76, v42, v154
	v_bfe_i32 v45, v58, 8, 8
	v_add3_u32 v69, v69, v72, v78
	v_bfe_i32 v46, v58, 16, 8
	v_mul_i32_i24_e32 v77, v43, v161
	v_mul_i32_i24_e32 v82, v49, v167
	v_ashrrev_i32_e32 v48, 24, v58
	v_add3_u32 v69, v69, v75, v76
	v_bfe_i32 v53, v59, 0, 8
	v_mul_i32_i24_e32 v79, v45, v163
	v_mul_i32_i24_e32 v80, v46, v164
	v_bfe_i32 v50, v63, 8, 8
	v_add3_u32 v69, v69, v77, v82
	;; [unrolled: 10-line block ×6, first 2 shown]
	v_ashrrev_i32_e32 v65, 24, v65
	v_mul_i32_i24_e32 v111, v60, v183
	v_mul_i32_i24_e32 v113, v67, v185
	;; [unrolled: 1-line block ×3, first 2 shown]
	v_add3_u32 v69, v69, v109, v110
	v_mul_i32_i24_e32 v254, v65, v187
	s_waitcnt lgkmcnt(0)
	v_pk_mul_f16 v70, v151, v3
	v_mul_i32_i24_e32 v71, v26, v191
	v_mul_i32_i24_e32 v72, v39, v192
	v_add3_u32 v69, v69, v111, v113
	v_mul_i32_i24_e32 v78, v44, v195
	v_mul_i32_i24_e32 v75, v41, v193
	;; [unrolled: 1-line block ×4, first 2 shown]
	v_add3_u32 v69, v69, v253, v254
	v_mul_i32_i24_e32 v82, v49, v200
	v_mul_i32_i24_e32 v79, v45, v196
	;; [unrolled: 1-line block ×4, first 2 shown]
	v_cvt_f32_i32_e32 v69, v69
	v_mul_i32_i24_e32 v98, v53, v204
	v_mul_i32_i24_e32 v84, v50, v201
	;; [unrolled: 1-line block ×4, first 2 shown]
	v_fma_mix_f32 v69, v70, v69, v70 op_sel:[0,0,1] op_sel_hi:[1,0,1]
	v_mul_i32_i24_e32 v70, v21, v189
	v_mul_i32_i24_e32 v102, v57, v209
	;; [unrolled: 1-line block ×4, first 2 shown]
	v_add_f32_e32 v12, v12, v69
	v_mul_i32_i24_e32 v69, v20, v188
	v_mul_i32_i24_e32 v101, v56, v208
	;; [unrolled: 1-line block ×5, first 2 shown]
	v_mad_i32_i24 v69, v40, v169, v69
	v_mul_i32_i24_e32 v107, v61, v211
	v_mul_i32_i24_e32 v112, v66, v216
	;; [unrolled: 1-line block ×4, first 2 shown]
	v_add3_u32 v69, v69, v70, v71
	v_mul_i32_i24_e32 v111, v60, v215
	v_mul_i32_i24_e32 v113, v67, v217
	;; [unrolled: 1-line block ×4, first 2 shown]
	v_add3_u32 v69, v69, v72, v78
	v_pk_mul_f16 v70, v153, v3
	v_mul_i32_i24_e32 v71, v26, v223
	v_mul_i32_i24_e32 v26, v26, v252
	v_mul_i32_i24_e32 v72, v39, v224
	v_add3_u32 v69, v69, v75, v76
	v_mul_i32_i24_e32 v78, v44, v227
	v_mul_i32_i24_e32 v39, v39, v125
	v_mul_i32_i24_e32 v44, v44, v128
	v_mul_i32_i24_e32 v75, v41, v225
	v_add3_u32 v69, v69, v77, v82
	v_mul_i32_i24_e32 v76, v42, v218
	;; [unrolled: 5-line block ×13, first 2 shown]
	v_mul_i32_i24_e32 v60, v60, v147
	v_mul_i32_i24_e32 v67, v67, v149
	;; [unrolled: 1-line block ×3, first 2 shown]
	v_cvt_f32_i32_e32 v69, v69
	v_mul_i32_i24_e32 v254, v65, v249
	v_mul_i32_i24_e32 v68, v68, v138
	;; [unrolled: 1-line block ×3, first 2 shown]
	s_delay_alu instid0(VALU_DEP_4) | instskip(SKIP_2) | instid1(VALU_DEP_3)
	v_fma_mix_f32 v69, v70, v69, v70 op_sel:[0,0,1] op_sel_hi:[1,0,1]
	v_mul_i32_i24_e32 v70, v21, v221
	v_mul_i32_i24_e32 v21, v21, v251
	v_add_f32_e32 v11, v11, v69
	v_mul_i32_i24_e32 v69, v20, v220
	v_mul_i32_i24_e32 v20, v20, v250
	s_delay_alu instid0(VALU_DEP_2) | instskip(NEXT) | instid1(VALU_DEP_2)
	v_mad_i32_i24 v69, v40, v203, v69
	v_mad_i32_i24 v20, v40, v122, v20
	s_delay_alu instid0(VALU_DEP_2) | instskip(NEXT) | instid1(VALU_DEP_2)
	v_add3_u32 v69, v69, v70, v71
	v_add3_u32 v20, v20, v21, v26
	v_pk_mul_f16 v70, v179, v3
	v_pk_mul_f16 v3, v121, v3
	s_delay_alu instid0(VALU_DEP_4) | instskip(NEXT) | instid1(VALU_DEP_4)
	v_add3_u32 v69, v69, v72, v78
	v_add3_u32 v20, v20, v39, v44
	s_delay_alu instid0(VALU_DEP_2) | instskip(NEXT) | instid1(VALU_DEP_2)
	v_add3_u32 v69, v69, v75, v76
	v_add3_u32 v20, v20, v41, v42
	s_delay_alu instid0(VALU_DEP_2) | instskip(NEXT) | instid1(VALU_DEP_2)
	v_add3_u32 v69, v69, v77, v82
	v_add3_u32 v20, v20, v43, v49
	s_delay_alu instid0(VALU_DEP_2) | instskip(NEXT) | instid1(VALU_DEP_2)
	v_add3_u32 v69, v69, v79, v80
	v_add3_u32 v20, v20, v45, v46
	s_delay_alu instid0(VALU_DEP_2) | instskip(NEXT) | instid1(VALU_DEP_2)
	v_add3_u32 v69, v69, v81, v98
	v_add3_u32 v20, v20, v48, v53
	s_delay_alu instid0(VALU_DEP_2) | instskip(NEXT) | instid1(VALU_DEP_2)
	v_add3_u32 v69, v69, v84, v85
	v_add3_u32 v20, v20, v50, v51
	s_delay_alu instid0(VALU_DEP_2) | instskip(NEXT) | instid1(VALU_DEP_2)
	v_add3_u32 v69, v69, v97, v102
	v_add3_u32 v20, v20, v52, v57
	s_delay_alu instid0(VALU_DEP_2) | instskip(NEXT) | instid1(VALU_DEP_2)
	v_add3_u32 v69, v69, v99, v100
	v_add3_u32 v20, v20, v54, v55
	s_delay_alu instid0(VALU_DEP_2) | instskip(NEXT) | instid1(VALU_DEP_2)
	v_add3_u32 v69, v69, v101, v108
	v_add3_u32 v20, v20, v56, v62
	s_delay_alu instid0(VALU_DEP_2) | instskip(NEXT) | instid1(VALU_DEP_2)
	v_add3_u32 v69, v69, v105, v106
	v_add3_u32 v20, v20, v58, v59
	s_delay_alu instid0(VALU_DEP_2) | instskip(NEXT) | instid1(VALU_DEP_2)
	v_add3_u32 v69, v69, v107, v112
	v_add3_u32 v20, v20, v61, v66
	s_delay_alu instid0(VALU_DEP_2) | instskip(NEXT) | instid1(VALU_DEP_2)
	v_add3_u32 v69, v69, v109, v110
	v_add3_u32 v20, v20, v63, v64
	s_delay_alu instid0(VALU_DEP_2) | instskip(NEXT) | instid1(VALU_DEP_2)
	v_add3_u32 v69, v69, v111, v113
	v_add3_u32 v20, v20, v60, v67
	s_delay_alu instid0(VALU_DEP_2) | instskip(NEXT) | instid1(VALU_DEP_2)
	v_add3_u32 v69, v69, v253, v254
	v_add3_u32 v20, v20, v68, v65
	ds_load_b128 v[62:65], v115 offset:7168
	ds_load_b128 v[108:111], v115 offset:7184
	v_add_nc_u32_e32 v115, 32, v115
	v_cvt_f32_i32_e32 v69, v69
	v_cvt_f32_i32_e32 v20, v20
	s_delay_alu instid0(VALU_DEP_2) | instskip(NEXT) | instid1(VALU_DEP_2)
	v_fma_mix_f32 v69, v70, v69, v70 op_sel:[0,0,1] op_sel_hi:[1,0,1]
	v_fma_mix_f32 v3, v3, v20, v3 op_sel:[0,0,1] op_sel_hi:[1,0,1]
	s_delay_alu instid0(VALU_DEP_1)
	v_dual_add_f32 v10, v10, v69 :: v_dual_add_f32 v9, v9, v3
	s_waitcnt lgkmcnt(1)
	v_bfe_i32 v39, v62, 0, 8
	v_bfe_i32 v40, v62, 8, 8
	;; [unrolled: 1-line block ×3, first 2 shown]
	s_waitcnt lgkmcnt(0)
	v_bfe_i32 v3, v108, 0, 8
	v_ashrrev_i32_e32 v253, 24, v62
	v_mul_i32_i24_e32 v43, v39, v155
	v_bfe_i32 v26, v63, 0, 8
	v_mul_i32_i24_e32 v44, v40, v156
	v_mul_i32_i24_e32 v45, v41, v158
	v_bfe_i32 v20, v108, 8, 8
	v_mad_i32_i24 v43, v3, v152, v43
	v_bfe_i32 v21, v108, 16, 8
	v_mul_i32_i24_e32 v51, v253, v159
	v_mul_i32_i24_e32 v66, v26, v162
	v_ashrrev_i32_e32 v254, 24, v108
	v_add3_u32 v43, v43, v44, v45
	v_bfe_i32 v106, v109, 0, 8
	v_mul_i32_i24_e32 v52, v20, v160
	v_mul_i32_i24_e32 v56, v21, v154
	v_bfe_i32 v42, v63, 8, 8
	v_add3_u32 v43, v43, v51, v66
	v_bfe_i32 v98, v63, 16, 8
	v_mul_i32_i24_e32 v61, v254, v161
	v_mul_i32_i24_e32 v70, v106, v167
	v_ashrrev_i32_e32 v105, 24, v63
	v_add3_u32 v43, v43, v52, v56
	v_bfe_i32 v46, v64, 0, 8
	v_mul_i32_i24_e32 v67, v42, v163
	v_mul_i32_i24_e32 v68, v98, v164
	v_bfe_i32 v107, v109, 8, 8
	v_add3_u32 v43, v43, v61, v70
	;; [unrolled: 10-line block ×6, first 2 shown]
	v_ashrrev_i32_e32 v84, 24, v111
	v_mul_i32_i24_e32 v101, v62, v183
	v_mul_i32_i24_e32 v110, v64, v185
	v_mul_i32_i24_e32 v111, v65, v173
	v_add3_u32 v43, v43, v99, v100
	v_mul_i32_i24_e32 v112, v84, v187
	v_pk_mul_f16 v44, v151, v4
	v_mul_i32_i24_e32 v45, v41, v191
	v_mul_i32_i24_e32 v51, v253, v192
	v_add3_u32 v43, v43, v101, v110
	v_mul_i32_i24_e32 v66, v26, v195
	v_mul_i32_i24_e32 v52, v20, v193
	;; [unrolled: 1-line block ×4, first 2 shown]
	v_add3_u32 v43, v43, v111, v112
	v_mul_i32_i24_e32 v70, v106, v200
	v_mul_i32_i24_e32 v67, v42, v196
	;; [unrolled: 1-line block ×4, first 2 shown]
	v_cvt_f32_i32_e32 v43, v43
	v_mul_i32_i24_e32 v76, v46, v204
	v_mul_i32_i24_e32 v71, v107, v201
	v_mul_i32_i24_e32 v72, v108, v190
	v_mul_i32_i24_e32 v75, v109, v202
	v_fma_mix_f32 v43, v44, v43, v44 op_sel:[0,0,1] op_sel_hi:[1,0,1]
	v_mul_i32_i24_e32 v44, v40, v189
	v_mul_i32_i24_e32 v80, v53, v209
	;; [unrolled: 1-line block ×4, first 2 shown]
	v_add_f32_e32 v8, v8, v43
	v_mul_i32_i24_e32 v43, v39, v188
	v_mul_i32_i24_e32 v79, v50, v208
	;; [unrolled: 1-line block ×5, first 2 shown]
	v_mad_i32_i24 v43, v3, v169, v43
	v_mul_i32_i24_e32 v85, v57, v211
	v_mul_i32_i24_e32 v102, v63, v216
	;; [unrolled: 1-line block ×4, first 2 shown]
	v_add3_u32 v43, v43, v44, v45
	v_mul_i32_i24_e32 v101, v62, v215
	v_mul_i32_i24_e32 v110, v64, v217
	;; [unrolled: 1-line block ×4, first 2 shown]
	v_add3_u32 v43, v43, v51, v66
	v_pk_mul_f16 v44, v153, v4
	v_mul_i32_i24_e32 v45, v41, v223
	v_mul_i32_i24_e32 v51, v253, v224
	v_mul_i32_i24_e32 v66, v26, v227
	v_add3_u32 v43, v43, v52, v56
	v_mul_i32_i24_e32 v52, v20, v225
	v_mul_i32_i24_e32 v56, v21, v218
	v_mul_i32_i24_e32 v151, v39, v250
	v_mul_i32_i24_e32 v152, v40, v251
	v_add3_u32 v43, v43, v61, v70
	v_mul_i32_i24_e32 v61, v254, v226
	v_mul_i32_i24_e32 v70, v106, v232
	v_mul_i32_i24_e32 v153, v41, v252
	v_mul_i32_i24_e32 v26, v26, v128
	v_add3_u32 v43, v43, v67, v68
	v_mul_i32_i24_e32 v67, v42, v228
	v_mul_i32_i24_e32 v68, v98, v229
	v_mul_i32_i24_e32 v20, v20, v126
	v_mul_i32_i24_e32 v21, v21, v123
	v_add3_u32 v43, v43, v69, v76
	v_mul_i32_i24_e32 v69, v105, v230
	v_mul_i32_i24_e32 v76, v46, v235
	v_mul_i32_i24_e32 v41, v42, v129
	v_mul_i32_i24_e32 v42, v98, v130
	v_add3_u32 v43, v43, v71, v72
	v_mul_i32_i24_e32 v71, v107, v233
	v_mul_i32_i24_e32 v72, v108, v222
	v_mul_i32_i24_e32 v46, v46, v136
	s_delay_alu instid0(VALU_DEP_4) | instskip(SKIP_3) | instid1(VALU_DEP_4)
	v_add3_u32 v43, v43, v75, v80
	v_mul_i32_i24_e32 v75, v109, v234
	v_mul_i32_i24_e32 v80, v53, v240
	;; [unrolled: 1-line block ×3, first 2 shown]
	v_add3_u32 v43, v43, v77, v78
	v_mul_i32_i24_e32 v77, v48, v236
	v_mul_i32_i24_e32 v78, v49, v238
	;; [unrolled: 1-line block ×4, first 2 shown]
	v_add3_u32 v43, v43, v79, v97
	v_mul_i32_i24_e32 v79, v50, v239
	v_mul_i32_i24_e32 v97, v58, v243
	;; [unrolled: 1-line block ×3, first 2 shown]
	s_delay_alu instid0(VALU_DEP_4)
	v_add3_u32 v43, v43, v81, v82
	v_mul_i32_i24_e32 v81, v54, v241
	v_mul_i32_i24_e32 v82, v55, v231
	;; [unrolled: 1-line block ×4, first 2 shown]
	v_add3_u32 v43, v43, v85, v102
	v_mul_i32_i24_e32 v85, v57, v242
	v_mul_i32_i24_e32 v102, v63, v247
	s_delay_alu instid0(VALU_DEP_3) | instskip(SKIP_2) | instid1(VALU_DEP_3)
	v_add3_u32 v43, v43, v99, v100
	v_mul_i32_i24_e32 v99, v59, v244
	v_mul_i32_i24_e32 v100, v60, v245
	v_add3_u32 v43, v43, v101, v110
	v_mul_i32_i24_e32 v101, v62, v246
	v_mul_i32_i24_e32 v110, v64, v248
	s_delay_alu instid0(VALU_DEP_3) | instskip(SKIP_2) | instid1(VALU_DEP_3)
	v_add3_u32 v43, v43, v111, v112
	v_mul_i32_i24_e32 v111, v65, v237
	v_mul_i32_i24_e32 v112, v84, v249
	v_cvt_f32_i32_e32 v43, v43
	s_delay_alu instid0(VALU_DEP_1) | instskip(SKIP_2) | instid1(VALU_DEP_3)
	v_fma_mix_f32 v43, v44, v43, v44 op_sel:[0,0,1] op_sel_hi:[1,0,1]
	v_mul_i32_i24_e32 v44, v40, v221
	v_mul_i32_i24_e32 v40, v254, v127
	v_add_f32_e32 v7, v7, v43
	v_mul_i32_i24_e32 v43, v39, v220
	v_mul_i32_i24_e32 v39, v253, v125
	s_delay_alu instid0(VALU_DEP_2) | instskip(SKIP_1) | instid1(VALU_DEP_2)
	v_mad_i32_i24 v43, v3, v203, v43
	v_mad_i32_i24 v3, v3, v122, v151
	v_add3_u32 v43, v43, v44, v45
	s_delay_alu instid0(VALU_DEP_2)
	v_add3_u32 v3, v3, v152, v153
	v_pk_mul_f16 v44, v179, v4
	v_mul_i32_i24_e32 v45, v107, v134
	v_pk_mul_f16 v4, v121, v4
	v_add3_u32 v43, v43, v51, v66
	v_add3_u32 v3, v3, v39, v26
	v_mul_i32_i24_e32 v51, v108, v124
	s_delay_alu instid0(VALU_DEP_3) | instskip(NEXT) | instid1(VALU_DEP_3)
	v_add3_u32 v43, v43, v52, v56
	v_add3_u32 v3, v3, v20, v21
	v_mul_i32_i24_e32 v52, v109, v135
	v_mul_i32_i24_e32 v56, v57, v143
	;; [unrolled: 1-line block ×3, first 2 shown]
	v_add3_u32 v43, v43, v61, v70
	v_mul_i32_i24_e32 v61, v63, v148
	v_mul_i32_i24_e32 v58, v59, v145
	;; [unrolled: 1-line block ×4, first 2 shown]
	v_add3_u32 v43, v43, v67, v68
	v_mul_i32_i24_e32 v62, v64, v149
	v_mul_i32_i24_e32 v63, v65, v138
	;; [unrolled: 1-line block ×3, first 2 shown]
	s_delay_alu instid0(VALU_DEP_4) | instskip(NEXT) | instid1(VALU_DEP_1)
	v_add3_u32 v43, v43, v69, v76
	v_add3_u32 v43, v43, v71, v72
	s_delay_alu instid0(VALU_DEP_1) | instskip(NEXT) | instid1(VALU_DEP_1)
	v_add3_u32 v43, v43, v75, v80
	v_add3_u32 v43, v43, v77, v78
	s_delay_alu instid0(VALU_DEP_1) | instskip(NEXT) | instid1(VALU_DEP_1)
	;; [unrolled: 3-line block ×5, first 2 shown]
	v_cvt_f32_i32_e32 v43, v43
	v_fma_mix_f32 v43, v44, v43, v44 op_sel:[0,0,1] op_sel_hi:[1,0,1]
	v_mul_i32_i24_e32 v44, v106, v133
	s_delay_alu instid0(VALU_DEP_2) | instskip(NEXT) | instid1(VALU_DEP_2)
	v_add_f32_e32 v6, v6, v43
	v_add3_u32 v3, v3, v40, v44
	v_mul_i32_i24_e32 v43, v105, v131
	s_delay_alu instid0(VALU_DEP_2) | instskip(NEXT) | instid1(VALU_DEP_1)
	v_add3_u32 v3, v3, v41, v42
	v_add3_u32 v3, v3, v43, v46
	s_delay_alu instid0(VALU_DEP_1) | instskip(NEXT) | instid1(VALU_DEP_1)
	v_add3_u32 v3, v3, v45, v51
	v_add3_u32 v3, v3, v52, v53
	s_delay_alu instid0(VALU_DEP_1) | instskip(NEXT) | instid1(VALU_DEP_1)
	;; [unrolled: 3-line block ×5, first 2 shown]
	v_add3_u32 v3, v3, v63, v64
	v_cvt_f32_i32_e32 v3, v3
	s_delay_alu instid0(VALU_DEP_1) | instskip(NEXT) | instid1(VALU_DEP_1)
	v_fma_mix_f32 v3, v4, v3, v4 op_sel:[0,0,1] op_sel_hi:[1,0,1]
	v_add_f32_e32 v5, v5, v3
	s_cbranch_scc1 .LBB119_10
; %bb.11:                               ;   in Loop: Header=BB119_6 Depth=1
	s_barrier
	buffer_gl0_inv
	s_branch .LBB119_5
.LBB119_12:
	s_clause 0x2
	scratch_load_b32 v1, off, off offset:232
	scratch_load_b32 v0, off, off offset:236
	;; [unrolled: 1-line block ×3, first 2 shown]
.LBB119_13:
	s_mov_b32 s0, exec_lo
	s_waitcnt vmcnt(0)
	v_cmpx_gt_u32_e64 s4, v2
	s_cbranch_execz .LBB119_64
; %bb.14:
	v_add_nc_u32_e32 v0, s10, v0
	v_mul_lo_u32 v20, v2, s6
	s_delay_alu instid0(VALU_DEP_2)
	v_cmp_gt_u32_e32 vcc_lo, s6, v0
	s_and_saveexec_b32 s1, vcc_lo
	s_cbranch_execz .LBB119_16
; %bb.15:
	s_delay_alu instid0(VALU_DEP_2) | instskip(NEXT) | instid1(VALU_DEP_1)
	v_dual_mov_b32 v3, 0 :: v_dual_add_nc_u32 v2, v0, v20
	v_lshlrev_b64 v[2:3], 2, v[2:3]
	s_waitcnt lgkmcnt(0)
	s_delay_alu instid0(VALU_DEP_1) | instskip(NEXT) | instid1(VALU_DEP_1)
	v_add_co_u32 v2, s0, s8, v2
	v_add_co_ci_u32_e64 v3, s0, s9, v3, s0
	global_store_b32 v[2:3], v32, off
.LBB119_16:
	s_or_b32 exec_lo, exec_lo, s1
	v_add_nc_u32_e32 v2, 32, v0
	s_delay_alu instid0(VALU_DEP_1) | instskip(NEXT) | instid1(VALU_DEP_1)
	v_cmp_gt_u32_e64 s0, s6, v2
	s_and_saveexec_b32 s2, s0
	s_cbranch_execz .LBB119_18
; %bb.17:
	v_dual_mov_b32 v4, 0 :: v_dual_add_nc_u32 v3, v2, v20
	s_delay_alu instid0(VALU_DEP_1) | instskip(SKIP_1) | instid1(VALU_DEP_1)
	v_lshlrev_b64 v[3:4], 2, v[3:4]
	s_waitcnt lgkmcnt(0)
	v_add_co_u32 v3, s1, s8, v3
	s_delay_alu instid0(VALU_DEP_1)
	v_add_co_ci_u32_e64 v4, s1, s9, v4, s1
	global_store_b32 v[3:4], v47, off
.LBB119_18:
	s_or_b32 exec_lo, exec_lo, s2
	v_add_nc_u32_e32 v3, 64, v0
	s_delay_alu instid0(VALU_DEP_1) | instskip(NEXT) | instid1(VALU_DEP_1)
	v_cmp_gt_u32_e64 s1, s6, v3
	s_and_saveexec_b32 s3, s1
	s_cbranch_execz .LBB119_20
; %bb.19:
	v_dual_mov_b32 v40, 0 :: v_dual_add_nc_u32 v39, v3, v20
	s_delay_alu instid0(VALU_DEP_1) | instskip(SKIP_1) | instid1(VALU_DEP_1)
	v_lshlrev_b64 v[39:40], 2, v[39:40]
	s_waitcnt lgkmcnt(0)
	v_add_co_u32 v39, s2, s8, v39
	s_delay_alu instid0(VALU_DEP_1)
	v_add_co_ci_u32_e64 v40, s2, s9, v40, s2
	global_store_b32 v[39:40], v38, off
.LBB119_20:
	s_or_b32 exec_lo, exec_lo, s3
	v_add_nc_u32_e32 v4, 0x60, v0
	s_delay_alu instid0(VALU_DEP_1) | instskip(NEXT) | instid1(VALU_DEP_1)
	v_cmp_gt_u32_e64 s2, s6, v4
	s_and_saveexec_b32 s5, s2
	s_cbranch_execz .LBB119_22
; %bb.21:
	v_dual_mov_b32 v21, 0 :: v_dual_add_nc_u32 v20, v4, v20
	s_delay_alu instid0(VALU_DEP_1) | instskip(SKIP_1) | instid1(VALU_DEP_1)
	v_lshlrev_b64 v[20:21], 2, v[20:21]
	s_waitcnt lgkmcnt(0)
	v_add_co_u32 v20, s3, s8, v20
	s_delay_alu instid0(VALU_DEP_1)
	v_add_co_ci_u32_e64 v21, s3, s9, v21, s3
	global_store_b32 v[20:21], v37, off
.LBB119_22:
	s_or_b32 exec_lo, exec_lo, s5
	v_add3_u32 v20, v1, s7, 8
	s_delay_alu instid0(VALU_DEP_1) | instskip(NEXT) | instid1(VALU_DEP_1)
	v_cmp_gt_u32_e64 s3, s4, v20
	s_and_b32 exec_lo, exec_lo, s3
	s_cbranch_execz .LBB119_64
; %bb.23:
	v_mul_lo_u32 v20, v20, s6
	s_and_saveexec_b32 s5, vcc_lo
	s_cbranch_execnz .LBB119_65
; %bb.24:
	s_or_b32 exec_lo, exec_lo, s5
	s_and_saveexec_b32 s5, s0
	s_cbranch_execnz .LBB119_66
.LBB119_25:
	s_or_b32 exec_lo, exec_lo, s5
	s_and_saveexec_b32 s5, s1
	s_cbranch_execnz .LBB119_67
.LBB119_26:
	s_or_b32 exec_lo, exec_lo, s5
	s_and_saveexec_b32 s5, s2
	s_cbranch_execz .LBB119_28
.LBB119_27:
	v_dual_mov_b32 v21, 0 :: v_dual_add_nc_u32 v20, v20, v4
	s_delay_alu instid0(VALU_DEP_1) | instskip(SKIP_1) | instid1(VALU_DEP_1)
	v_lshlrev_b64 v[20:21], 2, v[20:21]
	s_waitcnt lgkmcnt(0)
	v_add_co_u32 v20, s3, s8, v20
	s_delay_alu instid0(VALU_DEP_1)
	v_add_co_ci_u32_e64 v21, s3, s9, v21, s3
	global_store_b32 v[20:21], v33, off
.LBB119_28:
	s_or_b32 exec_lo, exec_lo, s5
	v_add3_u32 v20, v1, s7, 16
	s_delay_alu instid0(VALU_DEP_1) | instskip(NEXT) | instid1(VALU_DEP_1)
	v_cmp_gt_u32_e64 s3, s4, v20
	s_and_b32 exec_lo, exec_lo, s3
	s_cbranch_execz .LBB119_64
; %bb.29:
	v_mul_lo_u32 v20, v20, s6
	s_and_saveexec_b32 s5, vcc_lo
	s_cbranch_execnz .LBB119_68
; %bb.30:
	s_or_b32 exec_lo, exec_lo, s5
	s_and_saveexec_b32 s5, s0
	s_cbranch_execnz .LBB119_69
.LBB119_31:
	s_or_b32 exec_lo, exec_lo, s5
	s_and_saveexec_b32 s5, s1
	s_cbranch_execnz .LBB119_70
.LBB119_32:
	s_or_b32 exec_lo, exec_lo, s5
	s_and_saveexec_b32 s5, s2
	s_cbranch_execz .LBB119_34
.LBB119_33:
	v_dual_mov_b32 v21, 0 :: v_dual_add_nc_u32 v20, v20, v4
	s_delay_alu instid0(VALU_DEP_1) | instskip(SKIP_1) | instid1(VALU_DEP_1)
	v_lshlrev_b64 v[20:21], 2, v[20:21]
	s_waitcnt lgkmcnt(0)
	v_add_co_u32 v20, s3, s8, v20
	s_delay_alu instid0(VALU_DEP_1)
	v_add_co_ci_u32_e64 v21, s3, s9, v21, s3
	global_store_b32 v[20:21], v28, off
.LBB119_34:
	s_or_b32 exec_lo, exec_lo, s5
	v_add3_u32 v20, v1, s7, 24
	s_delay_alu instid0(VALU_DEP_1) | instskip(NEXT) | instid1(VALU_DEP_1)
	v_cmp_gt_u32_e64 s3, s4, v20
	s_and_b32 exec_lo, exec_lo, s3
	s_cbranch_execz .LBB119_64
; %bb.35:
	v_mul_lo_u32 v20, v20, s6
	s_and_saveexec_b32 s5, vcc_lo
	s_cbranch_execnz .LBB119_71
; %bb.36:
	s_or_b32 exec_lo, exec_lo, s5
	s_and_saveexec_b32 s5, s0
	s_cbranch_execnz .LBB119_72
.LBB119_37:
	s_or_b32 exec_lo, exec_lo, s5
	s_and_saveexec_b32 s5, s1
	s_cbranch_execnz .LBB119_73
.LBB119_38:
	s_or_b32 exec_lo, exec_lo, s5
	s_and_saveexec_b32 s5, s2
	s_cbranch_execz .LBB119_40
.LBB119_39:
	v_dual_mov_b32 v21, 0 :: v_dual_add_nc_u32 v20, v20, v4
	s_delay_alu instid0(VALU_DEP_1) | instskip(SKIP_1) | instid1(VALU_DEP_1)
	v_lshlrev_b64 v[20:21], 2, v[20:21]
	s_waitcnt lgkmcnt(0)
	v_add_co_u32 v20, s3, s8, v20
	s_delay_alu instid0(VALU_DEP_1)
	v_add_co_ci_u32_e64 v21, s3, s9, v21, s3
	global_store_b32 v[20:21], v23, off
.LBB119_40:
	s_or_b32 exec_lo, exec_lo, s5
	v_add3_u32 v20, v1, s7, 32
	s_delay_alu instid0(VALU_DEP_1) | instskip(NEXT) | instid1(VALU_DEP_1)
	v_cmp_gt_u32_e64 s3, s4, v20
	s_and_b32 exec_lo, exec_lo, s3
	s_cbranch_execz .LBB119_64
; %bb.41:
	v_mul_lo_u32 v20, v20, s6
	s_and_saveexec_b32 s5, vcc_lo
	s_cbranch_execnz .LBB119_74
; %bb.42:
	s_or_b32 exec_lo, exec_lo, s5
	s_and_saveexec_b32 s5, s0
	s_cbranch_execnz .LBB119_75
.LBB119_43:
	s_or_b32 exec_lo, exec_lo, s5
	s_and_saveexec_b32 s5, s1
	s_cbranch_execnz .LBB119_76
.LBB119_44:
	s_or_b32 exec_lo, exec_lo, s5
	s_and_saveexec_b32 s5, s2
	s_cbranch_execz .LBB119_46
.LBB119_45:
	v_dual_mov_b32 v19, 0 :: v_dual_add_nc_u32 v18, v20, v4
	s_delay_alu instid0(VALU_DEP_1) | instskip(SKIP_1) | instid1(VALU_DEP_1)
	v_lshlrev_b64 v[18:19], 2, v[18:19]
	s_waitcnt lgkmcnt(0)
	v_add_co_u32 v18, s3, s8, v18
	s_delay_alu instid0(VALU_DEP_1)
	v_add_co_ci_u32_e64 v19, s3, s9, v19, s3
	global_store_b32 v[18:19], v17, off
.LBB119_46:
	s_or_b32 exec_lo, exec_lo, s5
	v_add3_u32 v17, v1, s7, 40
	s_delay_alu instid0(VALU_DEP_1) | instskip(NEXT) | instid1(VALU_DEP_1)
	v_cmp_gt_u32_e64 s3, s4, v17
	s_and_b32 exec_lo, exec_lo, s3
	s_cbranch_execz .LBB119_64
; %bb.47:
	v_mul_lo_u32 v17, v17, s6
	s_and_saveexec_b32 s5, vcc_lo
	s_cbranch_execnz .LBB119_77
; %bb.48:
	s_or_b32 exec_lo, exec_lo, s5
	s_and_saveexec_b32 s5, s0
	s_cbranch_execnz .LBB119_78
.LBB119_49:
	s_or_b32 exec_lo, exec_lo, s5
	s_and_saveexec_b32 s5, s1
	s_cbranch_execnz .LBB119_79
.LBB119_50:
	s_or_b32 exec_lo, exec_lo, s5
	s_and_saveexec_b32 s5, s2
	s_cbranch_execz .LBB119_52
.LBB119_51:
	v_dual_mov_b32 v15, 0 :: v_dual_add_nc_u32 v14, v17, v4
	s_delay_alu instid0(VALU_DEP_1) | instskip(SKIP_1) | instid1(VALU_DEP_1)
	v_lshlrev_b64 v[14:15], 2, v[14:15]
	s_waitcnt lgkmcnt(0)
	v_add_co_u32 v14, s3, s8, v14
	s_delay_alu instid0(VALU_DEP_1)
	v_add_co_ci_u32_e64 v15, s3, s9, v15, s3
	global_store_b32 v[14:15], v13, off
.LBB119_52:
	s_or_b32 exec_lo, exec_lo, s5
	v_add3_u32 v13, v1, s7, 48
	s_delay_alu instid0(VALU_DEP_1) | instskip(NEXT) | instid1(VALU_DEP_1)
	v_cmp_gt_u32_e64 s3, s4, v13
	s_and_b32 exec_lo, exec_lo, s3
	s_cbranch_execz .LBB119_64
; %bb.53:
	v_mul_lo_u32 v13, v13, s6
	s_and_saveexec_b32 s5, vcc_lo
	s_cbranch_execnz .LBB119_80
; %bb.54:
	s_or_b32 exec_lo, exec_lo, s5
	s_and_saveexec_b32 s5, s0
	s_cbranch_execnz .LBB119_81
.LBB119_55:
	s_or_b32 exec_lo, exec_lo, s5
	s_and_saveexec_b32 s5, s1
	s_cbranch_execnz .LBB119_82
.LBB119_56:
	s_or_b32 exec_lo, exec_lo, s5
	s_and_saveexec_b32 s5, s2
	s_cbranch_execz .LBB119_58
.LBB119_57:
	v_dual_mov_b32 v11, 0 :: v_dual_add_nc_u32 v10, v13, v4
	s_delay_alu instid0(VALU_DEP_1) | instskip(SKIP_1) | instid1(VALU_DEP_1)
	v_lshlrev_b64 v[10:11], 2, v[10:11]
	s_waitcnt lgkmcnt(0)
	v_add_co_u32 v10, s3, s8, v10
	s_delay_alu instid0(VALU_DEP_1)
	v_add_co_ci_u32_e64 v11, s3, s9, v11, s3
	global_store_b32 v[10:11], v9, off
.LBB119_58:
	s_or_b32 exec_lo, exec_lo, s5
	v_add3_u32 v1, v1, s7, 56
	s_delay_alu instid0(VALU_DEP_1) | instskip(NEXT) | instid1(VALU_DEP_1)
	v_cmp_gt_u32_e64 s3, s4, v1
	s_and_b32 exec_lo, exec_lo, s3
	s_cbranch_execz .LBB119_64
; %bb.59:
	v_mul_lo_u32 v1, v1, s6
	s_and_saveexec_b32 s3, vcc_lo
	s_cbranch_execnz .LBB119_83
; %bb.60:
	s_or_b32 exec_lo, exec_lo, s3
	s_and_saveexec_b32 s3, s0
	s_cbranch_execnz .LBB119_84
.LBB119_61:
	s_or_b32 exec_lo, exec_lo, s3
	s_and_saveexec_b32 s0, s1
	s_cbranch_execnz .LBB119_85
.LBB119_62:
	s_or_b32 exec_lo, exec_lo, s0
	s_delay_alu instid0(SALU_CYCLE_1)
	s_and_b32 exec_lo, exec_lo, s2
	s_cbranch_execz .LBB119_64
.LBB119_63:
	v_dual_mov_b32 v1, 0 :: v_dual_add_nc_u32 v0, v1, v4
	s_delay_alu instid0(VALU_DEP_1) | instskip(SKIP_1) | instid1(VALU_DEP_1)
	v_lshlrev_b64 v[0:1], 2, v[0:1]
	s_waitcnt lgkmcnt(0)
	v_add_co_u32 v0, vcc_lo, s8, v0
	s_delay_alu instid0(VALU_DEP_2)
	v_add_co_ci_u32_e32 v1, vcc_lo, s9, v1, vcc_lo
	global_store_b32 v[0:1], v5, off
.LBB119_64:
	s_nop 0
	s_sendmsg sendmsg(MSG_DEALLOC_VGPRS)
	s_endpgm
.LBB119_65:
	s_delay_alu instid0(VALU_DEP_1) | instskip(NEXT) | instid1(VALU_DEP_1)
	v_dual_mov_b32 v38, 0 :: v_dual_add_nc_u32 v37, v20, v0
	v_lshlrev_b64 v[37:38], 2, v[37:38]
	s_waitcnt lgkmcnt(0)
	s_delay_alu instid0(VALU_DEP_1) | instskip(NEXT) | instid1(VALU_DEP_1)
	v_add_co_u32 v37, s3, s8, v37
	v_add_co_ci_u32_e64 v38, s3, s9, v38, s3
	global_store_b32 v[37:38], v36, off
	s_or_b32 exec_lo, exec_lo, s5
	s_and_saveexec_b32 s5, s0
	s_cbranch_execz .LBB119_25
.LBB119_66:
	s_delay_alu instid0(VALU_DEP_1) | instskip(NEXT) | instid1(VALU_DEP_1)
	v_dual_mov_b32 v37, 0 :: v_dual_add_nc_u32 v36, v20, v2
	v_lshlrev_b64 v[36:37], 2, v[36:37]
	s_waitcnt lgkmcnt(0)
	s_delay_alu instid0(VALU_DEP_1) | instskip(NEXT) | instid1(VALU_DEP_1)
	v_add_co_u32 v36, s3, s8, v36
	v_add_co_ci_u32_e64 v37, s3, s9, v37, s3
	global_store_b32 v[36:37], v35, off
	s_or_b32 exec_lo, exec_lo, s5
	s_and_saveexec_b32 s5, s1
	s_cbranch_execz .LBB119_26
.LBB119_67:
	v_dual_mov_b32 v36, 0 :: v_dual_add_nc_u32 v35, v20, v3
	s_delay_alu instid0(VALU_DEP_1) | instskip(SKIP_1) | instid1(VALU_DEP_1)
	v_lshlrev_b64 v[35:36], 2, v[35:36]
	s_waitcnt lgkmcnt(0)
	v_add_co_u32 v35, s3, s8, v35
	s_delay_alu instid0(VALU_DEP_1)
	v_add_co_ci_u32_e64 v36, s3, s9, v36, s3
	global_store_b32 v[35:36], v34, off
	s_or_b32 exec_lo, exec_lo, s5
	s_and_saveexec_b32 s5, s2
	s_cbranch_execnz .LBB119_27
	s_branch .LBB119_28
.LBB119_68:
	s_delay_alu instid0(VALU_DEP_1) | instskip(NEXT) | instid1(VALU_DEP_1)
	v_dual_mov_b32 v33, 0 :: v_dual_add_nc_u32 v32, v20, v0
	v_lshlrev_b64 v[32:33], 2, v[32:33]
	s_waitcnt lgkmcnt(0)
	s_delay_alu instid0(VALU_DEP_1) | instskip(NEXT) | instid1(VALU_DEP_1)
	v_add_co_u32 v32, s3, s8, v32
	v_add_co_ci_u32_e64 v33, s3, s9, v33, s3
	global_store_b32 v[32:33], v31, off
	s_or_b32 exec_lo, exec_lo, s5
	s_and_saveexec_b32 s5, s0
	s_cbranch_execz .LBB119_31
.LBB119_69:
	s_delay_alu instid0(VALU_DEP_1) | instskip(NEXT) | instid1(VALU_DEP_1)
	v_dual_mov_b32 v32, 0 :: v_dual_add_nc_u32 v31, v20, v2
	v_lshlrev_b64 v[31:32], 2, v[31:32]
	s_waitcnt lgkmcnt(0)
	s_delay_alu instid0(VALU_DEP_1) | instskip(NEXT) | instid1(VALU_DEP_1)
	v_add_co_u32 v31, s3, s8, v31
	v_add_co_ci_u32_e64 v32, s3, s9, v32, s3
	global_store_b32 v[31:32], v30, off
	s_or_b32 exec_lo, exec_lo, s5
	s_and_saveexec_b32 s5, s1
	s_cbranch_execz .LBB119_32
.LBB119_70:
	v_dual_mov_b32 v31, 0 :: v_dual_add_nc_u32 v30, v20, v3
	s_delay_alu instid0(VALU_DEP_1) | instskip(SKIP_1) | instid1(VALU_DEP_1)
	v_lshlrev_b64 v[30:31], 2, v[30:31]
	s_waitcnt lgkmcnt(0)
	v_add_co_u32 v30, s3, s8, v30
	s_delay_alu instid0(VALU_DEP_1)
	v_add_co_ci_u32_e64 v31, s3, s9, v31, s3
	global_store_b32 v[30:31], v29, off
	s_or_b32 exec_lo, exec_lo, s5
	s_and_saveexec_b32 s5, s2
	s_cbranch_execnz .LBB119_33
	s_branch .LBB119_34
.LBB119_71:
	s_delay_alu instid0(VALU_DEP_1) | instskip(NEXT) | instid1(VALU_DEP_1)
	v_dual_mov_b32 v29, 0 :: v_dual_add_nc_u32 v28, v20, v0
	v_lshlrev_b64 v[28:29], 2, v[28:29]
	s_waitcnt lgkmcnt(0)
	s_delay_alu instid0(VALU_DEP_1) | instskip(NEXT) | instid1(VALU_DEP_1)
	v_add_co_u32 v28, s3, s8, v28
	v_add_co_ci_u32_e64 v29, s3, s9, v29, s3
	global_store_b32 v[28:29], v27, off
	s_or_b32 exec_lo, exec_lo, s5
	s_and_saveexec_b32 s5, s0
	s_cbranch_execz .LBB119_37
.LBB119_72:
	s_delay_alu instid0(VALU_DEP_1) | instskip(NEXT) | instid1(VALU_DEP_1)
	v_dual_mov_b32 v27, 0 :: v_dual_add_nc_u32 v26, v20, v2
	v_lshlrev_b64 v[26:27], 2, v[26:27]
	s_waitcnt lgkmcnt(0)
	s_delay_alu instid0(VALU_DEP_1) | instskip(NEXT) | instid1(VALU_DEP_1)
	v_add_co_u32 v26, s3, s8, v26
	v_add_co_ci_u32_e64 v27, s3, s9, v27, s3
	global_store_b32 v[26:27], v25, off
	s_or_b32 exec_lo, exec_lo, s5
	s_and_saveexec_b32 s5, s1
	s_cbranch_execz .LBB119_38
.LBB119_73:
	v_dual_mov_b32 v26, 0 :: v_dual_add_nc_u32 v25, v20, v3
	s_delay_alu instid0(VALU_DEP_1) | instskip(SKIP_1) | instid1(VALU_DEP_1)
	v_lshlrev_b64 v[25:26], 2, v[25:26]
	s_waitcnt lgkmcnt(0)
	v_add_co_u32 v25, s3, s8, v25
	s_delay_alu instid0(VALU_DEP_1)
	v_add_co_ci_u32_e64 v26, s3, s9, v26, s3
	global_store_b32 v[25:26], v24, off
	s_or_b32 exec_lo, exec_lo, s5
	s_and_saveexec_b32 s5, s2
	s_cbranch_execnz .LBB119_39
	s_branch .LBB119_40
.LBB119_74:
	s_delay_alu instid0(VALU_DEP_1) | instskip(NEXT) | instid1(VALU_DEP_1)
	v_dual_mov_b32 v24, 0 :: v_dual_add_nc_u32 v23, v20, v0
	v_lshlrev_b64 v[23:24], 2, v[23:24]
	s_waitcnt lgkmcnt(0)
	s_delay_alu instid0(VALU_DEP_1) | instskip(NEXT) | instid1(VALU_DEP_1)
	v_add_co_u32 v23, s3, s8, v23
	v_add_co_ci_u32_e64 v24, s3, s9, v24, s3
	global_store_b32 v[23:24], v22, off
	s_or_b32 exec_lo, exec_lo, s5
	s_and_saveexec_b32 s5, s0
	s_cbranch_execz .LBB119_43
.LBB119_75:
	s_delay_alu instid0(VALU_DEP_1) | instskip(NEXT) | instid1(VALU_DEP_1)
	v_dual_mov_b32 v22, 0 :: v_dual_add_nc_u32 v21, v20, v2
	v_lshlrev_b64 v[21:22], 2, v[21:22]
	s_waitcnt lgkmcnt(0)
	s_delay_alu instid0(VALU_DEP_1) | instskip(NEXT) | instid1(VALU_DEP_1)
	v_add_co_u32 v21, s3, s8, v21
	v_add_co_ci_u32_e64 v22, s3, s9, v22, s3
	global_store_b32 v[21:22], v19, off
	s_or_b32 exec_lo, exec_lo, s5
	s_and_saveexec_b32 s5, s1
	s_cbranch_execz .LBB119_44
.LBB119_76:
	v_dual_mov_b32 v22, 0 :: v_dual_add_nc_u32 v21, v20, v3
	s_delay_alu instid0(VALU_DEP_1) | instskip(SKIP_1) | instid1(VALU_DEP_1)
	v_lshlrev_b64 v[21:22], 2, v[21:22]
	s_waitcnt lgkmcnt(0)
	v_add_co_u32 v21, s3, s8, v21
	s_delay_alu instid0(VALU_DEP_1)
	v_add_co_ci_u32_e64 v22, s3, s9, v22, s3
	global_store_b32 v[21:22], v18, off
	s_or_b32 exec_lo, exec_lo, s5
	s_and_saveexec_b32 s5, s2
	s_cbranch_execnz .LBB119_45
	s_branch .LBB119_46
.LBB119_77:
	s_delay_alu instid0(VALU_DEP_1) | instskip(NEXT) | instid1(VALU_DEP_1)
	v_dual_mov_b32 v19, 0 :: v_dual_add_nc_u32 v18, v17, v0
	v_lshlrev_b64 v[18:19], 2, v[18:19]
	s_waitcnt lgkmcnt(0)
	s_delay_alu instid0(VALU_DEP_1) | instskip(NEXT) | instid1(VALU_DEP_1)
	v_add_co_u32 v18, s3, s8, v18
	v_add_co_ci_u32_e64 v19, s3, s9, v19, s3
	global_store_b32 v[18:19], v16, off
	s_or_b32 exec_lo, exec_lo, s5
	s_and_saveexec_b32 s5, s0
	s_cbranch_execz .LBB119_49
.LBB119_78:
	s_delay_alu instid0(VALU_DEP_1) | instskip(NEXT) | instid1(VALU_DEP_1)
	v_dual_mov_b32 v19, 0 :: v_dual_add_nc_u32 v18, v17, v2
	v_lshlrev_b64 v[18:19], 2, v[18:19]
	s_waitcnt lgkmcnt(0)
	s_delay_alu instid0(VALU_DEP_1) | instskip(NEXT) | instid1(VALU_DEP_1)
	v_add_co_u32 v18, s3, s8, v18
	v_add_co_ci_u32_e64 v19, s3, s9, v19, s3
	global_store_b32 v[18:19], v15, off
	s_or_b32 exec_lo, exec_lo, s5
	s_and_saveexec_b32 s5, s1
	s_cbranch_execz .LBB119_50
.LBB119_79:
	v_dual_mov_b32 v16, 0 :: v_dual_add_nc_u32 v15, v17, v3
	s_delay_alu instid0(VALU_DEP_1) | instskip(SKIP_1) | instid1(VALU_DEP_1)
	v_lshlrev_b64 v[15:16], 2, v[15:16]
	s_waitcnt lgkmcnt(0)
	v_add_co_u32 v15, s3, s8, v15
	s_delay_alu instid0(VALU_DEP_1)
	v_add_co_ci_u32_e64 v16, s3, s9, v16, s3
	global_store_b32 v[15:16], v14, off
	s_or_b32 exec_lo, exec_lo, s5
	s_and_saveexec_b32 s5, s2
	s_cbranch_execnz .LBB119_51
	s_branch .LBB119_52
.LBB119_80:
	s_delay_alu instid0(VALU_DEP_1) | instskip(NEXT) | instid1(VALU_DEP_1)
	v_dual_mov_b32 v15, 0 :: v_dual_add_nc_u32 v14, v13, v0
	v_lshlrev_b64 v[14:15], 2, v[14:15]
	s_waitcnt lgkmcnt(0)
	s_delay_alu instid0(VALU_DEP_1) | instskip(NEXT) | instid1(VALU_DEP_1)
	v_add_co_u32 v14, s3, s8, v14
	v_add_co_ci_u32_e64 v15, s3, s9, v15, s3
	global_store_b32 v[14:15], v12, off
	s_or_b32 exec_lo, exec_lo, s5
	s_and_saveexec_b32 s5, s0
	s_cbranch_execz .LBB119_55
.LBB119_81:
	s_delay_alu instid0(VALU_DEP_1) | instskip(NEXT) | instid1(VALU_DEP_1)
	v_dual_mov_b32 v15, 0 :: v_dual_add_nc_u32 v14, v13, v2
	v_lshlrev_b64 v[14:15], 2, v[14:15]
	s_waitcnt lgkmcnt(0)
	s_delay_alu instid0(VALU_DEP_1) | instskip(NEXT) | instid1(VALU_DEP_1)
	v_add_co_u32 v14, s3, s8, v14
	v_add_co_ci_u32_e64 v15, s3, s9, v15, s3
	global_store_b32 v[14:15], v11, off
	s_or_b32 exec_lo, exec_lo, s5
	s_and_saveexec_b32 s5, s1
	s_cbranch_execz .LBB119_56
.LBB119_82:
	v_dual_mov_b32 v12, 0 :: v_dual_add_nc_u32 v11, v13, v3
	s_delay_alu instid0(VALU_DEP_1) | instskip(SKIP_1) | instid1(VALU_DEP_1)
	v_lshlrev_b64 v[11:12], 2, v[11:12]
	s_waitcnt lgkmcnt(0)
	v_add_co_u32 v11, s3, s8, v11
	s_delay_alu instid0(VALU_DEP_1)
	v_add_co_ci_u32_e64 v12, s3, s9, v12, s3
	global_store_b32 v[11:12], v10, off
	s_or_b32 exec_lo, exec_lo, s5
	s_and_saveexec_b32 s5, s2
	s_cbranch_execnz .LBB119_57
	s_branch .LBB119_58
.LBB119_83:
	s_delay_alu instid0(VALU_DEP_1) | instskip(NEXT) | instid1(VALU_DEP_1)
	v_dual_mov_b32 v10, 0 :: v_dual_add_nc_u32 v9, v1, v0
	v_lshlrev_b64 v[9:10], 2, v[9:10]
	s_waitcnt lgkmcnt(0)
	s_delay_alu instid0(VALU_DEP_1) | instskip(NEXT) | instid1(VALU_DEP_2)
	v_add_co_u32 v9, vcc_lo, s8, v9
	v_add_co_ci_u32_e32 v10, vcc_lo, s9, v10, vcc_lo
	global_store_b32 v[9:10], v8, off
	s_or_b32 exec_lo, exec_lo, s3
	s_and_saveexec_b32 s3, s0
	s_cbranch_execz .LBB119_61
.LBB119_84:
	s_delay_alu instid0(VALU_DEP_1) | instskip(NEXT) | instid1(VALU_DEP_1)
	v_dual_mov_b32 v9, 0 :: v_dual_add_nc_u32 v8, v1, v2
	v_lshlrev_b64 v[8:9], 2, v[8:9]
	s_waitcnt lgkmcnt(0)
	s_delay_alu instid0(VALU_DEP_1) | instskip(NEXT) | instid1(VALU_DEP_2)
	v_add_co_u32 v8, vcc_lo, s8, v8
	v_add_co_ci_u32_e32 v9, vcc_lo, s9, v9, vcc_lo
	global_store_b32 v[8:9], v7, off
	s_or_b32 exec_lo, exec_lo, s3
	s_and_saveexec_b32 s0, s1
	s_cbranch_execz .LBB119_62
.LBB119_85:
	v_dual_mov_b32 v3, 0 :: v_dual_add_nc_u32 v2, v1, v3
	s_delay_alu instid0(VALU_DEP_1) | instskip(SKIP_1) | instid1(VALU_DEP_1)
	v_lshlrev_b64 v[2:3], 2, v[2:3]
	s_waitcnt lgkmcnt(0)
	v_add_co_u32 v2, vcc_lo, s8, v2
	s_delay_alu instid0(VALU_DEP_2) | instskip(SKIP_2) | instid1(SALU_CYCLE_1)
	v_add_co_ci_u32_e32 v3, vcc_lo, s9, v3, vcc_lo
	global_store_b32 v[2:3], v6, off
	s_or_b32 exec_lo, exec_lo, s0
	s_and_b32 exec_lo, exec_lo, s2
	s_cbranch_execnz .LBB119_63
	s_branch .LBB119_64
	.section	.rodata,"a",@progbits
	.p2align	6, 0x0
	.amdhsa_kernel _ZL12mul_mat_q4_1IfLb0EEvPKvS1_PT_iiiii
		.amdhsa_group_segment_fixed_size 30336
		.amdhsa_private_segment_fixed_size 248
		.amdhsa_kernarg_size 44
		.amdhsa_user_sgpr_count 14
		.amdhsa_user_sgpr_dispatch_ptr 0
		.amdhsa_user_sgpr_queue_ptr 0
		.amdhsa_user_sgpr_kernarg_segment_ptr 1
		.amdhsa_user_sgpr_dispatch_id 0
		.amdhsa_user_sgpr_private_segment_size 0
		.amdhsa_wavefront_size32 1
		.amdhsa_uses_dynamic_stack 0
		.amdhsa_enable_private_segment 1
		.amdhsa_system_sgpr_workgroup_id_x 1
		.amdhsa_system_sgpr_workgroup_id_y 1
		.amdhsa_system_sgpr_workgroup_id_z 0
		.amdhsa_system_sgpr_workgroup_info 0
		.amdhsa_system_vgpr_workitem_id 1
		.amdhsa_next_free_vgpr 256
		.amdhsa_next_free_sgpr 16
		.amdhsa_reserve_vcc 1
		.amdhsa_float_round_mode_32 0
		.amdhsa_float_round_mode_16_64 0
		.amdhsa_float_denorm_mode_32 3
		.amdhsa_float_denorm_mode_16_64 3
		.amdhsa_dx10_clamp 1
		.amdhsa_ieee_mode 1
		.amdhsa_fp16_overflow 0
		.amdhsa_workgroup_processor_mode 1
		.amdhsa_memory_ordered 1
		.amdhsa_forward_progress 0
		.amdhsa_shared_vgpr_count 0
		.amdhsa_exception_fp_ieee_invalid_op 0
		.amdhsa_exception_fp_denorm_src 0
		.amdhsa_exception_fp_ieee_div_zero 0
		.amdhsa_exception_fp_ieee_overflow 0
		.amdhsa_exception_fp_ieee_underflow 0
		.amdhsa_exception_fp_ieee_inexact 0
		.amdhsa_exception_int_div_zero 0
	.end_amdhsa_kernel
	.section	.text._ZL12mul_mat_q4_1IfLb0EEvPKvS1_PT_iiiii,"axG",@progbits,_ZL12mul_mat_q4_1IfLb0EEvPKvS1_PT_iiiii,comdat
.Lfunc_end119:
	.size	_ZL12mul_mat_q4_1IfLb0EEvPKvS1_PT_iiiii, .Lfunc_end119-_ZL12mul_mat_q4_1IfLb0EEvPKvS1_PT_iiiii
                                        ; -- End function
	.section	.AMDGPU.csdata,"",@progbits
; Kernel info:
; codeLenInByte = 31792
; NumSgprs: 18
; NumVgprs: 256
; ScratchSize: 248
; MemoryBound: 0
; FloatMode: 240
; IeeeMode: 1
; LDSByteSize: 30336 bytes/workgroup (compile time only)
; SGPRBlocks: 2
; VGPRBlocks: 31
; NumSGPRsForWavesPerEU: 18
; NumVGPRsForWavesPerEU: 256
; Occupancy: 5
; WaveLimiterHint : 0
; COMPUTE_PGM_RSRC2:SCRATCH_EN: 1
; COMPUTE_PGM_RSRC2:USER_SGPR: 14
; COMPUTE_PGM_RSRC2:TRAP_HANDLER: 0
; COMPUTE_PGM_RSRC2:TGID_X_EN: 1
; COMPUTE_PGM_RSRC2:TGID_Y_EN: 1
; COMPUTE_PGM_RSRC2:TGID_Z_EN: 0
; COMPUTE_PGM_RSRC2:TIDIG_COMP_CNT: 1
	.section	.text._ZL12mul_mat_q4_1IfLb1EEvPKvS1_PT_iiiii,"axG",@progbits,_ZL12mul_mat_q4_1IfLb1EEvPKvS1_PT_iiiii,comdat
	.globl	_ZL12mul_mat_q4_1IfLb1EEvPKvS1_PT_iiiii ; -- Begin function _ZL12mul_mat_q4_1IfLb1EEvPKvS1_PT_iiiii
	.p2align	8
	.type	_ZL12mul_mat_q4_1IfLb1EEvPKvS1_PT_iiiii,@function
_ZL12mul_mat_q4_1IfLb1EEvPKvS1_PT_iiiii: ; @_ZL12mul_mat_q4_1IfLb1EEvPKvS1_PT_iiiii
; %bb.0:
	s_clause 0x1
	s_load_b128 s[4:7], s[0:1], 0x18
	s_load_b32 s10, s[0:1], 0x28
	v_bfe_u32 v2, v0, 10, 10
	v_and_b32_e32 v3, 0x3ff, v0
	s_lshl_b32 s11, s15, 6
	s_waitcnt lgkmcnt(0)
	s_cmp_gt_i32 s4, 31
	s_cbranch_scc1 .LBB120_2
; %bb.1:
	v_bfe_u32 v1, v0, 10, 10
	v_and_b32_e32 v0, 0x3ff, v0
	s_mov_b32 s2, 0
	s_mov_b32 s3, 0
	s_delay_alu instid0(VALU_DEP_2)
	v_add_nc_u32_e32 v4, s11, v1
	s_branch .LBB120_3
.LBB120_2:
	s_mov_b32 s2, -1
                                        ; implicit-def: $sgpr3
                                        ; implicit-def: $vgpr1
                                        ; implicit-def: $vgpr0
                                        ; implicit-def: $vgpr4
.LBB120_3:
	s_load_b64 s[8:9], s[0:1], 0x10
	v_dual_mov_b32 v21, s3 :: v_dual_mov_b32 v36, s3
	v_dual_mov_b32 v25, s3 :: v_dual_mov_b32 v40, s3
	;; [unrolled: 1-line block ×13, first 2 shown]
	v_mov_b32_e32 v74, s3
	v_mov_b32_e32 v24, s3
	;; [unrolled: 1-line block ×6, first 2 shown]
	s_and_not1_b32 vcc_lo, exec_lo, s2
	s_lshl_b32 s12, s14, 7
	s_cbranch_vccnz .LBB120_13
; %bb.4:
	s_load_b128 s[0:3], s[0:1], 0x0
	s_ashr_i32 s13, s4, 31
	s_ashr_i32 s14, s7, 31
	s_lshr_b32 s13, s13, 27
	v_dual_mov_b32 v60, 0 :: v_dual_lshlrev_b32 v17, 2, v3
	s_add_i32 s4, s4, s13
	s_lshr_b32 s13, s14, 27
	s_ashr_i32 s4, s4, 5
	s_add_i32 s7, s7, s13
	s_mul_i32 s13, s4, s12
	s_ashr_i32 s7, s7, 5
	s_mul_i32 s14, s13, 20
	s_mul_hi_i32 s13, s13, 20
	v_dual_mov_b32 v41, v2 :: v_dual_add_nc_u32 v38, 16, v2
	v_dual_mov_b32 v35, 0 :: v_dual_add_nc_u32 v34, 8, v2
	v_dual_mov_b32 v51, v3 :: v_dual_and_b32 v0, 12, v17
	s_waitcnt lgkmcnt(0)
	s_add_u32 s0, s0, s14
	s_addc_u32 s1, s1, s13
	s_not_b32 s13, s12
	scratch_store_b32 off, v0, off offset:80 ; 4-byte Folded Spill
	s_add_i32 s5, s13, s5
	v_lshrrev_b32_e32 v52, 2, v3
	v_min_i32_e32 v2, s5, v41
	v_min_i32_e32 v3, s5, v34
	v_min_i32_e32 v4, s5, v38
	v_add_nc_u32_e32 v39, 24, v41
	v_dual_mov_b32 v65, 0 :: v_dual_add_nc_u32 v40, 32, v41
	v_mul_lo_u32 v0, v2, s4
	v_add_nc_u32_e32 v42, 40, v41
	s_delay_alu instid0(VALU_DEP_4) | instskip(NEXT) | instid1(VALU_DEP_4)
	v_min_i32_e32 v5, s5, v39
	v_min_i32_e32 v6, s5, v40
	v_add_nc_u32_e32 v43, 48, v41
	v_dual_mov_b32 v59, 0 :: v_dual_add_nc_u32 v44, 56, v41
	v_min_i32_e32 v7, s5, v42
	scratch_store_b32 off, v0, off offset:84 ; 4-byte Folded Spill
	v_mad_u64_u32 v[0:1], null, 0x84, v2, v[17:18]
	v_mul_lo_u32 v1, v3, s4
	v_min_i32_e32 v8, s5, v43
	v_min_i32_e32 v9, s5, v44
	v_add_nc_u32_e32 v10, 64, v41
	v_add_nc_u32_e32 v11, 0x48, v41
	;; [unrolled: 1-line block ×3, first 2 shown]
	s_add_i32 s13, s6, -1
	v_add_nc_u32_e32 v28, s11, v41
	scratch_store_b32 off, v1, off offset:88 ; 4-byte Folded Spill
	v_mad_u64_u32 v[1:2], null, 0x84, v3, v[17:18]
	v_mul_lo_u32 v2, v4, s4
	v_min_i32_e32 v10, s5, v10
	v_min_i32_e32 v11, s5, v11
	;; [unrolled: 1-line block ×3, first 2 shown]
	v_add_nc_u32_e32 v14, 16, v28
	v_dual_mov_b32 v61, 0 :: v_dual_add_nc_u32 v24, 24, v28
	v_add_nc_u32_e32 v13, 0x58, v41
	scratch_store_b32 off, v2, off offset:92 ; 4-byte Folded Spill
	v_mad_u64_u32 v[2:3], null, 0x84, v4, v[17:18]
	v_mul_lo_u32 v3, v5, s4
	v_cvt_f64_u32_e32 v[15:16], v28
	v_cvt_f64_u32_e32 v[22:23], v14
	;; [unrolled: 1-line block ×3, first 2 shown]
	v_min_i32_e32 v13, s5, v13
	v_add_nc_u32_e32 v14, 40, v28
	v_add_nc_u32_e32 v32, 56, v28
	;; [unrolled: 1-line block ×3, first 2 shown]
	scratch_store_b32 off, v3, off offset:96 ; 4-byte Folded Spill
	v_mad_u64_u32 v[3:4], null, 0x84, v5, v[17:18]
	v_mul_lo_u32 v4, v6, s4
	v_mul_lo_u32 v29, v13, s4
	v_min_i32_e32 v36, s5, v36
	v_cvt_f64_u32_e32 v[32:33], v32
	v_add_nc_u32_e32 v37, 0x70, v41
	v_lshrrev_b32_e32 v46, 3, v51
	v_dual_mov_b32 v63, 0 :: v_dual_and_b32 v50, 7, v51
	scratch_store_b32 off, v4, off offset:100 ; 4-byte Folded Spill
	v_mad_u64_u32 v[4:5], null, 0x84, v6, v[17:18]
	v_mul_lo_u32 v5, v7, s4
	v_min_i32_e32 v45, s5, v37
	v_dual_mov_b32 v74, 0 :: v_dual_add_nc_u32 v37, 0x78, v41
	v_mov_b32_e32 v64, 0
	v_mov_b32_e32 v68, 0
	;; [unrolled: 1-line block ×3, first 2 shown]
	s_delay_alu instid0(VALU_DEP_4)
	v_min_i32_e32 v47, s5, v37
	scratch_store_b32 off, v5, off offset:104 ; 4-byte Folded Spill
	v_mad_u64_u32 v[5:6], null, 0x84, v7, v[17:18]
	v_mul_lo_u32 v6, v8, s4
	v_mov_b32_e32 v54, 0
	v_mov_b32_e32 v66, 0
	scratch_store_b32 off, v6, off offset:108 ; 4-byte Folded Spill
	v_mad_u64_u32 v[6:7], null, 0x84, v8, v[17:18]
	v_mul_lo_u32 v7, v9, s4
	scratch_store_b32 off, v7, off offset:112 ; 4-byte Folded Spill
	v_mad_u64_u32 v[7:8], null, 0x84, v9, v[17:18]
	v_mul_lo_u32 v8, v10, s4
	;; [unrolled: 3-line block ×3, first 2 shown]
	scratch_store_b32 off, v9, off offset:120 ; 4-byte Folded Spill
	v_mad_u64_u32 v[9:10], null, 0x84, v11, v[17:18]
	v_cvt_f64_i32_e32 v[18:19], s13
	v_mul_lo_u32 v10, v12, s4
	scratch_store_b32 off, v10, off offset:124 ; 4-byte Folded Spill
	v_add_nc_u32_e32 v10, 8, v28
	s_clause 0x2
	scratch_store_b32 off, v29, off offset:128
	scratch_store_b32 off, v28, off offset:240
	;; [unrolled: 1-line block ×3, first 2 shown]
	v_lshl_add_u32 v46, v41, 2, v46
	v_cvt_f64_u32_e32 v[20:21], v10
	s_delay_alu instid0(VALU_DEP_2)
	v_min_i32_e32 v48, s5, v46
	v_mad_u64_u32 v[10:11], null, 0x84, v12, v[17:18]
	v_add_nc_u32_e32 v11, 32, v28
	v_add_nc_u32_e32 v12, 0x60, v41
	v_min_f64 v[22:23], v[22:23], v[18:19]
	v_min_f64 v[24:25], v[24:25], v[18:19]
	s_delay_alu instid0(VALU_DEP_4) | instskip(SKIP_3) | instid1(VALU_DEP_3)
	v_cvt_f64_u32_e32 v[26:27], v11
	v_add_nc_u32_e32 v11, 48, v28
	v_cvt_f64_u32_e32 v[28:29], v14
	v_min_i32_e32 v14, s5, v12
	v_cvt_f64_u32_e32 v[30:31], v11
	v_mad_u64_u32 v[11:12], null, 0x84, v13, v[17:18]
	s_delay_alu instid0(VALU_DEP_3)
	v_mul_lo_u32 v12, v14, s4
	v_min_f64 v[20:21], v[20:21], v[18:19]
	scratch_store_b32 off, v12, off offset:132 ; 4-byte Folded Spill
	v_mad_u64_u32 v[12:13], null, 0x84, v14, v[17:18]
	v_mul_lo_u32 v13, v36, s4
	scratch_store_b32 off, v13, off offset:140 ; 4-byte Folded Spill
	v_mad_u64_u32 v[13:14], null, 0x84, v36, v[17:18]
	v_min_f64 v[36:37], v[15:16], v[18:19]
	v_mul_lo_u32 v14, v45, s4
	v_mul_lo_u32 v16, v47, s4
	v_cvt_i32_f64_e32 v22, v[22:23]
	v_cvt_i32_f64_e32 v23, v[24:25]
	v_lshl_add_u32 v24, v41, 3, v52
	v_min_f64 v[26:27], v[26:27], v[18:19]
	s_clause 0x1
	scratch_store_b32 off, v14, off offset:144
	scratch_store_b32 off, v16, off offset:148
	v_mad_u64_u32 v[14:15], null, 0x84, v45, v[17:18]
	v_add_nc_u32_e32 v15, 32, v46
	v_min_f64 v[28:29], v[28:29], v[18:19]
	v_min_f64 v[30:31], v[30:31], v[18:19]
	v_ashrrev_i32_e32 v45, 31, v48
	v_cvt_i32_f64_e32 v21, v[20:21]
	v_min_i32_e32 v49, s5, v15
	v_mad_u64_u32 v[15:16], null, 0x84, v47, v[17:18]
	v_add_nc_u32_e32 v16, 64, v46
	v_min_f64 v[18:19], v[32:33], v[18:19]
	s_delay_alu instid0(VALU_DEP_4)
	v_ashrrev_i32_e32 v47, 31, v49
	v_add_nc_u32_e32 v46, 0x60, v46
	v_lshrrev_b32_e32 v45, 30, v45
	v_min_i32_e32 v16, s5, v16
	v_and_b32_e32 v24, 63, v24
	v_lshrrev_b32_e32 v32, 30, v47
	v_lshlrev_b32_e32 v47, 2, v50
	v_min_i32_e32 v46, s5, v46
	v_ashrrev_i32_e32 v33, 31, v16
	v_mul_lo_u32 v20, v16, s4
	scratch_store_b32 off, v50, off offset:152 ; 4-byte Folded Spill
	v_mul_lo_u32 v50, v48, s4
	v_lshlrev_b32_e32 v25, 5, v16
	v_lshrrev_b32_e32 v33, 30, v33
	v_add_nc_u32_e32 v32, v49, v32
	v_cvt_i32_f64_e32 v36, v[36:37]
	v_lshlrev_b32_e32 v37, 5, v49
	scratch_store_b32 off, v20, off offset:164 ; 4-byte Folded Spill
	v_add_nc_u32_e32 v33, v16, v33
	v_mul_lo_u32 v16, v46, s4
	scratch_store_b32 off, v50, off offset:156 ; 4-byte Folded Spill
	v_mul_lo_u32 v50, v49, s4
	v_add_nc_u32_e32 v45, v48, v45
	v_cvt_i32_f64_e32 v26, v[26:27]
	v_and_b32_e32 v32, -4, v32
	v_and_b32_e32 v33, -4, v33
	v_lshlrev_b32_e32 v48, 5, v48
	scratch_store_b32 off, v16, off offset:168 ; 4-byte Folded Spill
	v_and_b32_e32 v45, -4, v45
	scratch_store_b32 off, v50, off offset:160 ; 4-byte Folded Spill
	v_ashrrev_i32_e32 v50, 31, v46
	v_cvt_i32_f64_e32 v27, v[28:29]
	v_cvt_i32_f64_e32 v28, v[30:31]
	v_lshlrev_b32_e32 v31, 5, v46
	v_add3_u32 v45, v45, v47, 0x6200
	v_lshrrev_b32_e32 v49, 30, v50
	v_add3_u32 v32, v32, v47, 0x6200
	v_cvt_i32_f64_e32 v30, v[18:19]
	v_and_b32_e32 v19, 31, v51
	v_add3_u32 v33, v33, v47, 0x6200
	v_add_nc_u32_e32 v20, v46, v49
	v_lshlrev_b32_e32 v49, 7, v41
	v_and_b32_e32 v17, 28, v17
	s_delay_alu instid0(VALU_DEP_3) | instskip(SKIP_1) | instid1(VALU_DEP_2)
	v_and_b32_e32 v16, -4, v20
	v_and_b32_e32 v20, 3, v51
	v_add3_u32 v29, v16, v47, 0x6200
	v_or_b32_e32 v16, s11, v24
	s_delay_alu instid0(VALU_DEP_3) | instskip(SKIP_1) | instid1(VALU_DEP_3)
	v_lshlrev_b32_e32 v18, 2, v20
	v_lshlrev_b32_e32 v47, 2, v19
	v_min_i32_e32 v46, s13, v16
	s_delay_alu instid0(VALU_DEP_3) | instskip(NEXT) | instid1(VALU_DEP_3)
	v_lshl_or_b32 v24, v24, 4, v18
	v_or_b32_e32 v50, v49, v47
	v_add_co_u32 v16, s5, s2, v17
	s_delay_alu instid0(VALU_DEP_4)
	v_mad_u64_u32 v[18:19], null, v46, s7, v[20:21]
	v_mul_lo_u32 v20, s7, v36
	v_add_nc_u32_e32 v19, 0x7280, v24
	v_mul_lo_u32 v21, s7, v21
	v_and_b32_e32 v24, 0xfc, v51
	v_add_co_ci_u32_e64 v17, null, s3, 0, s5
	scratch_store_b32 off, v19, off         ; 4-byte Folded Spill
	v_lshl_or_b32 v19, v34, 7, v47
	scratch_store_b32 off, v20, off offset:4 ; 4-byte Folded Spill
	v_add_nc_u32_e32 v20, 0x4200, v50
	v_mov_b32_e32 v34, 0
	v_dual_mov_b32 v36, 0 :: v_dual_add_nc_u32 v19, 0x4200, v19
	s_mov_b32 s5, 0
	scratch_store_b32 off, v20, off offset:8 ; 4-byte Folded Spill
	v_lshl_or_b32 v20, v38, 7, v47
	v_mov_b32_e32 v38, 0
	s_delay_alu instid0(VALU_DEP_2)
	v_add_nc_u32_e32 v20, 0x4200, v20
	scratch_store_b32 off, v21, off offset:12 ; 4-byte Folded Spill
	v_mul_lo_u32 v21, s7, v22
	scratch_store_b32 off, v19, off offset:16 ; 4-byte Folded Spill
	v_lshl_or_b32 v19, v39, 7, v47
	v_dual_mov_b32 v39, 0 :: v_dual_add_nc_u32 v22, 32, v51
	s_delay_alu instid0(VALU_DEP_2)
	v_add_nc_u32_e32 v19, 0x4200, v19
	scratch_store_b32 off, v20, off offset:24 ; 4-byte Folded Spill
	v_mul_lo_u32 v20, s7, v23
	scratch_store_b32 off, v21, off offset:20 ; 4-byte Folded Spill
	v_mul_lo_u32 v21, s7, v26
	v_mul_u32_u24_e32 v26, 0x84, v51
	v_and_b32_e32 v23, 0x1fc, v22
	v_lshrrev_b32_e32 v22, 3, v22
	scratch_store_b32 off, v20, off offset:28 ; 4-byte Folded Spill
	v_lshl_or_b32 v20, v40, 7, v47
	scratch_store_b32 off, v22, off offset:208 ; 4-byte Folded Spill
	v_mov_b32_e32 v40, 0
	v_add_nc_u32_e32 v20, 0x4200, v20
	scratch_store_b32 off, v19, off offset:32 ; 4-byte Folded Spill
	v_lshl_or_b32 v19, v42, 7, v47
	s_delay_alu instid0(VALU_DEP_1)
	v_dual_mov_b32 v42, 0 :: v_dual_add_nc_u32 v19, 0x4200, v19
	s_clause 0x1
	scratch_store_b32 off, v20, off offset:40
	scratch_store_b32 off, v52, off offset:76
	v_mul_lo_u32 v20, s7, v27
	s_clause 0x1
	scratch_store_b32 off, v21, off offset:36
	scratch_store_b32 off, v19, off offset:48
	v_mul_lo_u32 v19, s7, v28
	v_lshl_or_b32 v21, v43, 7, v47
	v_dual_mov_b32 v28, 0 :: v_dual_mov_b32 v27, 0
	scratch_store_b32 off, v20, off offset:44 ; 4-byte Folded Spill
	v_mul_lo_u32 v20, s7, v30
	v_mov_b32_e32 v30, 0
	scratch_store_b32 off, v19, off offset:52 ; 4-byte Folded Spill
	v_add_nc_u32_e32 v19, 0x4200, v21
	v_add_nc_u32_e32 v21, 64, v51
	s_clause 0x1
	scratch_store_b32 off, v20, off offset:60
	scratch_store_b32 off, v19, off offset:56
	v_lshl_or_b32 v19, v44, 7, v47
	v_add_nc_u32_e32 v20, 0x60, v51
	v_dual_mov_b32 v44, 0 :: v_dual_and_b32 v21, 0x1fc, v21
	s_delay_alu instid0(VALU_DEP_3) | instskip(NEXT) | instid1(VALU_DEP_3)
	v_add_nc_u32_e32 v19, 0x4200, v19
	v_and_b32_e32 v20, 0x1fc, v20
	scratch_store_b32 off, v19, off offset:64 ; 4-byte Folded Spill
	v_lshlrev_b32_e32 v19, 5, v51
	s_delay_alu instid0(VALU_DEP_1) | instskip(SKIP_3) | instid1(VALU_DEP_4)
	v_add_nc_u32_e32 v20, v19, v20
	v_add_nc_u32_e32 v21, v19, v21
	;; [unrolled: 1-line block ×3, first 2 shown]
	v_dual_mov_b32 v24, 0 :: v_dual_add_nc_u32 v19, v19, v24
	v_add_nc_u32_e32 v22, 0x6e00, v20
	scratch_store_b32 off, v26, off offset:172 ; 4-byte Folded Spill
	v_add_nc_u32_e32 v20, 0x6e10, v20
	v_mov_b32_e32 v26, 0
	scratch_store_b32 off, v22, off offset:176 ; 4-byte Folded Spill
	v_add_nc_u32_e32 v22, 0x6a00, v21
	scratch_store_b32 off, v22, off offset:180 ; 4-byte Folded Spill
	v_add_nc_u32_e32 v22, 0x6600, v23
	;; [unrolled: 2-line block ×3, first 2 shown]
	v_add_nc_u32_e32 v19, 0x6210, v19
	scratch_store_b32 off, v22, off offset:188 ; 4-byte Folded Spill
	v_add_nc_u32_e32 v22, 0x4200, v49
	s_clause 0x1
	scratch_store_b32 off, v22, off offset:68
	scratch_store_b32 off, v41, off offset:232
	v_lshl_add_u32 v22, v41, 4, 0x7280
	s_clause 0x2
	scratch_store_b32 off, v22, off offset:72
	scratch_store_b32 off, v20, off offset:212
	;; [unrolled: 1-line block ×3, first 2 shown]
	v_mad_u32_u24 v20, 0x84, v51, 64
	scratch_store_b32 off, v19, off offset:228 ; 4-byte Folded Spill
	v_dual_mov_b32 v48, 0 :: v_dual_add_nc_u32 v19, v45, v48
	v_mov_b32_e32 v22, 0
	scratch_store_b32 off, v20, off offset:216 ; 4-byte Folded Spill
	v_add_nc_u32_e32 v20, 0x6a10, v21
	scratch_store_b32 off, v19, off offset:192 ; 4-byte Folded Spill
	v_add_nc_u32_e32 v19, v32, v37
	v_mov_b32_e32 v37, 0
	v_mov_b32_e32 v21, 0
	scratch_store_b32 off, v20, off offset:220 ; 4-byte Folded Spill
	v_add_nc_u32_e32 v20, 0x6610, v23
	scratch_store_b32 off, v19, off offset:196 ; 4-byte Folded Spill
	v_add_nc_u32_e32 v19, v33, v25
	v_mov_b32_e32 v23, 0
	v_mov_b32_e32 v25, 0
	s_clause 0x1
	scratch_store_b32 off, v20, off offset:224
	scratch_store_b32 off, v19, off offset:200
	v_add_nc_u32_e32 v19, v29, v31
	v_mov_b32_e32 v31, 0
	v_mov_b32_e32 v29, 0
	scratch_store_b32 off, v19, off offset:204 ; 4-byte Folded Spill
	s_branch .LBB120_6
.LBB120_5:                              ;   in Loop: Header=BB120_6 Depth=1
	s_add_i32 s5, s5, 8
	s_delay_alu instid0(SALU_CYCLE_1)
	s_cmp_ge_i32 s5, s4
	s_cbranch_scc1 .LBB120_12
.LBB120_6:                              ; =>This Loop Header: Depth=1
                                        ;     Child Loop BB120_7 Depth 2
                                        ;     Child Loop BB120_10 Depth 2
	s_clause 0x1
	scratch_load_b32 v32, off, off offset:76
	scratch_load_b32 v41, off, off offset:84
	s_mul_i32 s7, s5, 20
	s_mul_hi_u32 s13, s5, 20
	s_add_u32 s14, s0, s7
	s_addc_u32 s15, s1, s13
	v_add_nc_u32_e32 v114, s5, v18
	s_mov_b32 s7, -4
	s_waitcnt vmcnt(1)
	v_mad_u64_u32 v[19:20], null, v32, 20, s[14:15]
	scratch_load_b32 v32, off, off offset:80 ; 4-byte Folded Reload
	s_waitcnt vmcnt(0)
	v_add_co_u32 v19, vcc_lo, v19, v32
	v_add_co_ci_u32_e32 v20, vcc_lo, 0, v20, vcc_lo
	s_delay_alu instid0(VALU_DEP_2) | instskip(NEXT) | instid1(VALU_DEP_2)
	v_add_co_u32 v19, vcc_lo, v19, 4
	v_add_co_ci_u32_e32 v20, vcc_lo, 0, v20, vcc_lo
	s_delay_alu instid0(VALU_DEP_1)
	v_mad_i64_i32 v[32:33], null, v41, 20, v[19:20]
	scratch_load_b32 v41, off, off offset:88 ; 4-byte Folded Reload
	s_waitcnt vmcnt(0)
	v_mad_i64_i32 v[45:46], null, v41, 20, v[19:20]
	scratch_load_b32 v41, off, off offset:92 ; 4-byte Folded Reload
	s_waitcnt vmcnt(0)
	;; [unrolled: 3-line block ×7, first 2 shown]
	v_mad_i64_i32 v[78:79], null, v41, 20, v[19:20]
	s_clause 0x7
	global_load_b32 v43, v[32:33], off
	global_load_b32 v47, v[45:46], off
	;; [unrolled: 1-line block ×8, first 2 shown]
	scratch_load_b32 v41, off, off offset:116 ; 4-byte Folded Reload
	s_waitcnt vmcnt(0)
	v_mad_i64_i32 v[32:33], null, v41, 20, v[19:20]
	scratch_load_b32 v41, off, off offset:120 ; 4-byte Folded Reload
	s_waitcnt vmcnt(0)
	v_mad_i64_i32 v[45:46], null, v41, 20, v[19:20]
	;; [unrolled: 3-line block ×5, first 2 shown]
	scratch_load_b32 v41, off, off offset:152 ; 4-byte Folded Reload
	s_waitcnt vmcnt(0)
	v_mad_u64_u32 v[71:72], null, v41, 20, s[14:15]
	scratch_load_b32 v41, off, off offset:140 ; 4-byte Folded Reload
	s_waitcnt vmcnt(0)
	v_mad_i64_i32 v[76:77], null, v41, 20, v[19:20]
	scratch_load_b32 v41, off, off offset:144 ; 4-byte Folded Reload
	s_waitcnt vmcnt(0)
	v_mad_i64_i32 v[78:79], null, v41, 20, v[19:20]
	;; [unrolled: 3-line block ×7, first 2 shown]
	scratch_load_b32 v41, off, off offset:136 ; 4-byte Folded Reload
	s_clause 0x7
	global_load_b32 v98, v[32:33], off
	global_load_b32 v113, v[45:46], off
	;; [unrolled: 1-line block ×8, first 2 shown]
	scratch_load_b32 v32, off, off offset:4 ; 4-byte Folded Reload
	s_clause 0x3
	global_load_b32 v106, v[19:20], off
	global_load_b32 v107, v[107:108], off
	;; [unrolled: 1-line block ×4, first 2 shown]
	scratch_load_b32 v19, off, off offset:12 ; 4-byte Folded Reload
	s_waitcnt vmcnt(14)
	v_add_nc_u32_e32 v71, s5, v41
	scratch_load_b32 v41, off, off offset:28 ; 4-byte Folded Reload
	s_waitcnt vmcnt(6)
	v_add_nc_u32_e32 v32, v71, v32
	s_waitcnt vmcnt(1)
	v_add_nc_u32_e32 v45, v71, v19
	s_delay_alu instid0(VALU_DEP_2)
	v_mad_i64_i32 v[19:20], null, v32, 36, v[16:17]
	scratch_load_b32 v32, off, off offset:20 ; 4-byte Folded Reload
	s_waitcnt vmcnt(1)
	v_add_nc_u32_e32 v51, v71, v41
	scratch_load_b32 v41, off, off offset:36 ; 4-byte Folded Reload
	s_waitcnt vmcnt(1)
	v_add_nc_u32_e32 v49, v71, v32
	v_mad_i64_i32 v[32:33], null, v45, 36, v[16:17]
	s_delay_alu instid0(VALU_DEP_2)
	v_mad_i64_i32 v[45:46], null, v49, 36, v[16:17]
	v_mad_i64_i32 v[49:50], null, v51, 36, v[16:17]
	s_waitcnt vmcnt(0)
	v_add_nc_u32_e32 v57, v71, v41
	scratch_load_b32 v41, off, off offset:44 ; 4-byte Folded Reload
	v_mad_i64_i32 v[51:52], null, v57, 36, v[16:17]
	s_waitcnt vmcnt(0)
	v_add_nc_u32_e32 v72, v71, v41
	scratch_load_b32 v41, off, off offset:52 ; 4-byte Folded Reload
	;; [unrolled: 4-line block ×3, first 2 shown]
	s_waitcnt vmcnt(0)
	v_add_nc_u32_e32 v78, v71, v41
	v_mad_i64_i32 v[71:72], null, v76, 36, v[16:17]
	s_delay_alu instid0(VALU_DEP_2)
	v_mad_i64_i32 v[76:77], null, v78, 36, v[16:17]
	v_mad_u64_u32 v[78:79], null, v114, 36, s[2:3]
	s_clause 0x8
	global_load_b32 v19, v[19:20], off offset:4
	global_load_b32 v20, v[32:33], off offset:4
	;; [unrolled: 1-line block ×8, first 2 shown]
	global_load_b32 v51, v[78:79], off
	s_clause 0x6
	scratch_load_b32 v115, off, off offset:72
	scratch_load_b32 v116, off, off offset:68
	;; [unrolled: 1-line block ×7, first 2 shown]
	ds_store_b32 v0, v43
	ds_store_b32 v1, v47
	;; [unrolled: 1-line block ×16, first 2 shown]
	scratch_load_b32 v41, off, off offset:192 ; 4-byte Folded Reload
	s_waitcnt vmcnt(0)
	ds_store_b32 v41, v106
	scratch_load_b32 v41, off, off offset:196 ; 4-byte Folded Reload
	s_waitcnt vmcnt(0)
	ds_store_b32 v41, v107
	;; [unrolled: 3-line block ×12, first 2 shown]
	scratch_load_b32 v19, off, off          ; 4-byte Folded Reload
	s_waitcnt vmcnt(0)
	ds_store_b32 v19, v51
	s_waitcnt lgkmcnt(0)
	s_waitcnt_vscnt null, 0x0
	s_barrier
	buffer_gl0_inv
.LBB120_7:                              ;   Parent Loop BB120_6 Depth=1
                                        ; =>  This Inner Loop Header: Depth=2
	ds_load_b128 v[49:52], v116
	ds_load_b128 v[105:108], v116 offset:16
	ds_load_2addr_b32 v[19:20], v115 offset1:32
	ds_load_b32 v152, v118
	ds_load_2addr_b32 v[32:33], v117 offset1:1
	v_add_nc_u32_e32 v118, 4, v118
	s_add_i32 s7, s7, 4
	s_delay_alu instid0(SALU_CYCLE_1)
	s_cmp_lt_u32 s7, 12
	s_waitcnt lgkmcnt(4)
	v_bfe_i32 v43, v49, 0, 8
	v_bfe_i32 v45, v49, 8, 8
	;; [unrolled: 1-line block ×3, first 2 shown]
	s_waitcnt lgkmcnt(0)
	v_bfe_u32 v155, v32, 20, 4
	v_and_b32_e32 v156, 15, v32
	v_bfe_u32 v157, v32, 8, 4
	v_bfe_u32 v159, v32, 16, 4
	;; [unrolled: 1-line block ×5, first 2 shown]
	v_lshrrev_b32_e32 v162, 28, v32
	v_bfe_u32 v158, v33, 20, 4
	v_and_b32_e32 v163, 15, v33
	v_bfe_u32 v164, v33, 8, 4
	v_bfe_u32 v165, v33, 16, 4
	;; [unrolled: 1-line block ×5, first 2 shown]
	v_lshrrev_b32_e32 v171, 28, v33
	ds_load_2addr_b32 v[32:33], v117 offset0:2 offset1:3
	v_ashrrev_i32_e32 v47, 24, v49
	v_bfe_i32 v49, v105, 0, 8
	v_bfe_i32 v58, v50, 0, 8
	;; [unrolled: 1-line block ×3, first 2 shown]
	v_mul_i32_i24_e32 v122, v156, v43
	v_bfe_i32 v76, v51, 0, 8
	v_mul_i32_i24_e32 v123, v157, v45
	v_mul_i32_i24_e32 v129, v163, v58
	;; [unrolled: 1-line block ×3, first 2 shown]
	v_mad_i32_i24 v122, v153, v49, v122
	v_bfe_i32 v53, v105, 8, 8
	v_bfe_i32 v55, v105, 16, 8
	v_ashrrev_i32_e32 v57, 24, v105
	v_bfe_i32 v71, v106, 8, 8
	v_add3_u32 v122, v122, v129, v133
	v_bfe_i32 v72, v106, 16, 8
	v_ashrrev_i32_e32 v73, 24, v106
	v_bfe_i32 v79, v107, 0, 8
	v_bfe_i32 v98, v107, 8, 8
	s_waitcnt lgkmcnt(0)
	v_and_b32_e32 v172, 15, v32
	v_bfe_i32 v105, v107, 16, 8
	v_ashrrev_i32_e32 v106, 24, v107
	v_bfe_i32 v107, v52, 0, 8
	v_mul_i32_i24_e32 v124, v159, v46
	v_mul_i32_i24_e32 v137, v172, v76
	;; [unrolled: 1-line block ×3, first 2 shown]
	v_bfe_u32 v177, v32, 4, 4
	v_and_b32_e32 v181, 15, v33
	v_bfe_i32 v62, v50, 8, 8
	v_add3_u32 v122, v122, v137, v123
	v_mul_i32_i24_e32 v126, v161, v53
	v_mul_i32_i24_e32 v141, v177, v79
	v_mul_i32_i24_e32 v144, v181, v107
	v_mul_i32_i24_e32 v127, v155, v55
	v_add3_u32 v122, v122, v124, v125
	v_bfe_i32 v67, v50, 16, 8
	v_ashrrev_i32_e32 v50, 24, v50
	v_mul_i32_i24_e32 v128, v162, v57
	v_mul_i32_i24_e32 v130, v164, v62
	v_add3_u32 v122, v122, v141, v144
	v_bfe_i32 v111, v108, 0, 8
	v_mul_i32_i24_e32 v131, v165, v67
	v_mul_i32_i24_e32 v132, v167, v50
	v_bfe_u32 v185, v33, 4, 4
	v_add3_u32 v122, v122, v126, v127
	v_mul_i32_i24_e32 v134, v169, v71
	v_bfe_i32 v77, v51, 8, 8
	v_bfe_i32 v78, v51, 16, 8
	v_mul_i32_i24_e32 v148, v185, v111
	v_add3_u32 v122, v122, v128, v130
	v_mul_i32_i24_e32 v135, v158, v72
	v_mul_i32_i24_e32 v136, v171, v73
	v_bfe_u32 v173, v32, 8, 4
	v_bfe_u32 v175, v32, 16, 4
	v_add3_u32 v122, v122, v131, v132
	v_ashrrev_i32_e32 v51, 24, v51
	v_bfe_u32 v176, v32, 24, 4
	v_mul_i32_i24_e32 v138, v173, v77
	v_mul_i32_i24_e32 v139, v175, v78
	v_add3_u32 v122, v122, v148, v134
	v_bfe_u32 v178, v32, 12, 4
	v_bfe_u32 v166, v32, 20, 4
	v_mul_i32_i24_e32 v140, v176, v51
	v_lshrrev_b32_e32 v179, 28, v32
	v_add3_u32 v122, v122, v135, v136
	v_mul_i32_i24_e32 v142, v178, v98
	v_bfe_i32 v109, v52, 8, 8
	v_bfe_i32 v110, v52, 16, 8
	v_mul_i32_i24_e32 v143, v166, v105
	v_add3_u32 v122, v122, v138, v139
	v_mul_i32_i24_e32 v32, v179, v106
	v_bfe_u32 v182, v33, 8, 4
	v_bfe_u32 v183, v33, 16, 4
	v_ashrrev_i32_e32 v52, 24, v52
	v_add3_u32 v122, v122, v140, v142
	v_bfe_i32 v112, v108, 8, 8
	v_mul_i32_i24_e32 v145, v182, v109
	v_mul_i32_i24_e32 v146, v183, v110
	v_bfe_u32 v184, v33, 24, 4
	v_bfe_u32 v186, v33, 12, 4
	v_add3_u32 v32, v122, v143, v32
	v_bfe_i32 v113, v108, 16, 8
	v_ashrrev_i32_e32 v108, 24, v108
	v_bfe_u32 v174, v33, 20, 4
	v_mul_i32_i24_e32 v147, v184, v52
	v_mul_i32_i24_e32 v149, v186, v112
	v_lshrrev_b32_e32 v188, 28, v33
	v_add3_u32 v32, v32, v145, v146
	v_mul_i32_i24_e32 v150, v174, v113
	s_delay_alu instid0(VALU_DEP_3) | instskip(NEXT) | instid1(VALU_DEP_3)
	v_mul_i32_i24_e32 v33, v188, v108
	v_add3_u32 v32, v32, v147, v149
	s_delay_alu instid0(VALU_DEP_1) | instskip(SKIP_1) | instid1(VALU_DEP_2)
	v_add3_u32 v32, v32, v150, v33
	v_pk_mul_f16 v33, v19, v152
	v_cvt_f32_i32_e32 v32, v32
	s_delay_alu instid0(VALU_DEP_1) | instskip(NEXT) | instid1(VALU_DEP_1)
	v_fma_mix_f32 v32, v33, v32, v33 op_sel:[0,0,1] op_sel_hi:[1,0,1]
	v_dual_add_f32 v35, v35, v32 :: v_dual_add_nc_u32 v32, 0x1080, v117
	ds_load_b32 v154, v119
	ds_load_2addr_b32 v[32:33], v32 offset1:1
	v_add_nc_u32_e32 v119, 4, v119
	s_waitcnt lgkmcnt(0)
	v_bfe_u32 v187, v32, 20, 4
	v_and_b32_e32 v189, 15, v32
	v_bfe_u32 v190, v32, 8, 4
	v_bfe_u32 v192, v32, 16, 4
	;; [unrolled: 1-line block ×5, first 2 shown]
	v_lshrrev_b32_e32 v195, 28, v32
	v_add_nc_u32_e32 v32, 0x1088, v117
	v_bfe_u32 v191, v33, 20, 4
	v_and_b32_e32 v196, 15, v33
	v_bfe_u32 v197, v33, 8, 4
	v_bfe_u32 v198, v33, 16, 4
	;; [unrolled: 1-line block ×5, first 2 shown]
	v_lshrrev_b32_e32 v203, 28, v33
	ds_load_2addr_b32 v[32:33], v32 offset1:1
	v_mul_i32_i24_e32 v122, v189, v43
	v_mul_i32_i24_e32 v129, v196, v58
	v_mul_i32_i24_e32 v133, v201, v69
	v_mul_i32_i24_e32 v123, v190, v45
	v_mul_i32_i24_e32 v124, v192, v46
	v_mad_i32_i24 v122, v170, v49, v122
	v_mul_i32_i24_e32 v125, v193, v47
	v_mul_i32_i24_e32 v126, v194, v53
	;; [unrolled: 1-line block ×4, first 2 shown]
	v_add3_u32 v122, v122, v129, v133
	v_mul_i32_i24_e32 v130, v197, v62
	v_mul_i32_i24_e32 v131, v198, v67
	;; [unrolled: 1-line block ×6, first 2 shown]
	s_waitcnt lgkmcnt(0)
	v_and_b32_e32 v205, 15, v32
	v_bfe_u32 v210, v32, 4, 4
	v_and_b32_e32 v213, 15, v33
	v_bfe_u32 v217, v33, 4, 4
	v_bfe_u32 v206, v32, 8, 4
	v_mul_i32_i24_e32 v137, v205, v76
	v_mul_i32_i24_e32 v141, v210, v79
	;; [unrolled: 1-line block ×4, first 2 shown]
	v_bfe_u32 v208, v32, 16, 4
	v_add3_u32 v122, v122, v137, v123
	v_mul_i32_i24_e32 v138, v206, v77
	v_bfe_u32 v209, v32, 24, 4
	v_bfe_u32 v211, v32, 12, 4
	v_mul_i32_i24_e32 v139, v208, v78
	v_add3_u32 v122, v122, v124, v125
	v_bfe_u32 v200, v32, 20, 4
	v_mul_i32_i24_e32 v140, v209, v51
	v_mul_i32_i24_e32 v142, v211, v98
	v_lshrrev_b32_e32 v212, 28, v32
	v_add3_u32 v122, v122, v141, v144
	v_mul_i32_i24_e32 v143, v200, v105
	v_bfe_u32 v214, v33, 8, 4
	v_bfe_u32 v215, v33, 16, 4
	v_mul_i32_i24_e32 v32, v212, v106
	v_add3_u32 v122, v122, v126, v127
	v_bfe_u32 v216, v33, 24, 4
	v_mul_i32_i24_e32 v145, v214, v109
	v_mul_i32_i24_e32 v146, v215, v110
	v_bfe_u32 v218, v33, 12, 4
	v_add3_u32 v122, v122, v128, v130
	v_bfe_u32 v207, v33, 20, 4
	v_mul_i32_i24_e32 v147, v216, v52
	v_lshrrev_b32_e32 v220, 28, v33
	v_mul_i32_i24_e32 v149, v218, v112
	v_add3_u32 v122, v122, v131, v132
	v_mul_i32_i24_e32 v150, v207, v113
	s_delay_alu instid0(VALU_DEP_4) | instskip(NEXT) | instid1(VALU_DEP_3)
	v_mul_i32_i24_e32 v33, v220, v108
	v_add3_u32 v122, v122, v148, v134
	s_delay_alu instid0(VALU_DEP_1) | instskip(NEXT) | instid1(VALU_DEP_1)
	v_add3_u32 v122, v122, v135, v136
	v_add3_u32 v122, v122, v138, v139
	s_delay_alu instid0(VALU_DEP_1) | instskip(NEXT) | instid1(VALU_DEP_1)
	v_add3_u32 v122, v122, v140, v142
	;; [unrolled: 3-line block ×3, first 2 shown]
	v_add3_u32 v32, v32, v147, v149
	s_delay_alu instid0(VALU_DEP_1) | instskip(SKIP_1) | instid1(VALU_DEP_2)
	v_add3_u32 v32, v32, v150, v33
	v_pk_mul_f16 v33, v19, v154
	v_cvt_f32_i32_e32 v32, v32
	s_delay_alu instid0(VALU_DEP_1) | instskip(NEXT) | instid1(VALU_DEP_1)
	v_fma_mix_f32 v32, v33, v32, v33 op_sel:[0,0,1] op_sel_hi:[1,0,1]
	v_add_f32_e32 v74, v74, v32
	v_add_nc_u32_e32 v32, 0x2100, v117
	ds_load_b32 v180, v120
	ds_load_2addr_b32 v[32:33], v32 offset1:1
	v_add_nc_u32_e32 v120, 4, v120
	s_waitcnt lgkmcnt(0)
	v_bfe_u32 v219, v32, 20, 4
	v_and_b32_e32 v221, 15, v32
	v_bfe_u32 v222, v32, 8, 4
	v_bfe_u32 v224, v32, 16, 4
	v_bfe_u32 v225, v32, 24, 4
	v_bfe_u32 v204, v32, 4, 4
	v_bfe_u32 v226, v32, 12, 4
	v_lshrrev_b32_e32 v227, 28, v32
	v_add_nc_u32_e32 v32, 0x2108, v117
	v_bfe_u32 v223, v33, 20, 4
	v_and_b32_e32 v228, 15, v33
	v_bfe_u32 v229, v33, 8, 4
	v_bfe_u32 v230, v33, 16, 4
	;; [unrolled: 1-line block ×5, first 2 shown]
	v_lshrrev_b32_e32 v235, 28, v33
	ds_load_2addr_b32 v[32:33], v32 offset1:1
	v_mul_i32_i24_e32 v122, v221, v43
	v_mul_i32_i24_e32 v129, v228, v58
	;; [unrolled: 1-line block ×5, first 2 shown]
	v_mad_i32_i24 v122, v204, v49, v122
	v_mul_i32_i24_e32 v125, v225, v47
	v_mul_i32_i24_e32 v126, v226, v53
	;; [unrolled: 1-line block ×4, first 2 shown]
	v_add3_u32 v122, v122, v129, v133
	v_mul_i32_i24_e32 v130, v229, v62
	v_mul_i32_i24_e32 v131, v230, v67
	;; [unrolled: 1-line block ×6, first 2 shown]
	s_waitcnt lgkmcnt(0)
	v_and_b32_e32 v236, 15, v32
	v_bfe_u32 v241, v32, 4, 4
	v_and_b32_e32 v244, 15, v33
	v_bfe_u32 v248, v33, 4, 4
	v_bfe_u32 v237, v32, 8, 4
	v_mul_i32_i24_e32 v137, v236, v76
	v_mul_i32_i24_e32 v141, v241, v79
	;; [unrolled: 1-line block ×4, first 2 shown]
	v_bfe_u32 v239, v32, 16, 4
	v_add3_u32 v122, v122, v137, v123
	v_mul_i32_i24_e32 v138, v237, v77
	v_bfe_u32 v240, v32, 24, 4
	v_bfe_u32 v242, v32, 12, 4
	v_mul_i32_i24_e32 v139, v239, v78
	v_add3_u32 v122, v122, v124, v125
	v_bfe_u32 v232, v32, 20, 4
	v_mul_i32_i24_e32 v140, v240, v51
	v_mul_i32_i24_e32 v142, v242, v98
	v_lshrrev_b32_e32 v243, 28, v32
	v_add3_u32 v122, v122, v141, v144
	v_mul_i32_i24_e32 v143, v232, v105
	v_bfe_u32 v245, v33, 8, 4
	v_bfe_u32 v246, v33, 16, 4
	v_mul_i32_i24_e32 v32, v243, v106
	v_add3_u32 v122, v122, v126, v127
	v_bfe_u32 v247, v33, 24, 4
	v_mul_i32_i24_e32 v145, v245, v109
	v_mul_i32_i24_e32 v146, v246, v110
	v_bfe_u32 v249, v33, 12, 4
	v_add3_u32 v122, v122, v128, v130
	v_bfe_u32 v238, v33, 20, 4
	v_mul_i32_i24_e32 v147, v247, v52
	v_lshrrev_b32_e32 v250, 28, v33
	v_mul_i32_i24_e32 v149, v249, v112
	v_add3_u32 v122, v122, v131, v132
	v_mul_i32_i24_e32 v150, v238, v113
	s_delay_alu instid0(VALU_DEP_4) | instskip(NEXT) | instid1(VALU_DEP_3)
	v_mul_i32_i24_e32 v33, v250, v108
	v_add3_u32 v122, v122, v148, v134
	s_delay_alu instid0(VALU_DEP_1) | instskip(NEXT) | instid1(VALU_DEP_1)
	v_add3_u32 v122, v122, v135, v136
	v_add3_u32 v122, v122, v138, v139
	s_delay_alu instid0(VALU_DEP_1) | instskip(NEXT) | instid1(VALU_DEP_1)
	v_add3_u32 v122, v122, v140, v142
	;; [unrolled: 3-line block ×3, first 2 shown]
	v_add3_u32 v32, v32, v147, v149
	s_delay_alu instid0(VALU_DEP_1) | instskip(SKIP_1) | instid1(VALU_DEP_2)
	v_add3_u32 v32, v32, v150, v33
	v_pk_mul_f16 v33, v19, v180
	v_cvt_f32_i32_e32 v32, v32
	s_delay_alu instid0(VALU_DEP_1) | instskip(NEXT) | instid1(VALU_DEP_1)
	v_fma_mix_f32 v32, v33, v32, v33 op_sel:[0,0,1] op_sel_hi:[1,0,1]
	v_add_f32_e32 v68, v68, v32
	v_add_nc_u32_e32 v32, 0x3180, v117
	ds_load_b32 v122, v121
	ds_load_2addr_b32 v[32:33], v32 offset1:1
	v_add_nc_u32_e32 v121, 4, v121
	s_waitcnt lgkmcnt(1)
	v_pk_mul_f16 v19, v19, v122
	s_waitcnt lgkmcnt(0)
	v_bfe_u32 v124, v32, 20, 4
	v_and_b32_e32 v251, 15, v32
	v_bfe_u32 v252, v32, 8, 4
	v_bfe_u32 v253, v32, 16, 4
	;; [unrolled: 1-line block ×5, first 2 shown]
	v_lshrrev_b32_e32 v128, 28, v32
	v_add_nc_u32_e32 v32, 0x3188, v117
	v_bfe_u32 v125, v33, 20, 4
	v_and_b32_e32 v129, 15, v33
	v_bfe_u32 v130, v33, 8, 4
	v_bfe_u32 v131, v33, 16, 4
	;; [unrolled: 1-line block ×5, first 2 shown]
	v_lshrrev_b32_e32 v136, 28, v33
	ds_load_2addr_b32 v[32:33], v32 offset1:1
	v_mul_i32_i24_e32 v43, v251, v43
	v_mul_i32_i24_e32 v58, v129, v58
	;; [unrolled: 1-line block ×5, first 2 shown]
	v_mad_i32_i24 v43, v123, v49, v43
	v_mul_i32_i24_e32 v47, v126, v47
	v_mul_i32_i24_e32 v53, v127, v53
	;; [unrolled: 1-line block ×4, first 2 shown]
	v_add3_u32 v43, v43, v58, v69
	v_mul_i32_i24_e32 v62, v130, v62
	v_mul_i32_i24_e32 v67, v131, v67
	;; [unrolled: 1-line block ×6, first 2 shown]
	v_add_nc_u32_e32 v117, 16, v117
	s_waitcnt lgkmcnt(0)
	v_and_b32_e32 v137, 15, v32
	v_bfe_u32 v142, v32, 4, 4
	v_lshrrev_b32_e32 v144, 28, v32
	v_and_b32_e32 v145, 15, v33
	v_bfe_u32 v133, v32, 20, 4
	v_mul_i32_i24_e32 v76, v137, v76
	v_bfe_u32 v138, v32, 8, 4
	v_bfe_u32 v140, v32, 16, 4
	;; [unrolled: 1-line block ×3, first 2 shown]
	v_mul_i32_i24_e32 v79, v142, v79
	v_add3_u32 v43, v43, v76, v45
	v_bfe_u32 v143, v32, 12, 4
	v_mul_i32_i24_e32 v32, v144, v106
	v_mul_i32_i24_e32 v106, v145, v107
	v_bfe_u32 v146, v33, 8, 4
	v_add3_u32 v43, v43, v46, v47
	v_bfe_u32 v147, v33, 16, 4
	v_bfe_u32 v149, v33, 4, 4
	v_mul_i32_i24_e32 v77, v138, v77
	v_mul_i32_i24_e32 v107, v146, v109
	v_add3_u32 v43, v43, v79, v106
	v_mul_i32_i24_e32 v109, v147, v110
	v_mul_i32_i24_e32 v110, v149, v111
	;; [unrolled: 1-line block ×4, first 2 shown]
	v_add3_u32 v43, v43, v53, v55
	v_mul_i32_i24_e32 v98, v143, v98
	v_mul_i32_i24_e32 v105, v133, v105
	v_bfe_u32 v148, v33, 24, 4
	v_bfe_u32 v150, v33, 12, 4
	v_add3_u32 v43, v43, v57, v62
	v_bfe_u32 v139, v33, 20, 4
	v_lshrrev_b32_e32 v151, 28, v33
	v_mul_i32_i24_e32 v52, v148, v52
	v_mul_i32_i24_e32 v111, v150, v112
	v_add3_u32 v43, v43, v67, v50
	v_mul_i32_i24_e32 v112, v139, v113
	v_mul_i32_i24_e32 v33, v151, v108
	s_delay_alu instid0(VALU_DEP_3) | instskip(NEXT) | instid1(VALU_DEP_1)
	v_add3_u32 v43, v43, v110, v71
	v_add3_u32 v43, v43, v72, v73
	s_delay_alu instid0(VALU_DEP_1) | instskip(NEXT) | instid1(VALU_DEP_1)
	v_add3_u32 v43, v43, v77, v78
	v_add3_u32 v43, v43, v51, v98
	s_delay_alu instid0(VALU_DEP_1) | instskip(NEXT) | instid1(VALU_DEP_1)
	v_add3_u32 v32, v43, v105, v32
	v_add3_u32 v32, v32, v107, v109
	s_delay_alu instid0(VALU_DEP_1) | instskip(SKIP_3) | instid1(VALU_DEP_1)
	v_add3_u32 v32, v32, v52, v111
	ds_load_b128 v[49:52], v116 offset:1024
	ds_load_b128 v[105:108], v116 offset:1040
	v_add3_u32 v32, v32, v112, v33
	v_cvt_f32_i32_e32 v32, v32
	s_delay_alu instid0(VALU_DEP_1) | instskip(NEXT) | instid1(VALU_DEP_1)
	v_fma_mix_f32 v19, v19, v32, v19 op_sel:[0,0,1] op_sel_hi:[1,0,1]
	v_add_f32_e32 v66, v66, v19
	s_waitcnt lgkmcnt(1)
	v_bfe_i32 v19, v49, 0, 8
	v_bfe_i32 v32, v49, 8, 8
	v_bfe_i32 v33, v49, 16, 8
	s_waitcnt lgkmcnt(0)
	v_bfe_i32 v45, v105, 0, 8
	v_ashrrev_i32_e32 v43, 24, v49
	v_mul_i32_i24_e32 v111, v19, v156
	v_bfe_i32 v53, v50, 0, 8
	v_mul_i32_i24_e32 v112, v32, v157
	v_mul_i32_i24_e32 v113, v33, v159
	v_bfe_i32 v46, v105, 8, 8
	v_mad_i32_i24 v111, v45, v153, v111
	v_bfe_i32 v47, v105, 16, 8
	v_mul_i32_i24_e32 v254, v43, v160
	v_mul_i32_i24_e32 v100, v53, v163
	v_ashrrev_i32_e32 v49, 24, v105
	v_add3_u32 v111, v111, v112, v113
	v_bfe_i32 v58, v106, 0, 8
	v_mul_i32_i24_e32 v255, v46, v161
	v_mul_i32_i24_e32 v97, v47, v155
	v_bfe_i32 v55, v50, 8, 8
	v_add3_u32 v100, v111, v254, v100
	v_bfe_i32 v57, v50, 16, 8
	v_mul_i32_i24_e32 v99, v49, v162
	v_mul_i32_i24_e32 v70, v58, v168
	v_ashrrev_i32_e32 v50, 24, v50
	v_add3_u32 v97, v100, v255, v97
	v_bfe_i32 v71, v51, 0, 8
	v_mul_i32_i24_e32 v101, v55, v164
	v_mul_i32_i24_e32 v102, v57, v165
	v_bfe_i32 v62, v106, 8, 8
	v_add3_u32 v70, v97, v99, v70
	;; [unrolled: 10-line block ×6, first 2 shown]
	v_ashrrev_i32_e32 v108, 24, v108
	v_mul_i32_i24_e32 v93, v52, v184
	v_mul_i32_i24_e32 v95, v109, v186
	;; [unrolled: 1-line block ×3, first 2 shown]
	v_add3_u32 v41, v41, v91, v92
	v_mul_i32_i24_e32 v103, v108, v188
	v_pk_mul_f16 v70, v152, v20
	v_mul_i32_i24_e32 v75, v33, v192
	v_mul_i32_i24_e32 v80, v43, v193
	v_add3_u32 v41, v41, v93, v95
	v_mul_i32_i24_e32 v84, v53, v196
	v_mul_i32_i24_e32 v81, v46, v194
	;; [unrolled: 1-line block ×4, first 2 shown]
	v_add3_u32 v41, v41, v96, v103
	v_mul_i32_i24_e32 v88, v58, v201
	v_mul_i32_i24_e32 v85, v55, v197
	;; [unrolled: 1-line block ×4, first 2 shown]
	v_cvt_f32_i32_e32 v41, v41
	v_mul_i32_i24_e32 v92, v71, v205
	v_mul_i32_i24_e32 v89, v62, v202
	;; [unrolled: 1-line block ×4, first 2 shown]
	v_fma_mix_f32 v41, v70, v41, v70 op_sel:[0,0,1] op_sel_hi:[1,0,1]
	v_mul_i32_i24_e32 v70, v32, v190
	v_mul_i32_i24_e32 v96, v76, v210
	;; [unrolled: 1-line block ×4, first 2 shown]
	v_add_f32_e32 v65, v65, v41
	v_mul_i32_i24_e32 v41, v19, v189
	v_mul_i32_i24_e32 v95, v51, v209
	;; [unrolled: 1-line block ×5, first 2 shown]
	v_mad_i32_i24 v41, v45, v170, v41
	v_mul_i32_i24_e32 v100, v79, v212
	v_mul_i32_i24_e32 v112, v107, v217
	;; [unrolled: 1-line block ×4, first 2 shown]
	v_add3_u32 v41, v41, v70, v75
	v_mul_i32_i24_e32 v111, v52, v216
	v_mul_i32_i24_e32 v113, v109, v218
	;; [unrolled: 1-line block ×4, first 2 shown]
	v_add3_u32 v41, v41, v80, v84
	v_pk_mul_f16 v70, v154, v20
	v_mul_i32_i24_e32 v75, v33, v224
	v_mul_i32_i24_e32 v80, v43, v225
	;; [unrolled: 1-line block ×3, first 2 shown]
	v_add3_u32 v41, v41, v81, v82
	v_mul_i32_i24_e32 v81, v46, v226
	v_mul_i32_i24_e32 v82, v47, v219
	;; [unrolled: 1-line block ×3, first 2 shown]
	s_delay_alu instid0(VALU_DEP_4) | instskip(SKIP_2) | instid1(VALU_DEP_3)
	v_add3_u32 v41, v41, v83, v88
	v_mul_i32_i24_e32 v83, v49, v227
	v_mul_i32_i24_e32 v88, v58, v233
	v_add3_u32 v41, v41, v85, v86
	v_mul_i32_i24_e32 v85, v55, v229
	v_mul_i32_i24_e32 v86, v57, v230
	s_delay_alu instid0(VALU_DEP_3) | instskip(SKIP_3) | instid1(VALU_DEP_4)
	v_add3_u32 v41, v41, v87, v92
	v_mul_i32_i24_e32 v87, v50, v231
	v_mul_i32_i24_e32 v92, v71, v236
	;; [unrolled: 1-line block ×3, first 2 shown]
	v_add3_u32 v41, v41, v89, v90
	v_mul_i32_i24_e32 v89, v62, v234
	v_mul_i32_i24_e32 v90, v67, v223
	s_delay_alu instid0(VALU_DEP_3) | instskip(SKIP_2) | instid1(VALU_DEP_3)
	v_add3_u32 v41, v41, v91, v96
	v_mul_i32_i24_e32 v91, v69, v235
	v_mul_i32_i24_e32 v96, v76, v241
	v_add3_u32 v41, v41, v93, v94
	v_mul_i32_i24_e32 v93, v72, v237
	v_mul_i32_i24_e32 v94, v73, v239
	s_delay_alu instid0(VALU_DEP_3) | instskip(SKIP_3) | instid1(VALU_DEP_4)
	v_add3_u32 v41, v41, v95, v101
	v_mul_i32_i24_e32 v95, v51, v240
	v_mul_i32_i24_e32 v101, v98, v244
	;; [unrolled: 1-line block ×3, first 2 shown]
	v_add3_u32 v41, v41, v97, v99
	v_mul_i32_i24_e32 v97, v77, v242
	v_mul_i32_i24_e32 v99, v78, v232
	s_delay_alu instid0(VALU_DEP_3) | instskip(SKIP_2) | instid1(VALU_DEP_3)
	v_add3_u32 v41, v41, v100, v112
	v_mul_i32_i24_e32 v100, v79, v243
	v_mul_i32_i24_e32 v112, v107, v248
	v_add3_u32 v41, v41, v102, v103
	v_mul_i32_i24_e32 v102, v105, v245
	v_mul_i32_i24_e32 v103, v106, v246
	s_delay_alu instid0(VALU_DEP_3) | instskip(SKIP_3) | instid1(VALU_DEP_4)
	v_add3_u32 v41, v41, v111, v113
	v_mul_i32_i24_e32 v111, v52, v247
	v_mul_i32_i24_e32 v113, v109, v249
	;; [unrolled: 1-line block ×3, first 2 shown]
	v_add3_u32 v41, v41, v254, v255
	v_mul_i32_i24_e32 v254, v110, v238
	v_mul_i32_i24_e32 v255, v108, v250
	s_delay_alu instid0(VALU_DEP_3) | instskip(NEXT) | instid1(VALU_DEP_1)
	v_cvt_f32_i32_e32 v41, v41
	v_fma_mix_f32 v41, v70, v41, v70 op_sel:[0,0,1] op_sel_hi:[1,0,1]
	v_mul_i32_i24_e32 v70, v32, v222
	v_mul_i32_i24_e32 v32, v32, v252
	s_delay_alu instid0(VALU_DEP_3) | instskip(SKIP_2) | instid1(VALU_DEP_2)
	v_add_f32_e32 v64, v64, v41
	v_mul_i32_i24_e32 v41, v19, v221
	v_mul_i32_i24_e32 v19, v19, v251
	v_mad_i32_i24 v41, v45, v204, v41
	s_delay_alu instid0(VALU_DEP_2) | instskip(NEXT) | instid1(VALU_DEP_2)
	v_mad_i32_i24 v19, v45, v123, v19
	v_add3_u32 v41, v41, v70, v75
	v_pk_mul_f16 v70, v180, v20
	s_delay_alu instid0(VALU_DEP_3)
	v_add3_u32 v19, v19, v32, v33
	v_mul_i32_i24_e32 v75, v78, v133
	v_mul_i32_i24_e32 v78, v105, v146
	v_add3_u32 v41, v41, v80, v84
	v_mul_i32_i24_e32 v80, v107, v149
	v_pk_mul_f16 v20, v122, v20
	s_delay_alu instid0(VALU_DEP_3) | instskip(SKIP_2) | instid1(VALU_DEP_3)
	v_add3_u32 v41, v41, v81, v82
	v_mul_i32_i24_e32 v81, v109, v150
	v_mul_i32_i24_e32 v82, v110, v139
	v_add3_u32 v41, v41, v83, v88
	v_mul_i32_i24_e32 v83, v108, v151
	s_delay_alu instid0(VALU_DEP_2) | instskip(NEXT) | instid1(VALU_DEP_1)
	v_add3_u32 v41, v41, v85, v86
	v_add3_u32 v41, v41, v87, v92
	s_delay_alu instid0(VALU_DEP_1) | instskip(NEXT) | instid1(VALU_DEP_1)
	v_add3_u32 v41, v41, v89, v90
	v_add3_u32 v41, v41, v91, v96
	s_delay_alu instid0(VALU_DEP_1) | instskip(NEXT) | instid1(VALU_DEP_1)
	;; [unrolled: 3-line block ×5, first 2 shown]
	v_add3_u32 v41, v41, v254, v255
	v_cvt_f32_i32_e32 v41, v41
	s_delay_alu instid0(VALU_DEP_1)
	v_fma_mix_f32 v41, v70, v41, v70 op_sel:[0,0,1] op_sel_hi:[1,0,1]
	v_mul_i32_i24_e32 v70, v72, v138
	v_mul_i32_i24_e32 v72, v76, v142
	;; [unrolled: 1-line block ×4, first 2 shown]
	v_add_f32_e32 v63, v63, v41
	v_mul_i32_i24_e32 v41, v43, v126
	v_mul_i32_i24_e32 v43, v46, v127
	;; [unrolled: 1-line block ×9, first 2 shown]
	v_add3_u32 v19, v19, v41, v49
	v_mul_i32_i24_e32 v62, v67, v125
	v_mul_i32_i24_e32 v67, v69, v136
	;; [unrolled: 1-line block ×4, first 2 shown]
	v_add3_u32 v19, v19, v43, v46
	v_mul_i32_i24_e32 v73, v77, v143
	v_mul_i32_i24_e32 v77, v98, v145
	s_delay_alu instid0(VALU_DEP_3) | instskip(NEXT) | instid1(VALU_DEP_1)
	v_add3_u32 v19, v19, v47, v57
	v_add3_u32 v19, v19, v53, v55
	s_delay_alu instid0(VALU_DEP_1) | instskip(NEXT) | instid1(VALU_DEP_1)
	v_add3_u32 v19, v19, v50, v69
	v_add3_u32 v19, v19, v58, v62
	s_delay_alu instid0(VALU_DEP_1) | instskip(NEXT) | instid1(VALU_DEP_1)
	;; [unrolled: 3-line block ×6, first 2 shown]
	v_cvt_f32_i32_e32 v19, v19
	v_fma_mix_f32 v19, v20, v19, v20 op_sel:[0,0,1] op_sel_hi:[1,0,1]
	s_delay_alu instid0(VALU_DEP_1)
	v_add_f32_e32 v61, v61, v19
	ds_load_b128 v[49:52], v116 offset:2048
	ds_load_b128 v[105:108], v116 offset:2064
	ds_load_2addr_b32 v[19:20], v115 offset0:64 offset1:96
	s_waitcnt lgkmcnt(2)
	v_bfe_i32 v32, v49, 0, 8
	v_bfe_i32 v33, v49, 8, 8
	;; [unrolled: 1-line block ×3, first 2 shown]
	s_waitcnt lgkmcnt(1)
	v_bfe_i32 v45, v105, 0, 8
	v_ashrrev_i32_e32 v43, 24, v49
	v_mul_i32_i24_e32 v85, v32, v156
	v_bfe_i32 v53, v50, 0, 8
	v_mul_i32_i24_e32 v86, v33, v157
	v_mul_i32_i24_e32 v87, v41, v159
	v_bfe_i32 v46, v105, 8, 8
	v_mad_i32_i24 v85, v45, v153, v85
	v_bfe_i32 v47, v105, 16, 8
	v_mul_i32_i24_e32 v88, v43, v160
	v_mul_i32_i24_e32 v92, v53, v163
	v_ashrrev_i32_e32 v49, 24, v105
	v_add3_u32 v85, v85, v86, v87
	v_bfe_i32 v58, v106, 0, 8
	v_mul_i32_i24_e32 v89, v46, v161
	v_mul_i32_i24_e32 v90, v47, v155
	v_bfe_i32 v55, v50, 8, 8
	v_add3_u32 v85, v85, v88, v92
	v_bfe_i32 v57, v50, 16, 8
	v_mul_i32_i24_e32 v91, v49, v162
	v_mul_i32_i24_e32 v96, v58, v168
	v_ashrrev_i32_e32 v50, 24, v50
	v_add3_u32 v85, v85, v89, v90
	v_bfe_i32 v70, v51, 0, 8
	v_mul_i32_i24_e32 v93, v55, v164
	v_mul_i32_i24_e32 v94, v57, v165
	v_bfe_i32 v62, v106, 8, 8
	v_add3_u32 v85, v85, v91, v96
	;; [unrolled: 10-line block ×5, first 2 shown]
	v_bfe_i32 v80, v52, 16, 8
	v_bfe_i32 v82, v108, 8, 8
	;; [unrolled: 1-line block ×3, first 2 shown]
	v_ashrrev_i32_e32 v84, 24, v108
	v_mul_i32_i24_e32 v108, v77, v179
	v_mul_i32_i24_e32 v113, v81, v185
	v_add3_u32 v85, v85, v106, v107
	v_ashrrev_i32_e32 v52, 24, v52
	v_mul_i32_i24_e32 v110, v79, v182
	v_mul_i32_i24_e32 v111, v80, v183
	;; [unrolled: 1-line block ×3, first 2 shown]
	v_add3_u32 v85, v85, v108, v113
	v_mul_i32_i24_e32 v112, v52, v184
	v_mul_i32_i24_e32 v255, v83, v174
	;; [unrolled: 1-line block ×3, first 2 shown]
	s_waitcnt lgkmcnt(0)
	v_pk_mul_f16 v86, v152, v19
	v_add3_u32 v85, v85, v110, v111
	v_mul_i32_i24_e32 v87, v41, v192
	v_mul_i32_i24_e32 v88, v43, v193
	v_mul_i32_i24_e32 v92, v53, v196
	v_mul_i32_i24_e32 v89, v46, v194
	v_add3_u32 v85, v85, v112, v254
	v_mul_i32_i24_e32 v90, v47, v187
	v_mul_i32_i24_e32 v91, v49, v195
	v_mul_i32_i24_e32 v96, v58, v201
	v_mul_i32_i24_e32 v93, v55, v197
	;; [unrolled: 5-line block ×3, first 2 shown]
	v_cvt_f32_i32_e32 v85, v85
	v_mul_i32_i24_e32 v98, v67, v191
	v_mul_i32_i24_e32 v99, v69, v203
	v_mul_i32_i24_e32 v104, v73, v210
	v_mul_i32_i24_e32 v101, v71, v206
	v_fma_mix_f32 v85, v86, v85, v86 op_sel:[0,0,1] op_sel_hi:[1,0,1]
	v_mul_i32_i24_e32 v86, v33, v190
	v_mul_i32_i24_e32 v102, v72, v208
	;; [unrolled: 1-line block ×4, first 2 shown]
	v_add_f32_e32 v60, v60, v85
	v_mul_i32_i24_e32 v85, v32, v189
	v_mul_i32_i24_e32 v105, v75, v211
	;; [unrolled: 1-line block ×5, first 2 shown]
	v_mad_i32_i24 v85, v45, v170, v85
	v_mul_i32_i24_e32 v109, v79, v214
	v_mul_i32_i24_e32 v110, v80, v215
	;; [unrolled: 1-line block ×4, first 2 shown]
	v_add3_u32 v85, v85, v86, v87
	v_mul_i32_i24_e32 v254, v83, v207
	v_mul_i32_i24_e32 v255, v84, v220
	v_pk_mul_f16 v86, v154, v19
	v_mul_i32_i24_e32 v87, v41, v224
	v_add3_u32 v85, v85, v88, v92
	v_mul_i32_i24_e32 v88, v43, v225
	v_mul_i32_i24_e32 v92, v53, v228
	v_mul_i32_i24_e32 v41, v41, v253
	v_mul_i32_i24_e32 v43, v43, v126
	v_add3_u32 v85, v85, v89, v90
	v_mul_i32_i24_e32 v89, v46, v226
	v_mul_i32_i24_e32 v90, v47, v219
	v_mul_i32_i24_e32 v53, v53, v129
	v_mul_i32_i24_e32 v46, v46, v127
	v_add3_u32 v85, v85, v91, v96
	v_mul_i32_i24_e32 v91, v49, v227
	v_mul_i32_i24_e32 v96, v58, v233
	v_mul_i32_i24_e32 v47, v47, v124
	v_mul_i32_i24_e32 v49, v49, v128
	v_add3_u32 v85, v85, v93, v94
	v_mul_i32_i24_e32 v93, v55, v229
	v_mul_i32_i24_e32 v94, v57, v230
	v_mul_i32_i24_e32 v58, v58, v134
	v_mul_i32_i24_e32 v55, v55, v130
	v_add3_u32 v85, v85, v95, v100
	v_mul_i32_i24_e32 v95, v50, v231
	v_mul_i32_i24_e32 v57, v57, v131
	v_mul_i32_i24_e32 v50, v50, v132
	s_delay_alu instid0(VALU_DEP_4)
	v_add3_u32 v85, v85, v97, v98
	v_mul_i32_i24_e32 v97, v62, v234
	v_mul_i32_i24_e32 v98, v67, v223
	v_mul_i32_i24_e32 v62, v62, v135
	v_mul_i32_i24_e32 v67, v67, v125
	v_add3_u32 v85, v85, v99, v104
	v_mul_i32_i24_e32 v99, v69, v235
	v_mul_i32_i24_e32 v104, v73, v241
	v_mul_i32_i24_e32 v69, v69, v136
	v_mul_i32_i24_e32 v73, v73, v142
	;; [unrolled: 5-line block ×9, first 2 shown]
	v_cvt_f32_i32_e32 v85, v85
	s_delay_alu instid0(VALU_DEP_1) | instskip(SKIP_2) | instid1(VALU_DEP_3)
	v_fma_mix_f32 v85, v86, v85, v86 op_sel:[0,0,1] op_sel_hi:[1,0,1]
	v_mul_i32_i24_e32 v86, v33, v222
	v_mul_i32_i24_e32 v33, v33, v252
	v_add_f32_e32 v59, v59, v85
	v_mul_i32_i24_e32 v85, v32, v221
	v_mul_i32_i24_e32 v100, v70, v236
	;; [unrolled: 1-line block ×3, first 2 shown]
	s_delay_alu instid0(VALU_DEP_3) | instskip(NEXT) | instid1(VALU_DEP_1)
	v_mad_i32_i24 v85, v45, v204, v85
	v_add3_u32 v85, v85, v86, v87
	v_pk_mul_f16 v86, v180, v19
	v_pk_mul_f16 v19, v122, v19
	s_delay_alu instid0(VALU_DEP_3) | instskip(NEXT) | instid1(VALU_DEP_1)
	v_add3_u32 v85, v85, v88, v92
	v_add3_u32 v85, v85, v89, v90
	s_delay_alu instid0(VALU_DEP_1) | instskip(NEXT) | instid1(VALU_DEP_1)
	v_add3_u32 v85, v85, v91, v96
	v_add3_u32 v85, v85, v93, v94
	s_delay_alu instid0(VALU_DEP_1) | instskip(NEXT) | instid1(VALU_DEP_1)
	;; [unrolled: 3-line block ×7, first 2 shown]
	v_cvt_f32_i32_e32 v85, v85
	v_fma_mix_f32 v85, v86, v85, v86 op_sel:[0,0,1] op_sel_hi:[1,0,1]
	s_delay_alu instid0(VALU_DEP_1) | instskip(SKIP_1) | instid1(VALU_DEP_1)
	v_add_f32_e32 v56, v56, v85
	v_mul_i32_i24_e32 v32, v32, v251
	v_mad_i32_i24 v32, v45, v123, v32
	s_delay_alu instid0(VALU_DEP_1) | instskip(NEXT) | instid1(VALU_DEP_1)
	v_add3_u32 v32, v32, v33, v41
	v_add3_u32 v32, v32, v43, v53
	s_delay_alu instid0(VALU_DEP_1) | instskip(NEXT) | instid1(VALU_DEP_1)
	v_add3_u32 v32, v32, v46, v47
	v_add3_u32 v32, v32, v49, v58
	;; [unrolled: 3-line block ×7, first 2 shown]
	ds_load_b128 v[49:52], v116 offset:3072
	ds_load_b128 v[105:108], v116 offset:3088
	v_add3_u32 v32, v32, v83, v84
	s_delay_alu instid0(VALU_DEP_1) | instskip(NEXT) | instid1(VALU_DEP_1)
	v_cvt_f32_i32_e32 v32, v32
	v_fma_mix_f32 v19, v19, v32, v19 op_sel:[0,0,1] op_sel_hi:[1,0,1]
	s_delay_alu instid0(VALU_DEP_1)
	v_add_f32_e32 v54, v54, v19
	s_waitcnt lgkmcnt(1)
	v_bfe_i32 v19, v49, 0, 8
	v_bfe_i32 v32, v49, 8, 8
	;; [unrolled: 1-line block ×3, first 2 shown]
	s_waitcnt lgkmcnt(0)
	v_bfe_i32 v43, v105, 0, 8
	v_ashrrev_i32_e32 v41, 24, v49
	v_mul_i32_i24_e32 v84, v19, v156
	v_bfe_i32 v49, v50, 0, 8
	v_mul_i32_i24_e32 v85, v32, v157
	v_mul_i32_i24_e32 v86, v33, v159
	v_bfe_i32 v45, v105, 8, 8
	v_mad_i32_i24 v84, v43, v153, v84
	v_bfe_i32 v46, v105, 16, 8
	v_mul_i32_i24_e32 v87, v41, v160
	v_mul_i32_i24_e32 v91, v49, v163
	v_ashrrev_i32_e32 v47, 24, v105
	v_add3_u32 v84, v84, v85, v86
	v_bfe_i32 v57, v106, 0, 8
	v_mul_i32_i24_e32 v88, v45, v161
	v_mul_i32_i24_e32 v89, v46, v155
	v_bfe_i32 v53, v50, 8, 8
	v_add3_u32 v84, v84, v87, v91
	v_bfe_i32 v55, v50, 16, 8
	v_mul_i32_i24_e32 v90, v47, v162
	v_mul_i32_i24_e32 v95, v57, v168
	v_ashrrev_i32_e32 v50, 24, v50
	v_add3_u32 v84, v84, v88, v89
	v_bfe_i32 v69, v51, 0, 8
	v_mul_i32_i24_e32 v92, v53, v164
	v_mul_i32_i24_e32 v93, v55, v165
	v_bfe_i32 v58, v106, 8, 8
	v_add3_u32 v84, v84, v90, v95
	;; [unrolled: 10-line block ×4, first 2 shown]
	v_bfe_i32 v75, v107, 16, 8
	v_ashrrev_i32_e32 v76, 24, v107
	v_mul_i32_i24_e32 v102, v51, v176
	v_mul_i32_i24_e32 v107, v77, v181
	v_add3_u32 v84, v84, v100, v101
	v_bfe_i32 v80, v108, 0, 8
	v_mul_i32_i24_e32 v104, v73, v178
	v_mul_i32_i24_e32 v105, v75, v166
	v_bfe_i32 v78, v52, 8, 8
	v_add3_u32 v84, v84, v102, v107
	v_bfe_i32 v79, v52, 16, 8
	v_mul_i32_i24_e32 v106, v76, v179
	v_mul_i32_i24_e32 v111, v80, v185
	v_ashrrev_i32_e32 v52, 24, v52
	v_add3_u32 v84, v84, v104, v105
	v_bfe_i32 v81, v108, 8, 8
	v_bfe_i32 v82, v108, 16, 8
	v_ashrrev_i32_e32 v83, 24, v108
	v_mul_i32_i24_e32 v108, v78, v182
	v_mul_i32_i24_e32 v109, v79, v183
	v_add3_u32 v84, v84, v106, v111
	v_mul_i32_i24_e32 v110, v52, v184
	v_mul_i32_i24_e32 v112, v81, v186
	;; [unrolled: 1-line block ×4, first 2 shown]
	v_add3_u32 v84, v84, v108, v109
	v_pk_mul_f16 v85, v152, v20
	v_mul_i32_i24_e32 v86, v33, v192
	v_mul_i32_i24_e32 v87, v41, v193
	v_mul_i32_i24_e32 v91, v49, v196
	v_add3_u32 v84, v84, v110, v112
	v_mul_i32_i24_e32 v88, v45, v194
	v_mul_i32_i24_e32 v89, v46, v187
	;; [unrolled: 1-line block ×4, first 2 shown]
	v_add3_u32 v84, v84, v113, v254
	v_mul_i32_i24_e32 v92, v53, v197
	v_mul_i32_i24_e32 v93, v55, v198
	;; [unrolled: 1-line block ×4, first 2 shown]
	v_cvt_f32_i32_e32 v84, v84
	v_mul_i32_i24_e32 v96, v58, v202
	v_mul_i32_i24_e32 v97, v62, v191
	;; [unrolled: 1-line block ×4, first 2 shown]
	v_fma_mix_f32 v84, v85, v84, v85 op_sel:[0,0,1] op_sel_hi:[1,0,1]
	v_mul_i32_i24_e32 v85, v32, v190
	v_mul_i32_i24_e32 v100, v70, v206
	;; [unrolled: 1-line block ×4, first 2 shown]
	v_add_f32_e32 v48, v48, v84
	v_mul_i32_i24_e32 v84, v19, v189
	v_mul_i32_i24_e32 v107, v77, v213
	;; [unrolled: 1-line block ×5, first 2 shown]
	v_mad_i32_i24 v84, v43, v170, v84
	v_mul_i32_i24_e32 v111, v80, v217
	v_mul_i32_i24_e32 v108, v78, v214
	;; [unrolled: 1-line block ×4, first 2 shown]
	v_add3_u32 v84, v84, v85, v86
	v_mul_i32_i24_e32 v112, v81, v218
	v_mul_i32_i24_e32 v113, v82, v207
	;; [unrolled: 1-line block ×3, first 2 shown]
	v_pk_mul_f16 v85, v154, v20
	v_add3_u32 v84, v84, v87, v91
	v_mul_i32_i24_e32 v86, v33, v224
	v_mul_i32_i24_e32 v33, v33, v253
	v_mul_i32_i24_e32 v87, v41, v225
	v_mul_i32_i24_e32 v91, v49, v228
	v_add3_u32 v84, v84, v88, v89
	v_mul_i32_i24_e32 v41, v41, v126
	v_mul_i32_i24_e32 v49, v49, v129
	v_mul_i32_i24_e32 v88, v45, v226
	v_mul_i32_i24_e32 v89, v46, v219
	;; [unrolled: 5-line block ×14, first 2 shown]
	v_cvt_f32_i32_e32 v84, v84
	v_mul_i32_i24_e32 v83, v83, v151
	s_delay_alu instid0(VALU_DEP_2) | instskip(SKIP_2) | instid1(VALU_DEP_3)
	v_fma_mix_f32 v84, v85, v84, v85 op_sel:[0,0,1] op_sel_hi:[1,0,1]
	v_mul_i32_i24_e32 v85, v32, v222
	v_mul_i32_i24_e32 v32, v32, v252
	v_add_f32_e32 v44, v44, v84
	v_mul_i32_i24_e32 v84, v19, v221
	v_mul_i32_i24_e32 v19, v19, v251
	;; [unrolled: 1-line block ×3, first 2 shown]
	s_delay_alu instid0(VALU_DEP_3) | instskip(NEXT) | instid1(VALU_DEP_3)
	v_mad_i32_i24 v84, v43, v204, v84
	v_mad_i32_i24 v19, v43, v123, v19
	s_delay_alu instid0(VALU_DEP_2) | instskip(NEXT) | instid1(VALU_DEP_2)
	v_add3_u32 v84, v84, v85, v86
	v_add3_u32 v19, v19, v32, v33
	v_pk_mul_f16 v85, v180, v20
	v_pk_mul_f16 v20, v122, v20
	s_delay_alu instid0(VALU_DEP_4) | instskip(NEXT) | instid1(VALU_DEP_4)
	v_add3_u32 v84, v84, v87, v91
	v_add3_u32 v19, v19, v41, v49
	s_delay_alu instid0(VALU_DEP_2) | instskip(NEXT) | instid1(VALU_DEP_2)
	v_add3_u32 v84, v84, v88, v89
	v_add3_u32 v19, v19, v45, v46
	s_delay_alu instid0(VALU_DEP_2) | instskip(NEXT) | instid1(VALU_DEP_2)
	;; [unrolled: 3-line block ×14, first 2 shown]
	v_cvt_f32_i32_e32 v84, v84
	v_cvt_f32_i32_e32 v19, v19
	s_delay_alu instid0(VALU_DEP_2) | instskip(NEXT) | instid1(VALU_DEP_2)
	v_fma_mix_f32 v84, v85, v84, v85 op_sel:[0,0,1] op_sel_hi:[1,0,1]
	v_fma_mix_f32 v19, v20, v19, v20 op_sel:[0,0,1] op_sel_hi:[1,0,1]
	s_delay_alu instid0(VALU_DEP_2) | instskip(NEXT) | instid1(VALU_DEP_2)
	v_add_f32_e32 v42, v42, v84
	v_add_f32_e32 v40, v40, v19
	ds_load_b128 v[49:52], v116 offset:4096
	ds_load_b128 v[105:108], v116 offset:4112
	ds_load_2addr_b32 v[19:20], v115 offset0:128 offset1:160
	s_waitcnt lgkmcnt(2)
	v_bfe_i32 v32, v49, 0, 8
	v_bfe_i32 v33, v49, 8, 8
	v_bfe_i32 v41, v49, 16, 8
	s_waitcnt lgkmcnt(1)
	v_bfe_i32 v45, v105, 0, 8
	v_ashrrev_i32_e32 v43, 24, v49
	v_mul_i32_i24_e32 v85, v32, v156
	v_bfe_i32 v53, v50, 0, 8
	v_mul_i32_i24_e32 v86, v33, v157
	v_mul_i32_i24_e32 v87, v41, v159
	v_bfe_i32 v46, v105, 8, 8
	v_mad_i32_i24 v85, v45, v153, v85
	v_bfe_i32 v47, v105, 16, 8
	v_mul_i32_i24_e32 v88, v43, v160
	v_mul_i32_i24_e32 v92, v53, v163
	v_ashrrev_i32_e32 v49, 24, v105
	v_add3_u32 v85, v85, v86, v87
	v_bfe_i32 v58, v106, 0, 8
	v_mul_i32_i24_e32 v89, v46, v161
	v_mul_i32_i24_e32 v90, v47, v155
	v_bfe_i32 v55, v50, 8, 8
	v_add3_u32 v85, v85, v88, v92
	v_bfe_i32 v57, v50, 16, 8
	v_mul_i32_i24_e32 v91, v49, v162
	v_mul_i32_i24_e32 v96, v58, v168
	v_ashrrev_i32_e32 v50, 24, v50
	v_add3_u32 v85, v85, v89, v90
	v_bfe_i32 v70, v51, 0, 8
	v_mul_i32_i24_e32 v93, v55, v164
	v_mul_i32_i24_e32 v94, v57, v165
	v_bfe_i32 v62, v106, 8, 8
	v_add3_u32 v85, v85, v91, v96
	;; [unrolled: 10-line block ×4, first 2 shown]
	v_bfe_i32 v76, v107, 16, 8
	v_bfe_i32 v81, v108, 0, 8
	;; [unrolled: 1-line block ×4, first 2 shown]
	v_ashrrev_i32_e32 v84, 24, v108
	v_mul_i32_i24_e32 v103, v51, v176
	v_mul_i32_i24_e32 v108, v78, v181
	v_add3_u32 v85, v85, v101, v102
	v_ashrrev_i32_e32 v77, 24, v107
	v_mul_i32_i24_e32 v105, v75, v178
	v_mul_i32_i24_e32 v106, v76, v166
	v_bfe_i32 v79, v52, 8, 8
	v_add3_u32 v85, v85, v103, v108
	v_bfe_i32 v80, v52, 16, 8
	v_mul_i32_i24_e32 v107, v77, v179
	v_mul_i32_i24_e32 v112, v81, v185
	v_ashrrev_i32_e32 v52, 24, v52
	v_add3_u32 v85, v85, v105, v106
	v_mul_i32_i24_e32 v109, v79, v182
	v_mul_i32_i24_e32 v110, v80, v183
	;; [unrolled: 1-line block ×4, first 2 shown]
	v_add3_u32 v85, v85, v107, v112
	v_mul_i32_i24_e32 v254, v83, v174
	v_mul_i32_i24_e32 v255, v84, v188
	s_waitcnt lgkmcnt(0)
	v_pk_mul_f16 v86, v152, v19
	v_mul_i32_i24_e32 v87, v41, v192
	v_add3_u32 v85, v85, v109, v110
	v_mul_i32_i24_e32 v88, v43, v193
	v_mul_i32_i24_e32 v92, v53, v196
	v_mul_i32_i24_e32 v89, v46, v194
	v_mul_i32_i24_e32 v90, v47, v187
	v_add3_u32 v85, v85, v111, v113
	v_mul_i32_i24_e32 v91, v49, v195
	v_mul_i32_i24_e32 v96, v58, v201
	v_mul_i32_i24_e32 v93, v55, v197
	;; [unrolled: 5-line block ×3, first 2 shown]
	v_mul_i32_i24_e32 v98, v67, v191
	v_cvt_f32_i32_e32 v85, v85
	v_mul_i32_i24_e32 v99, v69, v203
	v_mul_i32_i24_e32 v104, v73, v210
	;; [unrolled: 1-line block ×4, first 2 shown]
	v_fma_mix_f32 v85, v86, v85, v86 op_sel:[0,0,1] op_sel_hi:[1,0,1]
	v_mul_i32_i24_e32 v86, v33, v190
	v_mul_i32_i24_e32 v103, v51, v209
	;; [unrolled: 1-line block ×4, first 2 shown]
	v_add_f32_e32 v39, v39, v85
	v_mul_i32_i24_e32 v85, v32, v189
	v_mul_i32_i24_e32 v106, v76, v200
	;; [unrolled: 1-line block ×5, first 2 shown]
	v_mad_i32_i24 v85, v45, v170, v85
	v_mul_i32_i24_e32 v110, v80, v215
	v_mul_i32_i24_e32 v111, v52, v216
	;; [unrolled: 1-line block ×4, first 2 shown]
	v_add3_u32 v85, v85, v86, v87
	v_mul_i32_i24_e32 v255, v84, v220
	v_pk_mul_f16 v86, v154, v19
	v_mul_i32_i24_e32 v87, v41, v224
	v_mul_i32_i24_e32 v41, v41, v253
	v_add3_u32 v85, v85, v88, v92
	v_mul_i32_i24_e32 v88, v43, v225
	v_mul_i32_i24_e32 v92, v53, v228
	v_mul_i32_i24_e32 v43, v43, v126
	v_mul_i32_i24_e32 v53, v53, v129
	v_add3_u32 v85, v85, v89, v90
	v_mul_i32_i24_e32 v89, v46, v226
	v_mul_i32_i24_e32 v90, v47, v219
	;; [unrolled: 5-line block ×14, first 2 shown]
	v_mul_i32_i24_e32 v83, v83, v139
	v_mul_i32_i24_e32 v84, v84, v151
	v_cvt_f32_i32_e32 v85, v85
	s_delay_alu instid0(VALU_DEP_1) | instskip(SKIP_2) | instid1(VALU_DEP_3)
	v_fma_mix_f32 v85, v86, v85, v86 op_sel:[0,0,1] op_sel_hi:[1,0,1]
	v_mul_i32_i24_e32 v86, v33, v222
	v_mul_i32_i24_e32 v33, v33, v252
	v_add_f32_e32 v38, v38, v85
	v_mul_i32_i24_e32 v85, v32, v221
	v_mul_i32_i24_e32 v32, v32, v251
	s_delay_alu instid0(VALU_DEP_2) | instskip(NEXT) | instid1(VALU_DEP_2)
	v_mad_i32_i24 v85, v45, v204, v85
	v_mad_i32_i24 v32, v45, v123, v32
	s_delay_alu instid0(VALU_DEP_2) | instskip(NEXT) | instid1(VALU_DEP_2)
	v_add3_u32 v85, v85, v86, v87
	v_add3_u32 v32, v32, v33, v41
	v_pk_mul_f16 v86, v180, v19
	v_pk_mul_f16 v19, v122, v19
	s_delay_alu instid0(VALU_DEP_4) | instskip(NEXT) | instid1(VALU_DEP_4)
	v_add3_u32 v85, v85, v88, v92
	v_add3_u32 v32, v32, v43, v53
	s_delay_alu instid0(VALU_DEP_2) | instskip(NEXT) | instid1(VALU_DEP_2)
	v_add3_u32 v85, v85, v89, v90
	v_add3_u32 v32, v32, v46, v47
	s_delay_alu instid0(VALU_DEP_2) | instskip(NEXT) | instid1(VALU_DEP_2)
	;; [unrolled: 3-line block ×12, first 2 shown]
	v_add3_u32 v85, v85, v111, v113
	v_add3_u32 v32, v32, v52, v82
	ds_load_b128 v[49:52], v116 offset:5120
	ds_load_b128 v[105:108], v116 offset:5136
	v_add3_u32 v85, v85, v254, v255
	v_add3_u32 v32, v32, v83, v84
	s_delay_alu instid0(VALU_DEP_2) | instskip(NEXT) | instid1(VALU_DEP_2)
	v_cvt_f32_i32_e32 v85, v85
	v_cvt_f32_i32_e32 v32, v32
	s_delay_alu instid0(VALU_DEP_2) | instskip(NEXT) | instid1(VALU_DEP_2)
	v_fma_mix_f32 v85, v86, v85, v86 op_sel:[0,0,1] op_sel_hi:[1,0,1]
	v_fma_mix_f32 v19, v19, v32, v19 op_sel:[0,0,1] op_sel_hi:[1,0,1]
	s_delay_alu instid0(VALU_DEP_1)
	v_dual_add_f32 v37, v37, v85 :: v_dual_add_f32 v36, v36, v19
	s_waitcnt lgkmcnt(1)
	v_bfe_i32 v19, v49, 0, 8
	v_bfe_i32 v32, v49, 8, 8
	;; [unrolled: 1-line block ×3, first 2 shown]
	s_waitcnt lgkmcnt(0)
	v_bfe_i32 v43, v105, 0, 8
	v_ashrrev_i32_e32 v41, 24, v49
	v_mul_i32_i24_e32 v84, v19, v156
	v_bfe_i32 v49, v50, 0, 8
	v_mul_i32_i24_e32 v85, v32, v157
	v_mul_i32_i24_e32 v86, v33, v159
	v_bfe_i32 v45, v105, 8, 8
	v_mad_i32_i24 v84, v43, v153, v84
	v_bfe_i32 v46, v105, 16, 8
	v_mul_i32_i24_e32 v87, v41, v160
	v_mul_i32_i24_e32 v91, v49, v163
	v_ashrrev_i32_e32 v47, 24, v105
	v_add3_u32 v84, v84, v85, v86
	v_bfe_i32 v57, v106, 0, 8
	v_mul_i32_i24_e32 v88, v45, v161
	v_mul_i32_i24_e32 v89, v46, v155
	v_bfe_i32 v53, v50, 8, 8
	v_add3_u32 v84, v84, v87, v91
	v_bfe_i32 v55, v50, 16, 8
	v_mul_i32_i24_e32 v90, v47, v162
	v_mul_i32_i24_e32 v95, v57, v168
	v_ashrrev_i32_e32 v50, 24, v50
	v_add3_u32 v84, v84, v88, v89
	v_bfe_i32 v69, v51, 0, 8
	v_mul_i32_i24_e32 v92, v53, v164
	v_mul_i32_i24_e32 v93, v55, v165
	v_bfe_i32 v58, v106, 8, 8
	v_add3_u32 v84, v84, v90, v95
	;; [unrolled: 10-line block ×4, first 2 shown]
	v_bfe_i32 v75, v107, 16, 8
	v_ashrrev_i32_e32 v76, 24, v107
	v_mul_i32_i24_e32 v102, v51, v176
	v_mul_i32_i24_e32 v107, v77, v181
	v_add3_u32 v84, v84, v100, v101
	v_bfe_i32 v80, v108, 0, 8
	v_mul_i32_i24_e32 v104, v73, v178
	v_mul_i32_i24_e32 v105, v75, v166
	v_bfe_i32 v78, v52, 8, 8
	v_add3_u32 v84, v84, v102, v107
	v_bfe_i32 v79, v52, 16, 8
	v_mul_i32_i24_e32 v106, v76, v179
	v_mul_i32_i24_e32 v111, v80, v185
	v_ashrrev_i32_e32 v52, 24, v52
	v_add3_u32 v84, v84, v104, v105
	v_bfe_i32 v81, v108, 8, 8
	v_bfe_i32 v82, v108, 16, 8
	v_ashrrev_i32_e32 v83, 24, v108
	v_mul_i32_i24_e32 v108, v78, v182
	v_mul_i32_i24_e32 v109, v79, v183
	v_add3_u32 v84, v84, v106, v111
	v_mul_i32_i24_e32 v110, v52, v184
	v_mul_i32_i24_e32 v112, v81, v186
	v_mul_i32_i24_e32 v113, v82, v174
	v_mul_i32_i24_e32 v254, v83, v188
	v_add3_u32 v84, v84, v108, v109
	v_pk_mul_f16 v85, v152, v20
	v_mul_i32_i24_e32 v86, v33, v192
	v_mul_i32_i24_e32 v87, v41, v193
	;; [unrolled: 1-line block ×3, first 2 shown]
	v_add3_u32 v84, v84, v110, v112
	v_mul_i32_i24_e32 v88, v45, v194
	v_mul_i32_i24_e32 v89, v46, v187
	;; [unrolled: 1-line block ×4, first 2 shown]
	v_add3_u32 v84, v84, v113, v254
	v_mul_i32_i24_e32 v92, v53, v197
	v_mul_i32_i24_e32 v93, v55, v198
	;; [unrolled: 1-line block ×4, first 2 shown]
	v_cvt_f32_i32_e32 v84, v84
	v_mul_i32_i24_e32 v96, v58, v202
	v_mul_i32_i24_e32 v97, v62, v191
	;; [unrolled: 1-line block ×4, first 2 shown]
	v_fma_mix_f32 v84, v85, v84, v85 op_sel:[0,0,1] op_sel_hi:[1,0,1]
	v_mul_i32_i24_e32 v85, v32, v190
	v_mul_i32_i24_e32 v100, v70, v206
	;; [unrolled: 1-line block ×4, first 2 shown]
	v_add_f32_e32 v34, v34, v84
	v_mul_i32_i24_e32 v84, v19, v189
	v_mul_i32_i24_e32 v107, v77, v213
	;; [unrolled: 1-line block ×5, first 2 shown]
	v_mad_i32_i24 v84, v43, v170, v84
	v_mul_i32_i24_e32 v111, v80, v217
	v_mul_i32_i24_e32 v108, v78, v214
	;; [unrolled: 1-line block ×4, first 2 shown]
	v_add3_u32 v84, v84, v85, v86
	v_mul_i32_i24_e32 v112, v81, v218
	v_mul_i32_i24_e32 v113, v82, v207
	;; [unrolled: 1-line block ×3, first 2 shown]
	v_pk_mul_f16 v85, v154, v20
	v_add3_u32 v84, v84, v87, v91
	v_mul_i32_i24_e32 v86, v33, v224
	v_mul_i32_i24_e32 v33, v33, v253
	v_mul_i32_i24_e32 v87, v41, v225
	v_mul_i32_i24_e32 v91, v49, v228
	v_add3_u32 v84, v84, v88, v89
	v_mul_i32_i24_e32 v41, v41, v126
	v_mul_i32_i24_e32 v49, v49, v129
	v_mul_i32_i24_e32 v88, v45, v226
	v_mul_i32_i24_e32 v89, v46, v219
	;; [unrolled: 5-line block ×14, first 2 shown]
	v_cvt_f32_i32_e32 v84, v84
	v_mul_i32_i24_e32 v82, v82, v139
	v_mul_i32_i24_e32 v83, v83, v151
	s_delay_alu instid0(VALU_DEP_3) | instskip(SKIP_2) | instid1(VALU_DEP_3)
	v_fma_mix_f32 v84, v85, v84, v85 op_sel:[0,0,1] op_sel_hi:[1,0,1]
	v_mul_i32_i24_e32 v85, v32, v222
	v_mul_i32_i24_e32 v32, v32, v252
	v_add_f32_e32 v31, v31, v84
	v_mul_i32_i24_e32 v84, v19, v221
	v_mul_i32_i24_e32 v19, v19, v251
	s_delay_alu instid0(VALU_DEP_2) | instskip(NEXT) | instid1(VALU_DEP_2)
	v_mad_i32_i24 v84, v43, v204, v84
	v_mad_i32_i24 v19, v43, v123, v19
	s_delay_alu instid0(VALU_DEP_2) | instskip(NEXT) | instid1(VALU_DEP_2)
	v_add3_u32 v84, v84, v85, v86
	v_add3_u32 v19, v19, v32, v33
	v_pk_mul_f16 v85, v180, v20
	v_pk_mul_f16 v20, v122, v20
	s_delay_alu instid0(VALU_DEP_4) | instskip(NEXT) | instid1(VALU_DEP_4)
	v_add3_u32 v84, v84, v87, v91
	v_add3_u32 v19, v19, v41, v49
	s_delay_alu instid0(VALU_DEP_2) | instskip(NEXT) | instid1(VALU_DEP_2)
	v_add3_u32 v84, v84, v88, v89
	v_add3_u32 v19, v19, v45, v46
	s_delay_alu instid0(VALU_DEP_2) | instskip(NEXT) | instid1(VALU_DEP_2)
	;; [unrolled: 3-line block ×14, first 2 shown]
	v_cvt_f32_i32_e32 v84, v84
	v_cvt_f32_i32_e32 v19, v19
	s_delay_alu instid0(VALU_DEP_2) | instskip(NEXT) | instid1(VALU_DEP_2)
	v_fma_mix_f32 v84, v85, v84, v85 op_sel:[0,0,1] op_sel_hi:[1,0,1]
	v_fma_mix_f32 v19, v20, v19, v20 op_sel:[0,0,1] op_sel_hi:[1,0,1]
	s_delay_alu instid0(VALU_DEP_1)
	v_dual_add_f32 v30, v30, v84 :: v_dual_add_f32 v29, v29, v19
	ds_load_b128 v[49:52], v116 offset:6144
	ds_load_b128 v[105:108], v116 offset:6160
	ds_load_2addr_b32 v[19:20], v115 offset0:192 offset1:224
	v_add_nc_u32_e32 v115, 4, v115
	s_waitcnt lgkmcnt(2)
	v_bfe_i32 v32, v49, 0, 8
	v_bfe_i32 v33, v49, 8, 8
	;; [unrolled: 1-line block ×3, first 2 shown]
	s_waitcnt lgkmcnt(1)
	v_bfe_i32 v45, v105, 0, 8
	v_ashrrev_i32_e32 v43, 24, v49
	v_mul_i32_i24_e32 v85, v32, v156
	v_bfe_i32 v53, v50, 0, 8
	v_mul_i32_i24_e32 v86, v33, v157
	v_mul_i32_i24_e32 v87, v41, v159
	v_bfe_i32 v46, v105, 8, 8
	v_mad_i32_i24 v85, v45, v153, v85
	v_bfe_i32 v47, v105, 16, 8
	v_mul_i32_i24_e32 v88, v43, v160
	v_mul_i32_i24_e32 v92, v53, v163
	v_ashrrev_i32_e32 v49, 24, v105
	v_add3_u32 v85, v85, v86, v87
	v_bfe_i32 v58, v106, 0, 8
	v_mul_i32_i24_e32 v89, v46, v161
	v_mul_i32_i24_e32 v90, v47, v155
	v_bfe_i32 v55, v50, 8, 8
	v_add3_u32 v85, v85, v88, v92
	v_bfe_i32 v57, v50, 16, 8
	v_mul_i32_i24_e32 v91, v49, v162
	v_mul_i32_i24_e32 v96, v58, v168
	v_ashrrev_i32_e32 v50, 24, v50
	v_add3_u32 v85, v85, v89, v90
	v_bfe_i32 v70, v51, 0, 8
	v_mul_i32_i24_e32 v93, v55, v164
	v_mul_i32_i24_e32 v94, v57, v165
	v_bfe_i32 v62, v106, 8, 8
	v_add3_u32 v85, v85, v91, v96
	;; [unrolled: 10-line block ×4, first 2 shown]
	v_bfe_i32 v76, v107, 16, 8
	v_bfe_i32 v81, v108, 0, 8
	;; [unrolled: 1-line block ×4, first 2 shown]
	v_ashrrev_i32_e32 v84, 24, v108
	v_mul_i32_i24_e32 v103, v51, v176
	v_mul_i32_i24_e32 v108, v78, v181
	v_add3_u32 v85, v85, v101, v102
	v_ashrrev_i32_e32 v77, 24, v107
	v_mul_i32_i24_e32 v105, v75, v178
	v_mul_i32_i24_e32 v106, v76, v166
	v_bfe_i32 v79, v52, 8, 8
	v_add3_u32 v85, v85, v103, v108
	v_bfe_i32 v80, v52, 16, 8
	v_mul_i32_i24_e32 v107, v77, v179
	v_mul_i32_i24_e32 v112, v81, v185
	v_ashrrev_i32_e32 v52, 24, v52
	v_add3_u32 v85, v85, v105, v106
	v_mul_i32_i24_e32 v109, v79, v182
	v_mul_i32_i24_e32 v110, v80, v183
	;; [unrolled: 1-line block ×4, first 2 shown]
	v_add3_u32 v85, v85, v107, v112
	v_mul_i32_i24_e32 v254, v83, v174
	v_mul_i32_i24_e32 v255, v84, v188
	s_waitcnt lgkmcnt(0)
	v_pk_mul_f16 v86, v152, v19
	v_mul_i32_i24_e32 v87, v41, v192
	v_add3_u32 v85, v85, v109, v110
	v_mul_i32_i24_e32 v88, v43, v193
	v_mul_i32_i24_e32 v92, v53, v196
	v_mul_i32_i24_e32 v89, v46, v194
	v_mul_i32_i24_e32 v90, v47, v187
	v_add3_u32 v85, v85, v111, v113
	v_mul_i32_i24_e32 v91, v49, v195
	v_mul_i32_i24_e32 v96, v58, v201
	v_mul_i32_i24_e32 v93, v55, v197
	;; [unrolled: 5-line block ×3, first 2 shown]
	v_mul_i32_i24_e32 v98, v67, v191
	v_cvt_f32_i32_e32 v85, v85
	v_mul_i32_i24_e32 v99, v69, v203
	v_mul_i32_i24_e32 v104, v73, v210
	v_mul_i32_i24_e32 v101, v71, v206
	v_mul_i32_i24_e32 v102, v72, v208
	v_fma_mix_f32 v85, v86, v85, v86 op_sel:[0,0,1] op_sel_hi:[1,0,1]
	v_mul_i32_i24_e32 v86, v33, v190
	v_mul_i32_i24_e32 v103, v51, v209
	;; [unrolled: 1-line block ×4, first 2 shown]
	v_add_f32_e32 v28, v28, v85
	v_mul_i32_i24_e32 v85, v32, v189
	v_mul_i32_i24_e32 v106, v76, v200
	;; [unrolled: 1-line block ×5, first 2 shown]
	v_mad_i32_i24 v85, v45, v170, v85
	v_mul_i32_i24_e32 v110, v80, v215
	v_mul_i32_i24_e32 v111, v52, v216
	v_mul_i32_i24_e32 v113, v82, v218
	v_mul_i32_i24_e32 v254, v83, v207
	v_add3_u32 v85, v85, v86, v87
	v_mul_i32_i24_e32 v255, v84, v220
	v_pk_mul_f16 v86, v154, v19
	v_mul_i32_i24_e32 v87, v41, v224
	v_mul_i32_i24_e32 v41, v41, v253
	v_add3_u32 v85, v85, v88, v92
	v_mul_i32_i24_e32 v88, v43, v225
	v_mul_i32_i24_e32 v92, v53, v228
	v_mul_i32_i24_e32 v43, v43, v126
	v_mul_i32_i24_e32 v53, v53, v129
	v_add3_u32 v85, v85, v89, v90
	v_mul_i32_i24_e32 v89, v46, v226
	v_mul_i32_i24_e32 v90, v47, v219
	;; [unrolled: 5-line block ×14, first 2 shown]
	v_mul_i32_i24_e32 v83, v83, v139
	v_mul_i32_i24_e32 v84, v84, v151
	v_cvt_f32_i32_e32 v85, v85
	s_delay_alu instid0(VALU_DEP_1) | instskip(SKIP_2) | instid1(VALU_DEP_3)
	v_fma_mix_f32 v85, v86, v85, v86 op_sel:[0,0,1] op_sel_hi:[1,0,1]
	v_mul_i32_i24_e32 v86, v33, v222
	v_mul_i32_i24_e32 v33, v33, v252
	v_add_f32_e32 v27, v27, v85
	v_mul_i32_i24_e32 v85, v32, v221
	v_mul_i32_i24_e32 v32, v32, v251
	s_delay_alu instid0(VALU_DEP_2) | instskip(NEXT) | instid1(VALU_DEP_2)
	v_mad_i32_i24 v85, v45, v204, v85
	v_mad_i32_i24 v32, v45, v123, v32
	s_delay_alu instid0(VALU_DEP_2) | instskip(NEXT) | instid1(VALU_DEP_2)
	v_add3_u32 v85, v85, v86, v87
	v_add3_u32 v32, v32, v33, v41
	v_pk_mul_f16 v86, v180, v19
	v_pk_mul_f16 v19, v122, v19
	s_delay_alu instid0(VALU_DEP_4) | instskip(NEXT) | instid1(VALU_DEP_4)
	v_add3_u32 v85, v85, v88, v92
	v_add3_u32 v32, v32, v43, v53
	s_delay_alu instid0(VALU_DEP_2) | instskip(NEXT) | instid1(VALU_DEP_2)
	v_add3_u32 v85, v85, v89, v90
	v_add3_u32 v32, v32, v46, v47
	s_delay_alu instid0(VALU_DEP_2) | instskip(NEXT) | instid1(VALU_DEP_2)
	;; [unrolled: 3-line block ×11, first 2 shown]
	v_add3_u32 v85, v85, v109, v110
	v_add3_u32 v32, v32, v79, v80
	s_delay_alu instid0(VALU_DEP_2)
	v_add3_u32 v85, v85, v111, v113
	ds_load_b128 v[76:79], v116 offset:7168
	ds_load_b128 v[110:113], v116 offset:7184
	v_add3_u32 v32, v32, v52, v82
	v_add_nc_u32_e32 v116, 32, v116
	v_add3_u32 v85, v85, v254, v255
	s_delay_alu instid0(VALU_DEP_3) | instskip(NEXT) | instid1(VALU_DEP_2)
	v_add3_u32 v32, v32, v83, v84
	v_cvt_f32_i32_e32 v85, v85
	s_delay_alu instid0(VALU_DEP_2) | instskip(NEXT) | instid1(VALU_DEP_2)
	v_cvt_f32_i32_e32 v32, v32
	v_fma_mix_f32 v85, v86, v85, v86 op_sel:[0,0,1] op_sel_hi:[1,0,1]
	s_delay_alu instid0(VALU_DEP_2) | instskip(SKIP_3) | instid1(VALU_DEP_3)
	v_fma_mix_f32 v19, v19, v32, v19 op_sel:[0,0,1] op_sel_hi:[1,0,1]
	s_waitcnt lgkmcnt(1)
	v_bfe_i32 v41, v76, 0, 8
	v_bfe_i32 v70, v76, 8, 8
	v_add_f32_e32 v25, v25, v19
	v_bfe_i32 v75, v76, 16, 8
	v_ashrrev_i32_e32 v254, 24, v76
	s_waitcnt lgkmcnt(0)
	v_bfe_i32 v19, v110, 0, 8
	v_mul_i32_i24_e32 v76, v41, v156
	v_bfe_i32 v105, v77, 0, 8
	v_bfe_i32 v106, v77, 8, 8
	;; [unrolled: 1-line block ×3, first 2 shown]
	v_ashrrev_i32_e32 v108, 24, v77
	v_bfe_i32 v46, v78, 0, 8
	v_bfe_i32 v47, v78, 8, 8
	;; [unrolled: 1-line block ×3, first 2 shown]
	v_ashrrev_i32_e32 v50, 24, v78
	v_mul_i32_i24_e32 v77, v70, v157
	v_mul_i32_i24_e32 v78, v75, v159
	v_mad_i32_i24 v76, v19, v153, v76
	v_bfe_i32 v255, v110, 8, 8
	v_bfe_i32 v33, v110, 16, 8
	v_bfe_i32 v57, v79, 0, 8
	v_bfe_i32 v58, v79, 8, 8
	v_bfe_i32 v62, v79, 16, 8
	v_ashrrev_i32_e32 v67, 24, v79
	v_mul_i32_i24_e32 v79, v254, v160
	v_mul_i32_i24_e32 v83, v105, v163
	v_add3_u32 v76, v76, v77, v78
	v_ashrrev_i32_e32 v98, 24, v110
	v_bfe_i32 v109, v111, 0, 8
	v_mul_i32_i24_e32 v80, v255, v161
	v_mul_i32_i24_e32 v81, v33, v155
	v_add3_u32 v76, v76, v79, v83
	v_mul_i32_i24_e32 v82, v98, v162
	v_mul_i32_i24_e32 v87, v109, v168
	v_add_f32_e32 v26, v26, v85
	v_mul_i32_i24_e32 v84, v106, v164
	v_add3_u32 v76, v76, v80, v81
	v_mul_i32_i24_e32 v85, v107, v165
	v_bfe_i32 v32, v111, 8, 8
	v_bfe_i32 v43, v111, 16, 8
	v_mul_i32_i24_e32 v86, v108, v167
	v_add3_u32 v76, v76, v82, v87
	v_mul_i32_i24_e32 v91, v46, v172
	v_ashrrev_i32_e32 v45, 24, v111
	v_bfe_i32 v51, v112, 0, 8
	v_mul_i32_i24_e32 v88, v32, v169
	v_add3_u32 v76, v76, v84, v85
	v_mul_i32_i24_e32 v89, v43, v158
	v_mul_i32_i24_e32 v90, v45, v171
	;; [unrolled: 1-line block ×4, first 2 shown]
	v_add3_u32 v76, v76, v86, v91
	v_mul_i32_i24_e32 v93, v49, v175
	v_bfe_i32 v52, v112, 8, 8
	v_bfe_i32 v53, v112, 16, 8
	v_mul_i32_i24_e32 v94, v50, v176
	v_add3_u32 v76, v76, v88, v89
	v_mul_i32_i24_e32 v100, v57, v181
	v_ashrrev_i32_e32 v55, 24, v112
	v_bfe_i32 v69, v113, 0, 8
	v_mul_i32_i24_e32 v96, v52, v178
	v_add3_u32 v76, v76, v90, v95
	v_mul_i32_i24_e32 v97, v53, v166
	v_mul_i32_i24_e32 v99, v55, v179
	;; [unrolled: 1-line block ×3, first 2 shown]
	v_bfe_i32 v71, v113, 8, 8
	v_add3_u32 v76, v76, v92, v93
	v_mul_i32_i24_e32 v101, v58, v182
	v_mul_i32_i24_e32 v102, v62, v183
	v_bfe_i32 v72, v113, 16, 8
	v_ashrrev_i32_e32 v73, 24, v113
	v_add3_u32 v76, v76, v94, v100
	v_mul_i32_i24_e32 v103, v67, v184
	v_mul_i32_i24_e32 v110, v71, v186
	v_mul_i32_i24_e32 v111, v72, v174
	v_mul_i32_i24_e32 v112, v73, v188
	v_add3_u32 v76, v76, v96, v97
	v_pk_mul_f16 v77, v152, v20
	v_mul_i32_i24_e32 v78, v75, v192
	v_mul_i32_i24_e32 v79, v254, v193
	v_mul_i32_i24_e32 v83, v105, v196
	v_add3_u32 v76, v76, v99, v104
	v_mul_i32_i24_e32 v80, v255, v194
	v_mul_i32_i24_e32 v81, v33, v187
	v_mul_i32_i24_e32 v82, v98, v195
	v_mul_i32_i24_e32 v87, v109, v201
	v_add3_u32 v76, v76, v101, v102
	v_mul_i32_i24_e32 v84, v106, v197
	;; [unrolled: 5-line block ×4, first 2 shown]
	v_mul_i32_i24_e32 v93, v49, v208
	v_mul_i32_i24_e32 v94, v50, v209
	;; [unrolled: 1-line block ×3, first 2 shown]
	v_cvt_f32_i32_e32 v76, v76
	v_mul_i32_i24_e32 v96, v52, v211
	v_mul_i32_i24_e32 v97, v53, v200
	v_mul_i32_i24_e32 v99, v55, v212
	v_mul_i32_i24_e32 v104, v69, v217
	v_fma_mix_f32 v76, v77, v76, v77 op_sel:[0,0,1] op_sel_hi:[1,0,1]
	v_mul_i32_i24_e32 v77, v70, v190
	v_mul_i32_i24_e32 v101, v58, v214
	;; [unrolled: 1-line block ×4, first 2 shown]
	v_add_f32_e32 v24, v24, v76
	v_mul_i32_i24_e32 v76, v41, v189
	v_mul_i32_i24_e32 v110, v71, v218
	;; [unrolled: 1-line block ×5, first 2 shown]
	v_mad_i32_i24 v76, v19, v170, v76
	v_mul_i32_i24_e32 v153, v70, v252
	s_delay_alu instid0(VALU_DEP_2)
	v_add3_u32 v76, v76, v77, v78
	v_pk_mul_f16 v77, v154, v20
	v_mul_i32_i24_e32 v78, v75, v224
	v_mul_i32_i24_e32 v154, v75, v253
	;; [unrolled: 1-line block ×3, first 2 shown]
	v_add3_u32 v76, v76, v79, v83
	v_mul_i32_i24_e32 v79, v254, v225
	v_mul_i32_i24_e32 v83, v105, v228
	s_delay_alu instid0(VALU_DEP_3) | instskip(SKIP_3) | instid1(VALU_DEP_4)
	v_add3_u32 v76, v76, v80, v81
	v_mul_i32_i24_e32 v80, v255, v226
	v_mul_i32_i24_e32 v81, v33, v219
	;; [unrolled: 1-line block ×3, first 2 shown]
	v_add3_u32 v76, v76, v82, v87
	v_mul_i32_i24_e32 v82, v98, v227
	v_mul_i32_i24_e32 v87, v109, v233
	s_delay_alu instid0(VALU_DEP_3) | instskip(SKIP_2) | instid1(VALU_DEP_3)
	v_add3_u32 v76, v76, v84, v85
	v_mul_i32_i24_e32 v84, v106, v229
	v_mul_i32_i24_e32 v85, v107, v230
	v_add3_u32 v76, v76, v86, v91
	v_mul_i32_i24_e32 v86, v108, v231
	v_mul_i32_i24_e32 v91, v46, v236
	;; [unrolled: 1-line block ×3, first 2 shown]
	s_delay_alu instid0(VALU_DEP_4)
	v_add3_u32 v76, v76, v88, v89
	v_mul_i32_i24_e32 v88, v32, v234
	v_mul_i32_i24_e32 v89, v43, v223
	v_mul_i32_i24_e32 v32, v32, v135
	v_mul_i32_i24_e32 v43, v43, v125
	v_add3_u32 v76, v76, v90, v95
	v_mul_i32_i24_e32 v90, v45, v235
	v_mul_i32_i24_e32 v95, v51, v241
	v_mul_i32_i24_e32 v45, v45, v136
	v_mul_i32_i24_e32 v51, v51, v142
	;; [unrolled: 5-line block ×9, first 2 shown]
	v_cvt_f32_i32_e32 v76, v76
	s_delay_alu instid0(VALU_DEP_1) | instskip(SKIP_2) | instid1(VALU_DEP_3)
	v_fma_mix_f32 v76, v77, v76, v77 op_sel:[0,0,1] op_sel_hi:[1,0,1]
	v_mul_i32_i24_e32 v77, v70, v222
	v_mul_i32_i24_e32 v70, v255, v127
	v_add_f32_e32 v23, v23, v76
	v_mul_i32_i24_e32 v76, v41, v221
	v_mul_i32_i24_e32 v41, v254, v126
	s_delay_alu instid0(VALU_DEP_2) | instskip(SKIP_1) | instid1(VALU_DEP_2)
	v_mad_i32_i24 v76, v19, v204, v76
	v_mad_i32_i24 v19, v19, v123, v152
	v_add3_u32 v76, v76, v77, v78
	v_pk_mul_f16 v77, v180, v20
	s_delay_alu instid0(VALU_DEP_3) | instskip(SKIP_4) | instid1(VALU_DEP_2)
	v_add3_u32 v19, v19, v153, v154
	v_mul_i32_i24_e32 v78, v107, v131
	v_pk_mul_f16 v20, v122, v20
	v_add3_u32 v76, v76, v79, v83
	v_mul_i32_i24_e32 v79, v108, v132
	v_add3_u32 v76, v76, v80, v81
	v_mul_i32_i24_e32 v80, v109, v134
	s_delay_alu instid0(VALU_DEP_2) | instskip(NEXT) | instid1(VALU_DEP_1)
	v_add3_u32 v76, v76, v82, v87
	v_add3_u32 v76, v76, v84, v85
	s_delay_alu instid0(VALU_DEP_1) | instskip(NEXT) | instid1(VALU_DEP_1)
	v_add3_u32 v76, v76, v86, v91
	v_add3_u32 v76, v76, v88, v89
	s_delay_alu instid0(VALU_DEP_1) | instskip(NEXT) | instid1(VALU_DEP_1)
	;; [unrolled: 3-line block ×6, first 2 shown]
	v_cvt_f32_i32_e32 v76, v76
	v_fma_mix_f32 v76, v77, v76, v77 op_sel:[0,0,1] op_sel_hi:[1,0,1]
	v_mul_i32_i24_e32 v77, v106, v130
	s_delay_alu instid0(VALU_DEP_2) | instskip(SKIP_1) | instid1(VALU_DEP_1)
	v_add_f32_e32 v22, v22, v76
	v_mul_i32_i24_e32 v76, v105, v129
	v_add3_u32 v19, v19, v41, v76
	s_delay_alu instid0(VALU_DEP_1) | instskip(NEXT) | instid1(VALU_DEP_1)
	v_add3_u32 v19, v19, v70, v33
	v_add3_u32 v19, v19, v75, v80
	s_delay_alu instid0(VALU_DEP_1) | instskip(NEXT) | instid1(VALU_DEP_1)
	v_add3_u32 v19, v19, v77, v78
	;; [unrolled: 3-line block ×7, first 2 shown]
	v_cvt_f32_i32_e32 v19, v19
	s_delay_alu instid0(VALU_DEP_1) | instskip(NEXT) | instid1(VALU_DEP_1)
	v_fma_mix_f32 v19, v20, v19, v20 op_sel:[0,0,1] op_sel_hi:[1,0,1]
	v_add_f32_e32 v21, v21, v19
	s_cbranch_scc1 .LBB120_7
; %bb.8:                                ;   in Loop: Header=BB120_6 Depth=1
	s_or_b32 s7, s5, 4
	s_delay_alu instid0(SALU_CYCLE_1)
	s_cmp_ge_i32 s7, s4
	s_barrier
	buffer_gl0_inv
	s_cbranch_scc1 .LBB120_5
; %bb.9:                                ;   in Loop: Header=BB120_6 Depth=1
	scratch_load_b32 v19, off, off offset:208 ; 4-byte Folded Reload
	s_mov_b32 s7, 12
	s_waitcnt vmcnt(0)
	v_add_nc_u32_e32 v41, s5, v19
	scratch_load_b32 v19, off, off offset:4 ; 4-byte Folded Reload
	s_waitcnt vmcnt(0)
	v_add_nc_u32_e32 v32, v41, v19
	scratch_load_b32 v19, off, off offset:12 ; 4-byte Folded Reload
	;; [unrolled: 3-line block ×4, first 2 shown]
	v_mad_i64_i32 v[45:46], null, v47, 36, v[16:17]
	scratch_load_b32 v47, off, off offset:44 ; 4-byte Folded Reload
	s_waitcnt vmcnt(1)
	v_add_nc_u32_e32 v51, v41, v19
	v_mad_i64_i32 v[19:20], null, v32, 36, v[16:17]
	v_mad_i64_i32 v[32:33], null, v43, 36, v[16:17]
	scratch_load_b32 v43, off, off offset:36 ; 4-byte Folded Reload
	s_waitcnt vmcnt(1)
	v_add_nc_u32_e32 v47, v41, v47
	v_mad_i64_i32 v[49:50], null, v51, 36, v[16:17]
	s_delay_alu instid0(VALU_DEP_2) | instskip(SKIP_3) | instid1(VALU_DEP_1)
	v_mad_i64_i32 v[57:58], null, v47, 36, v[16:17]
	scratch_load_b32 v47, off, off offset:60 ; 4-byte Folded Reload
	s_waitcnt vmcnt(1)
	v_add_nc_u32_e32 v43, v41, v43
	v_mad_i64_i32 v[51:52], null, v43, 36, v[16:17]
	scratch_load_b32 v43, off, off offset:52 ; 4-byte Folded Reload
	s_waitcnt vmcnt(0)
	v_add_nc_u32_e32 v43, v41, v43
	v_add_nc_u32_e32 v41, v41, v47
	;; [unrolled: 1-line block ×3, first 2 shown]
	s_delay_alu instid0(VALU_DEP_3) | instskip(NEXT) | instid1(VALU_DEP_3)
	v_mad_i64_i32 v[71:72], null, v43, 36, v[16:17]
	v_mad_i64_i32 v[76:77], null, v41, 36, v[16:17]
	s_delay_alu instid0(VALU_DEP_3)
	v_mad_u64_u32 v[78:79], null, v47, 36, s[2:3]
	s_clause 0x8
	global_load_b32 v19, v[19:20], off offset:4
	global_load_b32 v20, v[32:33], off offset:4
	;; [unrolled: 1-line block ×8, first 2 shown]
	global_load_b32 v47, v[78:79], off
	s_clause 0x7
	scratch_load_b32 v114, off, off offset:72
	scratch_load_b32 v115, off, off offset:68
	;; [unrolled: 1-line block ×8, first 2 shown]
	s_waitcnt vmcnt(0)
	ds_store_b32 v49, v19
	scratch_load_b32 v19, off, off offset:16 ; 4-byte Folded Reload
	s_waitcnt vmcnt(0)
	ds_store_b32 v19, v20
	scratch_load_b32 v19, off, off offset:24 ; 4-byte Folded Reload
	;; [unrolled: 3-line block ×7, first 2 shown]
	s_waitcnt vmcnt(0)
	ds_store_b32 v19, v46
	scratch_load_b32 v19, off, off          ; 4-byte Folded Reload
	s_waitcnt vmcnt(0)
	ds_store_b32 v19, v47
	s_waitcnt lgkmcnt(0)
	s_barrier
	buffer_gl0_inv
.LBB120_10:                             ;   Parent Loop BB120_6 Depth=1
                                        ; =>  This Inner Loop Header: Depth=2
	ds_load_b128 v[49:52], v115
	ds_load_b128 v[76:79], v115 offset:16
	ds_load_2addr_b32 v[19:20], v114 offset1:32
	ds_load_b32 v151, v116
	ds_load_2addr_b32 v[32:33], v119 offset1:1
	v_add_nc_u32_e32 v116, 4, v116
	s_add_i32 s7, s7, 4
	s_delay_alu instid0(SALU_CYCLE_1)
	s_cmp_lt_u32 s7, 28
	s_waitcnt lgkmcnt(4)
	v_bfe_i32 v41, v49, 0, 8
	s_waitcnt lgkmcnt(3)
	v_bfe_i32 v47, v76, 0, 8
	v_bfe_i32 v57, v50, 0, 8
	s_waitcnt lgkmcnt(0)
	v_bfe_u32 v154, v32, 20, 4
	v_and_b32_e32 v155, 15, v32
	v_bfe_u32 v156, v32, 8, 4
	v_bfe_u32 v158, v32, 16, 4
	;; [unrolled: 1-line block ×5, first 2 shown]
	v_lshrrev_b32_e32 v161, 28, v32
	v_bfe_u32 v157, v33, 20, 4
	v_and_b32_e32 v162, 15, v33
	v_bfe_u32 v163, v33, 8, 4
	v_bfe_u32 v164, v33, 16, 4
	;; [unrolled: 1-line block ×5, first 2 shown]
	v_lshrrev_b32_e32 v170, 28, v33
	ds_load_2addr_b32 v[32:33], v119 offset0:2 offset1:3
	v_bfe_i32 v67, v77, 0, 8
	v_mul_i32_i24_e32 v87, v155, v41
	v_bfe_i32 v43, v49, 8, 8
	v_bfe_i32 v72, v51, 0, 8
	v_mul_i32_i24_e32 v94, v162, v57
	v_mul_i32_i24_e32 v98, v167, v67
	v_mad_i32_i24 v87, v152, v47, v87
	v_bfe_i32 v45, v49, 16, 8
	v_ashrrev_i32_e32 v46, 24, v49
	v_mul_i32_i24_e32 v88, v156, v43
	v_bfe_i32 v49, v76, 8, 8
	v_add3_u32 v87, v87, v94, v98
	v_bfe_i32 v53, v76, 16, 8
	v_ashrrev_i32_e32 v55, 24, v76
	v_bfe_i32 v76, v78, 0, 8
	v_bfe_i32 v81, v52, 0, 8
	v_mul_i32_i24_e32 v89, v158, v45
	v_mul_i32_i24_e32 v90, v159, v46
	v_bfe_i32 v58, v50, 8, 8
	s_waitcnt lgkmcnt(0)
	v_and_b32_e32 v171, 15, v32
	v_bfe_u32 v176, v32, 4, 4
	v_and_b32_e32 v180, 15, v33
	v_mul_i32_i24_e32 v91, v160, v49
	v_mul_i32_i24_e32 v92, v154, v53
	;; [unrolled: 1-line block ×5, first 2 shown]
	v_bfe_i32 v62, v50, 16, 8
	v_ashrrev_i32_e32 v50, 24, v50
	v_add3_u32 v87, v87, v102, v88
	v_mul_i32_i24_e32 v93, v161, v55
	v_mul_i32_i24_e32 v95, v163, v58
	v_bfe_i32 v69, v77, 8, 8
	v_bfe_i32 v84, v79, 0, 8
	v_add3_u32 v87, v87, v89, v90
	v_mul_i32_i24_e32 v96, v164, v62
	v_mul_i32_i24_e32 v97, v166, v50
	v_bfe_u32 v184, v33, 4, 4
	v_bfe_i32 v70, v77, 16, 8
	v_add3_u32 v87, v87, v106, v109
	v_ashrrev_i32_e32 v71, 24, v77
	v_mul_i32_i24_e32 v99, v168, v69
	v_mul_i32_i24_e32 v113, v184, v84
	v_bfe_i32 v73, v51, 8, 8
	v_add3_u32 v87, v87, v91, v92
	v_bfe_i32 v75, v51, 16, 8
	v_mul_i32_i24_e32 v100, v157, v70
	v_mul_i32_i24_e32 v101, v170, v71
	v_bfe_u32 v172, v32, 8, 4
	v_add3_u32 v87, v87, v93, v95
	v_bfe_u32 v174, v32, 16, 4
	v_ashrrev_i32_e32 v51, 24, v51
	v_bfe_i32 v77, v78, 8, 8
	v_mul_i32_i24_e32 v103, v172, v73
	v_add3_u32 v87, v87, v96, v97
	v_mul_i32_i24_e32 v104, v174, v75
	v_bfe_u32 v175, v32, 24, 4
	v_bfe_u32 v177, v32, 12, 4
	v_bfe_i32 v80, v78, 16, 8
	v_add3_u32 v87, v87, v113, v99
	v_ashrrev_i32_e32 v78, 24, v78
	v_bfe_u32 v165, v32, 20, 4
	v_mul_i32_i24_e32 v105, v175, v51
	v_mul_i32_i24_e32 v107, v177, v77
	v_add3_u32 v87, v87, v100, v101
	v_lshrrev_b32_e32 v178, 28, v32
	v_bfe_i32 v82, v52, 8, 8
	v_bfe_i32 v83, v52, 16, 8
	v_mul_i32_i24_e32 v108, v165, v80
	v_add3_u32 v87, v87, v103, v104
	v_mul_i32_i24_e32 v32, v178, v78
	v_bfe_u32 v181, v33, 8, 4
	v_bfe_u32 v182, v33, 16, 4
	v_ashrrev_i32_e32 v52, 24, v52
	v_add3_u32 v87, v87, v105, v107
	v_bfe_i32 v85, v79, 8, 8
	v_mul_i32_i24_e32 v110, v181, v82
	v_mul_i32_i24_e32 v111, v182, v83
	v_bfe_u32 v183, v33, 24, 4
	v_bfe_u32 v185, v33, 12, 4
	v_add3_u32 v32, v87, v108, v32
	v_bfe_i32 v86, v79, 16, 8
	v_ashrrev_i32_e32 v79, 24, v79
	v_bfe_u32 v173, v33, 20, 4
	v_mul_i32_i24_e32 v112, v183, v52
	v_mul_i32_i24_e32 v121, v185, v85
	v_lshrrev_b32_e32 v187, 28, v33
	v_add3_u32 v32, v32, v110, v111
	v_mul_i32_i24_e32 v122, v173, v86
	s_delay_alu instid0(VALU_DEP_3) | instskip(NEXT) | instid1(VALU_DEP_3)
	v_mul_i32_i24_e32 v33, v187, v79
	v_add3_u32 v32, v32, v112, v121
	s_delay_alu instid0(VALU_DEP_1) | instskip(SKIP_1) | instid1(VALU_DEP_2)
	v_add3_u32 v32, v32, v122, v33
	v_pk_mul_f16 v33, v19, v151
	v_cvt_f32_i32_e32 v32, v32
	s_delay_alu instid0(VALU_DEP_1) | instskip(NEXT) | instid1(VALU_DEP_1)
	v_fma_mix_f32 v32, v33, v32, v33 op_sel:[0,0,1] op_sel_hi:[1,0,1]
	v_dual_add_f32 v35, v35, v32 :: v_dual_add_nc_u32 v32, 0x1080, v119
	ds_load_b32 v153, v117
	ds_load_2addr_b32 v[32:33], v32 offset1:1
	v_add_nc_u32_e32 v117, 4, v117
	s_waitcnt lgkmcnt(0)
	v_bfe_u32 v186, v32, 20, 4
	v_and_b32_e32 v188, 15, v32
	v_bfe_u32 v189, v32, 8, 4
	v_bfe_u32 v191, v32, 16, 4
	;; [unrolled: 1-line block ×5, first 2 shown]
	v_lshrrev_b32_e32 v194, 28, v32
	v_add_nc_u32_e32 v32, 0x1088, v119
	v_bfe_u32 v190, v33, 20, 4
	v_and_b32_e32 v195, 15, v33
	v_bfe_u32 v196, v33, 8, 4
	v_bfe_u32 v197, v33, 16, 4
	v_bfe_u32 v198, v33, 24, 4
	v_bfe_u32 v200, v33, 4, 4
	v_bfe_u32 v201, v33, 12, 4
	v_lshrrev_b32_e32 v202, 28, v33
	ds_load_2addr_b32 v[32:33], v32 offset1:1
	v_mul_i32_i24_e32 v87, v188, v41
	v_mul_i32_i24_e32 v94, v195, v57
	;; [unrolled: 1-line block ×5, first 2 shown]
	v_mad_i32_i24 v87, v169, v47, v87
	v_mul_i32_i24_e32 v90, v192, v46
	v_mul_i32_i24_e32 v91, v193, v49
	v_mul_i32_i24_e32 v92, v186, v53
	v_mul_i32_i24_e32 v93, v194, v55
	v_add3_u32 v87, v87, v94, v98
	v_mul_i32_i24_e32 v95, v196, v58
	v_mul_i32_i24_e32 v96, v197, v62
	;; [unrolled: 1-line block ×6, first 2 shown]
	s_waitcnt lgkmcnt(0)
	v_and_b32_e32 v204, 15, v32
	v_bfe_u32 v209, v32, 4, 4
	v_and_b32_e32 v212, 15, v33
	v_bfe_u32 v216, v33, 4, 4
	v_bfe_u32 v205, v32, 8, 4
	v_mul_i32_i24_e32 v102, v204, v72
	v_mul_i32_i24_e32 v106, v209, v76
	;; [unrolled: 1-line block ×4, first 2 shown]
	v_bfe_u32 v207, v32, 16, 4
	v_add3_u32 v87, v87, v102, v88
	v_mul_i32_i24_e32 v103, v205, v73
	v_bfe_u32 v208, v32, 24, 4
	v_bfe_u32 v210, v32, 12, 4
	v_mul_i32_i24_e32 v104, v207, v75
	v_add3_u32 v87, v87, v89, v90
	v_bfe_u32 v199, v32, 20, 4
	v_mul_i32_i24_e32 v105, v208, v51
	v_mul_i32_i24_e32 v107, v210, v77
	v_lshrrev_b32_e32 v211, 28, v32
	v_add3_u32 v87, v87, v106, v109
	v_mul_i32_i24_e32 v108, v199, v80
	v_bfe_u32 v213, v33, 8, 4
	v_bfe_u32 v214, v33, 16, 4
	v_mul_i32_i24_e32 v32, v211, v78
	v_add3_u32 v87, v87, v91, v92
	v_bfe_u32 v215, v33, 24, 4
	v_mul_i32_i24_e32 v110, v213, v82
	v_mul_i32_i24_e32 v111, v214, v83
	v_bfe_u32 v217, v33, 12, 4
	v_add3_u32 v87, v87, v93, v95
	v_bfe_u32 v206, v33, 20, 4
	v_mul_i32_i24_e32 v112, v215, v52
	v_lshrrev_b32_e32 v219, 28, v33
	v_mul_i32_i24_e32 v121, v217, v85
	v_add3_u32 v87, v87, v96, v97
	v_mul_i32_i24_e32 v122, v206, v86
	s_delay_alu instid0(VALU_DEP_4) | instskip(NEXT) | instid1(VALU_DEP_3)
	v_mul_i32_i24_e32 v33, v219, v79
	v_add3_u32 v87, v87, v113, v99
	s_delay_alu instid0(VALU_DEP_1) | instskip(NEXT) | instid1(VALU_DEP_1)
	v_add3_u32 v87, v87, v100, v101
	v_add3_u32 v87, v87, v103, v104
	s_delay_alu instid0(VALU_DEP_1) | instskip(NEXT) | instid1(VALU_DEP_1)
	v_add3_u32 v87, v87, v105, v107
	;; [unrolled: 3-line block ×3, first 2 shown]
	v_add3_u32 v32, v32, v112, v121
	s_delay_alu instid0(VALU_DEP_1) | instskip(SKIP_1) | instid1(VALU_DEP_2)
	v_add3_u32 v32, v32, v122, v33
	v_pk_mul_f16 v33, v19, v153
	v_cvt_f32_i32_e32 v32, v32
	s_delay_alu instid0(VALU_DEP_1) | instskip(NEXT) | instid1(VALU_DEP_1)
	v_fma_mix_f32 v32, v33, v32, v33 op_sel:[0,0,1] op_sel_hi:[1,0,1]
	v_add_f32_e32 v74, v74, v32
	v_add_nc_u32_e32 v32, 0x2100, v119
	ds_load_b32 v179, v118
	ds_load_2addr_b32 v[32:33], v32 offset1:1
	v_add_nc_u32_e32 v118, 4, v118
	s_waitcnt lgkmcnt(0)
	v_bfe_u32 v218, v32, 20, 4
	v_and_b32_e32 v220, 15, v32
	v_bfe_u32 v221, v32, 8, 4
	v_bfe_u32 v223, v32, 16, 4
	;; [unrolled: 1-line block ×5, first 2 shown]
	v_lshrrev_b32_e32 v226, 28, v32
	v_add_nc_u32_e32 v32, 0x2108, v119
	v_bfe_u32 v222, v33, 20, 4
	v_and_b32_e32 v227, 15, v33
	v_bfe_u32 v228, v33, 8, 4
	v_bfe_u32 v229, v33, 16, 4
	;; [unrolled: 1-line block ×5, first 2 shown]
	v_lshrrev_b32_e32 v234, 28, v33
	ds_load_2addr_b32 v[32:33], v32 offset1:1
	v_mul_i32_i24_e32 v87, v220, v41
	v_mul_i32_i24_e32 v94, v227, v57
	v_mul_i32_i24_e32 v98, v232, v67
	v_mul_i32_i24_e32 v88, v221, v43
	v_mul_i32_i24_e32 v89, v223, v45
	v_mad_i32_i24 v87, v203, v47, v87
	v_mul_i32_i24_e32 v90, v224, v46
	v_mul_i32_i24_e32 v91, v225, v49
	;; [unrolled: 1-line block ×4, first 2 shown]
	v_add3_u32 v87, v87, v94, v98
	v_mul_i32_i24_e32 v95, v228, v58
	v_mul_i32_i24_e32 v96, v229, v62
	v_mul_i32_i24_e32 v97, v230, v50
	v_mul_i32_i24_e32 v99, v233, v69
	v_mul_i32_i24_e32 v100, v222, v70
	v_mul_i32_i24_e32 v101, v234, v71
	s_waitcnt lgkmcnt(0)
	v_and_b32_e32 v235, 15, v32
	v_bfe_u32 v240, v32, 4, 4
	v_and_b32_e32 v243, 15, v33
	v_bfe_u32 v247, v33, 4, 4
	v_bfe_u32 v236, v32, 8, 4
	v_mul_i32_i24_e32 v102, v235, v72
	v_mul_i32_i24_e32 v106, v240, v76
	;; [unrolled: 1-line block ×4, first 2 shown]
	v_bfe_u32 v238, v32, 16, 4
	v_add3_u32 v87, v87, v102, v88
	v_mul_i32_i24_e32 v103, v236, v73
	v_bfe_u32 v239, v32, 24, 4
	v_bfe_u32 v241, v32, 12, 4
	v_mul_i32_i24_e32 v104, v238, v75
	v_add3_u32 v87, v87, v89, v90
	v_bfe_u32 v231, v32, 20, 4
	v_mul_i32_i24_e32 v105, v239, v51
	v_mul_i32_i24_e32 v107, v241, v77
	v_lshrrev_b32_e32 v242, 28, v32
	v_add3_u32 v87, v87, v106, v109
	v_mul_i32_i24_e32 v108, v231, v80
	v_bfe_u32 v244, v33, 8, 4
	v_bfe_u32 v245, v33, 16, 4
	v_mul_i32_i24_e32 v32, v242, v78
	v_add3_u32 v87, v87, v91, v92
	v_bfe_u32 v246, v33, 24, 4
	v_mul_i32_i24_e32 v110, v244, v82
	v_mul_i32_i24_e32 v111, v245, v83
	v_bfe_u32 v248, v33, 12, 4
	v_add3_u32 v87, v87, v93, v95
	v_bfe_u32 v237, v33, 20, 4
	v_mul_i32_i24_e32 v112, v246, v52
	v_lshrrev_b32_e32 v249, 28, v33
	v_mul_i32_i24_e32 v121, v248, v85
	v_add3_u32 v87, v87, v96, v97
	v_mul_i32_i24_e32 v122, v237, v86
	s_delay_alu instid0(VALU_DEP_4) | instskip(NEXT) | instid1(VALU_DEP_3)
	v_mul_i32_i24_e32 v33, v249, v79
	v_add3_u32 v87, v87, v113, v99
	s_delay_alu instid0(VALU_DEP_1) | instskip(NEXT) | instid1(VALU_DEP_1)
	v_add3_u32 v87, v87, v100, v101
	v_add3_u32 v87, v87, v103, v104
	s_delay_alu instid0(VALU_DEP_1) | instskip(NEXT) | instid1(VALU_DEP_1)
	v_add3_u32 v87, v87, v105, v107
	;; [unrolled: 3-line block ×3, first 2 shown]
	v_add3_u32 v32, v32, v112, v121
	s_delay_alu instid0(VALU_DEP_1) | instskip(SKIP_1) | instid1(VALU_DEP_2)
	v_add3_u32 v32, v32, v122, v33
	v_pk_mul_f16 v33, v19, v179
	v_cvt_f32_i32_e32 v32, v32
	s_delay_alu instid0(VALU_DEP_1) | instskip(NEXT) | instid1(VALU_DEP_1)
	v_fma_mix_f32 v32, v33, v32, v33 op_sel:[0,0,1] op_sel_hi:[1,0,1]
	v_add_f32_e32 v68, v68, v32
	v_add_nc_u32_e32 v32, 0x3180, v119
	ds_load_b32 v121, v120
	ds_load_2addr_b32 v[32:33], v32 offset1:1
	v_add_nc_u32_e32 v120, 4, v120
	s_waitcnt lgkmcnt(1)
	v_pk_mul_f16 v19, v19, v121
	s_waitcnt lgkmcnt(0)
	v_bfe_u32 v123, v32, 20, 4
	v_and_b32_e32 v250, 15, v32
	v_bfe_u32 v251, v32, 8, 4
	v_bfe_u32 v252, v32, 16, 4
	;; [unrolled: 1-line block ×5, first 2 shown]
	v_lshrrev_b32_e32 v127, 28, v32
	v_add_nc_u32_e32 v32, 0x3188, v119
	v_bfe_u32 v124, v33, 20, 4
	v_and_b32_e32 v128, 15, v33
	v_bfe_u32 v129, v33, 8, 4
	v_bfe_u32 v130, v33, 16, 4
	;; [unrolled: 1-line block ×5, first 2 shown]
	v_lshrrev_b32_e32 v135, 28, v33
	ds_load_2addr_b32 v[32:33], v32 offset1:1
	v_mul_i32_i24_e32 v41, v250, v41
	v_mul_i32_i24_e32 v57, v128, v57
	;; [unrolled: 1-line block ×5, first 2 shown]
	v_mad_i32_i24 v41, v122, v47, v41
	v_mul_i32_i24_e32 v46, v125, v46
	v_mul_i32_i24_e32 v49, v126, v49
	;; [unrolled: 1-line block ×4, first 2 shown]
	v_add3_u32 v41, v41, v57, v67
	v_mul_i32_i24_e32 v58, v129, v58
	v_mul_i32_i24_e32 v62, v130, v62
	;; [unrolled: 1-line block ×6, first 2 shown]
	v_add_nc_u32_e32 v119, 16, v119
	s_waitcnt lgkmcnt(0)
	v_and_b32_e32 v136, 15, v32
	v_bfe_u32 v141, v32, 4, 4
	v_lshrrev_b32_e32 v143, 28, v32
	v_and_b32_e32 v144, 15, v33
	v_bfe_u32 v132, v32, 20, 4
	v_mul_i32_i24_e32 v72, v136, v72
	v_bfe_u32 v137, v32, 8, 4
	v_bfe_u32 v139, v32, 16, 4
	;; [unrolled: 1-line block ×3, first 2 shown]
	v_mul_i32_i24_e32 v76, v141, v76
	v_add3_u32 v41, v41, v72, v43
	v_bfe_u32 v142, v32, 12, 4
	v_mul_i32_i24_e32 v32, v143, v78
	v_mul_i32_i24_e32 v78, v144, v81
	v_bfe_u32 v145, v33, 8, 4
	v_add3_u32 v41, v41, v45, v46
	v_bfe_u32 v146, v33, 16, 4
	v_bfe_u32 v148, v33, 4, 4
	v_mul_i32_i24_e32 v73, v137, v73
	v_mul_i32_i24_e32 v81, v145, v82
	v_add3_u32 v41, v41, v76, v78
	v_mul_i32_i24_e32 v82, v146, v83
	v_mul_i32_i24_e32 v83, v148, v84
	;; [unrolled: 1-line block ×4, first 2 shown]
	v_add3_u32 v41, v41, v49, v53
	v_mul_i32_i24_e32 v77, v142, v77
	v_mul_i32_i24_e32 v80, v132, v80
	v_bfe_u32 v147, v33, 24, 4
	v_bfe_u32 v149, v33, 12, 4
	v_add3_u32 v41, v41, v55, v58
	v_bfe_u32 v138, v33, 20, 4
	v_lshrrev_b32_e32 v150, 28, v33
	v_mul_i32_i24_e32 v52, v147, v52
	v_mul_i32_i24_e32 v84, v149, v85
	v_add3_u32 v41, v41, v62, v50
	v_mul_i32_i24_e32 v85, v138, v86
	v_mul_i32_i24_e32 v33, v150, v79
	s_delay_alu instid0(VALU_DEP_3) | instskip(NEXT) | instid1(VALU_DEP_1)
	v_add3_u32 v41, v41, v83, v69
	v_add3_u32 v41, v41, v70, v71
	s_delay_alu instid0(VALU_DEP_1) | instskip(NEXT) | instid1(VALU_DEP_1)
	v_add3_u32 v41, v41, v73, v75
	v_add3_u32 v41, v41, v51, v77
	s_delay_alu instid0(VALU_DEP_1) | instskip(NEXT) | instid1(VALU_DEP_1)
	v_add3_u32 v32, v41, v80, v32
	v_add3_u32 v32, v32, v81, v82
	s_delay_alu instid0(VALU_DEP_1) | instskip(SKIP_3) | instid1(VALU_DEP_1)
	v_add3_u32 v32, v32, v52, v84
	ds_load_b128 v[49:52], v115 offset:1024
	ds_load_b128 v[76:79], v115 offset:1040
	v_add3_u32 v32, v32, v85, v33
	v_cvt_f32_i32_e32 v32, v32
	s_delay_alu instid0(VALU_DEP_1) | instskip(NEXT) | instid1(VALU_DEP_1)
	v_fma_mix_f32 v19, v19, v32, v19 op_sel:[0,0,1] op_sel_hi:[1,0,1]
	v_add_f32_e32 v66, v66, v19
	s_waitcnt lgkmcnt(1)
	v_bfe_i32 v19, v49, 0, 8
	v_bfe_i32 v32, v49, 8, 8
	;; [unrolled: 1-line block ×3, first 2 shown]
	s_waitcnt lgkmcnt(0)
	v_bfe_i32 v43, v76, 0, 8
	v_ashrrev_i32_e32 v41, 24, v49
	v_mul_i32_i24_e32 v84, v19, v155
	v_bfe_i32 v49, v50, 0, 8
	v_mul_i32_i24_e32 v85, v32, v156
	v_mul_i32_i24_e32 v86, v33, v158
	v_bfe_i32 v45, v76, 8, 8
	v_mad_i32_i24 v84, v43, v152, v84
	v_bfe_i32 v46, v76, 16, 8
	v_mul_i32_i24_e32 v87, v41, v159
	v_mul_i32_i24_e32 v91, v49, v162
	v_ashrrev_i32_e32 v47, 24, v76
	v_add3_u32 v84, v84, v85, v86
	v_bfe_i32 v57, v77, 0, 8
	v_mul_i32_i24_e32 v88, v45, v160
	v_mul_i32_i24_e32 v89, v46, v154
	v_bfe_i32 v53, v50, 8, 8
	v_add3_u32 v84, v84, v87, v91
	v_bfe_i32 v55, v50, 16, 8
	v_mul_i32_i24_e32 v90, v47, v161
	v_mul_i32_i24_e32 v95, v57, v167
	v_ashrrev_i32_e32 v50, 24, v50
	v_add3_u32 v84, v84, v88, v89
	v_bfe_i32 v69, v51, 0, 8
	v_mul_i32_i24_e32 v92, v53, v163
	v_mul_i32_i24_e32 v93, v55, v164
	v_bfe_i32 v58, v77, 8, 8
	v_add3_u32 v84, v84, v90, v95
	;; [unrolled: 10-line block ×6, first 2 shown]
	v_ashrrev_i32_e32 v79, 24, v79
	v_mul_i32_i24_e32 v110, v52, v183
	v_mul_i32_i24_e32 v112, v82, v185
	;; [unrolled: 1-line block ×3, first 2 shown]
	v_add3_u32 v84, v84, v108, v109
	v_mul_i32_i24_e32 v253, v79, v187
	v_pk_mul_f16 v85, v151, v20
	v_mul_i32_i24_e32 v86, v33, v191
	v_mul_i32_i24_e32 v87, v41, v192
	v_add3_u32 v84, v84, v110, v112
	v_mul_i32_i24_e32 v91, v49, v195
	v_mul_i32_i24_e32 v88, v45, v193
	v_mul_i32_i24_e32 v89, v46, v186
	v_mul_i32_i24_e32 v90, v47, v194
	v_add3_u32 v84, v84, v113, v253
	v_mul_i32_i24_e32 v95, v57, v200
	v_mul_i32_i24_e32 v92, v53, v196
	;; [unrolled: 1-line block ×4, first 2 shown]
	v_cvt_f32_i32_e32 v84, v84
	v_mul_i32_i24_e32 v99, v69, v204
	v_mul_i32_i24_e32 v96, v58, v201
	;; [unrolled: 1-line block ×4, first 2 shown]
	v_fma_mix_f32 v84, v85, v84, v85 op_sel:[0,0,1] op_sel_hi:[1,0,1]
	v_mul_i32_i24_e32 v85, v32, v189
	v_mul_i32_i24_e32 v103, v72, v209
	;; [unrolled: 1-line block ×4, first 2 shown]
	v_add_f32_e32 v65, v65, v84
	v_mul_i32_i24_e32 v84, v19, v188
	v_mul_i32_i24_e32 v102, v51, v208
	;; [unrolled: 1-line block ×5, first 2 shown]
	v_mad_i32_i24 v84, v43, v169, v84
	v_mul_i32_i24_e32 v106, v76, v211
	v_mul_i32_i24_e32 v111, v81, v216
	;; [unrolled: 1-line block ×4, first 2 shown]
	v_add3_u32 v84, v84, v85, v86
	v_mul_i32_i24_e32 v110, v52, v215
	v_mul_i32_i24_e32 v112, v82, v217
	v_mul_i32_i24_e32 v113, v83, v206
	v_mul_i32_i24_e32 v253, v79, v219
	v_add3_u32 v84, v84, v87, v91
	v_pk_mul_f16 v85, v153, v20
	v_mul_i32_i24_e32 v86, v33, v223
	v_mul_i32_i24_e32 v33, v33, v252
	v_mul_i32_i24_e32 v87, v41, v224
	v_add3_u32 v84, v84, v88, v89
	v_mul_i32_i24_e32 v91, v49, v227
	v_mul_i32_i24_e32 v41, v41, v125
	v_mul_i32_i24_e32 v49, v49, v128
	v_mul_i32_i24_e32 v88, v45, v225
	v_add3_u32 v84, v84, v90, v95
	v_mul_i32_i24_e32 v89, v46, v218
	;; [unrolled: 5-line block ×13, first 2 shown]
	v_mul_i32_i24_e32 v113, v83, v237
	v_mul_i32_i24_e32 v253, v79, v249
	;; [unrolled: 1-line block ×3, first 2 shown]
	v_cvt_f32_i32_e32 v84, v84
	v_mul_i32_i24_e32 v79, v79, v150
	s_delay_alu instid0(VALU_DEP_2) | instskip(SKIP_2) | instid1(VALU_DEP_3)
	v_fma_mix_f32 v84, v85, v84, v85 op_sel:[0,0,1] op_sel_hi:[1,0,1]
	v_mul_i32_i24_e32 v85, v32, v221
	v_mul_i32_i24_e32 v32, v32, v251
	v_add_f32_e32 v64, v64, v84
	v_mul_i32_i24_e32 v84, v19, v220
	v_mul_i32_i24_e32 v19, v19, v250
	;; [unrolled: 1-line block ×4, first 2 shown]
	s_delay_alu instid0(VALU_DEP_4) | instskip(NEXT) | instid1(VALU_DEP_4)
	v_mad_i32_i24 v84, v43, v203, v84
	v_mad_i32_i24 v19, v43, v122, v19
	s_delay_alu instid0(VALU_DEP_2) | instskip(NEXT) | instid1(VALU_DEP_2)
	v_add3_u32 v84, v84, v85, v86
	v_add3_u32 v19, v19, v32, v33
	v_pk_mul_f16 v85, v179, v20
	v_pk_mul_f16 v20, v121, v20
	s_delay_alu instid0(VALU_DEP_4) | instskip(NEXT) | instid1(VALU_DEP_4)
	v_add3_u32 v84, v84, v87, v91
	v_add3_u32 v19, v19, v41, v49
	s_delay_alu instid0(VALU_DEP_2) | instskip(NEXT) | instid1(VALU_DEP_2)
	v_add3_u32 v84, v84, v88, v89
	v_add3_u32 v19, v19, v45, v46
	s_delay_alu instid0(VALU_DEP_2) | instskip(NEXT) | instid1(VALU_DEP_2)
	;; [unrolled: 3-line block ×14, first 2 shown]
	v_cvt_f32_i32_e32 v84, v84
	v_cvt_f32_i32_e32 v19, v19
	s_delay_alu instid0(VALU_DEP_2) | instskip(NEXT) | instid1(VALU_DEP_2)
	v_fma_mix_f32 v84, v85, v84, v85 op_sel:[0,0,1] op_sel_hi:[1,0,1]
	v_fma_mix_f32 v19, v20, v19, v20 op_sel:[0,0,1] op_sel_hi:[1,0,1]
	s_delay_alu instid0(VALU_DEP_2) | instskip(NEXT) | instid1(VALU_DEP_2)
	v_add_f32_e32 v63, v63, v84
	v_add_f32_e32 v61, v61, v19
	ds_load_b128 v[49:52], v115 offset:2048
	ds_load_b128 v[76:79], v115 offset:2064
	ds_load_2addr_b32 v[19:20], v114 offset0:64 offset1:96
	s_waitcnt lgkmcnt(2)
	v_bfe_i32 v32, v49, 0, 8
	v_bfe_i32 v33, v49, 8, 8
	;; [unrolled: 1-line block ×3, first 2 shown]
	s_waitcnt lgkmcnt(1)
	v_bfe_i32 v45, v76, 0, 8
	v_ashrrev_i32_e32 v43, 24, v49
	v_mul_i32_i24_e32 v85, v32, v155
	v_bfe_i32 v53, v50, 0, 8
	v_mul_i32_i24_e32 v86, v33, v156
	v_mul_i32_i24_e32 v87, v41, v158
	v_bfe_i32 v46, v76, 8, 8
	v_mad_i32_i24 v85, v45, v152, v85
	v_bfe_i32 v47, v76, 16, 8
	v_mul_i32_i24_e32 v88, v43, v159
	v_mul_i32_i24_e32 v92, v53, v162
	v_ashrrev_i32_e32 v49, 24, v76
	v_add3_u32 v85, v85, v86, v87
	v_bfe_i32 v58, v77, 0, 8
	v_mul_i32_i24_e32 v89, v46, v160
	v_mul_i32_i24_e32 v90, v47, v154
	v_bfe_i32 v55, v50, 8, 8
	v_add3_u32 v85, v85, v88, v92
	v_bfe_i32 v57, v50, 16, 8
	v_mul_i32_i24_e32 v91, v49, v161
	v_mul_i32_i24_e32 v96, v58, v167
	v_ashrrev_i32_e32 v50, 24, v50
	v_add3_u32 v85, v85, v89, v90
	v_bfe_i32 v70, v51, 0, 8
	v_mul_i32_i24_e32 v93, v55, v163
	v_mul_i32_i24_e32 v94, v57, v164
	v_bfe_i32 v62, v77, 8, 8
	v_add3_u32 v85, v85, v91, v96
	;; [unrolled: 10-line block ×3, first 2 shown]
	v_bfe_i32 v72, v51, 16, 8
	v_mul_i32_i24_e32 v99, v69, v170
	v_mul_i32_i24_e32 v104, v73, v176
	v_ashrrev_i32_e32 v51, 24, v51
	v_add3_u32 v85, v85, v97, v98
	v_bfe_i32 v75, v78, 8, 8
	v_bfe_i32 v76, v78, 16, 8
	v_ashrrev_i32_e32 v77, 24, v78
	v_bfe_i32 v78, v52, 0, 8
	v_mul_i32_i24_e32 v101, v71, v172
	v_mul_i32_i24_e32 v102, v72, v174
	v_add3_u32 v85, v85, v99, v104
	v_mul_i32_i24_e32 v103, v51, v175
	v_mul_i32_i24_e32 v108, v78, v180
	v_bfe_i32 v82, v79, 0, 8
	v_mul_i32_i24_e32 v105, v75, v177
	v_add3_u32 v85, v85, v101, v102
	v_mul_i32_i24_e32 v106, v76, v165
	v_bfe_i32 v80, v52, 8, 8
	v_bfe_i32 v81, v52, 16, 8
	v_mul_i32_i24_e32 v107, v77, v178
	v_add3_u32 v85, v85, v103, v108
	v_mul_i32_i24_e32 v112, v82, v184
	v_ashrrev_i32_e32 v52, 24, v52
	v_bfe_i32 v83, v79, 8, 8
	v_mul_i32_i24_e32 v109, v80, v181
	v_add3_u32 v85, v85, v105, v106
	v_mul_i32_i24_e32 v110, v81, v182
	v_bfe_i32 v84, v79, 16, 8
	v_ashrrev_i32_e32 v79, 24, v79
	v_mul_i32_i24_e32 v111, v52, v183
	v_add3_u32 v85, v85, v107, v112
	v_mul_i32_i24_e32 v113, v83, v185
	v_mul_i32_i24_e32 v253, v84, v173
	;; [unrolled: 1-line block ×3, first 2 shown]
	s_waitcnt lgkmcnt(0)
	v_pk_mul_f16 v86, v151, v19
	v_add3_u32 v85, v85, v109, v110
	v_mul_i32_i24_e32 v87, v41, v191
	v_mul_i32_i24_e32 v88, v43, v192
	v_mul_i32_i24_e32 v92, v53, v195
	v_mul_i32_i24_e32 v89, v46, v193
	v_add3_u32 v85, v85, v111, v113
	v_mul_i32_i24_e32 v90, v47, v186
	v_mul_i32_i24_e32 v91, v49, v194
	v_mul_i32_i24_e32 v96, v58, v200
	v_mul_i32_i24_e32 v93, v55, v196
	;; [unrolled: 5-line block ×3, first 2 shown]
	v_cvt_f32_i32_e32 v85, v85
	v_mul_i32_i24_e32 v98, v67, v190
	v_mul_i32_i24_e32 v99, v69, v202
	;; [unrolled: 1-line block ×4, first 2 shown]
	v_fma_mix_f32 v85, v86, v85, v86 op_sel:[0,0,1] op_sel_hi:[1,0,1]
	v_mul_i32_i24_e32 v86, v33, v189
	v_mul_i32_i24_e32 v102, v72, v207
	;; [unrolled: 1-line block ×4, first 2 shown]
	v_add_f32_e32 v60, v60, v85
	v_mul_i32_i24_e32 v85, v32, v188
	v_mul_i32_i24_e32 v105, v75, v210
	;; [unrolled: 1-line block ×5, first 2 shown]
	v_mad_i32_i24 v85, v45, v169, v85
	v_mul_i32_i24_e32 v109, v80, v213
	v_mul_i32_i24_e32 v110, v81, v214
	;; [unrolled: 1-line block ×4, first 2 shown]
	v_add3_u32 v85, v85, v86, v87
	v_mul_i32_i24_e32 v253, v84, v206
	v_mul_i32_i24_e32 v254, v79, v219
	v_pk_mul_f16 v86, v153, v19
	v_mul_i32_i24_e32 v87, v41, v223
	v_add3_u32 v85, v85, v88, v92
	v_mul_i32_i24_e32 v41, v41, v252
	v_mul_i32_i24_e32 v88, v43, v224
	v_mul_i32_i24_e32 v92, v53, v227
	v_mul_i32_i24_e32 v43, v43, v125
	v_add3_u32 v85, v85, v89, v90
	v_mul_i32_i24_e32 v53, v53, v128
	v_mul_i32_i24_e32 v89, v46, v225
	v_mul_i32_i24_e32 v90, v47, v218
	;; [unrolled: 5-line block ×14, first 2 shown]
	v_mul_i32_i24_e32 v84, v84, v138
	v_cvt_f32_i32_e32 v85, v85
	v_mul_i32_i24_e32 v79, v79, v150
	s_delay_alu instid0(VALU_DEP_2) | instskip(SKIP_2) | instid1(VALU_DEP_3)
	v_fma_mix_f32 v85, v86, v85, v86 op_sel:[0,0,1] op_sel_hi:[1,0,1]
	v_mul_i32_i24_e32 v86, v33, v221
	v_mul_i32_i24_e32 v33, v33, v251
	v_add_f32_e32 v59, v59, v85
	v_mul_i32_i24_e32 v85, v32, v220
	v_mul_i32_i24_e32 v32, v32, v250
	s_delay_alu instid0(VALU_DEP_2) | instskip(NEXT) | instid1(VALU_DEP_2)
	v_mad_i32_i24 v85, v45, v203, v85
	v_mad_i32_i24 v32, v45, v122, v32
	s_delay_alu instid0(VALU_DEP_2) | instskip(NEXT) | instid1(VALU_DEP_2)
	v_add3_u32 v85, v85, v86, v87
	v_add3_u32 v32, v32, v33, v41
	v_pk_mul_f16 v86, v179, v19
	v_pk_mul_f16 v19, v121, v19
	s_delay_alu instid0(VALU_DEP_4) | instskip(NEXT) | instid1(VALU_DEP_4)
	v_add3_u32 v85, v85, v88, v92
	v_add3_u32 v32, v32, v43, v53
	s_delay_alu instid0(VALU_DEP_2) | instskip(NEXT) | instid1(VALU_DEP_2)
	v_add3_u32 v85, v85, v89, v90
	v_add3_u32 v32, v32, v46, v47
	s_delay_alu instid0(VALU_DEP_2) | instskip(NEXT) | instid1(VALU_DEP_2)
	;; [unrolled: 3-line block ×13, first 2 shown]
	v_add3_u32 v85, v85, v253, v254
	v_add3_u32 v32, v32, v84, v79
	ds_load_b128 v[49:52], v115 offset:3072
	ds_load_b128 v[76:79], v115 offset:3088
	v_cvt_f32_i32_e32 v85, v85
	v_cvt_f32_i32_e32 v32, v32
	s_delay_alu instid0(VALU_DEP_2) | instskip(NEXT) | instid1(VALU_DEP_2)
	v_fma_mix_f32 v85, v86, v85, v86 op_sel:[0,0,1] op_sel_hi:[1,0,1]
	v_fma_mix_f32 v19, v19, v32, v19 op_sel:[0,0,1] op_sel_hi:[1,0,1]
	s_delay_alu instid0(VALU_DEP_2) | instskip(NEXT) | instid1(VALU_DEP_2)
	v_add_f32_e32 v56, v56, v85
	v_add_f32_e32 v54, v54, v19
	s_waitcnt lgkmcnt(1)
	v_bfe_i32 v19, v49, 0, 8
	v_bfe_i32 v32, v49, 8, 8
	;; [unrolled: 1-line block ×3, first 2 shown]
	s_waitcnt lgkmcnt(0)
	v_bfe_i32 v43, v76, 0, 8
	v_ashrrev_i32_e32 v41, 24, v49
	v_mul_i32_i24_e32 v84, v19, v155
	v_bfe_i32 v49, v50, 0, 8
	v_mul_i32_i24_e32 v85, v32, v156
	v_mul_i32_i24_e32 v86, v33, v158
	v_bfe_i32 v45, v76, 8, 8
	v_mad_i32_i24 v84, v43, v152, v84
	v_bfe_i32 v46, v76, 16, 8
	v_mul_i32_i24_e32 v87, v41, v159
	v_mul_i32_i24_e32 v91, v49, v162
	v_ashrrev_i32_e32 v47, 24, v76
	v_add3_u32 v84, v84, v85, v86
	v_bfe_i32 v57, v77, 0, 8
	v_mul_i32_i24_e32 v88, v45, v160
	v_mul_i32_i24_e32 v89, v46, v154
	v_bfe_i32 v53, v50, 8, 8
	v_add3_u32 v84, v84, v87, v91
	v_bfe_i32 v55, v50, 16, 8
	v_mul_i32_i24_e32 v90, v47, v161
	v_mul_i32_i24_e32 v95, v57, v167
	v_ashrrev_i32_e32 v50, 24, v50
	v_add3_u32 v84, v84, v88, v89
	v_bfe_i32 v69, v51, 0, 8
	v_mul_i32_i24_e32 v92, v53, v163
	v_mul_i32_i24_e32 v93, v55, v164
	v_bfe_i32 v58, v77, 8, 8
	v_add3_u32 v84, v84, v90, v95
	;; [unrolled: 10-line block ×6, first 2 shown]
	v_ashrrev_i32_e32 v79, 24, v79
	v_mul_i32_i24_e32 v110, v52, v183
	v_mul_i32_i24_e32 v112, v82, v185
	;; [unrolled: 1-line block ×3, first 2 shown]
	v_add3_u32 v84, v84, v108, v109
	v_mul_i32_i24_e32 v253, v79, v187
	v_pk_mul_f16 v85, v151, v20
	v_mul_i32_i24_e32 v86, v33, v191
	v_mul_i32_i24_e32 v87, v41, v192
	v_add3_u32 v84, v84, v110, v112
	v_mul_i32_i24_e32 v91, v49, v195
	v_mul_i32_i24_e32 v88, v45, v193
	;; [unrolled: 1-line block ×4, first 2 shown]
	v_add3_u32 v84, v84, v113, v253
	v_mul_i32_i24_e32 v95, v57, v200
	v_mul_i32_i24_e32 v92, v53, v196
	;; [unrolled: 1-line block ×4, first 2 shown]
	v_cvt_f32_i32_e32 v84, v84
	v_mul_i32_i24_e32 v99, v69, v204
	v_mul_i32_i24_e32 v96, v58, v201
	;; [unrolled: 1-line block ×4, first 2 shown]
	v_fma_mix_f32 v84, v85, v84, v85 op_sel:[0,0,1] op_sel_hi:[1,0,1]
	v_mul_i32_i24_e32 v85, v32, v189
	v_mul_i32_i24_e32 v103, v72, v209
	;; [unrolled: 1-line block ×4, first 2 shown]
	v_add_f32_e32 v48, v48, v84
	v_mul_i32_i24_e32 v84, v19, v188
	v_mul_i32_i24_e32 v102, v51, v208
	v_mul_i32_i24_e32 v107, v77, v212
	v_mul_i32_i24_e32 v104, v73, v210
	v_mul_i32_i24_e32 v105, v75, v199
	v_mad_i32_i24 v84, v43, v169, v84
	v_mul_i32_i24_e32 v106, v76, v211
	v_mul_i32_i24_e32 v111, v81, v216
	;; [unrolled: 1-line block ×4, first 2 shown]
	v_add3_u32 v84, v84, v85, v86
	v_mul_i32_i24_e32 v110, v52, v215
	v_mul_i32_i24_e32 v112, v82, v217
	;; [unrolled: 1-line block ×4, first 2 shown]
	v_add3_u32 v84, v84, v87, v91
	v_pk_mul_f16 v85, v153, v20
	v_mul_i32_i24_e32 v86, v33, v223
	v_mul_i32_i24_e32 v33, v33, v252
	v_mul_i32_i24_e32 v87, v41, v224
	v_add3_u32 v84, v84, v88, v89
	v_mul_i32_i24_e32 v91, v49, v227
	v_mul_i32_i24_e32 v41, v41, v125
	v_mul_i32_i24_e32 v49, v49, v128
	v_mul_i32_i24_e32 v88, v45, v225
	v_add3_u32 v84, v84, v90, v95
	v_mul_i32_i24_e32 v89, v46, v218
	;; [unrolled: 5-line block ×13, first 2 shown]
	v_mul_i32_i24_e32 v52, v52, v147
	v_mul_i32_i24_e32 v82, v82, v149
	;; [unrolled: 1-line block ×3, first 2 shown]
	v_cvt_f32_i32_e32 v84, v84
	v_mul_i32_i24_e32 v253, v79, v249
	v_mul_i32_i24_e32 v83, v83, v138
	;; [unrolled: 1-line block ×3, first 2 shown]
	s_delay_alu instid0(VALU_DEP_4) | instskip(SKIP_2) | instid1(VALU_DEP_3)
	v_fma_mix_f32 v84, v85, v84, v85 op_sel:[0,0,1] op_sel_hi:[1,0,1]
	v_mul_i32_i24_e32 v85, v32, v221
	v_mul_i32_i24_e32 v32, v32, v251
	v_add_f32_e32 v44, v44, v84
	v_mul_i32_i24_e32 v84, v19, v220
	v_mul_i32_i24_e32 v19, v19, v250
	s_delay_alu instid0(VALU_DEP_2) | instskip(NEXT) | instid1(VALU_DEP_2)
	v_mad_i32_i24 v84, v43, v203, v84
	v_mad_i32_i24 v19, v43, v122, v19
	s_delay_alu instid0(VALU_DEP_2) | instskip(NEXT) | instid1(VALU_DEP_2)
	v_add3_u32 v84, v84, v85, v86
	v_add3_u32 v19, v19, v32, v33
	v_pk_mul_f16 v85, v179, v20
	v_pk_mul_f16 v20, v121, v20
	s_delay_alu instid0(VALU_DEP_4) | instskip(NEXT) | instid1(VALU_DEP_4)
	v_add3_u32 v84, v84, v87, v91
	v_add3_u32 v19, v19, v41, v49
	s_delay_alu instid0(VALU_DEP_2) | instskip(NEXT) | instid1(VALU_DEP_2)
	v_add3_u32 v84, v84, v88, v89
	v_add3_u32 v19, v19, v45, v46
	s_delay_alu instid0(VALU_DEP_2) | instskip(NEXT) | instid1(VALU_DEP_2)
	;; [unrolled: 3-line block ×14, first 2 shown]
	v_cvt_f32_i32_e32 v84, v84
	v_cvt_f32_i32_e32 v19, v19
	s_delay_alu instid0(VALU_DEP_2) | instskip(NEXT) | instid1(VALU_DEP_2)
	v_fma_mix_f32 v84, v85, v84, v85 op_sel:[0,0,1] op_sel_hi:[1,0,1]
	v_fma_mix_f32 v19, v20, v19, v20 op_sel:[0,0,1] op_sel_hi:[1,0,1]
	s_delay_alu instid0(VALU_DEP_2) | instskip(NEXT) | instid1(VALU_DEP_2)
	v_add_f32_e32 v42, v42, v84
	v_add_f32_e32 v40, v40, v19
	ds_load_b128 v[49:52], v115 offset:4096
	ds_load_b128 v[76:79], v115 offset:4112
	ds_load_2addr_b32 v[19:20], v114 offset0:128 offset1:160
	s_waitcnt lgkmcnt(2)
	v_bfe_i32 v32, v49, 0, 8
	v_bfe_i32 v33, v49, 8, 8
	;; [unrolled: 1-line block ×3, first 2 shown]
	s_waitcnt lgkmcnt(1)
	v_bfe_i32 v45, v76, 0, 8
	v_ashrrev_i32_e32 v43, 24, v49
	v_mul_i32_i24_e32 v85, v32, v155
	v_bfe_i32 v53, v50, 0, 8
	v_mul_i32_i24_e32 v86, v33, v156
	v_mul_i32_i24_e32 v87, v41, v158
	v_bfe_i32 v46, v76, 8, 8
	v_mad_i32_i24 v85, v45, v152, v85
	v_bfe_i32 v47, v76, 16, 8
	v_mul_i32_i24_e32 v88, v43, v159
	v_mul_i32_i24_e32 v92, v53, v162
	v_ashrrev_i32_e32 v49, 24, v76
	v_add3_u32 v85, v85, v86, v87
	v_bfe_i32 v58, v77, 0, 8
	v_mul_i32_i24_e32 v89, v46, v160
	v_mul_i32_i24_e32 v90, v47, v154
	v_bfe_i32 v55, v50, 8, 8
	v_add3_u32 v85, v85, v88, v92
	v_bfe_i32 v57, v50, 16, 8
	v_mul_i32_i24_e32 v91, v49, v161
	v_mul_i32_i24_e32 v96, v58, v167
	v_ashrrev_i32_e32 v50, 24, v50
	v_add3_u32 v85, v85, v89, v90
	v_bfe_i32 v70, v51, 0, 8
	v_mul_i32_i24_e32 v93, v55, v163
	v_mul_i32_i24_e32 v94, v57, v164
	v_bfe_i32 v62, v77, 8, 8
	v_add3_u32 v85, v85, v91, v96
	;; [unrolled: 10-line block ×3, first 2 shown]
	v_bfe_i32 v72, v51, 16, 8
	v_mul_i32_i24_e32 v99, v69, v170
	v_mul_i32_i24_e32 v104, v73, v176
	v_ashrrev_i32_e32 v51, 24, v51
	v_add3_u32 v85, v85, v97, v98
	v_bfe_i32 v75, v78, 8, 8
	v_bfe_i32 v76, v78, 16, 8
	v_ashrrev_i32_e32 v77, 24, v78
	v_bfe_i32 v78, v52, 0, 8
	v_mul_i32_i24_e32 v101, v71, v172
	v_mul_i32_i24_e32 v102, v72, v174
	v_add3_u32 v85, v85, v99, v104
	v_mul_i32_i24_e32 v103, v51, v175
	v_mul_i32_i24_e32 v108, v78, v180
	v_bfe_i32 v82, v79, 0, 8
	v_mul_i32_i24_e32 v105, v75, v177
	v_add3_u32 v85, v85, v101, v102
	v_mul_i32_i24_e32 v106, v76, v165
	v_bfe_i32 v80, v52, 8, 8
	v_bfe_i32 v81, v52, 16, 8
	v_mul_i32_i24_e32 v107, v77, v178
	v_add3_u32 v85, v85, v103, v108
	v_mul_i32_i24_e32 v112, v82, v184
	v_ashrrev_i32_e32 v52, 24, v52
	v_bfe_i32 v83, v79, 8, 8
	v_mul_i32_i24_e32 v109, v80, v181
	v_add3_u32 v85, v85, v105, v106
	v_mul_i32_i24_e32 v110, v81, v182
	v_bfe_i32 v84, v79, 16, 8
	v_ashrrev_i32_e32 v79, 24, v79
	v_mul_i32_i24_e32 v111, v52, v183
	v_add3_u32 v85, v85, v107, v112
	v_mul_i32_i24_e32 v113, v83, v185
	v_mul_i32_i24_e32 v253, v84, v173
	;; [unrolled: 1-line block ×3, first 2 shown]
	s_waitcnt lgkmcnt(0)
	v_pk_mul_f16 v86, v151, v19
	v_add3_u32 v85, v85, v109, v110
	v_mul_i32_i24_e32 v87, v41, v191
	v_mul_i32_i24_e32 v88, v43, v192
	v_mul_i32_i24_e32 v92, v53, v195
	v_mul_i32_i24_e32 v89, v46, v193
	v_add3_u32 v85, v85, v111, v113
	v_mul_i32_i24_e32 v90, v47, v186
	v_mul_i32_i24_e32 v91, v49, v194
	v_mul_i32_i24_e32 v96, v58, v200
	v_mul_i32_i24_e32 v93, v55, v196
	v_add3_u32 v85, v85, v253, v254
	v_mul_i32_i24_e32 v94, v57, v197
	v_mul_i32_i24_e32 v95, v50, v198
	v_mul_i32_i24_e32 v97, v62, v201
	v_mul_i32_i24_e32 v98, v67, v190
	v_cvt_f32_i32_e32 v85, v85
	v_mul_i32_i24_e32 v99, v69, v202
	v_mul_i32_i24_e32 v104, v73, v209
	;; [unrolled: 1-line block ×4, first 2 shown]
	v_fma_mix_f32 v85, v86, v85, v86 op_sel:[0,0,1] op_sel_hi:[1,0,1]
	v_mul_i32_i24_e32 v86, v33, v189
	v_mul_i32_i24_e32 v103, v51, v208
	;; [unrolled: 1-line block ×4, first 2 shown]
	v_add_f32_e32 v39, v39, v85
	v_mul_i32_i24_e32 v85, v32, v188
	v_mul_i32_i24_e32 v100, v70, v204
	;; [unrolled: 1-line block ×5, first 2 shown]
	v_mad_i32_i24 v85, v45, v169, v85
	v_mul_i32_i24_e32 v109, v80, v213
	v_mul_i32_i24_e32 v110, v81, v214
	;; [unrolled: 1-line block ×4, first 2 shown]
	v_add3_u32 v85, v85, v86, v87
	v_mul_i32_i24_e32 v253, v84, v206
	v_mul_i32_i24_e32 v254, v79, v219
	v_pk_mul_f16 v86, v153, v19
	v_mul_i32_i24_e32 v87, v41, v223
	v_add3_u32 v85, v85, v88, v92
	v_mul_i32_i24_e32 v41, v41, v252
	v_mul_i32_i24_e32 v88, v43, v224
	v_mul_i32_i24_e32 v92, v53, v227
	v_mul_i32_i24_e32 v43, v43, v125
	v_add3_u32 v85, v85, v89, v90
	v_mul_i32_i24_e32 v53, v53, v128
	v_mul_i32_i24_e32 v89, v46, v225
	v_mul_i32_i24_e32 v90, v47, v218
	;; [unrolled: 5-line block ×14, first 2 shown]
	v_mul_i32_i24_e32 v84, v84, v138
	v_cvt_f32_i32_e32 v85, v85
	v_mul_i32_i24_e32 v79, v79, v150
	s_delay_alu instid0(VALU_DEP_2) | instskip(SKIP_2) | instid1(VALU_DEP_3)
	v_fma_mix_f32 v85, v86, v85, v86 op_sel:[0,0,1] op_sel_hi:[1,0,1]
	v_mul_i32_i24_e32 v86, v33, v221
	v_mul_i32_i24_e32 v33, v33, v251
	v_add_f32_e32 v38, v38, v85
	v_mul_i32_i24_e32 v85, v32, v220
	v_mul_i32_i24_e32 v32, v32, v250
	s_delay_alu instid0(VALU_DEP_2) | instskip(NEXT) | instid1(VALU_DEP_2)
	v_mad_i32_i24 v85, v45, v203, v85
	v_mad_i32_i24 v32, v45, v122, v32
	s_delay_alu instid0(VALU_DEP_2) | instskip(NEXT) | instid1(VALU_DEP_2)
	v_add3_u32 v85, v85, v86, v87
	v_add3_u32 v32, v32, v33, v41
	v_pk_mul_f16 v86, v179, v19
	v_pk_mul_f16 v19, v121, v19
	s_delay_alu instid0(VALU_DEP_4) | instskip(NEXT) | instid1(VALU_DEP_4)
	v_add3_u32 v85, v85, v88, v92
	v_add3_u32 v32, v32, v43, v53
	s_delay_alu instid0(VALU_DEP_2) | instskip(NEXT) | instid1(VALU_DEP_2)
	v_add3_u32 v85, v85, v89, v90
	v_add3_u32 v32, v32, v46, v47
	s_delay_alu instid0(VALU_DEP_2) | instskip(NEXT) | instid1(VALU_DEP_2)
	v_add3_u32 v85, v85, v91, v96
	v_add3_u32 v32, v32, v49, v58
	s_delay_alu instid0(VALU_DEP_2) | instskip(NEXT) | instid1(VALU_DEP_2)
	v_add3_u32 v85, v85, v93, v94
	v_add3_u32 v32, v32, v55, v57
	s_delay_alu instid0(VALU_DEP_2) | instskip(NEXT) | instid1(VALU_DEP_2)
	v_add3_u32 v85, v85, v95, v100
	v_add3_u32 v32, v32, v50, v70
	s_delay_alu instid0(VALU_DEP_2) | instskip(NEXT) | instid1(VALU_DEP_2)
	v_add3_u32 v85, v85, v97, v98
	v_add3_u32 v32, v32, v62, v67
	s_delay_alu instid0(VALU_DEP_2) | instskip(NEXT) | instid1(VALU_DEP_2)
	v_add3_u32 v85, v85, v99, v104
	v_add3_u32 v32, v32, v69, v73
	s_delay_alu instid0(VALU_DEP_2) | instskip(NEXT) | instid1(VALU_DEP_2)
	v_add3_u32 v85, v85, v101, v102
	v_add3_u32 v32, v32, v71, v72
	s_delay_alu instid0(VALU_DEP_2) | instskip(NEXT) | instid1(VALU_DEP_2)
	v_add3_u32 v85, v85, v103, v108
	v_add3_u32 v32, v32, v51, v78
	s_delay_alu instid0(VALU_DEP_2) | instskip(NEXT) | instid1(VALU_DEP_2)
	v_add3_u32 v85, v85, v105, v106
	v_add3_u32 v32, v32, v75, v76
	s_delay_alu instid0(VALU_DEP_2) | instskip(NEXT) | instid1(VALU_DEP_2)
	v_add3_u32 v85, v85, v107, v112
	v_add3_u32 v32, v32, v77, v82
	s_delay_alu instid0(VALU_DEP_2) | instskip(NEXT) | instid1(VALU_DEP_2)
	v_add3_u32 v85, v85, v109, v110
	v_add3_u32 v32, v32, v80, v81
	s_delay_alu instid0(VALU_DEP_2) | instskip(NEXT) | instid1(VALU_DEP_2)
	v_add3_u32 v85, v85, v111, v113
	v_add3_u32 v32, v32, v52, v83
	s_delay_alu instid0(VALU_DEP_2) | instskip(NEXT) | instid1(VALU_DEP_2)
	v_add3_u32 v85, v85, v253, v254
	v_add3_u32 v32, v32, v84, v79
	ds_load_b128 v[49:52], v115 offset:5120
	ds_load_b128 v[76:79], v115 offset:5136
	v_cvt_f32_i32_e32 v85, v85
	v_cvt_f32_i32_e32 v32, v32
	s_delay_alu instid0(VALU_DEP_2) | instskip(NEXT) | instid1(VALU_DEP_2)
	v_fma_mix_f32 v85, v86, v85, v86 op_sel:[0,0,1] op_sel_hi:[1,0,1]
	v_fma_mix_f32 v19, v19, v32, v19 op_sel:[0,0,1] op_sel_hi:[1,0,1]
	s_delay_alu instid0(VALU_DEP_1)
	v_dual_add_f32 v37, v37, v85 :: v_dual_add_f32 v36, v36, v19
	s_waitcnt lgkmcnt(1)
	v_bfe_i32 v19, v49, 0, 8
	v_bfe_i32 v32, v49, 8, 8
	;; [unrolled: 1-line block ×3, first 2 shown]
	s_waitcnt lgkmcnt(0)
	v_bfe_i32 v43, v76, 0, 8
	v_ashrrev_i32_e32 v41, 24, v49
	v_mul_i32_i24_e32 v84, v19, v155
	v_bfe_i32 v49, v50, 0, 8
	v_mul_i32_i24_e32 v85, v32, v156
	v_mul_i32_i24_e32 v86, v33, v158
	v_bfe_i32 v45, v76, 8, 8
	v_mad_i32_i24 v84, v43, v152, v84
	v_bfe_i32 v46, v76, 16, 8
	v_mul_i32_i24_e32 v87, v41, v159
	v_mul_i32_i24_e32 v91, v49, v162
	v_ashrrev_i32_e32 v47, 24, v76
	v_add3_u32 v84, v84, v85, v86
	v_bfe_i32 v57, v77, 0, 8
	v_mul_i32_i24_e32 v88, v45, v160
	v_mul_i32_i24_e32 v89, v46, v154
	v_bfe_i32 v53, v50, 8, 8
	v_add3_u32 v84, v84, v87, v91
	v_bfe_i32 v55, v50, 16, 8
	v_mul_i32_i24_e32 v90, v47, v161
	v_mul_i32_i24_e32 v95, v57, v167
	v_ashrrev_i32_e32 v50, 24, v50
	v_add3_u32 v84, v84, v88, v89
	v_bfe_i32 v69, v51, 0, 8
	v_mul_i32_i24_e32 v92, v53, v163
	v_mul_i32_i24_e32 v93, v55, v164
	v_bfe_i32 v58, v77, 8, 8
	v_add3_u32 v84, v84, v90, v95
	;; [unrolled: 10-line block ×6, first 2 shown]
	v_ashrrev_i32_e32 v79, 24, v79
	v_mul_i32_i24_e32 v110, v52, v183
	v_mul_i32_i24_e32 v112, v82, v185
	;; [unrolled: 1-line block ×3, first 2 shown]
	v_add3_u32 v84, v84, v108, v109
	v_mul_i32_i24_e32 v253, v79, v187
	v_pk_mul_f16 v85, v151, v20
	v_mul_i32_i24_e32 v86, v33, v191
	v_mul_i32_i24_e32 v87, v41, v192
	v_add3_u32 v84, v84, v110, v112
	v_mul_i32_i24_e32 v91, v49, v195
	v_mul_i32_i24_e32 v88, v45, v193
	;; [unrolled: 1-line block ×4, first 2 shown]
	v_add3_u32 v84, v84, v113, v253
	v_mul_i32_i24_e32 v95, v57, v200
	v_mul_i32_i24_e32 v92, v53, v196
	;; [unrolled: 1-line block ×4, first 2 shown]
	v_cvt_f32_i32_e32 v84, v84
	v_mul_i32_i24_e32 v99, v69, v204
	v_mul_i32_i24_e32 v96, v58, v201
	v_mul_i32_i24_e32 v97, v62, v190
	v_mul_i32_i24_e32 v98, v67, v202
	v_fma_mix_f32 v84, v85, v84, v85 op_sel:[0,0,1] op_sel_hi:[1,0,1]
	v_mul_i32_i24_e32 v85, v32, v189
	v_mul_i32_i24_e32 v103, v72, v209
	;; [unrolled: 1-line block ×4, first 2 shown]
	v_add_f32_e32 v34, v34, v84
	v_mul_i32_i24_e32 v84, v19, v188
	v_mul_i32_i24_e32 v102, v51, v208
	;; [unrolled: 1-line block ×5, first 2 shown]
	v_mad_i32_i24 v84, v43, v169, v84
	v_mul_i32_i24_e32 v106, v76, v211
	v_mul_i32_i24_e32 v111, v81, v216
	;; [unrolled: 1-line block ×4, first 2 shown]
	v_add3_u32 v84, v84, v85, v86
	v_mul_i32_i24_e32 v110, v52, v215
	v_mul_i32_i24_e32 v112, v82, v217
	v_mul_i32_i24_e32 v113, v83, v206
	v_mul_i32_i24_e32 v253, v79, v219
	v_add3_u32 v84, v84, v87, v91
	v_pk_mul_f16 v85, v153, v20
	v_mul_i32_i24_e32 v86, v33, v223
	v_mul_i32_i24_e32 v33, v33, v252
	v_mul_i32_i24_e32 v87, v41, v224
	v_add3_u32 v84, v84, v88, v89
	v_mul_i32_i24_e32 v91, v49, v227
	v_mul_i32_i24_e32 v41, v41, v125
	v_mul_i32_i24_e32 v49, v49, v128
	v_mul_i32_i24_e32 v88, v45, v225
	v_add3_u32 v84, v84, v90, v95
	v_mul_i32_i24_e32 v89, v46, v218
	;; [unrolled: 5-line block ×13, first 2 shown]
	v_mul_i32_i24_e32 v52, v52, v147
	v_mul_i32_i24_e32 v82, v82, v149
	;; [unrolled: 1-line block ×3, first 2 shown]
	v_cvt_f32_i32_e32 v84, v84
	v_mul_i32_i24_e32 v253, v79, v249
	v_mul_i32_i24_e32 v83, v83, v138
	v_mul_i32_i24_e32 v79, v79, v150
	s_delay_alu instid0(VALU_DEP_4) | instskip(SKIP_2) | instid1(VALU_DEP_3)
	v_fma_mix_f32 v84, v85, v84, v85 op_sel:[0,0,1] op_sel_hi:[1,0,1]
	v_mul_i32_i24_e32 v85, v32, v221
	v_mul_i32_i24_e32 v32, v32, v251
	v_add_f32_e32 v31, v31, v84
	v_mul_i32_i24_e32 v84, v19, v220
	v_mul_i32_i24_e32 v19, v19, v250
	s_delay_alu instid0(VALU_DEP_2) | instskip(NEXT) | instid1(VALU_DEP_2)
	v_mad_i32_i24 v84, v43, v203, v84
	v_mad_i32_i24 v19, v43, v122, v19
	s_delay_alu instid0(VALU_DEP_2) | instskip(NEXT) | instid1(VALU_DEP_2)
	v_add3_u32 v84, v84, v85, v86
	v_add3_u32 v19, v19, v32, v33
	v_pk_mul_f16 v85, v179, v20
	v_pk_mul_f16 v20, v121, v20
	s_delay_alu instid0(VALU_DEP_4) | instskip(NEXT) | instid1(VALU_DEP_4)
	v_add3_u32 v84, v84, v87, v91
	v_add3_u32 v19, v19, v41, v49
	s_delay_alu instid0(VALU_DEP_2) | instskip(NEXT) | instid1(VALU_DEP_2)
	v_add3_u32 v84, v84, v88, v89
	v_add3_u32 v19, v19, v45, v46
	s_delay_alu instid0(VALU_DEP_2) | instskip(NEXT) | instid1(VALU_DEP_2)
	;; [unrolled: 3-line block ×14, first 2 shown]
	v_cvt_f32_i32_e32 v84, v84
	v_cvt_f32_i32_e32 v19, v19
	s_delay_alu instid0(VALU_DEP_2) | instskip(NEXT) | instid1(VALU_DEP_2)
	v_fma_mix_f32 v84, v85, v84, v85 op_sel:[0,0,1] op_sel_hi:[1,0,1]
	v_fma_mix_f32 v19, v20, v19, v20 op_sel:[0,0,1] op_sel_hi:[1,0,1]
	s_delay_alu instid0(VALU_DEP_1)
	v_dual_add_f32 v30, v30, v84 :: v_dual_add_f32 v29, v29, v19
	ds_load_b128 v[49:52], v115 offset:6144
	ds_load_b128 v[76:79], v115 offset:6160
	ds_load_2addr_b32 v[19:20], v114 offset0:192 offset1:224
	v_add_nc_u32_e32 v114, 4, v114
	s_waitcnt lgkmcnt(2)
	v_bfe_i32 v32, v49, 0, 8
	v_bfe_i32 v33, v49, 8, 8
	;; [unrolled: 1-line block ×3, first 2 shown]
	s_waitcnt lgkmcnt(1)
	v_bfe_i32 v45, v76, 0, 8
	v_ashrrev_i32_e32 v43, 24, v49
	v_mul_i32_i24_e32 v85, v32, v155
	v_bfe_i32 v53, v50, 0, 8
	v_mul_i32_i24_e32 v86, v33, v156
	v_mul_i32_i24_e32 v87, v41, v158
	v_bfe_i32 v46, v76, 8, 8
	v_mad_i32_i24 v85, v45, v152, v85
	v_bfe_i32 v47, v76, 16, 8
	v_mul_i32_i24_e32 v88, v43, v159
	v_mul_i32_i24_e32 v92, v53, v162
	v_ashrrev_i32_e32 v49, 24, v76
	v_add3_u32 v85, v85, v86, v87
	v_bfe_i32 v58, v77, 0, 8
	v_mul_i32_i24_e32 v89, v46, v160
	v_mul_i32_i24_e32 v90, v47, v154
	v_bfe_i32 v55, v50, 8, 8
	v_add3_u32 v85, v85, v88, v92
	v_bfe_i32 v57, v50, 16, 8
	v_mul_i32_i24_e32 v91, v49, v161
	v_mul_i32_i24_e32 v96, v58, v167
	v_ashrrev_i32_e32 v50, 24, v50
	v_add3_u32 v85, v85, v89, v90
	v_bfe_i32 v70, v51, 0, 8
	v_mul_i32_i24_e32 v93, v55, v163
	v_mul_i32_i24_e32 v94, v57, v164
	v_bfe_i32 v62, v77, 8, 8
	v_add3_u32 v85, v85, v91, v96
	;; [unrolled: 10-line block ×3, first 2 shown]
	v_bfe_i32 v72, v51, 16, 8
	v_mul_i32_i24_e32 v99, v69, v170
	v_mul_i32_i24_e32 v104, v73, v176
	v_ashrrev_i32_e32 v51, 24, v51
	v_add3_u32 v85, v85, v97, v98
	v_bfe_i32 v75, v78, 8, 8
	v_bfe_i32 v76, v78, 16, 8
	v_ashrrev_i32_e32 v77, 24, v78
	v_bfe_i32 v78, v52, 0, 8
	v_mul_i32_i24_e32 v101, v71, v172
	v_mul_i32_i24_e32 v102, v72, v174
	v_add3_u32 v85, v85, v99, v104
	v_mul_i32_i24_e32 v103, v51, v175
	v_mul_i32_i24_e32 v108, v78, v180
	v_bfe_i32 v82, v79, 0, 8
	v_mul_i32_i24_e32 v105, v75, v177
	v_add3_u32 v85, v85, v101, v102
	v_mul_i32_i24_e32 v106, v76, v165
	v_bfe_i32 v80, v52, 8, 8
	v_bfe_i32 v81, v52, 16, 8
	v_mul_i32_i24_e32 v107, v77, v178
	v_add3_u32 v85, v85, v103, v108
	v_mul_i32_i24_e32 v112, v82, v184
	v_ashrrev_i32_e32 v52, 24, v52
	v_bfe_i32 v83, v79, 8, 8
	v_mul_i32_i24_e32 v109, v80, v181
	v_add3_u32 v85, v85, v105, v106
	v_mul_i32_i24_e32 v110, v81, v182
	v_bfe_i32 v84, v79, 16, 8
	v_ashrrev_i32_e32 v79, 24, v79
	v_mul_i32_i24_e32 v111, v52, v183
	v_add3_u32 v85, v85, v107, v112
	v_mul_i32_i24_e32 v113, v83, v185
	v_mul_i32_i24_e32 v253, v84, v173
	;; [unrolled: 1-line block ×3, first 2 shown]
	s_waitcnt lgkmcnt(0)
	v_pk_mul_f16 v86, v151, v19
	v_add3_u32 v85, v85, v109, v110
	v_mul_i32_i24_e32 v87, v41, v191
	v_mul_i32_i24_e32 v88, v43, v192
	v_mul_i32_i24_e32 v92, v53, v195
	v_mul_i32_i24_e32 v89, v46, v193
	v_add3_u32 v85, v85, v111, v113
	v_mul_i32_i24_e32 v90, v47, v186
	v_mul_i32_i24_e32 v91, v49, v194
	v_mul_i32_i24_e32 v96, v58, v200
	v_mul_i32_i24_e32 v93, v55, v196
	v_add3_u32 v85, v85, v253, v254
	v_mul_i32_i24_e32 v94, v57, v197
	v_mul_i32_i24_e32 v95, v50, v198
	v_mul_i32_i24_e32 v100, v70, v204
	v_mul_i32_i24_e32 v97, v62, v201
	v_cvt_f32_i32_e32 v85, v85
	v_mul_i32_i24_e32 v98, v67, v190
	v_mul_i32_i24_e32 v99, v69, v202
	;; [unrolled: 1-line block ×4, first 2 shown]
	v_fma_mix_f32 v85, v86, v85, v86 op_sel:[0,0,1] op_sel_hi:[1,0,1]
	v_mul_i32_i24_e32 v86, v33, v189
	v_mul_i32_i24_e32 v102, v72, v207
	;; [unrolled: 1-line block ×4, first 2 shown]
	v_add_f32_e32 v28, v28, v85
	v_mul_i32_i24_e32 v85, v32, v188
	v_mul_i32_i24_e32 v105, v75, v210
	;; [unrolled: 1-line block ×5, first 2 shown]
	v_mad_i32_i24 v85, v45, v169, v85
	v_mul_i32_i24_e32 v109, v80, v213
	v_mul_i32_i24_e32 v110, v81, v214
	;; [unrolled: 1-line block ×4, first 2 shown]
	v_add3_u32 v85, v85, v86, v87
	v_mul_i32_i24_e32 v253, v84, v206
	v_mul_i32_i24_e32 v254, v79, v219
	v_pk_mul_f16 v86, v153, v19
	v_mul_i32_i24_e32 v87, v41, v223
	v_add3_u32 v85, v85, v88, v92
	v_mul_i32_i24_e32 v41, v41, v252
	v_mul_i32_i24_e32 v88, v43, v224
	v_mul_i32_i24_e32 v92, v53, v227
	v_mul_i32_i24_e32 v43, v43, v125
	v_add3_u32 v85, v85, v89, v90
	v_mul_i32_i24_e32 v53, v53, v128
	v_mul_i32_i24_e32 v89, v46, v225
	v_mul_i32_i24_e32 v90, v47, v218
	;; [unrolled: 5-line block ×14, first 2 shown]
	v_mul_i32_i24_e32 v84, v84, v138
	v_cvt_f32_i32_e32 v85, v85
	v_mul_i32_i24_e32 v79, v79, v150
	s_delay_alu instid0(VALU_DEP_2) | instskip(SKIP_2) | instid1(VALU_DEP_3)
	v_fma_mix_f32 v85, v86, v85, v86 op_sel:[0,0,1] op_sel_hi:[1,0,1]
	v_mul_i32_i24_e32 v86, v33, v221
	v_mul_i32_i24_e32 v33, v33, v251
	v_add_f32_e32 v27, v27, v85
	v_mul_i32_i24_e32 v85, v32, v220
	v_mul_i32_i24_e32 v32, v32, v250
	s_delay_alu instid0(VALU_DEP_2) | instskip(NEXT) | instid1(VALU_DEP_2)
	v_mad_i32_i24 v85, v45, v203, v85
	v_mad_i32_i24 v32, v45, v122, v32
	s_delay_alu instid0(VALU_DEP_2) | instskip(NEXT) | instid1(VALU_DEP_2)
	v_add3_u32 v85, v85, v86, v87
	v_add3_u32 v32, v32, v33, v41
	v_pk_mul_f16 v86, v179, v19
	v_pk_mul_f16 v19, v121, v19
	s_delay_alu instid0(VALU_DEP_4) | instskip(NEXT) | instid1(VALU_DEP_4)
	v_add3_u32 v85, v85, v88, v92
	v_add3_u32 v32, v32, v43, v53
	s_delay_alu instid0(VALU_DEP_2) | instskip(NEXT) | instid1(VALU_DEP_2)
	v_add3_u32 v85, v85, v89, v90
	v_add3_u32 v32, v32, v46, v47
	s_delay_alu instid0(VALU_DEP_2) | instskip(NEXT) | instid1(VALU_DEP_2)
	;; [unrolled: 3-line block ×13, first 2 shown]
	v_add3_u32 v85, v85, v253, v254
	v_add3_u32 v32, v32, v84, v79
	ds_load_b128 v[76:79], v115 offset:7168
	ds_load_b128 v[108:111], v115 offset:7184
	v_add_nc_u32_e32 v115, 32, v115
	v_cvt_f32_i32_e32 v85, v85
	v_cvt_f32_i32_e32 v32, v32
	s_delay_alu instid0(VALU_DEP_2) | instskip(NEXT) | instid1(VALU_DEP_2)
	v_fma_mix_f32 v85, v86, v85, v86 op_sel:[0,0,1] op_sel_hi:[1,0,1]
	v_fma_mix_f32 v19, v19, v32, v19 op_sel:[0,0,1] op_sel_hi:[1,0,1]
	s_delay_alu instid0(VALU_DEP_1)
	v_dual_add_f32 v26, v26, v85 :: v_dual_add_f32 v25, v25, v19
	s_waitcnt lgkmcnt(1)
	v_bfe_i32 v41, v76, 0, 8
	v_bfe_i32 v70, v76, 8, 8
	;; [unrolled: 1-line block ×3, first 2 shown]
	v_ashrrev_i32_e32 v253, 24, v76
	s_waitcnt lgkmcnt(0)
	v_bfe_i32 v19, v108, 0, 8
	v_mul_i32_i24_e32 v76, v41, v155
	v_bfe_i32 v32, v77, 0, 8
	v_bfe_i32 v43, v77, 8, 8
	;; [unrolled: 1-line block ×3, first 2 shown]
	v_ashrrev_i32_e32 v105, 24, v77
	v_bfe_i32 v46, v78, 0, 8
	v_bfe_i32 v47, v78, 8, 8
	;; [unrolled: 1-line block ×3, first 2 shown]
	v_ashrrev_i32_e32 v50, 24, v78
	v_mul_i32_i24_e32 v77, v70, v156
	v_mul_i32_i24_e32 v78, v75, v158
	v_mad_i32_i24 v76, v19, v152, v76
	v_bfe_i32 v33, v108, 8, 8
	v_bfe_i32 v98, v108, 16, 8
	;; [unrolled: 1-line block ×5, first 2 shown]
	v_ashrrev_i32_e32 v67, 24, v79
	v_mul_i32_i24_e32 v79, v253, v159
	v_mul_i32_i24_e32 v83, v32, v162
	v_add3_u32 v76, v76, v77, v78
	v_ashrrev_i32_e32 v254, 24, v108
	v_bfe_i32 v106, v109, 0, 8
	v_mul_i32_i24_e32 v80, v33, v160
	v_mul_i32_i24_e32 v81, v98, v154
	v_add3_u32 v76, v76, v79, v83
	v_mul_i32_i24_e32 v82, v254, v161
	v_mul_i32_i24_e32 v87, v106, v167
	;; [unrolled: 1-line block ×4, first 2 shown]
	v_add3_u32 v76, v76, v80, v81
	v_bfe_i32 v107, v109, 8, 8
	v_bfe_i32 v108, v109, 16, 8
	v_mul_i32_i24_e32 v86, v105, v166
	v_mul_i32_i24_e32 v91, v46, v171
	v_add3_u32 v76, v76, v82, v87
	v_ashrrev_i32_e32 v109, 24, v109
	v_bfe_i32 v51, v110, 0, 8
	v_mul_i32_i24_e32 v88, v107, v168
	v_mul_i32_i24_e32 v89, v108, v157
	v_add3_u32 v76, v76, v84, v85
	v_mul_i32_i24_e32 v90, v109, v170
	v_mul_i32_i24_e32 v95, v51, v176
	;; [unrolled: 1-line block ×4, first 2 shown]
	v_add3_u32 v76, v76, v86, v91
	v_bfe_i32 v52, v110, 8, 8
	v_bfe_i32 v53, v110, 16, 8
	v_mul_i32_i24_e32 v94, v50, v175
	v_mul_i32_i24_e32 v100, v57, v180
	v_add3_u32 v76, v76, v88, v89
	v_ashrrev_i32_e32 v55, 24, v110
	v_bfe_i32 v69, v111, 0, 8
	v_mul_i32_i24_e32 v96, v52, v177
	v_mul_i32_i24_e32 v97, v53, v165
	v_add3_u32 v76, v76, v90, v95
	v_mul_i32_i24_e32 v99, v55, v178
	v_mul_i32_i24_e32 v104, v69, v184
	v_bfe_i32 v71, v111, 8, 8
	v_mul_i32_i24_e32 v101, v58, v181
	v_add3_u32 v76, v76, v92, v93
	v_mul_i32_i24_e32 v102, v62, v182
	v_bfe_i32 v72, v111, 16, 8
	v_ashrrev_i32_e32 v73, 24, v111
	v_mul_i32_i24_e32 v103, v67, v183
	v_add3_u32 v76, v76, v94, v100
	v_mul_i32_i24_e32 v110, v71, v185
	v_mul_i32_i24_e32 v111, v72, v173
	;; [unrolled: 1-line block ×3, first 2 shown]
	v_pk_mul_f16 v77, v151, v20
	v_add3_u32 v76, v76, v96, v97
	v_mul_i32_i24_e32 v78, v75, v191
	v_mul_i32_i24_e32 v79, v253, v192
	v_mul_i32_i24_e32 v83, v32, v195
	v_mul_i32_i24_e32 v80, v33, v193
	v_add3_u32 v76, v76, v99, v104
	v_mul_i32_i24_e32 v81, v98, v186
	v_mul_i32_i24_e32 v82, v254, v194
	v_mul_i32_i24_e32 v87, v106, v200
	v_mul_i32_i24_e32 v84, v43, v196
	v_add3_u32 v76, v76, v101, v102
	v_mul_i32_i24_e32 v85, v45, v197
	v_mul_i32_i24_e32 v86, v105, v198
	v_mul_i32_i24_e32 v91, v46, v204
	v_mul_i32_i24_e32 v88, v107, v201
	v_add3_u32 v76, v76, v103, v110
	v_mul_i32_i24_e32 v89, v108, v190
	v_mul_i32_i24_e32 v90, v109, v202
	v_mul_i32_i24_e32 v95, v51, v209
	v_mul_i32_i24_e32 v92, v47, v205
	v_add3_u32 v76, v76, v111, v112
	v_mul_i32_i24_e32 v93, v49, v207
	v_mul_i32_i24_e32 v94, v50, v208
	v_mul_i32_i24_e32 v100, v57, v212
	v_mul_i32_i24_e32 v96, v52, v210
	v_cvt_f32_i32_e32 v76, v76
	v_mul_i32_i24_e32 v97, v53, v199
	v_mul_i32_i24_e32 v99, v55, v211
	;; [unrolled: 1-line block ×4, first 2 shown]
	v_fma_mix_f32 v76, v77, v76, v77 op_sel:[0,0,1] op_sel_hi:[1,0,1]
	v_mul_i32_i24_e32 v77, v70, v189
	v_mul_i32_i24_e32 v102, v62, v214
	;; [unrolled: 1-line block ×4, first 2 shown]
	v_add_f32_e32 v24, v24, v76
	v_mul_i32_i24_e32 v76, v41, v188
	v_mul_i32_i24_e32 v111, v72, v206
	;; [unrolled: 1-line block ×5, first 2 shown]
	v_mad_i32_i24 v76, v19, v169, v76
	s_delay_alu instid0(VALU_DEP_1)
	v_add3_u32 v76, v76, v77, v78
	v_pk_mul_f16 v77, v153, v20
	v_mul_i32_i24_e32 v78, v75, v223
	v_mul_i32_i24_e32 v153, v75, v252
	;; [unrolled: 1-line block ×3, first 2 shown]
	v_add3_u32 v76, v76, v79, v83
	v_mul_i32_i24_e32 v79, v253, v224
	v_mul_i32_i24_e32 v83, v32, v227
	;; [unrolled: 1-line block ×3, first 2 shown]
	s_delay_alu instid0(VALU_DEP_4) | instskip(SKIP_3) | instid1(VALU_DEP_4)
	v_add3_u32 v76, v76, v80, v81
	v_mul_i32_i24_e32 v80, v33, v225
	v_mul_i32_i24_e32 v81, v98, v218
	;; [unrolled: 1-line block ×3, first 2 shown]
	v_add3_u32 v76, v76, v82, v87
	v_mul_i32_i24_e32 v82, v254, v226
	v_mul_i32_i24_e32 v87, v106, v232
	s_delay_alu instid0(VALU_DEP_3)
	v_add3_u32 v76, v76, v84, v85
	v_mul_i32_i24_e32 v84, v43, v228
	v_mul_i32_i24_e32 v85, v45, v229
	;; [unrolled: 1-line block ×4, first 2 shown]
	v_add3_u32 v76, v76, v86, v91
	v_mul_i32_i24_e32 v86, v105, v230
	v_mul_i32_i24_e32 v91, v46, v235
	v_mul_i32_i24_e32 v46, v46, v136
	s_delay_alu instid0(VALU_DEP_4) | instskip(SKIP_2) | instid1(VALU_DEP_3)
	v_add3_u32 v76, v76, v88, v89
	v_mul_i32_i24_e32 v88, v107, v233
	v_mul_i32_i24_e32 v89, v108, v222
	v_add3_u32 v76, v76, v90, v95
	v_mul_i32_i24_e32 v90, v109, v234
	v_mul_i32_i24_e32 v95, v51, v240
	;; [unrolled: 1-line block ×3, first 2 shown]
	s_delay_alu instid0(VALU_DEP_4)
	v_add3_u32 v76, v76, v92, v93
	v_mul_i32_i24_e32 v92, v47, v236
	v_mul_i32_i24_e32 v93, v49, v238
	v_mul_i32_i24_e32 v47, v47, v137
	v_mul_i32_i24_e32 v49, v49, v139
	v_add3_u32 v76, v76, v94, v100
	v_mul_i32_i24_e32 v94, v50, v239
	v_mul_i32_i24_e32 v100, v57, v243
	v_mul_i32_i24_e32 v50, v50, v140
	v_mul_i32_i24_e32 v57, v57, v144
	;; [unrolled: 5-line block ×7, first 2 shown]
	v_cvt_f32_i32_e32 v76, v76
	s_delay_alu instid0(VALU_DEP_1) | instskip(SKIP_2) | instid1(VALU_DEP_3)
	v_fma_mix_f32 v76, v77, v76, v77 op_sel:[0,0,1] op_sel_hi:[1,0,1]
	v_mul_i32_i24_e32 v77, v70, v221
	v_mul_i32_i24_e32 v70, v98, v123
	v_add_f32_e32 v23, v23, v76
	v_mul_i32_i24_e32 v76, v41, v220
	v_mul_i32_i24_e32 v41, v253, v125
	s_delay_alu instid0(VALU_DEP_2) | instskip(SKIP_1) | instid1(VALU_DEP_2)
	v_mad_i32_i24 v76, v19, v203, v76
	v_mad_i32_i24 v19, v19, v122, v151
	v_add3_u32 v76, v76, v77, v78
	s_delay_alu instid0(VALU_DEP_2)
	v_add3_u32 v19, v19, v152, v153
	v_pk_mul_f16 v77, v179, v20
	v_mul_i32_i24_e32 v78, v107, v134
	v_pk_mul_f16 v20, v121, v20
	v_add3_u32 v76, v76, v79, v83
	v_add3_u32 v19, v19, v41, v32
	v_mul_i32_i24_e32 v79, v108, v124
	s_delay_alu instid0(VALU_DEP_3) | instskip(NEXT) | instid1(VALU_DEP_3)
	v_add3_u32 v76, v76, v80, v81
	v_add3_u32 v19, v19, v33, v70
	v_mul_i32_i24_e32 v80, v109, v135
	s_delay_alu instid0(VALU_DEP_3) | instskip(NEXT) | instid1(VALU_DEP_1)
	v_add3_u32 v76, v76, v82, v87
	v_add3_u32 v76, v76, v84, v85
	s_delay_alu instid0(VALU_DEP_1) | instskip(NEXT) | instid1(VALU_DEP_1)
	v_add3_u32 v76, v76, v86, v91
	v_add3_u32 v76, v76, v88, v89
	s_delay_alu instid0(VALU_DEP_1) | instskip(NEXT) | instid1(VALU_DEP_1)
	v_add3_u32 v76, v76, v90, v95
	v_add3_u32 v76, v76, v92, v93
	s_delay_alu instid0(VALU_DEP_1) | instskip(NEXT) | instid1(VALU_DEP_1)
	v_add3_u32 v76, v76, v94, v100
	v_add3_u32 v76, v76, v96, v97
	s_delay_alu instid0(VALU_DEP_1) | instskip(NEXT) | instid1(VALU_DEP_1)
	v_add3_u32 v76, v76, v99, v104
	v_add3_u32 v76, v76, v101, v102
	s_delay_alu instid0(VALU_DEP_1) | instskip(NEXT) | instid1(VALU_DEP_1)
	v_add3_u32 v76, v76, v103, v110
	v_add3_u32 v76, v76, v111, v112
	s_delay_alu instid0(VALU_DEP_1) | instskip(NEXT) | instid1(VALU_DEP_1)
	v_cvt_f32_i32_e32 v76, v76
	v_fma_mix_f32 v76, v77, v76, v77 op_sel:[0,0,1] op_sel_hi:[1,0,1]
	v_mul_i32_i24_e32 v77, v106, v133
	s_delay_alu instid0(VALU_DEP_2) | instskip(NEXT) | instid1(VALU_DEP_2)
	v_add_f32_e32 v22, v22, v76
	v_add3_u32 v19, v19, v75, v77
	v_mul_i32_i24_e32 v76, v105, v131
	s_delay_alu instid0(VALU_DEP_2) | instskip(NEXT) | instid1(VALU_DEP_1)
	v_add3_u32 v19, v19, v43, v45
	v_add3_u32 v19, v19, v76, v46
	s_delay_alu instid0(VALU_DEP_1) | instskip(NEXT) | instid1(VALU_DEP_1)
	v_add3_u32 v19, v19, v78, v79
	v_add3_u32 v19, v19, v80, v51
	s_delay_alu instid0(VALU_DEP_1) | instskip(NEXT) | instid1(VALU_DEP_1)
	;; [unrolled: 3-line block ×5, first 2 shown]
	v_add3_u32 v19, v19, v72, v73
	v_cvt_f32_i32_e32 v19, v19
	s_delay_alu instid0(VALU_DEP_1) | instskip(NEXT) | instid1(VALU_DEP_1)
	v_fma_mix_f32 v19, v20, v19, v20 op_sel:[0,0,1] op_sel_hi:[1,0,1]
	v_add_f32_e32 v21, v21, v19
	s_cbranch_scc1 .LBB120_10
; %bb.11:                               ;   in Loop: Header=BB120_6 Depth=1
	s_barrier
	buffer_gl0_inv
	s_branch .LBB120_5
.LBB120_12:
	s_clause 0x2
	scratch_load_b32 v1, off, off offset:232
	scratch_load_b32 v0, off, off offset:236
	;; [unrolled: 1-line block ×3, first 2 shown]
.LBB120_13:
	s_mov_b32 s0, exec_lo
	s_waitcnt vmcnt(0)
	v_cmpx_gt_u32_e64 s6, v4
	s_cbranch_execz .LBB120_64
; %bb.14:
	v_add_nc_u32_e32 v0, s12, v0
	v_mul_lo_u32 v5, v4, s10
	s_delay_alu instid0(VALU_DEP_2)
	v_cmp_gt_u32_e32 vcc_lo, s10, v0
	s_and_saveexec_b32 s1, vcc_lo
	s_cbranch_execz .LBB120_16
; %bb.15:
	s_delay_alu instid0(VALU_DEP_2) | instskip(NEXT) | instid1(VALU_DEP_1)
	v_dual_mov_b32 v3, 0 :: v_dual_add_nc_u32 v2, v0, v5
	v_lshlrev_b64 v[2:3], 2, v[2:3]
	s_waitcnt lgkmcnt(0)
	s_delay_alu instid0(VALU_DEP_1) | instskip(NEXT) | instid1(VALU_DEP_1)
	v_add_co_u32 v2, s0, s8, v2
	v_add_co_ci_u32_e64 v3, s0, s9, v3, s0
	global_store_b32 v[2:3], v35, off
.LBB120_16:
	s_or_b32 exec_lo, exec_lo, s1
	v_add_nc_u32_e32 v2, 32, v0
	s_delay_alu instid0(VALU_DEP_1) | instskip(NEXT) | instid1(VALU_DEP_1)
	v_cmp_gt_u32_e64 s0, s10, v2
	s_and_saveexec_b32 s2, s0
	s_cbranch_execz .LBB120_18
; %bb.17:
	v_dual_mov_b32 v4, 0 :: v_dual_add_nc_u32 v3, v2, v5
	s_delay_alu instid0(VALU_DEP_1) | instskip(SKIP_1) | instid1(VALU_DEP_1)
	v_lshlrev_b64 v[3:4], 2, v[3:4]
	s_waitcnt lgkmcnt(0)
	v_add_co_u32 v3, s1, s8, v3
	s_delay_alu instid0(VALU_DEP_1)
	v_add_co_ci_u32_e64 v4, s1, s9, v4, s1
	global_store_b32 v[3:4], v74, off
.LBB120_18:
	s_or_b32 exec_lo, exec_lo, s2
	v_add_nc_u32_e32 v3, 64, v0
	s_delay_alu instid0(VALU_DEP_1) | instskip(NEXT) | instid1(VALU_DEP_1)
	v_cmp_gt_u32_e64 s1, s10, v3
	s_and_saveexec_b32 s3, s1
	s_cbranch_execz .LBB120_20
; %bb.19:
	v_dual_mov_b32 v7, 0 :: v_dual_add_nc_u32 v6, v3, v5
	s_delay_alu instid0(VALU_DEP_1) | instskip(SKIP_1) | instid1(VALU_DEP_1)
	v_lshlrev_b64 v[6:7], 2, v[6:7]
	s_waitcnt lgkmcnt(0)
	v_add_co_u32 v6, s2, s8, v6
	s_delay_alu instid0(VALU_DEP_1)
	v_add_co_ci_u32_e64 v7, s2, s9, v7, s2
	global_store_b32 v[6:7], v68, off
.LBB120_20:
	;; [unrolled: 16-line block ×3, first 2 shown]
	s_or_b32 exec_lo, exec_lo, s4
	v_add3_u32 v5, v1, s11, 8
	s_delay_alu instid0(VALU_DEP_1) | instskip(NEXT) | instid1(VALU_DEP_1)
	v_cmp_gt_u32_e64 s3, s6, v5
	s_and_b32 exec_lo, exec_lo, s3
	s_cbranch_execz .LBB120_64
; %bb.23:
	v_mul_lo_u32 v5, v5, s10
	s_and_saveexec_b32 s4, vcc_lo
	s_cbranch_execnz .LBB120_65
; %bb.24:
	s_or_b32 exec_lo, exec_lo, s4
	s_and_saveexec_b32 s4, s0
	s_cbranch_execnz .LBB120_66
.LBB120_25:
	s_or_b32 exec_lo, exec_lo, s4
	s_and_saveexec_b32 s4, s1
	s_cbranch_execnz .LBB120_67
.LBB120_26:
	s_or_b32 exec_lo, exec_lo, s4
	s_and_saveexec_b32 s4, s2
	s_cbranch_execz .LBB120_28
.LBB120_27:
	v_dual_mov_b32 v6, 0 :: v_dual_add_nc_u32 v5, v5, v4
	s_delay_alu instid0(VALU_DEP_1) | instskip(SKIP_1) | instid1(VALU_DEP_1)
	v_lshlrev_b64 v[5:6], 2, v[5:6]
	s_waitcnt lgkmcnt(0)
	v_add_co_u32 v5, s3, s8, v5
	s_delay_alu instid0(VALU_DEP_1)
	v_add_co_ci_u32_e64 v6, s3, s9, v6, s3
	global_store_b32 v[5:6], v61, off
.LBB120_28:
	s_or_b32 exec_lo, exec_lo, s4
	v_add3_u32 v5, v1, s11, 16
	s_delay_alu instid0(VALU_DEP_1) | instskip(NEXT) | instid1(VALU_DEP_1)
	v_cmp_gt_u32_e64 s3, s6, v5
	s_and_b32 exec_lo, exec_lo, s3
	s_cbranch_execz .LBB120_64
; %bb.29:
	v_mul_lo_u32 v5, v5, s10
	s_and_saveexec_b32 s4, vcc_lo
	s_cbranch_execnz .LBB120_68
; %bb.30:
	s_or_b32 exec_lo, exec_lo, s4
	s_and_saveexec_b32 s4, s0
	s_cbranch_execnz .LBB120_69
.LBB120_31:
	s_or_b32 exec_lo, exec_lo, s4
	s_and_saveexec_b32 s4, s1
	s_cbranch_execnz .LBB120_70
.LBB120_32:
	s_or_b32 exec_lo, exec_lo, s4
	s_and_saveexec_b32 s4, s2
	s_cbranch_execz .LBB120_34
.LBB120_33:
	v_dual_mov_b32 v6, 0 :: v_dual_add_nc_u32 v5, v5, v4
	s_delay_alu instid0(VALU_DEP_1) | instskip(SKIP_1) | instid1(VALU_DEP_1)
	v_lshlrev_b64 v[5:6], 2, v[5:6]
	s_waitcnt lgkmcnt(0)
	v_add_co_u32 v5, s3, s8, v5
	s_delay_alu instid0(VALU_DEP_1)
	v_add_co_ci_u32_e64 v6, s3, s9, v6, s3
	global_store_b32 v[5:6], v54, off
.LBB120_34:
	s_or_b32 exec_lo, exec_lo, s4
	v_add3_u32 v5, v1, s11, 24
	s_delay_alu instid0(VALU_DEP_1) | instskip(NEXT) | instid1(VALU_DEP_1)
	v_cmp_gt_u32_e64 s3, s6, v5
	s_and_b32 exec_lo, exec_lo, s3
	s_cbranch_execz .LBB120_64
; %bb.35:
	v_mul_lo_u32 v5, v5, s10
	s_and_saveexec_b32 s4, vcc_lo
	s_cbranch_execnz .LBB120_71
; %bb.36:
	s_or_b32 exec_lo, exec_lo, s4
	s_and_saveexec_b32 s4, s0
	s_cbranch_execnz .LBB120_72
.LBB120_37:
	s_or_b32 exec_lo, exec_lo, s4
	s_and_saveexec_b32 s4, s1
	s_cbranch_execnz .LBB120_73
.LBB120_38:
	s_or_b32 exec_lo, exec_lo, s4
	s_and_saveexec_b32 s4, s2
	s_cbranch_execz .LBB120_40
.LBB120_39:
	v_dual_mov_b32 v6, 0 :: v_dual_add_nc_u32 v5, v5, v4
	s_delay_alu instid0(VALU_DEP_1) | instskip(SKIP_1) | instid1(VALU_DEP_1)
	v_lshlrev_b64 v[5:6], 2, v[5:6]
	s_waitcnt lgkmcnt(0)
	v_add_co_u32 v5, s3, s8, v5
	s_delay_alu instid0(VALU_DEP_1)
	v_add_co_ci_u32_e64 v6, s3, s9, v6, s3
	global_store_b32 v[5:6], v40, off
.LBB120_40:
	s_or_b32 exec_lo, exec_lo, s4
	v_add3_u32 v5, v1, s11, 32
	s_delay_alu instid0(VALU_DEP_1) | instskip(NEXT) | instid1(VALU_DEP_1)
	v_cmp_gt_u32_e64 s3, s6, v5
	s_and_b32 exec_lo, exec_lo, s3
	s_cbranch_execz .LBB120_64
; %bb.41:
	v_mul_lo_u32 v5, v5, s10
	s_and_saveexec_b32 s4, vcc_lo
	s_cbranch_execnz .LBB120_74
; %bb.42:
	s_or_b32 exec_lo, exec_lo, s4
	s_and_saveexec_b32 s4, s0
	s_cbranch_execnz .LBB120_75
.LBB120_43:
	s_or_b32 exec_lo, exec_lo, s4
	s_and_saveexec_b32 s4, s1
	s_cbranch_execnz .LBB120_76
.LBB120_44:
	s_or_b32 exec_lo, exec_lo, s4
	s_and_saveexec_b32 s4, s2
	s_cbranch_execz .LBB120_46
.LBB120_45:
	v_dual_mov_b32 v6, 0 :: v_dual_add_nc_u32 v5, v5, v4
	s_delay_alu instid0(VALU_DEP_1) | instskip(SKIP_1) | instid1(VALU_DEP_1)
	v_lshlrev_b64 v[5:6], 2, v[5:6]
	s_waitcnt lgkmcnt(0)
	v_add_co_u32 v5, s3, s8, v5
	s_delay_alu instid0(VALU_DEP_1)
	v_add_co_ci_u32_e64 v6, s3, s9, v6, s3
	global_store_b32 v[5:6], v36, off
.LBB120_46:
	s_or_b32 exec_lo, exec_lo, s4
	v_add3_u32 v5, v1, s11, 40
	s_delay_alu instid0(VALU_DEP_1) | instskip(NEXT) | instid1(VALU_DEP_1)
	v_cmp_gt_u32_e64 s3, s6, v5
	s_and_b32 exec_lo, exec_lo, s3
	s_cbranch_execz .LBB120_64
; %bb.47:
	v_mul_lo_u32 v5, v5, s10
	s_and_saveexec_b32 s4, vcc_lo
	s_cbranch_execnz .LBB120_77
; %bb.48:
	s_or_b32 exec_lo, exec_lo, s4
	s_and_saveexec_b32 s4, s0
	s_cbranch_execnz .LBB120_78
.LBB120_49:
	s_or_b32 exec_lo, exec_lo, s4
	s_and_saveexec_b32 s4, s1
	s_cbranch_execnz .LBB120_79
.LBB120_50:
	s_or_b32 exec_lo, exec_lo, s4
	s_and_saveexec_b32 s4, s2
	s_cbranch_execz .LBB120_52
.LBB120_51:
	v_dual_mov_b32 v6, 0 :: v_dual_add_nc_u32 v5, v5, v4
	s_delay_alu instid0(VALU_DEP_1) | instskip(SKIP_1) | instid1(VALU_DEP_1)
	v_lshlrev_b64 v[5:6], 2, v[5:6]
	s_waitcnt lgkmcnt(0)
	v_add_co_u32 v5, s3, s8, v5
	s_delay_alu instid0(VALU_DEP_1)
	v_add_co_ci_u32_e64 v6, s3, s9, v6, s3
	global_store_b32 v[5:6], v29, off
.LBB120_52:
	s_or_b32 exec_lo, exec_lo, s4
	v_add3_u32 v5, v1, s11, 48
	s_delay_alu instid0(VALU_DEP_1) | instskip(NEXT) | instid1(VALU_DEP_1)
	v_cmp_gt_u32_e64 s3, s6, v5
	s_and_b32 exec_lo, exec_lo, s3
	s_cbranch_execz .LBB120_64
; %bb.53:
	v_mul_lo_u32 v5, v5, s10
	s_and_saveexec_b32 s4, vcc_lo
	s_cbranch_execnz .LBB120_80
; %bb.54:
	s_or_b32 exec_lo, exec_lo, s4
	s_and_saveexec_b32 s4, s0
	s_cbranch_execnz .LBB120_81
.LBB120_55:
	s_or_b32 exec_lo, exec_lo, s4
	s_and_saveexec_b32 s4, s1
	s_cbranch_execnz .LBB120_82
.LBB120_56:
	s_or_b32 exec_lo, exec_lo, s4
	s_and_saveexec_b32 s4, s2
	s_cbranch_execz .LBB120_58
.LBB120_57:
	v_dual_mov_b32 v6, 0 :: v_dual_add_nc_u32 v5, v5, v4
	s_delay_alu instid0(VALU_DEP_1) | instskip(SKIP_1) | instid1(VALU_DEP_1)
	v_lshlrev_b64 v[5:6], 2, v[5:6]
	s_waitcnt lgkmcnt(0)
	v_add_co_u32 v5, s3, s8, v5
	s_delay_alu instid0(VALU_DEP_1)
	v_add_co_ci_u32_e64 v6, s3, s9, v6, s3
	global_store_b32 v[5:6], v25, off
.LBB120_58:
	s_or_b32 exec_lo, exec_lo, s4
	v_add3_u32 v1, v1, s11, 56
	s_delay_alu instid0(VALU_DEP_1) | instskip(NEXT) | instid1(VALU_DEP_1)
	v_cmp_gt_u32_e64 s3, s6, v1
	s_and_b32 exec_lo, exec_lo, s3
	s_cbranch_execz .LBB120_64
; %bb.59:
	v_mul_lo_u32 v1, v1, s10
	s_and_saveexec_b32 s3, vcc_lo
	s_cbranch_execnz .LBB120_83
; %bb.60:
	s_or_b32 exec_lo, exec_lo, s3
	s_and_saveexec_b32 s3, s0
	s_cbranch_execnz .LBB120_84
.LBB120_61:
	s_or_b32 exec_lo, exec_lo, s3
	s_and_saveexec_b32 s0, s1
	s_cbranch_execnz .LBB120_85
.LBB120_62:
	s_or_b32 exec_lo, exec_lo, s0
	s_delay_alu instid0(SALU_CYCLE_1)
	s_and_b32 exec_lo, exec_lo, s2
	s_cbranch_execz .LBB120_64
.LBB120_63:
	v_dual_mov_b32 v1, 0 :: v_dual_add_nc_u32 v0, v1, v4
	s_delay_alu instid0(VALU_DEP_1) | instskip(SKIP_1) | instid1(VALU_DEP_1)
	v_lshlrev_b64 v[0:1], 2, v[0:1]
	s_waitcnt lgkmcnt(0)
	v_add_co_u32 v0, vcc_lo, s8, v0
	s_delay_alu instid0(VALU_DEP_2)
	v_add_co_ci_u32_e32 v1, vcc_lo, s9, v1, vcc_lo
	global_store_b32 v[0:1], v21, off
.LBB120_64:
	s_nop 0
	s_sendmsg sendmsg(MSG_DEALLOC_VGPRS)
	s_endpgm
.LBB120_65:
	s_delay_alu instid0(VALU_DEP_1) | instskip(NEXT) | instid1(VALU_DEP_1)
	v_dual_mov_b32 v7, 0 :: v_dual_add_nc_u32 v6, v5, v0
	v_lshlrev_b64 v[6:7], 2, v[6:7]
	s_waitcnt lgkmcnt(0)
	s_delay_alu instid0(VALU_DEP_1) | instskip(NEXT) | instid1(VALU_DEP_1)
	v_add_co_u32 v6, s3, s8, v6
	v_add_co_ci_u32_e64 v7, s3, s9, v7, s3
	global_store_b32 v[6:7], v65, off
	s_or_b32 exec_lo, exec_lo, s4
	s_and_saveexec_b32 s4, s0
	s_cbranch_execz .LBB120_25
.LBB120_66:
	s_delay_alu instid0(VALU_DEP_1) | instskip(NEXT) | instid1(VALU_DEP_1)
	v_dual_mov_b32 v7, 0 :: v_dual_add_nc_u32 v6, v5, v2
	v_lshlrev_b64 v[6:7], 2, v[6:7]
	s_waitcnt lgkmcnt(0)
	s_delay_alu instid0(VALU_DEP_1) | instskip(NEXT) | instid1(VALU_DEP_1)
	v_add_co_u32 v6, s3, s8, v6
	v_add_co_ci_u32_e64 v7, s3, s9, v7, s3
	global_store_b32 v[6:7], v64, off
	s_or_b32 exec_lo, exec_lo, s4
	s_and_saveexec_b32 s4, s1
	s_cbranch_execz .LBB120_26
.LBB120_67:
	v_dual_mov_b32 v7, 0 :: v_dual_add_nc_u32 v6, v5, v3
	s_delay_alu instid0(VALU_DEP_1) | instskip(SKIP_1) | instid1(VALU_DEP_1)
	v_lshlrev_b64 v[6:7], 2, v[6:7]
	s_waitcnt lgkmcnt(0)
	v_add_co_u32 v6, s3, s8, v6
	s_delay_alu instid0(VALU_DEP_1)
	v_add_co_ci_u32_e64 v7, s3, s9, v7, s3
	global_store_b32 v[6:7], v63, off
	s_or_b32 exec_lo, exec_lo, s4
	s_and_saveexec_b32 s4, s2
	s_cbranch_execnz .LBB120_27
	s_branch .LBB120_28
.LBB120_68:
	s_delay_alu instid0(VALU_DEP_1) | instskip(NEXT) | instid1(VALU_DEP_1)
	v_dual_mov_b32 v7, 0 :: v_dual_add_nc_u32 v6, v5, v0
	v_lshlrev_b64 v[6:7], 2, v[6:7]
	s_waitcnt lgkmcnt(0)
	s_delay_alu instid0(VALU_DEP_1) | instskip(NEXT) | instid1(VALU_DEP_1)
	v_add_co_u32 v6, s3, s8, v6
	v_add_co_ci_u32_e64 v7, s3, s9, v7, s3
	global_store_b32 v[6:7], v60, off
	s_or_b32 exec_lo, exec_lo, s4
	s_and_saveexec_b32 s4, s0
	s_cbranch_execz .LBB120_31
.LBB120_69:
	s_delay_alu instid0(VALU_DEP_1) | instskip(NEXT) | instid1(VALU_DEP_1)
	v_dual_mov_b32 v7, 0 :: v_dual_add_nc_u32 v6, v5, v2
	v_lshlrev_b64 v[6:7], 2, v[6:7]
	s_waitcnt lgkmcnt(0)
	s_delay_alu instid0(VALU_DEP_1) | instskip(NEXT) | instid1(VALU_DEP_1)
	v_add_co_u32 v6, s3, s8, v6
	v_add_co_ci_u32_e64 v7, s3, s9, v7, s3
	global_store_b32 v[6:7], v59, off
	s_or_b32 exec_lo, exec_lo, s4
	s_and_saveexec_b32 s4, s1
	s_cbranch_execz .LBB120_32
.LBB120_70:
	v_dual_mov_b32 v7, 0 :: v_dual_add_nc_u32 v6, v5, v3
	s_delay_alu instid0(VALU_DEP_1) | instskip(SKIP_1) | instid1(VALU_DEP_1)
	v_lshlrev_b64 v[6:7], 2, v[6:7]
	s_waitcnt lgkmcnt(0)
	v_add_co_u32 v6, s3, s8, v6
	s_delay_alu instid0(VALU_DEP_1)
	v_add_co_ci_u32_e64 v7, s3, s9, v7, s3
	global_store_b32 v[6:7], v56, off
	s_or_b32 exec_lo, exec_lo, s4
	s_and_saveexec_b32 s4, s2
	s_cbranch_execnz .LBB120_33
	s_branch .LBB120_34
.LBB120_71:
	s_delay_alu instid0(VALU_DEP_1) | instskip(NEXT) | instid1(VALU_DEP_1)
	v_dual_mov_b32 v7, 0 :: v_dual_add_nc_u32 v6, v5, v0
	v_lshlrev_b64 v[6:7], 2, v[6:7]
	s_waitcnt lgkmcnt(0)
	s_delay_alu instid0(VALU_DEP_1) | instskip(NEXT) | instid1(VALU_DEP_1)
	v_add_co_u32 v6, s3, s8, v6
	v_add_co_ci_u32_e64 v7, s3, s9, v7, s3
	global_store_b32 v[6:7], v48, off
	s_or_b32 exec_lo, exec_lo, s4
	s_and_saveexec_b32 s4, s0
	s_cbranch_execz .LBB120_37
.LBB120_72:
	s_delay_alu instid0(VALU_DEP_1) | instskip(NEXT) | instid1(VALU_DEP_1)
	v_dual_mov_b32 v7, 0 :: v_dual_add_nc_u32 v6, v5, v2
	v_lshlrev_b64 v[6:7], 2, v[6:7]
	s_waitcnt lgkmcnt(0)
	s_delay_alu instid0(VALU_DEP_1) | instskip(NEXT) | instid1(VALU_DEP_1)
	v_add_co_u32 v6, s3, s8, v6
	v_add_co_ci_u32_e64 v7, s3, s9, v7, s3
	global_store_b32 v[6:7], v44, off
	s_or_b32 exec_lo, exec_lo, s4
	s_and_saveexec_b32 s4, s1
	s_cbranch_execz .LBB120_38
.LBB120_73:
	v_dual_mov_b32 v7, 0 :: v_dual_add_nc_u32 v6, v5, v3
	s_delay_alu instid0(VALU_DEP_1) | instskip(SKIP_1) | instid1(VALU_DEP_1)
	v_lshlrev_b64 v[6:7], 2, v[6:7]
	s_waitcnt lgkmcnt(0)
	v_add_co_u32 v6, s3, s8, v6
	s_delay_alu instid0(VALU_DEP_1)
	v_add_co_ci_u32_e64 v7, s3, s9, v7, s3
	global_store_b32 v[6:7], v42, off
	s_or_b32 exec_lo, exec_lo, s4
	s_and_saveexec_b32 s4, s2
	s_cbranch_execnz .LBB120_39
	s_branch .LBB120_40
.LBB120_74:
	s_delay_alu instid0(VALU_DEP_1) | instskip(NEXT) | instid1(VALU_DEP_1)
	v_dual_mov_b32 v7, 0 :: v_dual_add_nc_u32 v6, v5, v0
	v_lshlrev_b64 v[6:7], 2, v[6:7]
	s_waitcnt lgkmcnt(0)
	s_delay_alu instid0(VALU_DEP_1) | instskip(NEXT) | instid1(VALU_DEP_1)
	v_add_co_u32 v6, s3, s8, v6
	v_add_co_ci_u32_e64 v7, s3, s9, v7, s3
	global_store_b32 v[6:7], v39, off
	s_or_b32 exec_lo, exec_lo, s4
	s_and_saveexec_b32 s4, s0
	s_cbranch_execz .LBB120_43
.LBB120_75:
	s_delay_alu instid0(VALU_DEP_1) | instskip(NEXT) | instid1(VALU_DEP_1)
	v_dual_mov_b32 v7, 0 :: v_dual_add_nc_u32 v6, v5, v2
	v_lshlrev_b64 v[6:7], 2, v[6:7]
	s_waitcnt lgkmcnt(0)
	s_delay_alu instid0(VALU_DEP_1) | instskip(NEXT) | instid1(VALU_DEP_1)
	v_add_co_u32 v6, s3, s8, v6
	v_add_co_ci_u32_e64 v7, s3, s9, v7, s3
	global_store_b32 v[6:7], v38, off
	s_or_b32 exec_lo, exec_lo, s4
	s_and_saveexec_b32 s4, s1
	s_cbranch_execz .LBB120_44
.LBB120_76:
	v_dual_mov_b32 v7, 0 :: v_dual_add_nc_u32 v6, v5, v3
	s_delay_alu instid0(VALU_DEP_1) | instskip(SKIP_1) | instid1(VALU_DEP_1)
	v_lshlrev_b64 v[6:7], 2, v[6:7]
	s_waitcnt lgkmcnt(0)
	v_add_co_u32 v6, s3, s8, v6
	s_delay_alu instid0(VALU_DEP_1)
	v_add_co_ci_u32_e64 v7, s3, s9, v7, s3
	global_store_b32 v[6:7], v37, off
	s_or_b32 exec_lo, exec_lo, s4
	s_and_saveexec_b32 s4, s2
	s_cbranch_execnz .LBB120_45
	s_branch .LBB120_46
.LBB120_77:
	s_delay_alu instid0(VALU_DEP_1) | instskip(NEXT) | instid1(VALU_DEP_1)
	v_dual_mov_b32 v7, 0 :: v_dual_add_nc_u32 v6, v5, v0
	v_lshlrev_b64 v[6:7], 2, v[6:7]
	s_waitcnt lgkmcnt(0)
	s_delay_alu instid0(VALU_DEP_1) | instskip(NEXT) | instid1(VALU_DEP_1)
	v_add_co_u32 v6, s3, s8, v6
	v_add_co_ci_u32_e64 v7, s3, s9, v7, s3
	global_store_b32 v[6:7], v34, off
	s_or_b32 exec_lo, exec_lo, s4
	s_and_saveexec_b32 s4, s0
	s_cbranch_execz .LBB120_49
.LBB120_78:
	s_delay_alu instid0(VALU_DEP_1) | instskip(NEXT) | instid1(VALU_DEP_1)
	v_dual_mov_b32 v7, 0 :: v_dual_add_nc_u32 v6, v5, v2
	v_lshlrev_b64 v[6:7], 2, v[6:7]
	s_waitcnt lgkmcnt(0)
	s_delay_alu instid0(VALU_DEP_1) | instskip(NEXT) | instid1(VALU_DEP_1)
	v_add_co_u32 v6, s3, s8, v6
	v_add_co_ci_u32_e64 v7, s3, s9, v7, s3
	global_store_b32 v[6:7], v31, off
	s_or_b32 exec_lo, exec_lo, s4
	s_and_saveexec_b32 s4, s1
	s_cbranch_execz .LBB120_50
.LBB120_79:
	v_dual_mov_b32 v7, 0 :: v_dual_add_nc_u32 v6, v5, v3
	s_delay_alu instid0(VALU_DEP_1) | instskip(SKIP_1) | instid1(VALU_DEP_1)
	v_lshlrev_b64 v[6:7], 2, v[6:7]
	s_waitcnt lgkmcnt(0)
	v_add_co_u32 v6, s3, s8, v6
	s_delay_alu instid0(VALU_DEP_1)
	v_add_co_ci_u32_e64 v7, s3, s9, v7, s3
	global_store_b32 v[6:7], v30, off
	s_or_b32 exec_lo, exec_lo, s4
	s_and_saveexec_b32 s4, s2
	s_cbranch_execnz .LBB120_51
	s_branch .LBB120_52
.LBB120_80:
	s_delay_alu instid0(VALU_DEP_1) | instskip(NEXT) | instid1(VALU_DEP_1)
	v_dual_mov_b32 v7, 0 :: v_dual_add_nc_u32 v6, v5, v0
	v_lshlrev_b64 v[6:7], 2, v[6:7]
	s_waitcnt lgkmcnt(0)
	s_delay_alu instid0(VALU_DEP_1) | instskip(NEXT) | instid1(VALU_DEP_1)
	v_add_co_u32 v6, s3, s8, v6
	v_add_co_ci_u32_e64 v7, s3, s9, v7, s3
	global_store_b32 v[6:7], v28, off
	s_or_b32 exec_lo, exec_lo, s4
	s_and_saveexec_b32 s4, s0
	s_cbranch_execz .LBB120_55
.LBB120_81:
	s_delay_alu instid0(VALU_DEP_1) | instskip(NEXT) | instid1(VALU_DEP_1)
	v_dual_mov_b32 v7, 0 :: v_dual_add_nc_u32 v6, v5, v2
	v_lshlrev_b64 v[6:7], 2, v[6:7]
	s_waitcnt lgkmcnt(0)
	s_delay_alu instid0(VALU_DEP_1) | instskip(NEXT) | instid1(VALU_DEP_1)
	v_add_co_u32 v6, s3, s8, v6
	v_add_co_ci_u32_e64 v7, s3, s9, v7, s3
	global_store_b32 v[6:7], v27, off
	s_or_b32 exec_lo, exec_lo, s4
	s_and_saveexec_b32 s4, s1
	s_cbranch_execz .LBB120_56
.LBB120_82:
	v_dual_mov_b32 v7, 0 :: v_dual_add_nc_u32 v6, v5, v3
	s_delay_alu instid0(VALU_DEP_1) | instskip(SKIP_1) | instid1(VALU_DEP_1)
	v_lshlrev_b64 v[6:7], 2, v[6:7]
	s_waitcnt lgkmcnt(0)
	v_add_co_u32 v6, s3, s8, v6
	s_delay_alu instid0(VALU_DEP_1)
	v_add_co_ci_u32_e64 v7, s3, s9, v7, s3
	global_store_b32 v[6:7], v26, off
	s_or_b32 exec_lo, exec_lo, s4
	s_and_saveexec_b32 s4, s2
	s_cbranch_execnz .LBB120_57
	s_branch .LBB120_58
.LBB120_83:
	s_delay_alu instid0(VALU_DEP_1) | instskip(NEXT) | instid1(VALU_DEP_1)
	v_dual_mov_b32 v6, 0 :: v_dual_add_nc_u32 v5, v1, v0
	v_lshlrev_b64 v[5:6], 2, v[5:6]
	s_waitcnt lgkmcnt(0)
	s_delay_alu instid0(VALU_DEP_1) | instskip(NEXT) | instid1(VALU_DEP_2)
	v_add_co_u32 v5, vcc_lo, s8, v5
	v_add_co_ci_u32_e32 v6, vcc_lo, s9, v6, vcc_lo
	global_store_b32 v[5:6], v24, off
	s_or_b32 exec_lo, exec_lo, s3
	s_and_saveexec_b32 s3, s0
	s_cbranch_execz .LBB120_61
.LBB120_84:
	s_delay_alu instid0(VALU_DEP_1) | instskip(NEXT) | instid1(VALU_DEP_1)
	v_dual_mov_b32 v6, 0 :: v_dual_add_nc_u32 v5, v1, v2
	v_lshlrev_b64 v[5:6], 2, v[5:6]
	s_waitcnt lgkmcnt(0)
	s_delay_alu instid0(VALU_DEP_1) | instskip(NEXT) | instid1(VALU_DEP_2)
	v_add_co_u32 v5, vcc_lo, s8, v5
	v_add_co_ci_u32_e32 v6, vcc_lo, s9, v6, vcc_lo
	global_store_b32 v[5:6], v23, off
	s_or_b32 exec_lo, exec_lo, s3
	s_and_saveexec_b32 s0, s1
	s_cbranch_execz .LBB120_62
.LBB120_85:
	v_dual_mov_b32 v3, 0 :: v_dual_add_nc_u32 v2, v1, v3
	s_delay_alu instid0(VALU_DEP_1) | instskip(SKIP_1) | instid1(VALU_DEP_1)
	v_lshlrev_b64 v[2:3], 2, v[2:3]
	s_waitcnt lgkmcnt(0)
	v_add_co_u32 v2, vcc_lo, s8, v2
	s_delay_alu instid0(VALU_DEP_2) | instskip(SKIP_2) | instid1(SALU_CYCLE_1)
	v_add_co_ci_u32_e32 v3, vcc_lo, s9, v3, vcc_lo
	global_store_b32 v[2:3], v22, off
	s_or_b32 exec_lo, exec_lo, s0
	s_and_b32 exec_lo, exec_lo, s2
	s_cbranch_execnz .LBB120_63
	s_branch .LBB120_64
	.section	.rodata,"a",@progbits
	.p2align	6, 0x0
	.amdhsa_kernel _ZL12mul_mat_q4_1IfLb1EEvPKvS1_PT_iiiii
		.amdhsa_group_segment_fixed_size 30336
		.amdhsa_private_segment_fixed_size 248
		.amdhsa_kernarg_size 44
		.amdhsa_user_sgpr_count 14
		.amdhsa_user_sgpr_dispatch_ptr 0
		.amdhsa_user_sgpr_queue_ptr 0
		.amdhsa_user_sgpr_kernarg_segment_ptr 1
		.amdhsa_user_sgpr_dispatch_id 0
		.amdhsa_user_sgpr_private_segment_size 0
		.amdhsa_wavefront_size32 1
		.amdhsa_uses_dynamic_stack 0
		.amdhsa_enable_private_segment 1
		.amdhsa_system_sgpr_workgroup_id_x 1
		.amdhsa_system_sgpr_workgroup_id_y 1
		.amdhsa_system_sgpr_workgroup_id_z 0
		.amdhsa_system_sgpr_workgroup_info 0
		.amdhsa_system_vgpr_workitem_id 1
		.amdhsa_next_free_vgpr 256
		.amdhsa_next_free_sgpr 16
		.amdhsa_reserve_vcc 1
		.amdhsa_float_round_mode_32 0
		.amdhsa_float_round_mode_16_64 0
		.amdhsa_float_denorm_mode_32 3
		.amdhsa_float_denorm_mode_16_64 3
		.amdhsa_dx10_clamp 1
		.amdhsa_ieee_mode 1
		.amdhsa_fp16_overflow 0
		.amdhsa_workgroup_processor_mode 1
		.amdhsa_memory_ordered 1
		.amdhsa_forward_progress 0
		.amdhsa_shared_vgpr_count 0
		.amdhsa_exception_fp_ieee_invalid_op 0
		.amdhsa_exception_fp_denorm_src 0
		.amdhsa_exception_fp_ieee_div_zero 0
		.amdhsa_exception_fp_ieee_overflow 0
		.amdhsa_exception_fp_ieee_underflow 0
		.amdhsa_exception_fp_ieee_inexact 0
		.amdhsa_exception_int_div_zero 0
	.end_amdhsa_kernel
	.section	.text._ZL12mul_mat_q4_1IfLb1EEvPKvS1_PT_iiiii,"axG",@progbits,_ZL12mul_mat_q4_1IfLb1EEvPKvS1_PT_iiiii,comdat
.Lfunc_end120:
	.size	_ZL12mul_mat_q4_1IfLb1EEvPKvS1_PT_iiiii, .Lfunc_end120-_ZL12mul_mat_q4_1IfLb1EEvPKvS1_PT_iiiii
                                        ; -- End function
	.section	.AMDGPU.csdata,"",@progbits
; Kernel info:
; codeLenInByte = 32408
; NumSgprs: 18
; NumVgprs: 256
; ScratchSize: 248
; MemoryBound: 0
; FloatMode: 240
; IeeeMode: 1
; LDSByteSize: 30336 bytes/workgroup (compile time only)
; SGPRBlocks: 2
; VGPRBlocks: 31
; NumSGPRsForWavesPerEU: 18
; NumVGPRsForWavesPerEU: 256
; Occupancy: 5
; WaveLimiterHint : 0
; COMPUTE_PGM_RSRC2:SCRATCH_EN: 1
; COMPUTE_PGM_RSRC2:USER_SGPR: 14
; COMPUTE_PGM_RSRC2:TRAP_HANDLER: 0
; COMPUTE_PGM_RSRC2:TGID_X_EN: 1
; COMPUTE_PGM_RSRC2:TGID_Y_EN: 1
; COMPUTE_PGM_RSRC2:TGID_Z_EN: 0
; COMPUTE_PGM_RSRC2:TIDIG_COMP_CNT: 1
	.section	.text._ZL12mul_mat_q5_0IfLb0EEvPKvS1_PT_iiiii,"axG",@progbits,_ZL12mul_mat_q5_0IfLb0EEvPKvS1_PT_iiiii,comdat
	.globl	_ZL12mul_mat_q5_0IfLb0EEvPKvS1_PT_iiiii ; -- Begin function _ZL12mul_mat_q5_0IfLb0EEvPKvS1_PT_iiiii
	.p2align	8
	.type	_ZL12mul_mat_q5_0IfLb0EEvPKvS1_PT_iiiii,@function
_ZL12mul_mat_q5_0IfLb0EEvPKvS1_PT_iiiii: ; @_ZL12mul_mat_q5_0IfLb0EEvPKvS1_PT_iiiii
; %bb.0:
	s_clause 0x1
	s_load_b32 s11, s[0:1], 0x18
	s_load_b128 s[4:7], s[0:1], 0x20
	v_bfe_u32 v24, v0, 10, 10
	v_and_b32_e32 v25, 0x3ff, v0
	s_waitcnt lgkmcnt(0)
	s_lshl_b32 s7, s15, 6
	s_cmp_gt_i32 s11, 31
	s_cbranch_scc1 .LBB121_2
; %bb.1:
	v_bfe_u32 v1, v0, 10, 10
	v_and_b32_e32 v0, 0x3ff, v0
	s_mov_b32 s2, 0
	s_mov_b32 s3, 0
	s_delay_alu instid0(VALU_DEP_2)
	v_add_nc_u32_e32 v30, s7, v1
	s_branch .LBB121_3
.LBB121_2:
	s_mov_b32 s2, -1
                                        ; implicit-def: $sgpr3
                                        ; implicit-def: $vgpr1
                                        ; implicit-def: $vgpr0
                                        ; implicit-def: $vgpr30
.LBB121_3:
	s_load_b64 s[8:9], s[0:1], 0x10
	v_dual_mov_b32 v9, s3 :: v_dual_mov_b32 v32, s3
	v_dual_mov_b32 v13, s3 :: v_dual_mov_b32 v10, s3
	;; [unrolled: 1-line block ×14, first 2 shown]
	v_mov_b32_e32 v39, s3
	v_mov_b32_e32 v53, s3
	;; [unrolled: 1-line block ×4, first 2 shown]
	s_and_not1_b32 vcc_lo, exec_lo, s2
	s_lshl_b32 s10, s14, 7
	s_cbranch_vccnz .LBB121_13
; %bb.4:
	s_load_b128 s[0:3], s[0:1], 0x0
	s_ashr_i32 s12, s11, 31
	s_ashr_i32 s13, s5, 31
	s_lshr_b32 s12, s12, 27
	s_lshr_b32 s13, s13, 27
	s_add_i32 s14, s11, s12
	v_dual_mov_b32 v35, 0 :: v_dual_add_nc_u32 v30, s7, v24
	s_add_i32 s11, s5, s13
	s_ashr_i32 s5, s14, 5
	s_ashr_i32 s13, s11, 5
	s_mul_i32 s12, s5, s10
	v_dual_mov_b32 v31, 0 :: v_dual_add_nc_u32 v2, 8, v30
	v_dual_mov_b32 v39, 0 :: v_dual_add_nc_u32 v8, 24, v30
	;; [unrolled: 1-line block ×3, first 2 shown]
	s_mul_hi_i32 s15, s12, 22
	s_mul_i32 s12, s12, 22
	v_add_nc_u32_e32 v14, 48, v30
	s_waitcnt lgkmcnt(0)
	s_add_u32 s11, s0, s12
	s_addc_u32 s12, s1, s15
	s_add_i32 s0, s4, -1
	v_cvt_f64_u32_e32 v[0:1], v30
	v_cvt_f64_u32_e32 v[2:3], v2
	v_cvt_f64_i32_e32 v[6:7], s0
	v_cvt_f64_u32_e32 v[8:9], v8
	v_cvt_f64_u32_e32 v[10:11], v10
	v_cvt_f64_u32_e32 v[14:15], v14
	v_dual_mov_b32 v53, 0 :: v_dual_add_nc_u32 v4, 16, v30
	v_add_nc_u32_e32 v12, 40, v30
	v_add_nc_u32_e32 v16, 56, v30
	v_lshrrev_b32_e32 v42, 2, v25
	s_delay_alu instid0(VALU_DEP_4)
	v_cvt_f64_u32_e32 v[4:5], v4
	v_dual_mov_b32 v36, 0 :: v_dual_lshlrev_b32 v19, 3, v25
	v_cvt_f64_u32_e32 v[12:13], v12
	v_cvt_f64_u32_e32 v[16:17], v16
	v_lshrrev_b32_e32 v45, 3, v25
	v_and_b32_e32 v18, 3, v25
	v_dual_mov_b32 v43, 0 :: v_dual_and_b32 v44, 7, v25
	v_mad_u32_u24 v48, 0x104, v24, v19
	s_delay_alu instid0(VALU_DEP_4)
	v_lshl_add_u32 v19, v24, 2, v45
	v_lshl_add_u32 v26, v24, 3, v42
	v_mul_lo_u32 v47, s5, v24
	v_lshlrev_b32_e32 v23, 2, v44
	s_lshl_b32 s1, s5, 3
	v_add_nc_u32_e32 v28, 64, v19
	v_and_b32_e32 v26, 63, v26
	v_add_nc_u32_e32 v27, 32, v19
	v_mul_lo_u32 v71, s5, v19
	v_dual_mov_b32 v33, 0 :: v_dual_and_b32 v20, 31, v25
	v_add_nc_u32_e32 v49, s1, v47
	v_dual_mov_b32 v40, 0 :: v_dual_lshlrev_b32 v21, 2, v25
	v_dual_mov_b32 v41, 0 :: v_dual_lshlrev_b32 v22, 7, v24
	s_and_not1_b32 s14, s14, 31
	s_delay_alu instid0(VALU_DEP_2)
	v_and_b32_e32 v21, 28, v21
	v_add_nc_u32_e32 v83, s14, v71
	v_min_f64 v[0:1], v[0:1], v[6:7]
	v_min_f64 v[2:3], v[2:3], v[6:7]
	;; [unrolled: 1-line block ×5, first 2 shown]
	v_lshl_or_b32 v20, v20, 2, v22
	v_add_nc_u32_e32 v85, s14, v83
	v_add_nc_u32_e32 v50, 0x820, v48
	v_add_nc_u32_e32 v51, 0x1040, v48
	v_min_f64 v[4:5], v[4:5], v[6:7]
	v_add_nc_u32_e32 v73, 0x8200, v20
	v_add_nc_u32_e32 v75, 0x8600, v20
	v_min_f64 v[12:13], v[12:13], v[6:7]
	v_min_f64 v[6:7], v[16:17], v[6:7]
	v_and_b32_e32 v16, 0x7fc, v19
	v_lshlrev_b32_e32 v17, 5, v19
	v_add_nc_u32_e32 v19, 0x60, v19
	v_add_nc_u32_e32 v76, 0x8a00, v20
	v_add_nc_u32_e32 v77, 0x8e00, v20
	v_add_nc_u32_e32 v78, 0x9200, v20
	v_add_nc_u32_e32 v96, 0x9600, v20
	v_add_nc_u32_e32 v98, 0x9a00, v20
	v_add_nc_u32_e32 v100, 0x9e00, v20
	v_mov_b32_e32 v20, 0
	v_add_nc_u32_e32 v52, 0x1860, v48
	v_add_nc_u32_e32 v54, 0x2080, v48
	v_dual_mov_b32 v38, 0 :: v_dual_add_nc_u32 v57, 0x28a0, v48
	v_add_nc_u32_e32 v58, 0x30c0, v48
	v_add_nc_u32_e32 v59, 0x38e0, v48
	;; [unrolled: 1-line block ×9, first 2 shown]
	v_dual_mov_b32 v32, 0 :: v_dual_add_nc_u32 v69, 0x79e0, v48
	v_cvt_i32_f64_e32 v0, v[0:1]
	v_cvt_i32_f64_e32 v1, v[2:3]
	v_cvt_i32_f64_e32 v3, v[8:9]
	v_cvt_i32_f64_e32 v8, v[10:11]
	v_cvt_i32_f64_e32 v11, v[14:15]
	v_add3_u32 v10, v16, v23, 0xa200
	v_lshlrev_b32_e32 v14, 5, v28
	v_lshlrev_b32_e32 v15, 5, v19
	v_cvt_i32_f64_e32 v2, v[4:5]
	v_and_b32_e32 v5, 0xffc, v28
	v_and_b32_e32 v4, 0xffc, v27
	v_cvt_i32_f64_e32 v9, v[12:13]
	v_cvt_i32_f64_e32 v12, v[6:7]
	v_or_b32_e32 v7, s7, v26
	v_lshlrev_b32_e32 v13, 5, v27
	v_and_b32_e32 v6, 0xffc, v19
	v_add_nc_u32_e32 v88, s14, v85
	v_mul_u32_u24_e32 v101, 0x104, v25
	v_add_nc_u32_e32 v107, 0x8200, v22
	v_lshl_add_u32 v108, v24, 4, 0xb280
	v_add_nc_u32_e32 v114, v10, v17
	v_mov_b32_e32 v28, 0
	v_mov_b32_e32 v22, 0
	v_dual_mov_b32 v10, 0 :: v_dual_mov_b32 v27, 0
	v_mov_b32_e32 v17, 0
	v_dual_mov_b32 v37, 0 :: v_dual_mov_b32 v34, 0
	v_mul_lo_u32 v90, s13, v0
	v_mul_lo_u32 v91, s13, v1
	v_add_nc_u32_e32 v0, 0x60, v25
	v_add_nc_u32_e32 v1, 64, v25
	v_mul_lo_u32 v97, s13, v11
	v_dual_mov_b32 v11, 0 :: v_dual_lshlrev_b32 v46, 2, v18
	v_mul_lo_u32 v93, s13, v3
	v_mul_lo_u32 v92, s13, v2
	v_add_nc_u32_e32 v2, 32, v25
	v_mul_lo_u32 v94, s13, v8
	v_lshl_or_b32 v16, v26, 4, v46
	v_add3_u32 v26, v5, v23, 0xa200
	v_lshlrev_b32_e32 v3, 5, v25
	v_and_b32_e32 v0, 0x1fc, v0
	v_and_b32_e32 v1, 0x1fc, v1
	v_dual_mov_b32 v16, 0 :: v_dual_add_nc_u32 v87, 0xb280, v16
	v_add_nc_u32_e32 v55, s1, v49
	v_add_nc_u32_e32 v116, v26, v14
	v_mov_b32_e32 v26, 0
	v_add3_u32 v19, v4, v23, 0xa200
	v_mov_b32_e32 v14, 0
	v_add_nc_u32_e32 v56, s1, v55
	v_add_co_u32 v4, s15, s2, v21
	s_delay_alu instid0(VALU_DEP_4) | instskip(NEXT) | instid1(VALU_DEP_3)
	v_add_nc_u32_e32 v115, v19, v13
	v_dual_mov_b32 v13, 0 :: v_dual_add_nc_u32 v60, s1, v56
	v_min_i32_e32 v21, s0, v7
	v_add3_u32 v23, v6, v23, 0xa200
	v_and_b32_e32 v8, 0xfc, v25
	v_add_nc_u32_e32 v0, v3, v0
	v_add_nc_u32_e32 v65, s1, v60
	v_mad_u64_u32 v[6:7], null, v21, s13, v[18:19]
	v_and_b32_e32 v7, 0x1fc, v2
	v_add_nc_u32_e32 v1, v3, v1
	s_delay_alu instid0(VALU_DEP_4)
	v_add_nc_u32_e32 v70, s1, v65
	v_mul_lo_u32 v95, s13, v9
	v_mul_lo_u32 v99, s13, v12
	v_add_nc_u32_e32 v7, v3, v7
	v_add_nc_u32_e32 v3, v3, v8
	;; [unrolled: 1-line block ×3, first 2 shown]
	s_movk_i32 s0, 0x80
	v_add_co_ci_u32_e64 v5, null, s3, 0, s15
	v_lshrrev_b32_e32 v102, 3, v2
	s_delay_alu instid0(VALU_DEP_3)
	v_add_nc_u32_e32 v74, s1, v72
	v_add_nc_u32_e32 v103, 0xae00, v0
	;; [unrolled: 1-line block ×11, first 2 shown]
	v_mad_u32_u24 v113, 0x104, v25, s0
	v_dual_mov_b32 v12, 0 :: v_dual_add_nc_u32 v117, v23, v15
	v_mov_b32_e32 v23, 0
	s_delay_alu instid0(VALU_DEP_4) | instskip(SKIP_2) | instid1(VALU_DEP_3)
	v_add_nc_u32_e32 v81, s1, v80
	v_mov_b32_e32 v19, 0
	v_dual_mov_b32 v15, 0 :: v_dual_mov_b32 v18, 0
	v_dual_mov_b32 v21, 0 :: v_dual_add_nc_u32 v82, s1, v81
	v_mov_b32_e32 v9, 0
	s_mov_b32 s13, 0
	s_delay_alu instid0(VALU_DEP_2) | instskip(NEXT) | instid1(VALU_DEP_1)
	v_add_nc_u32_e32 v84, s1, v82
	v_add_nc_u32_e32 v86, s1, v84
	s_delay_alu instid0(VALU_DEP_1)
	v_add_nc_u32_e32 v89, s1, v86
	s_branch .LBB121_6
.LBB121_5:                              ;   in Loop: Header=BB121_6 Depth=1
	s_add_i32 s13, s13, 8
	s_delay_alu instid0(SALU_CYCLE_1)
	s_cmp_ge_i32 s13, s5
	s_cbranch_scc1 .LBB121_12
.LBB121_6:                              ; =>This Loop Header: Depth=1
                                        ;     Child Loop BB121_7 Depth 2
                                        ;     Child Loop BB121_10 Depth 2
	s_mul_i32 s0, s13, 22
	s_mul_hi_u32 s1, s13, 22
	s_add_u32 s0, s11, s0
	s_addc_u32 s1, s12, s1
	s_delay_alu instid0(SALU_CYCLE_1) | instskip(NEXT) | instid1(VALU_DEP_1)
	v_mad_u64_u32 v[0:1], null, v42, 22, s[0:1]
	v_mad_u64_u32 v[2:3], null, v47, 22, v[0:1]
	v_mad_u64_u32 v[118:119], null, v55, 22, v[0:1]
	v_mad_u64_u32 v[120:121], null, v56, 22, v[0:1]
	v_mad_u64_u32 v[7:8], null, v49, 22, v[0:1]
	s_delay_alu instid0(VALU_DEP_4)
	v_add_co_u32 v122, vcc_lo, v2, v46
	v_add_co_ci_u32_e32 v123, vcc_lo, 0, v3, vcc_lo
	v_add_co_u32 v124, vcc_lo, v118, v46
	v_add_co_ci_u32_e32 v125, vcc_lo, 0, v119, vcc_lo
	;; [unrolled: 2-line block ×4, first 2 shown]
	s_clause 0x7
	global_load_b32 v127, v[126:127], off offset:6
	global_load_b32 v128, v[120:121], off offset:2
	global_load_b32 v129, v[124:125], off offset:6
	global_load_b32 v130, v[118:119], off offset:2
	global_load_b32 v131, v[131:132], off offset:6
	global_load_b32 v132, v[7:8], off offset:2
	global_load_b32 v133, v[122:123], off offset:6
	global_load_b32 v134, v[2:3], off offset:2
	v_mad_u64_u32 v[2:3], null, v60, 22, v[0:1]
	v_mad_u64_u32 v[7:8], null, v65, 22, v[0:1]
	;; [unrolled: 1-line block ×4, first 2 shown]
	s_delay_alu instid0(VALU_DEP_4)
	v_add_co_u32 v135, vcc_lo, v2, v46
	v_add_co_ci_u32_e32 v136, vcc_lo, 0, v3, vcc_lo
	v_add_co_u32 v137, vcc_lo, v7, v46
	v_add_co_ci_u32_e32 v138, vcc_lo, 0, v8, vcc_lo
	s_clause 0x5
	global_load_b32 v123, v[120:121], off offset:2
	global_load_b32 v125, v[118:119], off offset:2
	;; [unrolled: 1-line block ×6, first 2 shown]
	v_add_co_u32 v2, vcc_lo, v118, v46
	v_add_co_ci_u32_e32 v3, vcc_lo, 0, v119, vcc_lo
	v_add_co_u32 v7, vcc_lo, v120, v46
	v_add_co_ci_u32_e32 v8, vcc_lo, 0, v121, vcc_lo
	s_clause 0x1
	global_load_b32 v124, v[2:3], off offset:6
	global_load_b32 v7, v[7:8], off offset:6
	v_mad_u64_u32 v[135:136], null, v74, 22, v[0:1]
	v_mad_u64_u32 v[118:119], null, v80, 22, v[0:1]
	v_mad_u64_u32 v[137:138], null, v81, 22, v[0:1]
	v_mad_u64_u32 v[120:121], null, v79, 22, v[0:1]
	s_delay_alu instid0(VALU_DEP_4)
	v_add_co_u32 v139, vcc_lo, v135, v46
	v_add_co_ci_u32_e32 v140, vcc_lo, 0, v136, vcc_lo
	v_add_co_u32 v141, vcc_lo, v118, v46
	v_add_co_ci_u32_e32 v142, vcc_lo, 0, v119, vcc_lo
	;; [unrolled: 2-line block ×4, first 2 shown]
	s_clause 0x7
	global_load_b32 v2, v[2:3], off offset:6
	global_load_b32 v3, v[137:138], off offset:2
	;; [unrolled: 1-line block ×8, first 2 shown]
	s_waitcnt vmcnt(23)
	v_and_b32_e32 v138, 0xf0f0f0f, v127
	s_waitcnt vmcnt(22)
	v_ashrrev_i32_e32 v128, v46, v128
	s_waitcnt vmcnt(21)
	v_and_b32_e32 v137, 0xf0f0f0f, v129
	s_waitcnt vmcnt(20)
	v_ashrrev_i32_e32 v130, v46, v130
	;; [unrolled: 4-line block ×3, first 2 shown]
	v_lshlrev_b32_e32 v165, 4, v128
	s_waitcnt vmcnt(16)
	v_ashrrev_i32_e32 v134, v46, v134
	v_lshlrev_b32_e32 v158, 4, v130
	v_lshlrev_b32_e32 v159, 11, v130
	v_lshrrev_b32_e32 v155, 12, v132
	v_lshrrev_b32_e32 v156, 5, v132
	v_lshlrev_b32_e32 v144, 4, v134
	v_lshrrev_b32_e32 v148, 12, v134
	v_lshrrev_b32_e32 v149, 5, v134
	v_lshlrev_b32_e32 v150, 2, v134
	v_lshlrev_b32_e32 v157, 2, v132
	;; [unrolled: 1-line block ×4, first 2 shown]
	v_lshrrev_b32_e32 v162, 12, v130
	v_lshrrev_b32_e32 v163, 5, v130
	s_waitcnt vmcnt(13)
	v_ashrrev_i32_e32 v142, v46, v145
	s_waitcnt vmcnt(12)
	v_ashrrev_i32_e32 v139, v46, v146
	s_waitcnt vmcnt(11)
	v_and_b32_e32 v140, 0xf0f0f0f, v147
	v_lshrrev_b32_e32 v141, 4, v147
	v_lshlrev_b32_e32 v145, 11, v134
	v_lshlrev_b32_e32 v146, 18, v134
	;; [unrolled: 1-line block ×7, first 2 shown]
	v_and_b32_e32 v135, 0xf0f0f0f, v133
	v_lshrrev_b32_e32 v131, 4, v131
	v_lshrrev_b32_e32 v129, 4, v129
	v_lshlrev_b32_e32 v151, 4, v132
	v_lshlrev_b32_e32 v152, 11, v132
	;; [unrolled: 1-line block ×6, first 2 shown]
	v_and_b32_e32 v144, 16, v144
	v_and_b32_e32 v145, 0x1000, v145
	;; [unrolled: 1-line block ×21, first 2 shown]
	v_lshrrev_b32_e32 v133, 4, v133
	v_lshlrev_b32_e32 v134, 9, v134
	v_and_b32_e32 v131, 0xf0f0f0f, v131
	v_and_b32_e32 v129, 0xf0f0f0f, v129
	;; [unrolled: 1-line block ×8, first 2 shown]
	v_or3_b32 v144, v144, v135, v145
	v_or3_b32 v135, v135, v146, v147
	;; [unrolled: 1-line block ×9, first 2 shown]
	v_and_b32_e32 v133, 0xf0f0f0f, v133
	v_and_b32_e32 v134, 0x10000000, v134
	v_or3_b32 v146, v151, v136, v152
	v_or3_b32 v136, v136, v153, v154
	;; [unrolled: 1-line block ×3, first 2 shown]
	v_lshrrev_b32_e32 v132, 16, v137
	v_or3_b32 v129, v149, v130, v129
	v_lshrrev_b32_e32 v130, 16, v138
	v_lshrrev_b32_e32 v176, 12, v139
	;; [unrolled: 1-line block ×3, first 2 shown]
	v_lshlrev_b32_e32 v178, 2, v139
	v_lshlrev_b32_e32 v179, 4, v142
	;; [unrolled: 1-line block ×5, first 2 shown]
	v_lshrrev_b32_e32 v135, 16, v135
	v_or3_b32 v133, v145, v134, v133
	v_lshrrev_b32_e32 v134, 16, v136
	v_and_b32_e32 v136, 0x1f00, v146
	v_lshlrev_b16 v145, 8, v146
	v_lshlrev_b16 v146, 8, v148
	;; [unrolled: 1-line block ×3, first 2 shown]
	v_and_b32_e32 v157, 0x1f00, v132
	v_lshlrev_b16 v132, 8, v132
	v_and_b32_e32 v160, 0x1f00, v130
	v_lshlrev_b16 v130, 8, v130
	v_lshrrev_b32_e32 v169, 12, v128
	v_lshrrev_b32_e32 v170, 5, v128
	v_lshlrev_b32_e32 v171, 2, v128
	v_lshlrev_b32_e32 v172, 4, v139
	;; [unrolled: 1-line block ×5, first 2 shown]
	s_waitcnt vmcnt(10)
	v_and_b32_e32 v143, 0xf0f0f0f, v126
	v_lshlrev_b32_e32 v139, 9, v139
	v_and_b32_e32 v176, 16, v176
	v_and_b32_e32 v177, 0x1000, v177
	;; [unrolled: 1-line block ×8, first 2 shown]
	v_lshlrev_b16 v144, 8, v144
	v_and_b32_e32 v138, 0x1f00, v150
	v_and_b32_e32 v150, 0x1f00, v135
	v_lshlrev_b16 v135, 8, v135
	v_add_nc_u16 v146, v146, 0xf000
	v_add_nc_u16 v147, v147, 0xf000
	;; [unrolled: 1-line block ×4, first 2 shown]
	v_lshrrev_b32_e32 v127, 4, v127
	v_lshlrev_b32_e32 v128, 9, v128
	v_and_b32_e32 v169, 16, v169
	v_and_b32_e32 v170, 0x1000, v170
	;; [unrolled: 1-line block ×9, first 2 shown]
	v_or3_b32 v153, v177, v176, v178
	v_or3_b32 v154, v179, v143, v180
	;; [unrolled: 1-line block ×3, first 2 shown]
	v_and_b32_e32 v137, 0x1f00, v148
	v_add_nc_u16 v144, v144, 0xf000
	v_add_nc_u16 v135, v135, 0xf000
	v_lshrrev_b16 v146, 8, v146
	v_lshrrev_b16 v147, 8, v147
	;; [unrolled: 1-line block ×4, first 2 shown]
	v_and_b32_e32 v127, 0xf0f0f0f, v127
	v_and_b32_e32 v128, 0x10000000, v128
	v_or3_b32 v151, v170, v169, v171
	v_or3_b32 v152, v172, v140, v173
	;; [unrolled: 1-line block ×4, first 2 shown]
	v_lshrrev_b32_e32 v141, 16, v143
	v_lshrrev_b16 v144, 8, v144
	v_lshrrev_b16 v135, 8, v135
	v_or_b32_e32 v137, v137, v146
	v_or_b32_e32 v138, v138, v147
	;; [unrolled: 1-line block ×4, first 2 shown]
	v_or3_b32 v127, v151, v128, v127
	v_lshrrev_b32_e32 v128, 16, v140
	v_lshlrev_b16 v148, 8, v152
	v_and_b32_e32 v153, 0x1f00, v134
	v_lshlrev_b16 v134, 8, v134
	v_and_b32_e32 v140, 0x1f00, v152
	v_lshlrev_b16 v149, 8, v154
	v_lshrrev_b32_e32 v151, 16, v133
	v_and_b32_e32 v152, 0x1f00, v133
	v_lshlrev_b16 v133, 8, v133
	v_lshlrev_b16 v166, 8, v141
	v_or_b32_e32 v144, v155, v144
	v_or_b32_e32 v135, v150, v135
	v_add_nc_u16 v137, v137, 0xf000
	v_add_nc_u16 v138, v138, 0xf000
	;; [unrolled: 1-line block ×4, first 2 shown]
	v_and_b32_e32 v143, 0x1f00, v154
	v_add_nc_u16 v145, v145, 0xf000
	v_lshrrev_b32_e32 v154, 16, v131
	v_and_b32_e32 v156, 0x1f00, v131
	v_lshlrev_b16 v131, 8, v131
	v_lshrrev_b32_e32 v158, 16, v129
	v_and_b32_e32 v159, 0x1f00, v129
	v_lshlrev_b16 v129, 8, v129
	;; [unrolled: 3-line block ×3, first 2 shown]
	v_add_nc_u16 v148, v148, 0xf000
	v_and_b32_e32 v163, 0x1f00, v128
	v_lshlrev_b16 v128, 8, v128
	v_lshrrev_b32_e32 v164, 16, v139
	v_and_b32_e32 v165, 0x1f00, v139
	v_lshlrev_b16 v139, 8, v139
	v_add_nc_u16 v134, v134, 0xf000
	v_add_nc_u16 v149, v149, 0xf000
	v_add_nc_i16 v133, v133, 0xf000 clamp
	v_and_b32_e32 v167, 0xffffff00, v151
	v_lshlrev_b16 v151, 8, v151
	v_add_nc_u16 v166, v166, 0xf000
	v_add_nc_u16 v144, v144, 0xf000
	;; [unrolled: 1-line block ×3, first 2 shown]
	v_and_b32_e32 v137, 0xffff, v137
	v_and_b32_e32 v138, 0xffff, v138
	v_lshlrev_b32_e32 v132, 16, v132
	v_lshlrev_b32_e32 v130, 16, v130
	v_lshrrev_b16 v145, 8, v145
	v_add_nc_i16 v131, v131, 0xf000 clamp
	v_and_b32_e32 v168, 0xffffff00, v154
	v_lshlrev_b16 v154, 8, v154
	v_add_nc_i16 v129, v129, 0xf000 clamp
	v_and_b32_e32 v169, 0xffffff00, v158
	v_lshlrev_b16 v158, 8, v158
	;; [unrolled: 3-line block ×3, first 2 shown]
	v_lshrrev_b16 v148, 8, v148
	v_add_nc_u16 v128, v128, 0xf000
	v_add_nc_i16 v139, v139, 0xf000 clamp
	v_and_b32_e32 v171, 0xffffff00, v164
	v_lshlrev_b16 v164, 8, v164
	v_lshrrev_b16 v134, 8, v134
	v_lshrrev_b16 v149, 8, v149
	;; [unrolled: 1-line block ×3, first 2 shown]
	v_add_nc_i16 v155, v167, 0xf000 clamp
	v_add_nc_i16 v151, v151, 0xf000 clamp
	v_and_b32_e32 v144, 0xffff, v144
	v_lshlrev_b32_e32 v135, 16, v135
	v_or_b32_e32 v132, v137, v132
	v_or_b32_e32 v130, v138, v130
	v_and_b32_e32 v137, 0x1f00, v141
	v_lshrrev_b16 v138, 8, v166
	v_or_b32_e32 v136, v136, v145
	v_lshrrev_b16 v131, 8, v131
	v_add_nc_i16 v145, v168, 0xf000 clamp
	v_add_nc_i16 v154, v154, 0xf000 clamp
	v_lshrrev_b16 v129, 8, v129
	v_add_nc_i16 v146, v169, 0xf000 clamp
	v_add_nc_i16 v158, v158, 0xf000 clamp
	;; [unrolled: 3-line block ×3, first 2 shown]
	v_or_b32_e32 v140, v140, v148
	v_lshrrev_b16 v128, 8, v128
	v_lshrrev_b16 v139, 8, v139
	v_add_nc_i16 v148, v171, 0xf000 clamp
	v_add_nc_i16 v164, v164, 0xf000 clamp
	v_or_b32_e32 v134, v153, v134
	v_or_b32_e32 v133, v152, v133
	v_and_b32_e32 v150, 0xffffff00, v155
	v_lshrrev_b16 v151, 8, v151
	v_or_b32_e32 v135, v144, v135
	v_or_b32_e32 v141, v143, v149
	v_lshrrev_b32_e32 v143, 12, v142
	v_lshrrev_b32_e32 v144, 5, v142
	v_or_b32_e32 v137, v137, v138
	v_lshlrev_b32_e32 v138, 2, v142
	v_or_b32_e32 v131, v156, v131
	v_and_b32_e32 v145, 0xffffff00, v145
	v_lshrrev_b16 v152, 8, v154
	v_or_b32_e32 v129, v159, v129
	v_and_b32_e32 v146, 0xffffff00, v146
	v_lshrrev_b16 v153, 8, v158
	;; [unrolled: 3-line block ×3, first 2 shown]
	v_add_nc_u16 v136, v136, 0xf000
	v_or_b32_e32 v128, v163, v128
	v_or_b32_e32 v139, v165, v139
	v_and_b32_e32 v148, 0xffffff00, v148
	v_lshrrev_b16 v155, 8, v164
	v_add_nc_u16 v134, v134, 0xf000
	v_add_nc_u16 v133, v133, 0xf000
	v_or_b32_e32 v150, v151, v150
	v_lshrrev_b32_e32 v126, 4, v126
	v_and_b32_e32 v143, 16, v143
	v_and_b32_e32 v144, 0x1000, v144
	v_lshlrev_b32_e32 v142, 9, v142
	v_and_b32_e32 v138, 0x100000, v138
	v_add_nc_u16 v131, v131, 0xf000
	v_or_b32_e32 v145, v152, v145
	v_add_nc_u16 v129, v129, 0xf000
	v_or_b32_e32 v146, v153, v146
	v_add_nc_u16 v127, v127, 0xf000
	v_or_b32_e32 v147, v154, v147
	v_add_nc_u16 v140, v140, 0xf000
	v_and_b32_e32 v136, 0xffff, v136
	v_add_nc_u16 v128, v128, 0xf000
	v_add_nc_u16 v139, v139, 0xf000
	v_or_b32_e32 v148, v155, v148
	v_lshlrev_b32_e32 v134, 16, v134
	v_and_b32_e32 v133, 0xffff, v133
	v_lshlrev_b32_e32 v150, 16, v150
	v_and_b32_e32 v126, 0xf0f0f0f, v126
	v_and_b32_e32 v142, 0x10000000, v142
	v_or3_b32 v138, v144, v143, v138
	v_and_b32_e32 v131, 0xffff, v131
	v_lshlrev_b32_e32 v145, 16, v145
	v_and_b32_e32 v129, 0xffff, v129
	v_lshlrev_b32_e32 v146, 16, v146
	;; [unrolled: 2-line block ×4, first 2 shown]
	v_or_b32_e32 v134, v136, v134
	v_and_b32_e32 v136, 0xffff, v139
	v_lshlrev_b32_e32 v139, 16, v148
	v_or_b32_e32 v133, v133, v150
	v_or3_b32 v126, v138, v142, v126
	v_ashrrev_i32_e32 v125, v46, v125
	v_or_b32_e32 v131, v131, v145
	v_or_b32_e32 v129, v129, v146
	v_or_b32_e32 v127, v127, v147
	v_or_b32_e32 v128, v140, v128
	v_or_b32_e32 v136, v136, v139
	ds_store_2addr_b32 v48, v135, v133 offset1:1
	ds_store_2addr_b32 v50, v134, v131 offset1:1
	;; [unrolled: 1-line block ×5, first 2 shown]
	v_lshlrev_b16 v127, 8, v126
	v_lshrrev_b32_e32 v128, 16, v126
	v_lshlrev_b32_e32 v130, 4, v125
	v_lshlrev_b32_e32 v131, 11, v125
	;; [unrolled: 1-line block ×4, first 2 shown]
	v_add_nc_i16 v127, v127, 0xf000 clamp
	v_and_b32_e32 v129, 0xffffff00, v128
	s_waitcnt vmcnt(9)
	v_and_b32_e32 v134, 0xf0f0f0f, v124
	v_and_b32_e32 v130, 16, v130
	v_and_b32_e32 v131, 0x1000, v131
	v_and_b32_e32 v132, 0x100000, v132
	v_and_b32_e32 v133, 0x10000000, v133
	v_and_b32_e32 v126, 0x1f00, v126
	v_lshlrev_b16 v128, 8, v128
	v_lshrrev_b16 v127, 8, v127
	v_add_nc_i16 v129, v129, 0xf000 clamp
	v_or3_b32 v130, v130, v134, v131
	v_or3_b32 v131, v134, v132, v133
	v_lshrrev_b32_e32 v132, 12, v125
	v_lshrrev_b32_e32 v133, 5, v125
	v_lshlrev_b32_e32 v134, 2, v125
	v_add_nc_i16 v128, v128, 0xf000 clamp
	v_or_b32_e32 v126, v126, v127
	v_and_b32_e32 v127, 0xffffff00, v129
	v_lshlrev_b16 v129, 8, v130
	v_lshrrev_b32_e32 v124, 4, v124
	v_and_b32_e32 v132, 16, v132
	v_and_b32_e32 v133, 0x1000, v133
	v_lshlrev_b32_e32 v125, 9, v125
	v_and_b32_e32 v134, 0x100000, v134
	v_lshrrev_b32_e32 v131, 16, v131
	v_lshrrev_b16 v128, 8, v128
	v_add_nc_u16 v129, v129, 0xf000
	v_and_b32_e32 v124, 0xf0f0f0f, v124
	v_and_b32_e32 v125, 0x10000000, v125
	v_or3_b32 v132, v133, v132, v134
	v_lshlrev_b16 v135, 8, v131
	v_and_b32_e32 v130, 0x1f00, v130
	v_lshrrev_b16 v129, 8, v129
	v_add_nc_u16 v126, v126, 0xf000
	v_or_b32_e32 v127, v128, v127
	v_or3_b32 v124, v132, v125, v124
	v_add_nc_u16 v133, v135, 0xf000
	v_or_b32_e32 v128, v130, v129
	v_and_b32_e32 v126, 0xffff, v126
	v_lshlrev_b32_e32 v127, 16, v127
	v_lshlrev_b16 v130, 8, v124
	v_and_b32_e32 v125, 0x1f00, v131
	v_lshrrev_b16 v129, 8, v133
	v_add_nc_u16 v141, v141, 0xf000
	v_or_b32_e32 v138, v126, v127
	v_add_nc_i16 v126, v130, 0xf000 clamp
	v_add_nc_u16 v137, v137, 0xf000
	v_or_b32_e32 v125, v125, v129
	v_lshrrev_b32_e32 v129, 16, v124
	v_and_b32_e32 v124, 0x1f00, v124
	v_lshrrev_b16 v126, 8, v126
	v_ashrrev_i32_e32 v140, v46, v123
	v_add_nc_u16 v125, v125, 0xf000
	v_and_b32_e32 v127, 0xffffff00, v129
	v_and_b32_e32 v139, 0xffff, v141
	v_lshlrev_b32_e32 v137, 16, v137
	v_add_nc_u16 v128, v128, 0xf000
	v_or_b32_e32 v142, v124, v126
	v_lshlrev_b32_e32 v124, 4, v140
	v_lshlrev_b32_e32 v126, 11, v140
	;; [unrolled: 1-line block ×3, first 2 shown]
	v_add_nc_i16 v123, v127, 0xf000 clamp
	v_lshlrev_b16 v125, 8, v129
	v_or_b32_e32 v137, v139, v137
	v_and_b32_e32 v139, 0xffff, v128
	s_waitcnt vmcnt(8)
	v_and_b32_e32 v144, 0xf0f0f0f, v7
	v_and_b32_e32 v124, 16, v124
	;; [unrolled: 1-line block ×3, first 2 shown]
	v_lshlrev_b32_e32 v128, 18, v140
	v_and_b32_e32 v143, 0xffffff00, v123
	v_add_nc_i16 v123, v125, 0xf000 clamp
	v_mad_u64_u32 v[125:126], null, v82, 22, v[0:1]
	v_lshlrev_b32_e32 v129, 25, v140
	v_or3_b32 v146, v124, v144, v127
	v_and_b32_e32 v147, 0x100000, v128
	v_mad_u64_u32 v[127:128], null, v86, 22, v[0:1]
	v_lshrrev_b16 v145, 8, v123
	v_mad_u64_u32 v[123:124], null, v89, 22, v[0:1]
	v_and_b32_e32 v148, 0x10000000, v129
	v_add_co_u32 v129, vcc_lo, v125, v46
	v_add_co_ci_u32_e32 v130, vcc_lo, 0, v126, vcc_lo
	v_mad_u64_u32 v[131:132], null, v84, 22, v[0:1]
	v_add_co_u32 v133, vcc_lo, v127, v46
	v_add_co_ci_u32_e32 v134, vcc_lo, 0, v128, vcc_lo
	v_add_co_u32 v0, vcc_lo, v123, v46
	v_add_co_ci_u32_e32 v1, vcc_lo, 0, v124, vcc_lo
	;; [unrolled: 2-line block ×3, first 2 shown]
	s_clause 0x7
	global_load_b32 v0, v[0:1], off offset:6
	global_load_b32 v1, v[123:124], off offset:2
	;; [unrolled: 1-line block ×8, first 2 shown]
	v_lshlrev_b16 v125, 8, v146
	v_or3_b32 v128, v144, v147, v148
	v_lshrrev_b32_e32 v131, 12, v140
	v_lshrrev_b32_e32 v132, 5, v140
	v_lshlrev_b32_e32 v134, 2, v140
	v_add_nc_u16 v125, v125, 0xf000
	v_lshrrev_b32_e32 v128, 16, v128
	v_add_nc_u16 v126, v142, 0xf000
	v_or_b32_e32 v127, v145, v143
	v_and_b32_e32 v130, 0x1f00, v146
	v_lshrrev_b16 v125, 8, v125
	v_lshlrev_b16 v133, 8, v128
	v_lshrrev_b32_e32 v7, 4, v7
	v_and_b32_e32 v131, 16, v131
	v_and_b32_e32 v132, 0x1000, v132
	v_lshlrev_b32_e32 v135, 9, v140
	v_and_b32_e32 v134, 0x100000, v134
	v_and_b32_e32 v126, 0xffff, v126
	v_lshlrev_b32_e32 v127, 16, v127
	v_or_b32_e32 v125, v130, v125
	v_add_nc_u16 v130, v133, 0xf000
	v_and_b32_e32 v7, 0xf0f0f0f, v7
	v_and_b32_e32 v133, 0x10000000, v135
	v_or3_b32 v131, v132, v131, v134
	v_or_b32_e32 v129, v139, v141
	v_and_b32_e32 v128, 0x1f00, v128
	v_lshrrev_b16 v130, 8, v130
	v_or_b32_e32 v126, v126, v127
	v_or3_b32 v7, v131, v133, v7
	s_waitcnt vmcnt(8)
	v_ashrrev_i32_e32 v122, v46, v122
	ds_store_2addr_b32 v57, v137, v138 offset1:1
	v_or_b32_e32 v127, v128, v130
	ds_store_2addr_b32 v58, v129, v126 offset1:1
	v_lshlrev_b16 v126, 8, v7
	v_lshlrev_b32_e32 v130, 18, v122
	v_lshlrev_b32_e32 v131, 25, v122
	v_lshrrev_b32_e32 v128, 16, v7
	v_lshlrev_b32_e32 v129, 4, v122
	v_add_nc_i16 v126, v126, 0xf000 clamp
	v_lshlrev_b32_e32 v132, 11, v122
	v_and_b32_e32 v133, 0xf0f0f0f, v121
	v_and_b32_e32 v130, 0x100000, v130
	;; [unrolled: 1-line block ×7, first 2 shown]
	v_lshlrev_b16 v128, 8, v128
	v_lshrrev_b16 v126, 8, v126
	v_or3_b32 v130, v133, v130, v131
	v_or3_b32 v129, v129, v133, v132
	v_add_nc_i16 v131, v134, 0xf000 clamp
	v_add_nc_i16 v128, v128, 0xf000 clamp
	v_or_b32_e32 v7, v7, v126
	v_lshrrev_b32_e32 v126, 16, v130
	v_lshlrev_b16 v130, 8, v129
	v_and_b32_e32 v131, 0xffffff00, v131
	v_lshrrev_b16 v128, 8, v128
	v_lshrrev_b32_e32 v133, 5, v122
	v_lshlrev_b16 v132, 8, v126
	v_add_nc_u16 v130, v130, 0xf000
	v_lshlrev_b32_e32 v134, 2, v122
	v_or_b32_e32 v128, v128, v131
	v_and_b32_e32 v129, 0x1f00, v129
	v_add_nc_u16 v131, v132, 0xf000
	v_lshrrev_b32_e32 v132, 12, v122
	v_lshrrev_b16 v130, 8, v130
	v_and_b32_e32 v126, 0x1f00, v126
	v_lshrrev_b32_e32 v121, 4, v121
	v_lshrrev_b16 v131, 8, v131
	v_and_b32_e32 v132, 16, v132
	v_and_b32_e32 v133, 0x1000, v133
	v_lshlrev_b32_e32 v122, 9, v122
	v_and_b32_e32 v134, 0x100000, v134
	v_add_nc_u16 v125, v125, 0xf000
	v_add_nc_u16 v127, v127, 0xf000
	;; [unrolled: 1-line block ×3, first 2 shown]
	v_or_b32_e32 v129, v129, v130
	v_or_b32_e32 v126, v126, v131
	v_and_b32_e32 v121, 0xf0f0f0f, v121
	v_and_b32_e32 v122, 0x10000000, v122
	v_or3_b32 v130, v133, v132, v134
	v_and_b32_e32 v125, 0xffff, v125
	v_lshlrev_b32_e32 v127, 16, v127
	v_add_nc_u16 v129, v129, 0xf000
	v_add_nc_u16 v126, v126, 0xf000
	v_and_b32_e32 v7, 0xffff, v7
	v_lshlrev_b32_e32 v128, 16, v128
	v_or3_b32 v121, v130, v122, v121
	v_ashrrev_i32_e32 v120, v46, v120
	v_and_b32_e32 v122, 0xffff, v129
	v_lshlrev_b32_e32 v126, 16, v126
	v_or_b32_e32 v125, v125, v127
	v_or_b32_e32 v127, v7, v128
	v_lshlrev_b16 v7, 8, v121
	v_lshrrev_b32_e32 v128, 16, v121
	v_lshlrev_b32_e32 v129, 4, v120
	v_lshlrev_b32_e32 v130, 11, v120
	v_or_b32_e32 v122, v122, v126
	v_add_nc_i16 v7, v7, 0xf000 clamp
	v_and_b32_e32 v126, 0xffffff00, v128
	v_lshlrev_b32_e32 v131, 18, v120
	v_lshlrev_b32_e32 v132, 25, v120
	v_and_b32_e32 v133, 0xf0f0f0f, v119
	v_and_b32_e32 v129, 16, v129
	;; [unrolled: 1-line block ×6, first 2 shown]
	v_lshrrev_b16 v7, 8, v7
	v_add_nc_i16 v126, v126, 0xf000 clamp
	v_or3_b32 v129, v129, v133, v130
	v_lshlrev_b16 v128, 8, v128
	v_or3_b32 v130, v133, v131, v132
	v_or_b32_e32 v7, v121, v7
	v_and_b32_e32 v121, 0xffffff00, v126
	v_lshlrev_b16 v126, 8, v129
	v_lshrrev_b32_e32 v131, 12, v120
	v_lshrrev_b32_e32 v132, 5, v120
	v_lshlrev_b32_e32 v133, 2, v120
	v_add_nc_i16 v128, v128, 0xf000 clamp
	v_add_nc_u16 v126, v126, 0xf000
	v_lshrrev_b32_e32 v119, 4, v119
	v_and_b32_e32 v131, 16, v131
	v_and_b32_e32 v132, 0x1000, v132
	v_lshlrev_b32_e32 v120, 9, v120
	v_and_b32_e32 v133, 0x100000, v133
	v_lshrrev_b16 v128, 8, v128
	v_lshrrev_b32_e32 v130, 16, v130
	v_and_b32_e32 v129, 0x1f00, v129
	v_lshrrev_b16 v126, 8, v126
	v_and_b32_e32 v119, 0xf0f0f0f, v119
	v_and_b32_e32 v120, 0x10000000, v120
	v_or3_b32 v131, v132, v131, v133
	v_add_nc_u16 v7, v7, 0xf000
	v_lshlrev_b16 v132, 8, v130
	v_or_b32_e32 v121, v128, v121
	v_or_b32_e32 v126, v129, v126
	v_or3_b32 v119, v131, v120, v119
	v_and_b32_e32 v7, 0xffff, v7
	v_add_nc_u16 v120, v132, 0xf000
	v_lshlrev_b32_e32 v121, 16, v121
	v_add_nc_u16 v126, v126, 0xf000
	v_lshlrev_b16 v128, 8, v119
	v_ashrrev_i32_e32 v118, v46, v118
	v_and_b32_e32 v129, 0x1f00, v130
	v_lshrrev_b16 v120, 8, v120
	v_or_b32_e32 v121, v7, v121
	v_and_b32_e32 v7, 0xffff, v126
	v_add_nc_i16 v126, v128, 0xf000 clamp
	v_lshrrev_b32_e32 v128, 16, v119
	v_lshlrev_b32_e32 v130, 18, v118
	v_lshlrev_b32_e32 v131, 25, v118
	v_or_b32_e32 v120, v129, v120
	v_and_b32_e32 v134, 0xf0f0f0f, v8
	v_and_b32_e32 v129, 0xffffff00, v128
	v_lshlrev_b16 v128, 8, v128
	v_and_b32_e32 v130, 0x100000, v130
	v_and_b32_e32 v131, 0x10000000, v131
	v_lshlrev_b32_e32 v132, 4, v118
	v_lshlrev_b32_e32 v133, 11, v118
	v_add_nc_i16 v129, v129, 0xf000 clamp
	v_add_nc_i16 v128, v128, 0xf000 clamp
	v_or3_b32 v130, v134, v130, v131
	v_and_b32_e32 v119, 0x1f00, v119
	v_lshrrev_b16 v126, 8, v126
	v_and_b32_e32 v132, 16, v132
	v_and_b32_e32 v133, 0x1000, v133
	;; [unrolled: 1-line block ×3, first 2 shown]
	v_lshrrev_b16 v128, 8, v128
	v_lshrrev_b32_e32 v130, 16, v130
	v_or_b32_e32 v119, v119, v126
	v_or3_b32 v126, v132, v134, v133
	v_add_nc_u16 v120, v120, 0xf000
	v_or_b32_e32 v128, v128, v129
	v_lshlrev_b16 v129, 8, v130
	v_add_nc_u16 v119, v119, 0xf000
	v_lshlrev_b16 v131, 8, v126
	v_lshlrev_b32_e32 v120, 16, v120
	v_lshlrev_b32_e32 v128, 16, v128
	v_add_nc_u16 v129, v129, 0xf000
	v_and_b32_e32 v119, 0xffff, v119
	v_add_nc_u16 v131, v131, 0xf000
	v_or_b32_e32 v120, v7, v120
	v_and_b32_e32 v7, 0x1f00, v130
	v_lshrrev_b16 v129, 8, v129
	v_and_b32_e32 v126, 0x1f00, v126
	v_lshrrev_b16 v131, 8, v131
	v_or_b32_e32 v119, v119, v128
	v_lshrrev_b32_e32 v128, 12, v118
	v_lshrrev_b32_e32 v130, 5, v118
	v_or_b32_e32 v7, v7, v129
	v_lshlrev_b32_e32 v129, 2, v118
	v_or_b32_e32 v126, v126, v131
	v_lshrrev_b32_e32 v8, 4, v8
	v_and_b32_e32 v128, 16, v128
	v_and_b32_e32 v130, 0x1000, v130
	v_and_b32_e32 v129, 0x100000, v129
	v_add_nc_u16 v7, v7, 0xf000
	v_lshlrev_b32_e32 v118, 9, v118
	v_add_nc_u16 v126, v126, 0xf000
	v_and_b32_e32 v131, 0xf0f0f0f, v8
	v_or3_b32 v128, v130, v128, v129
	v_lshlrev_b32_e32 v129, 16, v7
	v_mad_u64_u32 v[7:8], null, v44, 22, s[0:1]
	v_and_b32_e32 v118, 0x10000000, v118
	v_and_b32_e32 v126, 0xffff, v126
	ds_store_2addr_b32 v59, v125, v127 offset1:1
	ds_store_2addr_b32 v61, v122, v121 offset1:1
	;; [unrolled: 1-line block ×3, first 2 shown]
	v_ashrrev_i32_e32 v3, v46, v3
	s_mov_b32 s0, -4
	v_or3_b32 v130, v128, v118, v131
	v_mad_u64_u32 v[118:119], null, v71, 22, v[7:8]
	v_mad_u64_u32 v[120:121], null, v83, 22, v[7:8]
	v_or_b32_e32 v137, v126, v129
	v_mad_u64_u32 v[125:126], null, v85, 22, v[7:8]
	v_add_nc_u32_e32 v131, s13, v45
	v_mad_u64_u32 v[127:128], null, v88, 22, v[7:8]
	s_clause 0x3
	global_load_u16 v141, v[118:119], off
	global_load_u16 v142, v[120:121], off
	;; [unrolled: 1-line block ×4, first 2 shown]
	v_add_nc_u32_e32 v122, v131, v90
	v_add_nc_u32_e32 v118, s13, v6
	;; [unrolled: 1-line block ×6, first 2 shown]
	v_lshrrev_b32_e32 v138, 16, v130
	v_and_b32_e32 v139, 0x1f00, v130
	v_lshlrev_b16 v140, 8, v130
	v_mad_i64_i32 v[7:8], null, v122, 36, v[4:5]
	v_mad_i64_i32 v[119:120], null, v121, 36, v[4:5]
	;; [unrolled: 1-line block ×5, first 2 shown]
	v_mad_u64_u32 v[129:130], null, v118, 36, s[2:3]
	v_add_nc_u32_e32 v133, v131, v95
	v_add_nc_u32_e32 v135, v131, v97
	;; [unrolled: 1-line block ×3, first 2 shown]
	s_delay_alu instid0(VALU_DEP_3) | instskip(NEXT) | instid1(VALU_DEP_3)
	v_mad_i64_i32 v[131:132], null, v133, 36, v[4:5]
	v_mad_i64_i32 v[133:134], null, v135, 36, v[4:5]
	s_delay_alu instid0(VALU_DEP_3)
	v_mad_i64_i32 v[135:136], null, v145, 36, v[4:5]
	s_clause 0x8
	global_load_b32 v129, v[129:130], off
	global_load_b32 v7, v[7:8], off offset:4
	global_load_b32 v8, v[119:120], off offset:4
	;; [unrolled: 1-line block ×8, first 2 shown]
	v_lshlrev_b32_e32 v131, 4, v3
	v_lshlrev_b32_e32 v132, 11, v3
	;; [unrolled: 1-line block ×4, first 2 shown]
	v_add_nc_i16 v127, v140, 0xf000 clamp
	v_and_b32_e32 v135, 0xf0f0f0f, v2
	v_and_b32_e32 v131, 16, v131
	;; [unrolled: 1-line block ×5, first 2 shown]
	v_lshrrev_b16 v127, 8, v127
	v_lshlrev_b32_e32 v136, 2, v3
	v_or3_b32 v131, v131, v135, v132
	v_and_b32_e32 v128, 0xffffff00, v138
	v_or3_b32 v132, v135, v133, v134
	v_lshrrev_b32_e32 v134, 12, v3
	v_lshrrev_b32_e32 v135, 5, v3
	v_lshlrev_b16 v130, 8, v138
	v_or_b32_e32 v127, v139, v127
	v_lshlrev_b16 v133, 8, v131
	v_lshrrev_b32_e32 v132, 16, v132
	v_lshrrev_b32_e32 v2, 4, v2
	v_and_b32_e32 v134, 16, v134
	v_and_b32_e32 v135, 0x1000, v135
	v_lshlrev_b32_e32 v3, 9, v3
	v_and_b32_e32 v136, 0x100000, v136
	v_add_nc_i16 v128, v128, 0xf000 clamp
	v_add_nc_i16 v130, v130, 0xf000 clamp
	v_add_nc_u16 v133, v133, 0xf000
	v_and_b32_e32 v2, 0xf0f0f0f, v2
	v_and_b32_e32 v3, 0x10000000, v3
	v_or3_b32 v134, v135, v134, v136
	v_add_nc_u16 v127, v127, 0xf000
	v_lshlrev_b16 v135, 8, v132
	v_and_b32_e32 v128, 0xffffff00, v128
	v_lshrrev_b16 v130, 8, v130
	v_and_b32_e32 v131, 0x1f00, v131
	v_lshrrev_b16 v133, 8, v133
	v_or3_b32 v2, v134, v3, v2
	v_and_b32_e32 v3, 0xffff, v127
	v_add_nc_u16 v127, v135, 0xf000
	v_or_b32_e32 v128, v130, v128
	v_or_b32_e32 v130, v131, v133
	v_and_b32_e32 v132, 0x1f00, v132
	v_lshlrev_b16 v131, 8, v2
	v_lshrrev_b16 v127, 8, v127
	v_lshlrev_b32_e32 v128, 16, v128
	v_add_nc_u16 v130, v130, 0xf000
	s_delay_alu instid0(VALU_DEP_3) | instskip(NEXT) | instid1(VALU_DEP_3)
	v_or_b32_e32 v127, v132, v127
	v_or_b32_e32 v3, v3, v128
	s_delay_alu instid0(VALU_DEP_3)
	v_and_b32_e32 v128, 0xffff, v130
	v_add_nc_i16 v130, v131, 0xf000 clamp
	v_lshrrev_b32_e32 v131, 16, v2
	v_and_b32_e32 v2, 0x1f00, v2
	v_add_nc_u16 v127, v127, 0xf000
	ds_store_2addr_b32 v63, v137, v3 offset1:1
	v_lshrrev_b16 v130, 8, v130
	v_and_b32_e32 v133, 0xffffff00, v131
	s_waitcnt vmcnt(13)
	v_ashrrev_i32_e32 v132, v46, v152
	v_lshlrev_b16 v131, 8, v131
	v_and_b32_e32 v139, 0xf0f0f0f, v151
	v_or_b32_e32 v2, v2, v130
	v_add_nc_i16 v133, v133, 0xf000 clamp
	v_lshlrev_b32_e32 v135, 18, v132
	v_lshlrev_b32_e32 v136, 25, v132
	;; [unrolled: 1-line block ×4, first 2 shown]
	v_add_nc_i16 v131, v131, 0xf000 clamp
	v_and_b32_e32 v135, 0x100000, v135
	v_and_b32_e32 v136, 0x10000000, v136
	;; [unrolled: 1-line block ×5, first 2 shown]
	v_lshrrev_b16 v131, 8, v131
	v_or3_b32 v130, v139, v135, v136
	v_lshrrev_b32_e32 v136, 12, v132
	v_or3_b32 v134, v134, v139, v138
	v_lshrrev_b32_e32 v138, 5, v132
	v_or_b32_e32 v131, v131, v133
	v_lshrrev_b32_e32 v130, 16, v130
	v_lshlrev_b32_e32 v139, 2, v132
	v_lshlrev_b16 v135, 8, v134
	v_and_b32_e32 v134, 0x1f00, v134
	v_add_nc_u16 v2, v2, 0xf000
	v_lshlrev_b16 v133, 8, v130
	v_and_b32_e32 v130, 0x1f00, v130
	v_add_nc_u16 v135, v135, 0xf000
	v_lshlrev_b32_e32 v127, 16, v127
	v_lshrrev_b32_e32 v140, 4, v151
	v_add_nc_u16 v133, v133, 0xf000
	v_and_b32_e32 v136, 16, v136
	v_lshrrev_b16 v135, 8, v135
	v_and_b32_e32 v138, 0x1000, v138
	v_lshlrev_b32_e32 v132, 9, v132
	v_lshrrev_b16 v133, 8, v133
	v_and_b32_e32 v139, 0x100000, v139
	v_or_b32_e32 v134, v134, v135
	v_and_b32_e32 v2, 0xffff, v2
	v_lshlrev_b32_e32 v131, 16, v131
	v_or_b32_e32 v130, v130, v133
	v_and_b32_e32 v133, 0xf0f0f0f, v140
	v_and_b32_e32 v132, 0x10000000, v132
	v_or3_b32 v135, v138, v136, v139
	v_or_b32_e32 v127, v128, v127
	v_add_nc_u16 v128, v134, 0xf000
	v_add_nc_u16 v130, v130, 0xf000
	v_or_b32_e32 v2, v2, v131
	v_or3_b32 v131, v135, v132, v133
	v_and_b32_e32 v136, 0xf0f0f0f, v149
	v_and_b32_e32 v3, 0xffff, v128
	v_lshlrev_b32_e32 v128, 16, v130
	v_ashrrev_i32_e32 v130, v46, v150
	ds_store_2addr_b32 v64, v127, v2 offset1:1
	v_lshlrev_b16 v2, 8, v131
	v_lshrrev_b32_e32 v127, 16, v131
	v_or_b32_e32 v3, v3, v128
	v_lshlrev_b32_e32 v133, 18, v130
	v_lshlrev_b32_e32 v134, 25, v130
	v_and_b32_e32 v128, 0x1f00, v131
	v_add_nc_i16 v2, v2, 0xf000 clamp
	v_and_b32_e32 v131, 0xffffff00, v127
	v_lshlrev_b32_e32 v132, 4, v130
	v_lshlrev_b32_e32 v135, 11, v130
	v_and_b32_e32 v133, 0x100000, v133
	v_and_b32_e32 v134, 0x10000000, v134
	v_lshrrev_b16 v2, 8, v2
	v_and_b32_e32 v132, 16, v132
	v_and_b32_e32 v135, 0x1000, v135
	v_add_nc_i16 v131, v131, 0xf000 clamp
	v_or3_b32 v133, v136, v133, v134
	v_or_b32_e32 v2, v128, v2
	v_lshrrev_b32_e32 v134, 12, v130
	v_or3_b32 v132, v132, v136, v135
	v_and_b32_e32 v128, 0xffffff00, v131
	v_lshrrev_b32_e32 v131, 16, v133
	v_lshrrev_b32_e32 v135, 5, v130
	v_lshlrev_b32_e32 v137, 2, v130
	v_lshlrev_b16 v127, 8, v127
	v_and_b32_e32 v133, 0x1f00, v132
	v_lshlrev_b16 v132, 8, v132
	v_lshlrev_b16 v136, 8, v131
	v_lshrrev_b32_e32 v138, 4, v149
	v_and_b32_e32 v134, 16, v134
	v_and_b32_e32 v135, 0x1000, v135
	v_lshlrev_b32_e32 v130, 9, v130
	v_and_b32_e32 v137, 0x100000, v137
	v_add_nc_i16 v127, v127, 0xf000 clamp
	v_add_nc_u16 v132, v132, 0xf000
	v_add_nc_u16 v136, v136, 0xf000
	v_and_b32_e32 v138, 0xf0f0f0f, v138
	v_and_b32_e32 v130, 0x10000000, v130
	v_or3_b32 v134, v135, v134, v137
	v_lshrrev_b16 v132, 8, v132
	v_and_b32_e32 v131, 0x1f00, v131
	v_lshrrev_b16 v135, 8, v136
	v_lshrrev_b16 v127, 8, v127
	v_or3_b32 v130, v134, v130, v138
	v_or_b32_e32 v132, v133, v132
	v_add_nc_u16 v2, v2, 0xf000
	v_or_b32_e32 v131, v131, v135
	v_or_b32_e32 v127, v127, v128
	v_lshlrev_b16 v128, 8, v130
	v_add_nc_u16 v132, v132, 0xf000
	v_lshrrev_b32_e32 v133, 16, v130
	v_add_nc_u16 v131, v131, 0xf000
	v_and_b32_e32 v2, 0xffff, v2
	v_add_nc_i16 v128, v128, 0xf000 clamp
	v_lshlrev_b32_e32 v127, 16, v127
	v_and_b32_e32 v132, 0xffff, v132
	v_lshlrev_b32_e32 v131, 16, v131
	v_and_b32_e32 v130, 0x1f00, v130
	v_lshrrev_b16 v128, 8, v128
	v_and_b32_e32 v134, 0xffffff00, v133
	v_ashrrev_i32_e32 v124, v46, v124
	v_or_b32_e32 v2, v2, v127
	v_or_b32_e32 v127, v132, v131
	;; [unrolled: 1-line block ×3, first 2 shown]
	v_add_nc_i16 v130, v134, 0xf000 clamp
	v_lshlrev_b16 v131, 8, v133
	v_lshlrev_b32_e32 v132, 18, v124
	v_lshlrev_b32_e32 v133, 25, v124
	v_lshlrev_b32_e32 v134, 4, v124
	v_lshlrev_b32_e32 v135, 11, v124
	v_and_b32_e32 v136, 0xf0f0f0f, v123
	v_and_b32_e32 v132, 0x100000, v132
	;; [unrolled: 1-line block ×5, first 2 shown]
	v_lshrrev_b32_e32 v123, 4, v123
	v_add_nc_i16 v131, v131, 0xf000 clamp
	v_or3_b32 v132, v136, v132, v133
	v_and_b32_e32 v130, 0xffffff00, v130
	v_or3_b32 v133, v134, v136, v135
	v_lshrrev_b32_e32 v134, 12, v124
	v_lshrrev_b32_e32 v135, 5, v124
	v_lshlrev_b32_e32 v136, 2, v124
	v_lshrrev_b32_e32 v132, 16, v132
	v_lshlrev_b32_e32 v124, 9, v124
	v_and_b32_e32 v134, 16, v134
	v_and_b32_e32 v135, 0x1000, v135
	;; [unrolled: 1-line block ×3, first 2 shown]
	v_lshlrev_b16 v137, 8, v133
	v_lshlrev_b16 v138, 8, v132
	v_and_b32_e32 v123, 0xf0f0f0f, v123
	v_and_b32_e32 v124, 0x10000000, v124
	v_or3_b32 v134, v135, v134, v136
	v_add_nc_u16 v135, v137, 0xf000
	v_lshrrev_b16 v131, 8, v131
	v_add_nc_u16 v136, v138, 0xf000
	v_and_b32_e32 v133, 0x1f00, v133
	v_or3_b32 v123, v134, v124, v123
	v_lshrrev_b16 v124, 8, v135
	v_and_b32_e32 v132, 0x1f00, v132
	v_lshrrev_b16 v134, 8, v136
	v_or_b32_e32 v130, v131, v130
	v_lshlrev_b16 v131, 8, v123
	v_add_nc_u16 v128, v128, 0xf000
	v_or_b32_e32 v124, v133, v124
	v_or_b32_e32 v132, v132, v134
	v_lshrrev_b32_e32 v133, 16, v123
	v_add_nc_i16 v131, v131, 0xf000 clamp
	v_and_b32_e32 v128, 0xffff, v128
	v_lshlrev_b32_e32 v130, 16, v130
	v_add_nc_u16 v124, v124, 0xf000
	v_add_nc_u16 v132, v132, 0xf000
	v_and_b32_e32 v123, 0x1f00, v123
	v_lshrrev_b16 v131, 8, v131
	v_and_b32_e32 v134, 0xffffff00, v133
	v_or_b32_e32 v128, v128, v130
	v_and_b32_e32 v124, 0xffff, v124
	v_lshlrev_b32_e32 v130, 16, v132
	v_or_b32_e32 v123, v123, v131
	v_add_nc_i16 v131, v134, 0xf000 clamp
	v_ashrrev_i32_e32 v1, v46, v1
	v_lshlrev_b16 v132, 8, v133
	v_or_b32_e32 v124, v124, v130
	v_and_b32_e32 v135, 0xf0f0f0f, v0
	v_and_b32_e32 v130, 0xffffff00, v131
	v_lshlrev_b32_e32 v131, 4, v1
	v_lshlrev_b32_e32 v133, 11, v1
	;; [unrolled: 1-line block ×4, first 2 shown]
	v_lshrrev_b32_e32 v137, 12, v1
	v_lshrrev_b32_e32 v138, 5, v1
	v_lshlrev_b32_e32 v139, 2, v1
	v_and_b32_e32 v131, 16, v131
	v_and_b32_e32 v133, 0x1000, v133
	;; [unrolled: 1-line block ×4, first 2 shown]
	v_lshrrev_b32_e32 v0, 4, v0
	v_and_b32_e32 v137, 16, v137
	v_and_b32_e32 v138, 0x1000, v138
	v_lshlrev_b32_e32 v1, 9, v1
	v_and_b32_e32 v139, 0x100000, v139
	v_add_nc_i16 v132, v132, 0xf000 clamp
	v_or3_b32 v131, v131, v135, v133
	v_or3_b32 v133, v135, v134, v136
	v_and_b32_e32 v0, 0xf0f0f0f, v0
	v_and_b32_e32 v1, 0x10000000, v1
	v_or3_b32 v134, v138, v137, v139
	v_lshrrev_b16 v132, 8, v132
	v_lshlrev_b16 v135, 8, v131
	v_lshrrev_b32_e32 v133, 16, v133
	v_and_b32_e32 v131, 0x1f00, v131
	v_or3_b32 v0, v134, v1, v0
	v_or_b32_e32 v1, v132, v130
	v_add_nc_u16 v130, v135, 0xf000
	v_lshlrev_b16 v132, 8, v133
	v_and_b32_e32 v133, 0x1f00, v133
	v_lshlrev_b16 v134, 8, v0
	v_lshrrev_b32_e32 v135, 16, v0
	v_lshrrev_b16 v130, 8, v130
	v_add_nc_u16 v132, v132, 0xf000
	v_and_b32_e32 v0, 0x1f00, v0
	v_add_nc_i16 v134, v134, 0xf000 clamp
	v_and_b32_e32 v136, 0xffffff00, v135
	v_lshlrev_b16 v135, 8, v135
	v_lshrrev_b16 v132, 8, v132
	v_add_nc_u16 v123, v123, 0xf000
	v_lshrrev_b16 v134, 8, v134
	v_add_nc_i16 v136, v136, 0xf000 clamp
	v_add_nc_i16 v135, v135, 0xf000 clamp
	v_or_b32_e32 v130, v131, v130
	v_or_b32_e32 v131, v133, v132
	;; [unrolled: 1-line block ×3, first 2 shown]
	v_and_b32_e32 v132, 0xffffff00, v136
	v_lshrrev_b16 v133, 8, v135
	v_and_b32_e32 v123, 0xffff, v123
	v_lshlrev_b32_e32 v1, 16, v1
	v_add_nc_u16 v130, v130, 0xf000
	v_add_nc_u16 v131, v131, 0xf000
	;; [unrolled: 1-line block ×3, first 2 shown]
	v_or_b32_e32 v132, v133, v132
	v_or_b32_e32 v1, v123, v1
	v_and_b32_e32 v123, 0xffff, v130
	v_lshlrev_b32_e32 v130, 16, v131
	v_and_b32_e32 v0, 0xffff, v0
	v_lshlrev_b32_e32 v131, 16, v132
	ds_store_2addr_b32 v66, v3, v2 offset1:1
	ds_store_2addr_b32 v67, v127, v128 offset1:1
	;; [unrolled: 1-line block ×3, first 2 shown]
	s_waitcnt vmcnt(12)
	v_cvt_f32_f16_e64 v2, v141
	v_or_b32_e32 v1, v123, v130
	s_waitcnt vmcnt(11)
	v_cvt_f32_f16_e64 v3, v142
	v_or_b32_e32 v0, v0, v131
	s_waitcnt vmcnt(10)
	v_cvt_f32_f16_e64 v123, v143
	s_waitcnt vmcnt(9)
	v_cvt_f32_f16_e64 v124, v144
	ds_store_2addr_b32 v69, v1, v0 offset1:1
	ds_store_b32 v114, v2
	ds_store_b32 v115, v3
	;; [unrolled: 1-line block ×4, first 2 shown]
	v_mov_b32_e32 v124, v104
	s_waitcnt vmcnt(8)
	v_cvt_f32_f16_e64 v0, v129
	s_waitcnt vmcnt(6)
	ds_store_b32 v75, v8
	s_waitcnt vmcnt(5)
	ds_store_b32 v76, v119
	;; [unrolled: 2-line block ×7, first 2 shown]
	ds_store_b32 v73, v7
	ds_store_b32 v87, v0
	v_dual_mov_b32 v119, v108 :: v_dual_mov_b32 v120, v107
	v_dual_mov_b32 v121, v101 :: v_dual_mov_b32 v122, v106
	v_mov_b32_e32 v123, v105
	v_mov_b32_e32 v125, v103
	s_waitcnt lgkmcnt(0)
	s_barrier
	buffer_gl0_inv
.LBB121_7:                              ;   Parent Loop BB121_6 Depth=1
                                        ; =>  This Inner Loop Header: Depth=2
	ds_load_2addr_b32 v[7:8], v121 offset1:1
	ds_load_b128 v[0:3], v120
	ds_load_b128 v[126:129], v120 offset:16
	ds_load_2addr_b32 v[158:159], v121 offset0:2 offset1:3
	v_add_nc_u32_e32 v131, 0x2080, v121
	v_add_nc_u32_e32 v132, 0x4100, v121
	;; [unrolled: 1-line block ×3, first 2 shown]
	ds_load_2addr_b32 v[172:173], v121 offset0:4 offset1:5
	ds_load_2addr_b32 v[178:179], v121 offset0:6 offset1:7
	ds_load_2addr_b32 v[160:161], v131 offset1:1
	ds_load_2addr_b32 v[162:163], v132 offset1:1
	;; [unrolled: 1-line block ×3, first 2 shown]
	s_add_i32 s0, s0, 4
	s_delay_alu instid0(SALU_CYCLE_1) | instskip(SKIP_3) | instid1(VALU_DEP_1)
	s_cmp_lt_u32 s0, 12
	s_waitcnt lgkmcnt(7)
	v_dot4_i32_iu8 v130, v7, v0, 0 neg_lo:[1,1,0]
	s_waitcnt lgkmcnt(6)
	v_dot4_i32_iu8 v130, v8, v126, v130 neg_lo:[1,1,0]
	;; [unrolled: 2-line block ×4, first 2 shown]
	v_dot4_i32_iu8 v130, v158, v1, v130 neg_lo:[1,1,0]
	s_waitcnt lgkmcnt(0)
	v_dot4_i32_iu8 v0, v164, v0, 0 neg_lo:[1,1,0]
	v_dot4_i32_iu8 v131, v161, v126, v131 neg_lo:[1,1,0]
	;; [unrolled: 1-line block ×3, first 2 shown]
	s_delay_alu instid0(VALU_DEP_3)
	v_dot4_i32_iu8 v0, v165, v126, v0 neg_lo:[1,1,0]
	v_dot4_i32_iu8 v126, v159, v127, v130 neg_lo:[1,1,0]
	v_add_nc_u32_e32 v130, 0x2088, v121
	ds_load_2addr_b32 v[166:167], v130 offset1:1
	s_waitcnt lgkmcnt(0)
	v_dot4_i32_iu8 v130, v166, v1, v131 neg_lo:[1,1,0]
	v_add_nc_u32_e32 v131, 0x4108, v121
	s_delay_alu instid0(VALU_DEP_2) | instskip(SKIP_4) | instid1(VALU_DEP_2)
	v_dot4_i32_iu8 v130, v167, v127, v130 neg_lo:[1,1,0]
	ds_load_2addr_b32 v[168:169], v131 offset1:1
	s_waitcnt lgkmcnt(0)
	v_dot4_i32_iu8 v131, v168, v1, v132 neg_lo:[1,1,0]
	v_add_nc_u32_e32 v132, 0x6188, v121
	v_dot4_i32_iu8 v131, v169, v127, v131 neg_lo:[1,1,0]
	ds_load_2addr_b32 v[170:171], v132 offset1:1
	v_add_nc_u32_e32 v132, 0x4110, v121
	ds_load_2addr_b32 v[174:175], v132 offset1:1
	v_add_nc_u32_e32 v132, 0x6190, v121
	ds_load_2addr_b32 v[176:177], v132 offset1:1
	s_waitcnt lgkmcnt(2)
	v_dot4_i32_iu8 v0, v170, v1, v0 neg_lo:[1,1,0]
	v_dot4_i32_iu8 v1, v172, v2, v126 neg_lo:[1,1,0]
	v_add_nc_u32_e32 v126, 0x2090, v121
	s_delay_alu instid0(VALU_DEP_3) | instskip(NEXT) | instid1(VALU_DEP_3)
	v_dot4_i32_iu8 v0, v171, v127, v0 neg_lo:[1,1,0]
	v_dot4_i32_iu8 v1, v173, v128, v1 neg_lo:[1,1,0]
	ds_load_2addr_b32 v[126:127], v126 offset1:1
	s_waitcnt lgkmcnt(2)
	v_dot4_i32_iu8 v131, v174, v2, v131 neg_lo:[1,1,0]
	v_dot4_i32_iu8 v186, v178, v3, v1 neg_lo:[1,1,0]
	s_waitcnt lgkmcnt(1)
	v_dot4_i32_iu8 v0, v176, v2, v0 neg_lo:[1,1,0]
	s_delay_alu instid0(VALU_DEP_1) | instskip(SKIP_3) | instid1(VALU_DEP_2)
	v_dot4_i32_iu8 v0, v177, v128, v0 neg_lo:[1,1,0]
	s_waitcnt lgkmcnt(0)
	v_dot4_i32_iu8 v130, v126, v2, v130 neg_lo:[1,1,0]
	v_dot4_i32_iu8 v2, v175, v128, v131 neg_lo:[1,1,0]
	;; [unrolled: 1-line block ×3, first 2 shown]
	v_add_nc_u32_e32 v128, 0x2098, v121
	ds_load_b128 v[130:133], v120 offset:1040
	ds_load_2addr_b32 v[180:181], v128 offset1:1
	s_waitcnt lgkmcnt(0)
	v_dot4_i32_iu8 v128, v180, v3, v1 neg_lo:[1,1,0]
	v_add_nc_u32_e32 v1, 0x4118, v121
	ds_load_2addr_b32 v[182:183], v1 offset1:1
	v_add_nc_u32_e32 v1, 0x6198, v121
	v_add_nc_u32_e32 v121, 32, v121
	ds_load_2addr_b32 v[184:185], v1 offset1:1
	s_waitcnt lgkmcnt(1)
	v_dot4_i32_iu8 v187, v182, v3, v2 neg_lo:[1,1,0]
	s_waitcnt lgkmcnt(0)
	v_dot4_i32_iu8 v188, v184, v3, v0 neg_lo:[1,1,0]
	ds_load_b128 v[0:3], v120 offset:1024
	s_waitcnt lgkmcnt(0)
	v_dot4_i32_iu8 v134, v0, v7, 0 neg_lo:[1,1,0]
	v_dot4_i32_iu8 v135, v0, v160, 0 neg_lo:[1,1,0]
	v_dot4_i32_iu8 v136, v0, v162, 0 neg_lo:[1,1,0]
	v_dot4_i32_iu8 v0, v0, v164, 0 neg_lo:[1,1,0]
	s_delay_alu instid0(VALU_DEP_4) | instskip(NEXT) | instid1(VALU_DEP_4)
	v_dot4_i32_iu8 v134, v130, v8, v134 neg_lo:[1,1,0]
	v_dot4_i32_iu8 v135, v130, v161, v135 neg_lo:[1,1,0]
	s_delay_alu instid0(VALU_DEP_4) | instskip(NEXT) | instid1(VALU_DEP_4)
	v_dot4_i32_iu8 v136, v130, v163, v136 neg_lo:[1,1,0]
	v_dot4_i32_iu8 v0, v130, v165, v0 neg_lo:[1,1,0]
	s_delay_alu instid0(VALU_DEP_4) | instskip(NEXT) | instid1(VALU_DEP_4)
	v_dot4_i32_iu8 v130, v1, v158, v134 neg_lo:[1,1,0]
	v_dot4_i32_iu8 v134, v1, v166, v135 neg_lo:[1,1,0]
	s_delay_alu instid0(VALU_DEP_4) | instskip(NEXT) | instid1(VALU_DEP_4)
	v_dot4_i32_iu8 v135, v1, v168, v136 neg_lo:[1,1,0]
	v_dot4_i32_iu8 v0, v1, v170, v0 neg_lo:[1,1,0]
	s_delay_alu instid0(VALU_DEP_4) | instskip(NEXT) | instid1(VALU_DEP_4)
	v_dot4_i32_iu8 v1, v131, v159, v130 neg_lo:[1,1,0]
	v_dot4_i32_iu8 v130, v131, v167, v134 neg_lo:[1,1,0]
	s_delay_alu instid0(VALU_DEP_4) | instskip(NEXT) | instid1(VALU_DEP_4)
	v_dot4_i32_iu8 v134, v131, v169, v135 neg_lo:[1,1,0]
	v_dot4_i32_iu8 v0, v131, v171, v0 neg_lo:[1,1,0]
	s_delay_alu instid0(VALU_DEP_4) | instskip(NEXT) | instid1(VALU_DEP_4)
	v_dot4_i32_iu8 v1, v2, v172, v1 neg_lo:[1,1,0]
	v_dot4_i32_iu8 v130, v2, v126, v130 neg_lo:[1,1,0]
	s_delay_alu instid0(VALU_DEP_4) | instskip(NEXT) | instid1(VALU_DEP_4)
	v_dot4_i32_iu8 v131, v2, v174, v134 neg_lo:[1,1,0]
	v_dot4_i32_iu8 v0, v2, v176, v0 neg_lo:[1,1,0]
	ds_load_b128 v[134:137], v120 offset:2064
	v_dot4_i32_iu8 v1, v132, v173, v1 neg_lo:[1,1,0]
	v_dot4_i32_iu8 v2, v132, v127, v130 neg_lo:[1,1,0]
	v_dot4_i32_iu8 v130, v132, v175, v131 neg_lo:[1,1,0]
	v_dot4_i32_iu8 v0, v132, v177, v0 neg_lo:[1,1,0]
	s_delay_alu instid0(VALU_DEP_4) | instskip(NEXT) | instid1(VALU_DEP_4)
	v_dot4_i32_iu8 v131, v3, v178, v1 neg_lo:[1,1,0]
	v_dot4_i32_iu8 v132, v3, v180, v2 neg_lo:[1,1,0]
	s_delay_alu instid0(VALU_DEP_4) | instskip(NEXT) | instid1(VALU_DEP_4)
	v_dot4_i32_iu8 v130, v3, v182, v130 neg_lo:[1,1,0]
	v_dot4_i32_iu8 v189, v3, v184, v0 neg_lo:[1,1,0]
	ds_load_b128 v[0:3], v120 offset:2048
	v_dot4_i32_iu8 v130, v133, v183, v130 neg_lo:[1,1,0]
	s_waitcnt lgkmcnt(0)
	v_dot4_i32_iu8 v138, v0, v7, 0 neg_lo:[1,1,0]
	v_dot4_i32_iu8 v139, v0, v160, 0 neg_lo:[1,1,0]
	v_dot4_i32_iu8 v140, v0, v162, 0 neg_lo:[1,1,0]
	v_dot4_i32_iu8 v0, v0, v164, 0 neg_lo:[1,1,0]
	s_delay_alu instid0(VALU_DEP_4) | instskip(NEXT) | instid1(VALU_DEP_4)
	v_dot4_i32_iu8 v138, v134, v8, v138 neg_lo:[1,1,0]
	v_dot4_i32_iu8 v139, v134, v161, v139 neg_lo:[1,1,0]
	s_delay_alu instid0(VALU_DEP_4) | instskip(NEXT) | instid1(VALU_DEP_4)
	v_dot4_i32_iu8 v140, v134, v163, v140 neg_lo:[1,1,0]
	v_dot4_i32_iu8 v0, v134, v165, v0 neg_lo:[1,1,0]
	s_delay_alu instid0(VALU_DEP_4) | instskip(NEXT) | instid1(VALU_DEP_4)
	v_dot4_i32_iu8 v134, v1, v158, v138 neg_lo:[1,1,0]
	v_dot4_i32_iu8 v138, v1, v166, v139 neg_lo:[1,1,0]
	s_delay_alu instid0(VALU_DEP_4) | instskip(NEXT) | instid1(VALU_DEP_4)
	v_dot4_i32_iu8 v139, v1, v168, v140 neg_lo:[1,1,0]
	v_dot4_i32_iu8 v0, v1, v170, v0 neg_lo:[1,1,0]
	s_delay_alu instid0(VALU_DEP_4) | instskip(NEXT) | instid1(VALU_DEP_4)
	v_dot4_i32_iu8 v1, v135, v159, v134 neg_lo:[1,1,0]
	v_dot4_i32_iu8 v134, v135, v167, v138 neg_lo:[1,1,0]
	s_delay_alu instid0(VALU_DEP_4) | instskip(NEXT) | instid1(VALU_DEP_4)
	v_dot4_i32_iu8 v138, v135, v169, v139 neg_lo:[1,1,0]
	v_dot4_i32_iu8 v0, v135, v171, v0 neg_lo:[1,1,0]
	s_delay_alu instid0(VALU_DEP_4) | instskip(NEXT) | instid1(VALU_DEP_4)
	v_dot4_i32_iu8 v1, v2, v172, v1 neg_lo:[1,1,0]
	v_dot4_i32_iu8 v134, v2, v126, v134 neg_lo:[1,1,0]
	s_delay_alu instid0(VALU_DEP_4) | instskip(NEXT) | instid1(VALU_DEP_4)
	v_dot4_i32_iu8 v135, v2, v174, v138 neg_lo:[1,1,0]
	v_dot4_i32_iu8 v0, v2, v176, v0 neg_lo:[1,1,0]
	ds_load_b128 v[138:141], v120 offset:3088
	v_dot4_i32_iu8 v1, v136, v173, v1 neg_lo:[1,1,0]
	v_dot4_i32_iu8 v2, v136, v127, v134 neg_lo:[1,1,0]
	v_dot4_i32_iu8 v134, v136, v175, v135 neg_lo:[1,1,0]
	v_dot4_i32_iu8 v0, v136, v177, v0 neg_lo:[1,1,0]
	s_delay_alu instid0(VALU_DEP_4) | instskip(NEXT) | instid1(VALU_DEP_4)
	v_dot4_i32_iu8 v135, v3, v178, v1 neg_lo:[1,1,0]
	v_dot4_i32_iu8 v136, v3, v180, v2 neg_lo:[1,1,0]
	s_delay_alu instid0(VALU_DEP_4) | instskip(NEXT) | instid1(VALU_DEP_4)
	v_dot4_i32_iu8 v134, v3, v182, v134 neg_lo:[1,1,0]
	v_dot4_i32_iu8 v190, v3, v184, v0 neg_lo:[1,1,0]
	ds_load_b128 v[0:3], v120 offset:3072
	v_dot4_i32_iu8 v134, v137, v183, v134 neg_lo:[1,1,0]
	;; [unrolled: 42-line block ×5, first 2 shown]
	s_waitcnt lgkmcnt(0)
	v_dot4_i32_iu8 v154, v0, v7, 0 neg_lo:[1,1,0]
	v_dot4_i32_iu8 v155, v0, v160, 0 neg_lo:[1,1,0]
	;; [unrolled: 1-line block ×4, first 2 shown]
	s_delay_alu instid0(VALU_DEP_4) | instskip(NEXT) | instid1(VALU_DEP_4)
	v_dot4_i32_iu8 v154, v150, v8, v154 neg_lo:[1,1,0]
	v_dot4_i32_iu8 v155, v150, v161, v155 neg_lo:[1,1,0]
	s_delay_alu instid0(VALU_DEP_4) | instskip(NEXT) | instid1(VALU_DEP_4)
	v_dot4_i32_iu8 v156, v150, v163, v156 neg_lo:[1,1,0]
	v_dot4_i32_iu8 v0, v150, v165, v0 neg_lo:[1,1,0]
	;; [unrolled: 3-line block ×8, first 2 shown]
	ds_load_b128 v[154:157], v120 offset:7184
	v_dot4_i32_iu8 v1, v152, v173, v1 neg_lo:[1,1,0]
	v_dot4_i32_iu8 v2, v152, v127, v150 neg_lo:[1,1,0]
	;; [unrolled: 1-line block ×4, first 2 shown]
	s_delay_alu instid0(VALU_DEP_4) | instskip(NEXT) | instid1(VALU_DEP_4)
	v_dot4_i32_iu8 v151, v3, v178, v1 neg_lo:[1,1,0]
	v_dot4_i32_iu8 v152, v3, v180, v2 neg_lo:[1,1,0]
	s_delay_alu instid0(VALU_DEP_4) | instskip(NEXT) | instid1(VALU_DEP_4)
	v_dot4_i32_iu8 v150, v3, v182, v150 neg_lo:[1,1,0]
	v_dot4_i32_iu8 v194, v3, v184, v0 neg_lo:[1,1,0]
	ds_load_b128 v[0:3], v120 offset:7168
	v_add_nc_u32_e32 v120, 32, v120
	v_dot4_i32_iu8 v150, v153, v183, v150 neg_lo:[1,1,0]
	s_waitcnt lgkmcnt(0)
	v_dot4_i32_iu8 v7, v0, v7, 0 neg_lo:[1,1,0]
	s_delay_alu instid0(VALU_DEP_1) | instskip(SKIP_3) | instid1(VALU_DEP_4)
	v_dot4_i32_iu8 v7, v154, v8, v7 neg_lo:[1,1,0]
	v_dot4_i32_iu8 v8, v0, v160, 0 neg_lo:[1,1,0]
	;; [unrolled: 1-line block ×5, first 2 shown]
	s_delay_alu instid0(VALU_DEP_4) | instskip(NEXT) | instid1(VALU_DEP_4)
	v_dot4_i32_iu8 v8, v154, v161, v8 neg_lo:[1,1,0]
	v_dot4_i32_iu8 v160, v154, v163, v160 neg_lo:[1,1,0]
	s_delay_alu instid0(VALU_DEP_4) | instskip(NEXT) | instid1(VALU_DEP_4)
	v_dot4_i32_iu8 v0, v154, v165, v0 neg_lo:[1,1,0]
	v_dot4_i32_iu8 v7, v155, v159, v7 neg_lo:[1,1,0]
	s_delay_alu instid0(VALU_DEP_4) | instskip(NEXT) | instid1(VALU_DEP_4)
	v_dot4_i32_iu8 v8, v1, v166, v8 neg_lo:[1,1,0]
	v_dot4_i32_iu8 v154, v1, v168, v160 neg_lo:[1,1,0]
	s_delay_alu instid0(VALU_DEP_4) | instskip(NEXT) | instid1(VALU_DEP_4)
	v_dot4_i32_iu8 v0, v1, v170, v0 neg_lo:[1,1,0]
	v_dot4_i32_iu8 v1, v2, v172, v7 neg_lo:[1,1,0]
	s_delay_alu instid0(VALU_DEP_4) | instskip(NEXT) | instid1(VALU_DEP_4)
	v_dot4_i32_iu8 v8, v155, v167, v8 neg_lo:[1,1,0]
	v_dot4_i32_iu8 v154, v155, v169, v154 neg_lo:[1,1,0]
	s_delay_alu instid0(VALU_DEP_4) | instskip(NEXT) | instid1(VALU_DEP_4)
	v_dot4_i32_iu8 v0, v155, v171, v0 neg_lo:[1,1,0]
	v_dot4_i32_iu8 v1, v156, v173, v1 neg_lo:[1,1,0]
	s_delay_alu instid0(VALU_DEP_4) | instskip(NEXT) | instid1(VALU_DEP_4)
	v_dot4_i32_iu8 v7, v2, v126, v8 neg_lo:[1,1,0]
	v_dot4_i32_iu8 v8, v2, v174, v154 neg_lo:[1,1,0]
	s_delay_alu instid0(VALU_DEP_4)
	v_dot4_i32_iu8 v0, v2, v176, v0 neg_lo:[1,1,0]
	v_dot4_i32_iu8 v126, v183, v129, v187 neg_lo:[1,1,0]
	;; [unrolled: 1-line block ×7, first 2 shown]
	s_delay_alu instid0(VALU_DEP_4) | instskip(NEXT) | instid1(VALU_DEP_4)
	v_dot4_i32_iu8 v2, v3, v180, v7 neg_lo:[1,1,0]
	v_dot4_i32_iu8 v7, v3, v182, v8 neg_lo:[1,1,0]
	s_delay_alu instid0(VALU_DEP_4)
	v_dot4_i32_iu8 v0, v3, v184, v0 neg_lo:[1,1,0]
	v_dot4_i32_iu8 v3, v179, v129, v186 neg_lo:[1,1,0]
	;; [unrolled: 1-line block ×25, first 2 shown]
	ds_load_b32 v154, v122
	ds_load_b32 v155, v123
	;; [unrolled: 1-line block ×4, first 2 shown]
	ds_load_2addr_b32 v[0:1], v119 offset1:32
	v_cvt_f32_i32_e32 v3, v3
	v_add_nc_u32_e32 v125, 4, v125
	v_add_nc_u32_e32 v124, 4, v124
	;; [unrolled: 1-line block ×4, first 2 shown]
	s_waitcnt lgkmcnt(0)
	v_mul_f32_e32 v158, v0, v154
	v_mul_f32_e32 v159, v0, v155
	v_mul_f32_e32 v160, v0, v156
	v_mul_f32_e32 v161, v0, v157
	v_mul_f32_e32 v162, v154, v1
	v_mul_f32_e32 v163, v155, v1
	v_mul_f32_e32 v164, v156, v1
	v_mul_f32_e32 v165, v157, v1
	ds_load_2addr_b32 v[0:1], v119 offset0:64 offset1:96
	v_fmac_f32_e32 v36, v158, v3
	v_cvt_f32_i32_e32 v3, v128
	s_delay_alu instid0(VALU_DEP_1)
	v_fmac_f32_e32 v40, v162, v3
	v_cvt_f32_i32_e32 v3, v132
	s_waitcnt lgkmcnt(0)
	v_mul_f32_e32 v166, v154, v0
	v_mul_f32_e32 v167, v155, v0
	;; [unrolled: 1-line block ×3, first 2 shown]
	v_dual_mul_f32 v169, v157, v0 :: v_dual_mul_f32 v170, v154, v1
	v_mul_f32_e32 v171, v155, v1
	v_mul_f32_e32 v172, v156, v1
	;; [unrolled: 1-line block ×3, first 2 shown]
	ds_load_2addr_b32 v[0:1], v119 offset0:128 offset1:160
	v_fmac_f32_e32 v35, v166, v3
	v_cvt_f32_i32_e32 v3, v136
	s_delay_alu instid0(VALU_DEP_1)
	v_fmac_f32_e32 v31, v170, v3
	v_cvt_f32_i32_e32 v3, v140
	s_waitcnt lgkmcnt(0)
	v_dual_mul_f32 v179, v155, v1 :: v_dual_mul_f32 v174, v154, v0
	v_mul_f32_e32 v175, v155, v0
	v_mul_f32_e32 v176, v156, v0
	v_dual_mul_f32 v177, v157, v0 :: v_dual_mul_f32 v178, v154, v1
	v_mul_f32_e32 v180, v156, v1
	v_dual_mul_f32 v181, v157, v1 :: v_dual_fmac_f32 v26, v174, v3
	ds_load_2addr_b32 v[0:1], v119 offset0:192 offset1:224
	v_cvt_f32_i32_e32 v3, v144
	v_add_nc_u32_e32 v119, 4, v119
	s_delay_alu instid0(VALU_DEP_2)
	v_fmac_f32_e32 v20, v178, v3
	v_cvt_f32_i32_e32 v3, v148
	s_waitcnt lgkmcnt(0)
	v_mul_f32_e32 v182, v154, v0
	v_mul_f32_e32 v183, v155, v0
	;; [unrolled: 1-line block ×5, first 2 shown]
	v_fmac_f32_e32 v16, v182, v3
	v_cvt_f32_i32_e32 v3, v152
	v_mul_f32_e32 v0, v157, v0
	s_delay_alu instid0(VALU_DEP_2) | instskip(SKIP_1) | instid1(VALU_DEP_1)
	v_fmac_f32_e32 v12, v154, v3
	v_cvt_f32_i32_e32 v3, v8
	v_fmac_f32_e32 v53, v159, v3
	v_cvt_f32_i32_e32 v3, v126
	s_delay_alu instid0(VALU_DEP_1) | instskip(SKIP_1) | instid1(VALU_DEP_1)
	v_fmac_f32_e32 v43, v160, v3
	v_cvt_f32_i32_e32 v3, v127
	v_fmac_f32_e32 v41, v161, v3
	v_cvt_f32_i32_e32 v3, v129
	s_delay_alu instid0(VALU_DEP_1) | instskip(SKIP_1) | instid1(VALU_DEP_1)
	;; [unrolled: 5-line block ×5, first 2 shown]
	v_dual_mul_f32 v156, v156, v1 :: v_dual_fmac_f32 v29, v171, v3
	v_cvt_f32_i32_e32 v3, v138
	v_dual_mul_f32 v1, v157, v1 :: v_dual_fmac_f32 v28, v172, v3
	v_cvt_f32_i32_e32 v3, v139
	s_delay_alu instid0(VALU_DEP_1) | instskip(SKIP_1) | instid1(VALU_DEP_1)
	v_fmac_f32_e32 v27, v173, v3
	v_cvt_f32_i32_e32 v3, v141
	v_fmac_f32_e32 v23, v175, v3
	v_cvt_f32_i32_e32 v3, v142
	s_delay_alu instid0(VALU_DEP_1) | instskip(SKIP_1) | instid1(VALU_DEP_1)
	v_fmac_f32_e32 v22, v176, v3
	v_cvt_f32_i32_e32 v3, v143
	v_fmac_f32_e32 v21, v177, v3
	;; [unrolled: 5-line block ×6, first 2 shown]
	v_cvt_f32_i32_e32 v0, v153
	s_delay_alu instid0(VALU_DEP_1)
	v_fmac_f32_e32 v9, v1, v0
	s_cbranch_scc1 .LBB121_7
; %bb.8:                                ;   in Loop: Header=BB121_6 Depth=1
	s_or_b32 s0, s13, 4
	s_delay_alu instid0(SALU_CYCLE_1)
	s_cmp_ge_i32 s0, s5
	s_barrier
	buffer_gl0_inv
	s_cbranch_scc1 .LBB121_5
; %bb.9:                                ;   in Loop: Header=BB121_6 Depth=1
	v_add_nc_u32_e32 v125, s13, v102
	v_add_nc_u32_e32 v118, 4, v118
	s_mov_b32 s0, 12
	s_delay_alu instid0(VALU_DEP_2)
	v_add_nc_u32_e32 v2, v125, v90
	v_add_nc_u32_e32 v7, v125, v91
	;; [unrolled: 1-line block ×5, first 2 shown]
	v_mad_i64_i32 v[0:1], null, v2, 36, v[4:5]
	v_mad_i64_i32 v[2:3], null, v7, 36, v[4:5]
	;; [unrolled: 1-line block ×5, first 2 shown]
	v_add_nc_u32_e32 v127, v125, v95
	v_mad_u64_u32 v[123:124], null, v118, 36, s[2:3]
	v_add_nc_u32_e32 v129, v125, v97
	v_add_nc_u32_e32 v118, v125, v99
	s_delay_alu instid0(VALU_DEP_4) | instskip(NEXT) | instid1(VALU_DEP_3)
	v_mad_i64_i32 v[125:126], null, v127, 36, v[4:5]
	v_mad_i64_i32 v[127:128], null, v129, 36, v[4:5]
	s_delay_alu instid0(VALU_DEP_3)
	v_mad_i64_i32 v[129:130], null, v118, 36, v[4:5]
	s_clause 0x8
	global_load_b32 v131, v[123:124], off
	global_load_b32 v2, v[2:3], off offset:4
	global_load_b32 v3, v[7:8], off offset:4
	;; [unrolled: 1-line block ×8, first 2 shown]
	v_dual_mov_b32 v123, v110 :: v_dual_mov_b32 v118, v108
	v_dual_mov_b32 v119, v107 :: v_dual_mov_b32 v120, v113
	;; [unrolled: 1-line block ×3, first 2 shown]
	v_mov_b32_e32 v124, v109
	s_waitcnt vmcnt(8)
	v_cvt_f32_f16_e64 v1, v131
	s_waitcnt vmcnt(7)
	ds_store_b32 v75, v2
	s_waitcnt vmcnt(6)
	ds_store_b32 v76, v3
	;; [unrolled: 2-line block ×8, first 2 shown]
	ds_store_b32 v87, v1
	s_waitcnt lgkmcnt(0)
	s_barrier
	buffer_gl0_inv
.LBB121_10:                             ;   Parent Loop BB121_6 Depth=1
                                        ; =>  This Inner Loop Header: Depth=2
	ds_load_2addr_b32 v[7:8], v120 offset1:1
	ds_load_b128 v[0:3], v119
	ds_load_b128 v[125:128], v119 offset:16
	ds_load_2addr_b32 v[157:158], v120 offset0:2 offset1:3
	v_add_nc_u32_e32 v130, 0x2080, v120
	v_add_nc_u32_e32 v131, 0x4100, v120
	;; [unrolled: 1-line block ×3, first 2 shown]
	ds_load_2addr_b32 v[171:172], v120 offset0:4 offset1:5
	ds_load_2addr_b32 v[177:178], v120 offset0:6 offset1:7
	ds_load_2addr_b32 v[159:160], v130 offset1:1
	ds_load_2addr_b32 v[161:162], v131 offset1:1
	;; [unrolled: 1-line block ×3, first 2 shown]
	s_add_i32 s0, s0, 4
	s_delay_alu instid0(SALU_CYCLE_1) | instskip(SKIP_3) | instid1(VALU_DEP_1)
	s_cmp_lt_u32 s0, 28
	s_waitcnt lgkmcnt(7)
	v_dot4_i32_iu8 v129, v7, v0, 0 neg_lo:[1,1,0]
	s_waitcnt lgkmcnt(6)
	v_dot4_i32_iu8 v129, v8, v125, v129 neg_lo:[1,1,0]
	;; [unrolled: 2-line block ×4, first 2 shown]
	v_dot4_i32_iu8 v129, v157, v1, v129 neg_lo:[1,1,0]
	s_waitcnt lgkmcnt(0)
	v_dot4_i32_iu8 v0, v163, v0, 0 neg_lo:[1,1,0]
	v_dot4_i32_iu8 v130, v160, v125, v130 neg_lo:[1,1,0]
	;; [unrolled: 1-line block ×3, first 2 shown]
	s_delay_alu instid0(VALU_DEP_3)
	v_dot4_i32_iu8 v0, v164, v125, v0 neg_lo:[1,1,0]
	v_dot4_i32_iu8 v125, v158, v126, v129 neg_lo:[1,1,0]
	v_add_nc_u32_e32 v129, 0x2088, v120
	ds_load_2addr_b32 v[165:166], v129 offset1:1
	s_waitcnt lgkmcnt(0)
	v_dot4_i32_iu8 v129, v165, v1, v130 neg_lo:[1,1,0]
	v_add_nc_u32_e32 v130, 0x4108, v120
	s_delay_alu instid0(VALU_DEP_2) | instskip(SKIP_4) | instid1(VALU_DEP_2)
	v_dot4_i32_iu8 v129, v166, v126, v129 neg_lo:[1,1,0]
	ds_load_2addr_b32 v[167:168], v130 offset1:1
	s_waitcnt lgkmcnt(0)
	v_dot4_i32_iu8 v130, v167, v1, v131 neg_lo:[1,1,0]
	v_add_nc_u32_e32 v131, 0x6188, v120
	v_dot4_i32_iu8 v130, v168, v126, v130 neg_lo:[1,1,0]
	ds_load_2addr_b32 v[169:170], v131 offset1:1
	v_add_nc_u32_e32 v131, 0x4110, v120
	ds_load_2addr_b32 v[173:174], v131 offset1:1
	v_add_nc_u32_e32 v131, 0x6190, v120
	ds_load_2addr_b32 v[175:176], v131 offset1:1
	s_waitcnt lgkmcnt(2)
	v_dot4_i32_iu8 v0, v169, v1, v0 neg_lo:[1,1,0]
	v_dot4_i32_iu8 v1, v171, v2, v125 neg_lo:[1,1,0]
	v_add_nc_u32_e32 v125, 0x2090, v120
	s_delay_alu instid0(VALU_DEP_3) | instskip(NEXT) | instid1(VALU_DEP_3)
	v_dot4_i32_iu8 v0, v170, v126, v0 neg_lo:[1,1,0]
	v_dot4_i32_iu8 v1, v172, v127, v1 neg_lo:[1,1,0]
	ds_load_2addr_b32 v[125:126], v125 offset1:1
	s_waitcnt lgkmcnt(2)
	v_dot4_i32_iu8 v130, v173, v2, v130 neg_lo:[1,1,0]
	v_dot4_i32_iu8 v185, v177, v3, v1 neg_lo:[1,1,0]
	s_waitcnt lgkmcnt(1)
	v_dot4_i32_iu8 v0, v175, v2, v0 neg_lo:[1,1,0]
	s_delay_alu instid0(VALU_DEP_1) | instskip(SKIP_3) | instid1(VALU_DEP_2)
	v_dot4_i32_iu8 v0, v176, v127, v0 neg_lo:[1,1,0]
	s_waitcnt lgkmcnt(0)
	v_dot4_i32_iu8 v129, v125, v2, v129 neg_lo:[1,1,0]
	v_dot4_i32_iu8 v2, v174, v127, v130 neg_lo:[1,1,0]
	;; [unrolled: 1-line block ×3, first 2 shown]
	v_add_nc_u32_e32 v127, 0x2098, v120
	ds_load_b128 v[129:132], v119 offset:1040
	ds_load_2addr_b32 v[179:180], v127 offset1:1
	s_waitcnt lgkmcnt(0)
	v_dot4_i32_iu8 v127, v179, v3, v1 neg_lo:[1,1,0]
	v_add_nc_u32_e32 v1, 0x4118, v120
	ds_load_2addr_b32 v[181:182], v1 offset1:1
	v_add_nc_u32_e32 v1, 0x6198, v120
	v_add_nc_u32_e32 v120, 32, v120
	ds_load_2addr_b32 v[183:184], v1 offset1:1
	s_waitcnt lgkmcnt(1)
	v_dot4_i32_iu8 v186, v181, v3, v2 neg_lo:[1,1,0]
	s_waitcnt lgkmcnt(0)
	v_dot4_i32_iu8 v187, v183, v3, v0 neg_lo:[1,1,0]
	ds_load_b128 v[0:3], v119 offset:1024
	s_waitcnt lgkmcnt(0)
	v_dot4_i32_iu8 v133, v0, v7, 0 neg_lo:[1,1,0]
	v_dot4_i32_iu8 v134, v0, v159, 0 neg_lo:[1,1,0]
	v_dot4_i32_iu8 v135, v0, v161, 0 neg_lo:[1,1,0]
	v_dot4_i32_iu8 v0, v0, v163, 0 neg_lo:[1,1,0]
	s_delay_alu instid0(VALU_DEP_4) | instskip(NEXT) | instid1(VALU_DEP_4)
	v_dot4_i32_iu8 v133, v129, v8, v133 neg_lo:[1,1,0]
	v_dot4_i32_iu8 v134, v129, v160, v134 neg_lo:[1,1,0]
	s_delay_alu instid0(VALU_DEP_4) | instskip(NEXT) | instid1(VALU_DEP_4)
	v_dot4_i32_iu8 v135, v129, v162, v135 neg_lo:[1,1,0]
	v_dot4_i32_iu8 v0, v129, v164, v0 neg_lo:[1,1,0]
	s_delay_alu instid0(VALU_DEP_4) | instskip(NEXT) | instid1(VALU_DEP_4)
	v_dot4_i32_iu8 v129, v1, v157, v133 neg_lo:[1,1,0]
	v_dot4_i32_iu8 v133, v1, v165, v134 neg_lo:[1,1,0]
	s_delay_alu instid0(VALU_DEP_4) | instskip(NEXT) | instid1(VALU_DEP_4)
	v_dot4_i32_iu8 v134, v1, v167, v135 neg_lo:[1,1,0]
	v_dot4_i32_iu8 v0, v1, v169, v0 neg_lo:[1,1,0]
	s_delay_alu instid0(VALU_DEP_4) | instskip(NEXT) | instid1(VALU_DEP_4)
	v_dot4_i32_iu8 v1, v130, v158, v129 neg_lo:[1,1,0]
	v_dot4_i32_iu8 v129, v130, v166, v133 neg_lo:[1,1,0]
	s_delay_alu instid0(VALU_DEP_4) | instskip(NEXT) | instid1(VALU_DEP_4)
	v_dot4_i32_iu8 v133, v130, v168, v134 neg_lo:[1,1,0]
	v_dot4_i32_iu8 v0, v130, v170, v0 neg_lo:[1,1,0]
	s_delay_alu instid0(VALU_DEP_4) | instskip(NEXT) | instid1(VALU_DEP_4)
	v_dot4_i32_iu8 v1, v2, v171, v1 neg_lo:[1,1,0]
	v_dot4_i32_iu8 v129, v2, v125, v129 neg_lo:[1,1,0]
	s_delay_alu instid0(VALU_DEP_4) | instskip(NEXT) | instid1(VALU_DEP_4)
	v_dot4_i32_iu8 v130, v2, v173, v133 neg_lo:[1,1,0]
	v_dot4_i32_iu8 v0, v2, v175, v0 neg_lo:[1,1,0]
	ds_load_b128 v[133:136], v119 offset:2064
	v_dot4_i32_iu8 v1, v131, v172, v1 neg_lo:[1,1,0]
	v_dot4_i32_iu8 v2, v131, v126, v129 neg_lo:[1,1,0]
	v_dot4_i32_iu8 v129, v131, v174, v130 neg_lo:[1,1,0]
	v_dot4_i32_iu8 v0, v131, v176, v0 neg_lo:[1,1,0]
	s_delay_alu instid0(VALU_DEP_4) | instskip(NEXT) | instid1(VALU_DEP_4)
	v_dot4_i32_iu8 v130, v3, v177, v1 neg_lo:[1,1,0]
	v_dot4_i32_iu8 v131, v3, v179, v2 neg_lo:[1,1,0]
	s_delay_alu instid0(VALU_DEP_4) | instskip(NEXT) | instid1(VALU_DEP_4)
	v_dot4_i32_iu8 v129, v3, v181, v129 neg_lo:[1,1,0]
	v_dot4_i32_iu8 v188, v3, v183, v0 neg_lo:[1,1,0]
	ds_load_b128 v[0:3], v119 offset:2048
	v_dot4_i32_iu8 v129, v132, v182, v129 neg_lo:[1,1,0]
	s_waitcnt lgkmcnt(0)
	v_dot4_i32_iu8 v137, v0, v7, 0 neg_lo:[1,1,0]
	v_dot4_i32_iu8 v138, v0, v159, 0 neg_lo:[1,1,0]
	v_dot4_i32_iu8 v139, v0, v161, 0 neg_lo:[1,1,0]
	v_dot4_i32_iu8 v0, v0, v163, 0 neg_lo:[1,1,0]
	s_delay_alu instid0(VALU_DEP_4) | instskip(NEXT) | instid1(VALU_DEP_4)
	v_dot4_i32_iu8 v137, v133, v8, v137 neg_lo:[1,1,0]
	v_dot4_i32_iu8 v138, v133, v160, v138 neg_lo:[1,1,0]
	s_delay_alu instid0(VALU_DEP_4) | instskip(NEXT) | instid1(VALU_DEP_4)
	v_dot4_i32_iu8 v139, v133, v162, v139 neg_lo:[1,1,0]
	v_dot4_i32_iu8 v0, v133, v164, v0 neg_lo:[1,1,0]
	s_delay_alu instid0(VALU_DEP_4) | instskip(NEXT) | instid1(VALU_DEP_4)
	v_dot4_i32_iu8 v133, v1, v157, v137 neg_lo:[1,1,0]
	v_dot4_i32_iu8 v137, v1, v165, v138 neg_lo:[1,1,0]
	s_delay_alu instid0(VALU_DEP_4) | instskip(NEXT) | instid1(VALU_DEP_4)
	v_dot4_i32_iu8 v138, v1, v167, v139 neg_lo:[1,1,0]
	v_dot4_i32_iu8 v0, v1, v169, v0 neg_lo:[1,1,0]
	s_delay_alu instid0(VALU_DEP_4) | instskip(NEXT) | instid1(VALU_DEP_4)
	v_dot4_i32_iu8 v1, v134, v158, v133 neg_lo:[1,1,0]
	v_dot4_i32_iu8 v133, v134, v166, v137 neg_lo:[1,1,0]
	s_delay_alu instid0(VALU_DEP_4) | instskip(NEXT) | instid1(VALU_DEP_4)
	v_dot4_i32_iu8 v137, v134, v168, v138 neg_lo:[1,1,0]
	v_dot4_i32_iu8 v0, v134, v170, v0 neg_lo:[1,1,0]
	s_delay_alu instid0(VALU_DEP_4) | instskip(NEXT) | instid1(VALU_DEP_4)
	v_dot4_i32_iu8 v1, v2, v171, v1 neg_lo:[1,1,0]
	v_dot4_i32_iu8 v133, v2, v125, v133 neg_lo:[1,1,0]
	s_delay_alu instid0(VALU_DEP_4) | instskip(NEXT) | instid1(VALU_DEP_4)
	v_dot4_i32_iu8 v134, v2, v173, v137 neg_lo:[1,1,0]
	v_dot4_i32_iu8 v0, v2, v175, v0 neg_lo:[1,1,0]
	ds_load_b128 v[137:140], v119 offset:3088
	v_dot4_i32_iu8 v1, v135, v172, v1 neg_lo:[1,1,0]
	v_dot4_i32_iu8 v2, v135, v126, v133 neg_lo:[1,1,0]
	v_dot4_i32_iu8 v133, v135, v174, v134 neg_lo:[1,1,0]
	v_dot4_i32_iu8 v0, v135, v176, v0 neg_lo:[1,1,0]
	s_delay_alu instid0(VALU_DEP_4) | instskip(NEXT) | instid1(VALU_DEP_4)
	v_dot4_i32_iu8 v134, v3, v177, v1 neg_lo:[1,1,0]
	v_dot4_i32_iu8 v135, v3, v179, v2 neg_lo:[1,1,0]
	s_delay_alu instid0(VALU_DEP_4) | instskip(NEXT) | instid1(VALU_DEP_4)
	v_dot4_i32_iu8 v133, v3, v181, v133 neg_lo:[1,1,0]
	v_dot4_i32_iu8 v189, v3, v183, v0 neg_lo:[1,1,0]
	ds_load_b128 v[0:3], v119 offset:3072
	v_dot4_i32_iu8 v133, v136, v182, v133 neg_lo:[1,1,0]
	;; [unrolled: 42-line block ×5, first 2 shown]
	s_waitcnt lgkmcnt(0)
	v_dot4_i32_iu8 v153, v0, v7, 0 neg_lo:[1,1,0]
	v_dot4_i32_iu8 v154, v0, v159, 0 neg_lo:[1,1,0]
	;; [unrolled: 1-line block ×4, first 2 shown]
	s_delay_alu instid0(VALU_DEP_4) | instskip(NEXT) | instid1(VALU_DEP_4)
	v_dot4_i32_iu8 v153, v149, v8, v153 neg_lo:[1,1,0]
	v_dot4_i32_iu8 v154, v149, v160, v154 neg_lo:[1,1,0]
	s_delay_alu instid0(VALU_DEP_4) | instskip(NEXT) | instid1(VALU_DEP_4)
	v_dot4_i32_iu8 v155, v149, v162, v155 neg_lo:[1,1,0]
	v_dot4_i32_iu8 v0, v149, v164, v0 neg_lo:[1,1,0]
	;; [unrolled: 3-line block ×8, first 2 shown]
	ds_load_b128 v[153:156], v119 offset:7184
	v_dot4_i32_iu8 v1, v151, v172, v1 neg_lo:[1,1,0]
	v_dot4_i32_iu8 v2, v151, v126, v149 neg_lo:[1,1,0]
	;; [unrolled: 1-line block ×4, first 2 shown]
	s_delay_alu instid0(VALU_DEP_4) | instskip(NEXT) | instid1(VALU_DEP_4)
	v_dot4_i32_iu8 v150, v3, v177, v1 neg_lo:[1,1,0]
	v_dot4_i32_iu8 v151, v3, v179, v2 neg_lo:[1,1,0]
	s_delay_alu instid0(VALU_DEP_4) | instskip(NEXT) | instid1(VALU_DEP_4)
	v_dot4_i32_iu8 v149, v3, v181, v149 neg_lo:[1,1,0]
	v_dot4_i32_iu8 v193, v3, v183, v0 neg_lo:[1,1,0]
	ds_load_b128 v[0:3], v119 offset:7168
	v_add_nc_u32_e32 v119, 32, v119
	v_dot4_i32_iu8 v149, v152, v182, v149 neg_lo:[1,1,0]
	s_waitcnt lgkmcnt(0)
	v_dot4_i32_iu8 v7, v0, v7, 0 neg_lo:[1,1,0]
	s_delay_alu instid0(VALU_DEP_1) | instskip(SKIP_3) | instid1(VALU_DEP_4)
	v_dot4_i32_iu8 v7, v153, v8, v7 neg_lo:[1,1,0]
	v_dot4_i32_iu8 v8, v0, v159, 0 neg_lo:[1,1,0]
	;; [unrolled: 1-line block ×5, first 2 shown]
	s_delay_alu instid0(VALU_DEP_4) | instskip(NEXT) | instid1(VALU_DEP_4)
	v_dot4_i32_iu8 v8, v153, v160, v8 neg_lo:[1,1,0]
	v_dot4_i32_iu8 v159, v153, v162, v159 neg_lo:[1,1,0]
	s_delay_alu instid0(VALU_DEP_4) | instskip(NEXT) | instid1(VALU_DEP_4)
	v_dot4_i32_iu8 v0, v153, v164, v0 neg_lo:[1,1,0]
	v_dot4_i32_iu8 v7, v154, v158, v7 neg_lo:[1,1,0]
	;; [unrolled: 3-line block ×7, first 2 shown]
	s_delay_alu instid0(VALU_DEP_4)
	v_dot4_i32_iu8 v0, v2, v175, v0 neg_lo:[1,1,0]
	v_dot4_i32_iu8 v125, v182, v128, v186 neg_lo:[1,1,0]
	;; [unrolled: 1-line block ×7, first 2 shown]
	s_delay_alu instid0(VALU_DEP_4) | instskip(NEXT) | instid1(VALU_DEP_4)
	v_dot4_i32_iu8 v2, v3, v179, v7 neg_lo:[1,1,0]
	v_dot4_i32_iu8 v7, v3, v181, v8 neg_lo:[1,1,0]
	s_delay_alu instid0(VALU_DEP_4)
	v_dot4_i32_iu8 v0, v3, v183, v0 neg_lo:[1,1,0]
	v_dot4_i32_iu8 v3, v178, v128, v185 neg_lo:[1,1,0]
	;; [unrolled: 1-line block ×25, first 2 shown]
	ds_load_b32 v153, v121
	ds_load_b32 v154, v122
	;; [unrolled: 1-line block ×4, first 2 shown]
	ds_load_2addr_b32 v[0:1], v118 offset1:32
	v_cvt_f32_i32_e32 v3, v3
	v_add_nc_u32_e32 v124, 4, v124
	v_add_nc_u32_e32 v123, 4, v123
	;; [unrolled: 1-line block ×4, first 2 shown]
	s_waitcnt lgkmcnt(0)
	v_mul_f32_e32 v157, v0, v153
	v_mul_f32_e32 v158, v0, v154
	v_mul_f32_e32 v159, v0, v155
	v_dual_mul_f32 v160, v0, v156 :: v_dual_mul_f32 v163, v155, v1
	v_mul_f32_e32 v161, v153, v1
	v_mul_f32_e32 v162, v154, v1
	;; [unrolled: 1-line block ×3, first 2 shown]
	ds_load_2addr_b32 v[0:1], v118 offset0:64 offset1:96
	v_fmac_f32_e32 v36, v157, v3
	v_cvt_f32_i32_e32 v3, v127
	s_delay_alu instid0(VALU_DEP_1)
	v_fmac_f32_e32 v40, v161, v3
	v_cvt_f32_i32_e32 v3, v131
	s_waitcnt lgkmcnt(0)
	v_mul_f32_e32 v165, v153, v0
	v_dual_mul_f32 v166, v154, v0 :: v_dual_mul_f32 v169, v153, v1
	v_mul_f32_e32 v167, v155, v0
	v_dual_mul_f32 v168, v156, v0 :: v_dual_mul_f32 v171, v155, v1
	v_mul_f32_e32 v170, v154, v1
	v_mul_f32_e32 v172, v156, v1
	ds_load_2addr_b32 v[0:1], v118 offset0:128 offset1:160
	s_waitcnt lgkmcnt(0)
	v_mul_f32_e32 v173, v153, v0
	v_dual_mul_f32 v174, v154, v0 :: v_dual_mul_f32 v177, v153, v1
	v_mul_f32_e32 v175, v155, v0
	v_dual_mul_f32 v176, v156, v0 :: v_dual_mul_f32 v179, v155, v1
	v_mul_f32_e32 v178, v154, v1
	v_mul_f32_e32 v180, v156, v1
	ds_load_2addr_b32 v[0:1], v118 offset0:192 offset1:224
	s_waitcnt lgkmcnt(0)
	v_dual_mul_f32 v181, v153, v0 :: v_dual_add_nc_u32 v118, 4, v118
	v_dual_mul_f32 v153, v153, v1 :: v_dual_mul_f32 v182, v154, v0
	v_dual_mul_f32 v154, v154, v1 :: v_dual_fmac_f32 v35, v165, v3
	v_cvt_f32_i32_e32 v3, v135
	s_delay_alu instid0(VALU_DEP_1) | instskip(SKIP_1) | instid1(VALU_DEP_1)
	v_fmac_f32_e32 v31, v169, v3
	v_cvt_f32_i32_e32 v3, v139
	v_fmac_f32_e32 v26, v173, v3
	v_cvt_f32_i32_e32 v3, v143
	s_delay_alu instid0(VALU_DEP_1) | instskip(SKIP_3) | instid1(VALU_DEP_3)
	v_fmac_f32_e32 v20, v177, v3
	v_cvt_f32_i32_e32 v3, v147
	v_mul_f32_e32 v183, v155, v0
	v_dual_mul_f32 v155, v155, v1 :: v_dual_mul_f32 v0, v156, v0
	v_fmac_f32_e32 v16, v181, v3
	v_cvt_f32_i32_e32 v3, v151
	s_delay_alu instid0(VALU_DEP_1) | instskip(SKIP_1) | instid1(VALU_DEP_1)
	v_dual_mul_f32 v1, v156, v1 :: v_dual_fmac_f32 v12, v153, v3
	v_cvt_f32_i32_e32 v3, v8
	v_fmac_f32_e32 v53, v158, v3
	v_cvt_f32_i32_e32 v3, v125
	s_delay_alu instid0(VALU_DEP_1) | instskip(SKIP_1) | instid1(VALU_DEP_1)
	v_fmac_f32_e32 v43, v159, v3
	v_cvt_f32_i32_e32 v3, v126
	v_fmac_f32_e32 v41, v160, v3
	v_cvt_f32_i32_e32 v3, v128
	s_delay_alu instid0(VALU_DEP_1) | instskip(SKIP_1) | instid1(VALU_DEP_1)
	v_fmac_f32_e32 v39, v162, v3
	;; [unrolled: 5-line block ×11, first 2 shown]
	v_cvt_f32_i32_e32 v0, v7
	v_fmac_f32_e32 v10, v155, v0
	v_cvt_f32_i32_e32 v0, v152
	s_delay_alu instid0(VALU_DEP_1)
	v_fmac_f32_e32 v9, v1, v0
	s_cbranch_scc1 .LBB121_10
; %bb.11:                               ;   in Loop: Header=BB121_6 Depth=1
	s_barrier
	buffer_gl0_inv
	s_branch .LBB121_5
.LBB121_12:
	v_dual_mov_b32 v1, v24 :: v_dual_mov_b32 v0, v25
.LBB121_13:
	s_mov_b32 s0, exec_lo
	v_cmpx_gt_u32_e64 s4, v30
	s_cbranch_execz .LBB121_64
; %bb.14:
	s_delay_alu instid0(VALU_DEP_2) | instskip(SKIP_1) | instid1(VALU_DEP_2)
	v_add_nc_u32_e32 v0, s10, v0
	v_mul_lo_u32 v5, v30, s6
	v_cmp_gt_u32_e32 vcc_lo, s6, v0
	s_and_saveexec_b32 s1, vcc_lo
	s_cbranch_execz .LBB121_16
; %bb.15:
	s_delay_alu instid0(VALU_DEP_2) | instskip(NEXT) | instid1(VALU_DEP_1)
	v_dual_mov_b32 v3, 0 :: v_dual_add_nc_u32 v2, v0, v5
	v_lshlrev_b64 v[2:3], 2, v[2:3]
	s_waitcnt lgkmcnt(0)
	s_delay_alu instid0(VALU_DEP_1) | instskip(NEXT) | instid1(VALU_DEP_1)
	v_add_co_u32 v2, s0, s8, v2
	v_add_co_ci_u32_e64 v3, s0, s9, v3, s0
	global_store_b32 v[2:3], v36, off
.LBB121_16:
	s_or_b32 exec_lo, exec_lo, s1
	v_add_nc_u32_e32 v2, 32, v0
	s_delay_alu instid0(VALU_DEP_1) | instskip(NEXT) | instid1(VALU_DEP_1)
	v_cmp_gt_u32_e64 s0, s6, v2
	s_and_saveexec_b32 s2, s0
	s_cbranch_execz .LBB121_18
; %bb.17:
	v_dual_mov_b32 v4, 0 :: v_dual_add_nc_u32 v3, v2, v5
	s_delay_alu instid0(VALU_DEP_1) | instskip(SKIP_1) | instid1(VALU_DEP_1)
	v_lshlrev_b64 v[3:4], 2, v[3:4]
	s_waitcnt lgkmcnt(0)
	v_add_co_u32 v3, s1, s8, v3
	s_delay_alu instid0(VALU_DEP_1)
	v_add_co_ci_u32_e64 v4, s1, s9, v4, s1
	global_store_b32 v[3:4], v53, off
.LBB121_18:
	s_or_b32 exec_lo, exec_lo, s2
	v_add_nc_u32_e32 v3, 64, v0
	s_delay_alu instid0(VALU_DEP_1) | instskip(NEXT) | instid1(VALU_DEP_1)
	v_cmp_gt_u32_e64 s1, s6, v3
	s_and_saveexec_b32 s3, s1
	s_cbranch_execz .LBB121_20
; %bb.19:
	v_dual_mov_b32 v7, 0 :: v_dual_add_nc_u32 v6, v3, v5
	s_delay_alu instid0(VALU_DEP_1) | instskip(SKIP_1) | instid1(VALU_DEP_1)
	v_lshlrev_b64 v[6:7], 2, v[6:7]
	s_waitcnt lgkmcnt(0)
	v_add_co_u32 v6, s2, s8, v6
	s_delay_alu instid0(VALU_DEP_1)
	v_add_co_ci_u32_e64 v7, s2, s9, v7, s2
	global_store_b32 v[6:7], v43, off
.LBB121_20:
	;; [unrolled: 16-line block ×3, first 2 shown]
	s_or_b32 exec_lo, exec_lo, s5
	v_add3_u32 v5, v1, s7, 8
	s_delay_alu instid0(VALU_DEP_1) | instskip(NEXT) | instid1(VALU_DEP_1)
	v_cmp_gt_u32_e64 s3, s4, v5
	s_and_b32 exec_lo, exec_lo, s3
	s_cbranch_execz .LBB121_64
; %bb.23:
	v_mul_lo_u32 v5, v5, s6
	s_and_saveexec_b32 s5, vcc_lo
	s_cbranch_execnz .LBB121_65
; %bb.24:
	s_or_b32 exec_lo, exec_lo, s5
	s_and_saveexec_b32 s5, s0
	s_cbranch_execnz .LBB121_66
.LBB121_25:
	s_or_b32 exec_lo, exec_lo, s5
	s_and_saveexec_b32 s5, s1
	s_cbranch_execnz .LBB121_67
.LBB121_26:
	s_or_b32 exec_lo, exec_lo, s5
	s_and_saveexec_b32 s5, s2
	s_cbranch_execz .LBB121_28
.LBB121_27:
	v_dual_mov_b32 v6, 0 :: v_dual_add_nc_u32 v5, v5, v4
	s_delay_alu instid0(VALU_DEP_1) | instskip(SKIP_1) | instid1(VALU_DEP_1)
	v_lshlrev_b64 v[5:6], 2, v[5:6]
	s_waitcnt lgkmcnt(0)
	v_add_co_u32 v5, s3, s8, v5
	s_delay_alu instid0(VALU_DEP_1)
	v_add_co_ci_u32_e64 v6, s3, s9, v6, s3
	global_store_b32 v[5:6], v37, off
.LBB121_28:
	s_or_b32 exec_lo, exec_lo, s5
	v_add3_u32 v5, v1, s7, 16
	s_delay_alu instid0(VALU_DEP_1) | instskip(NEXT) | instid1(VALU_DEP_1)
	v_cmp_gt_u32_e64 s3, s4, v5
	s_and_b32 exec_lo, exec_lo, s3
	s_cbranch_execz .LBB121_64
; %bb.29:
	v_mul_lo_u32 v5, v5, s6
	s_and_saveexec_b32 s5, vcc_lo
	s_cbranch_execnz .LBB121_68
; %bb.30:
	s_or_b32 exec_lo, exec_lo, s5
	s_and_saveexec_b32 s5, s0
	s_cbranch_execnz .LBB121_69
.LBB121_31:
	s_or_b32 exec_lo, exec_lo, s5
	s_and_saveexec_b32 s5, s1
	s_cbranch_execnz .LBB121_70
.LBB121_32:
	s_or_b32 exec_lo, exec_lo, s5
	s_and_saveexec_b32 s5, s2
	s_cbranch_execz .LBB121_34
.LBB121_33:
	v_dual_mov_b32 v6, 0 :: v_dual_add_nc_u32 v5, v5, v4
	s_delay_alu instid0(VALU_DEP_1) | instskip(SKIP_1) | instid1(VALU_DEP_1)
	v_lshlrev_b64 v[5:6], 2, v[5:6]
	s_waitcnt lgkmcnt(0)
	v_add_co_u32 v5, s3, s8, v5
	s_delay_alu instid0(VALU_DEP_1)
	v_add_co_ci_u32_e64 v6, s3, s9, v6, s3
	global_store_b32 v[5:6], v32, off
.LBB121_34:
	s_or_b32 exec_lo, exec_lo, s5
	v_add3_u32 v5, v1, s7, 24
	s_delay_alu instid0(VALU_DEP_1) | instskip(NEXT) | instid1(VALU_DEP_1)
	v_cmp_gt_u32_e64 s3, s4, v5
	s_and_b32 exec_lo, exec_lo, s3
	s_cbranch_execz .LBB121_64
; %bb.35:
	v_mul_lo_u32 v5, v5, s6
	s_and_saveexec_b32 s5, vcc_lo
	s_cbranch_execnz .LBB121_71
; %bb.36:
	s_or_b32 exec_lo, exec_lo, s5
	s_and_saveexec_b32 s5, s0
	s_cbranch_execnz .LBB121_72
.LBB121_37:
	s_or_b32 exec_lo, exec_lo, s5
	s_and_saveexec_b32 s5, s1
	s_cbranch_execnz .LBB121_73
.LBB121_38:
	s_or_b32 exec_lo, exec_lo, s5
	s_and_saveexec_b32 s5, s2
	s_cbranch_execz .LBB121_40
.LBB121_39:
	v_dual_mov_b32 v6, 0 :: v_dual_add_nc_u32 v5, v5, v4
	s_delay_alu instid0(VALU_DEP_1) | instskip(SKIP_1) | instid1(VALU_DEP_1)
	v_lshlrev_b64 v[5:6], 2, v[5:6]
	s_waitcnt lgkmcnt(0)
	v_add_co_u32 v5, s3, s8, v5
	s_delay_alu instid0(VALU_DEP_1)
	v_add_co_ci_u32_e64 v6, s3, s9, v6, s3
	global_store_b32 v[5:6], v27, off
.LBB121_40:
	s_or_b32 exec_lo, exec_lo, s5
	v_add3_u32 v5, v1, s7, 32
	s_delay_alu instid0(VALU_DEP_1) | instskip(NEXT) | instid1(VALU_DEP_1)
	v_cmp_gt_u32_e64 s3, s4, v5
	s_and_b32 exec_lo, exec_lo, s3
	s_cbranch_execz .LBB121_64
; %bb.41:
	v_mul_lo_u32 v5, v5, s6
	s_and_saveexec_b32 s5, vcc_lo
	s_cbranch_execnz .LBB121_74
; %bb.42:
	s_or_b32 exec_lo, exec_lo, s5
	s_and_saveexec_b32 s5, s0
	s_cbranch_execnz .LBB121_75
.LBB121_43:
	s_or_b32 exec_lo, exec_lo, s5
	s_and_saveexec_b32 s5, s1
	s_cbranch_execnz .LBB121_76
.LBB121_44:
	s_or_b32 exec_lo, exec_lo, s5
	s_and_saveexec_b32 s5, s2
	s_cbranch_execz .LBB121_46
.LBB121_45:
	v_dual_mov_b32 v6, 0 :: v_dual_add_nc_u32 v5, v5, v4
	s_delay_alu instid0(VALU_DEP_1) | instskip(SKIP_1) | instid1(VALU_DEP_1)
	v_lshlrev_b64 v[5:6], 2, v[5:6]
	s_waitcnt lgkmcnt(0)
	v_add_co_u32 v5, s3, s8, v5
	s_delay_alu instid0(VALU_DEP_1)
	v_add_co_ci_u32_e64 v6, s3, s9, v6, s3
	global_store_b32 v[5:6], v21, off
.LBB121_46:
	s_or_b32 exec_lo, exec_lo, s5
	v_add3_u32 v5, v1, s7, 40
	s_delay_alu instid0(VALU_DEP_1) | instskip(NEXT) | instid1(VALU_DEP_1)
	v_cmp_gt_u32_e64 s3, s4, v5
	s_and_b32 exec_lo, exec_lo, s3
	s_cbranch_execz .LBB121_64
; %bb.47:
	v_mul_lo_u32 v5, v5, s6
	s_and_saveexec_b32 s5, vcc_lo
	s_cbranch_execnz .LBB121_77
; %bb.48:
	s_or_b32 exec_lo, exec_lo, s5
	s_and_saveexec_b32 s5, s0
	s_cbranch_execnz .LBB121_78
.LBB121_49:
	s_or_b32 exec_lo, exec_lo, s5
	s_and_saveexec_b32 s5, s1
	s_cbranch_execnz .LBB121_79
.LBB121_50:
	s_or_b32 exec_lo, exec_lo, s5
	s_and_saveexec_b32 s5, s2
	s_cbranch_execz .LBB121_52
.LBB121_51:
	v_dual_mov_b32 v6, 0 :: v_dual_add_nc_u32 v5, v5, v4
	s_delay_alu instid0(VALU_DEP_1) | instskip(SKIP_1) | instid1(VALU_DEP_1)
	v_lshlrev_b64 v[5:6], 2, v[5:6]
	s_waitcnt lgkmcnt(0)
	v_add_co_u32 v5, s3, s8, v5
	s_delay_alu instid0(VALU_DEP_1)
	v_add_co_ci_u32_e64 v6, s3, s9, v6, s3
	global_store_b32 v[5:6], v17, off
.LBB121_52:
	s_or_b32 exec_lo, exec_lo, s5
	v_add3_u32 v5, v1, s7, 48
	s_delay_alu instid0(VALU_DEP_1) | instskip(NEXT) | instid1(VALU_DEP_1)
	v_cmp_gt_u32_e64 s3, s4, v5
	s_and_b32 exec_lo, exec_lo, s3
	s_cbranch_execz .LBB121_64
; %bb.53:
	v_mul_lo_u32 v5, v5, s6
	s_and_saveexec_b32 s5, vcc_lo
	s_cbranch_execnz .LBB121_80
; %bb.54:
	s_or_b32 exec_lo, exec_lo, s5
	s_and_saveexec_b32 s5, s0
	s_cbranch_execnz .LBB121_81
.LBB121_55:
	s_or_b32 exec_lo, exec_lo, s5
	s_and_saveexec_b32 s5, s1
	s_cbranch_execnz .LBB121_82
.LBB121_56:
	s_or_b32 exec_lo, exec_lo, s5
	s_and_saveexec_b32 s5, s2
	s_cbranch_execz .LBB121_58
.LBB121_57:
	v_dual_mov_b32 v6, 0 :: v_dual_add_nc_u32 v5, v5, v4
	s_delay_alu instid0(VALU_DEP_1) | instskip(SKIP_1) | instid1(VALU_DEP_1)
	v_lshlrev_b64 v[5:6], 2, v[5:6]
	s_waitcnt lgkmcnt(0)
	v_add_co_u32 v5, s3, s8, v5
	s_delay_alu instid0(VALU_DEP_1)
	v_add_co_ci_u32_e64 v6, s3, s9, v6, s3
	global_store_b32 v[5:6], v13, off
.LBB121_58:
	s_or_b32 exec_lo, exec_lo, s5
	v_add3_u32 v1, v1, s7, 56
	s_delay_alu instid0(VALU_DEP_1) | instskip(NEXT) | instid1(VALU_DEP_1)
	v_cmp_gt_u32_e64 s3, s4, v1
	s_and_b32 exec_lo, exec_lo, s3
	s_cbranch_execz .LBB121_64
; %bb.59:
	v_mul_lo_u32 v1, v1, s6
	s_and_saveexec_b32 s3, vcc_lo
	s_cbranch_execnz .LBB121_83
; %bb.60:
	s_or_b32 exec_lo, exec_lo, s3
	s_and_saveexec_b32 s3, s0
	s_cbranch_execnz .LBB121_84
.LBB121_61:
	s_or_b32 exec_lo, exec_lo, s3
	s_and_saveexec_b32 s0, s1
	s_cbranch_execnz .LBB121_85
.LBB121_62:
	s_or_b32 exec_lo, exec_lo, s0
	s_delay_alu instid0(SALU_CYCLE_1)
	s_and_b32 exec_lo, exec_lo, s2
	s_cbranch_execz .LBB121_64
.LBB121_63:
	v_dual_mov_b32 v1, 0 :: v_dual_add_nc_u32 v0, v1, v4
	s_delay_alu instid0(VALU_DEP_1) | instskip(SKIP_1) | instid1(VALU_DEP_1)
	v_lshlrev_b64 v[0:1], 2, v[0:1]
	s_waitcnt lgkmcnt(0)
	v_add_co_u32 v0, vcc_lo, s8, v0
	s_delay_alu instid0(VALU_DEP_2)
	v_add_co_ci_u32_e32 v1, vcc_lo, s9, v1, vcc_lo
	global_store_b32 v[0:1], v9, off
.LBB121_64:
	s_nop 0
	s_sendmsg sendmsg(MSG_DEALLOC_VGPRS)
	s_endpgm
.LBB121_65:
	s_delay_alu instid0(VALU_DEP_1) | instskip(NEXT) | instid1(VALU_DEP_1)
	v_dual_mov_b32 v7, 0 :: v_dual_add_nc_u32 v6, v5, v0
	v_lshlrev_b64 v[6:7], 2, v[6:7]
	s_waitcnt lgkmcnt(0)
	s_delay_alu instid0(VALU_DEP_1) | instskip(NEXT) | instid1(VALU_DEP_1)
	v_add_co_u32 v6, s3, s8, v6
	v_add_co_ci_u32_e64 v7, s3, s9, v7, s3
	global_store_b32 v[6:7], v40, off
	s_or_b32 exec_lo, exec_lo, s5
	s_and_saveexec_b32 s5, s0
	s_cbranch_execz .LBB121_25
.LBB121_66:
	s_delay_alu instid0(VALU_DEP_1) | instskip(NEXT) | instid1(VALU_DEP_1)
	v_dual_mov_b32 v7, 0 :: v_dual_add_nc_u32 v6, v5, v2
	v_lshlrev_b64 v[6:7], 2, v[6:7]
	s_waitcnt lgkmcnt(0)
	s_delay_alu instid0(VALU_DEP_1) | instskip(NEXT) | instid1(VALU_DEP_1)
	v_add_co_u32 v6, s3, s8, v6
	v_add_co_ci_u32_e64 v7, s3, s9, v7, s3
	global_store_b32 v[6:7], v39, off
	s_or_b32 exec_lo, exec_lo, s5
	s_and_saveexec_b32 s5, s1
	s_cbranch_execz .LBB121_26
.LBB121_67:
	v_dual_mov_b32 v7, 0 :: v_dual_add_nc_u32 v6, v5, v3
	s_delay_alu instid0(VALU_DEP_1) | instskip(SKIP_1) | instid1(VALU_DEP_1)
	v_lshlrev_b64 v[6:7], 2, v[6:7]
	s_waitcnt lgkmcnt(0)
	v_add_co_u32 v6, s3, s8, v6
	s_delay_alu instid0(VALU_DEP_1)
	v_add_co_ci_u32_e64 v7, s3, s9, v7, s3
	global_store_b32 v[6:7], v38, off
	s_or_b32 exec_lo, exec_lo, s5
	s_and_saveexec_b32 s5, s2
	s_cbranch_execnz .LBB121_27
	s_branch .LBB121_28
.LBB121_68:
	s_delay_alu instid0(VALU_DEP_1) | instskip(NEXT) | instid1(VALU_DEP_1)
	v_dual_mov_b32 v7, 0 :: v_dual_add_nc_u32 v6, v5, v0
	v_lshlrev_b64 v[6:7], 2, v[6:7]
	s_waitcnt lgkmcnt(0)
	s_delay_alu instid0(VALU_DEP_1) | instskip(NEXT) | instid1(VALU_DEP_1)
	v_add_co_u32 v6, s3, s8, v6
	v_add_co_ci_u32_e64 v7, s3, s9, v7, s3
	global_store_b32 v[6:7], v35, off
	s_or_b32 exec_lo, exec_lo, s5
	s_and_saveexec_b32 s5, s0
	s_cbranch_execz .LBB121_31
.LBB121_69:
	s_delay_alu instid0(VALU_DEP_1) | instskip(NEXT) | instid1(VALU_DEP_1)
	v_dual_mov_b32 v7, 0 :: v_dual_add_nc_u32 v6, v5, v2
	v_lshlrev_b64 v[6:7], 2, v[6:7]
	s_waitcnt lgkmcnt(0)
	s_delay_alu instid0(VALU_DEP_1) | instskip(NEXT) | instid1(VALU_DEP_1)
	v_add_co_u32 v6, s3, s8, v6
	v_add_co_ci_u32_e64 v7, s3, s9, v7, s3
	global_store_b32 v[6:7], v34, off
	s_or_b32 exec_lo, exec_lo, s5
	s_and_saveexec_b32 s5, s1
	s_cbranch_execz .LBB121_32
.LBB121_70:
	v_dual_mov_b32 v7, 0 :: v_dual_add_nc_u32 v6, v5, v3
	s_delay_alu instid0(VALU_DEP_1) | instskip(SKIP_1) | instid1(VALU_DEP_1)
	v_lshlrev_b64 v[6:7], 2, v[6:7]
	s_waitcnt lgkmcnt(0)
	v_add_co_u32 v6, s3, s8, v6
	s_delay_alu instid0(VALU_DEP_1)
	v_add_co_ci_u32_e64 v7, s3, s9, v7, s3
	global_store_b32 v[6:7], v33, off
	s_or_b32 exec_lo, exec_lo, s5
	s_and_saveexec_b32 s5, s2
	s_cbranch_execnz .LBB121_33
	s_branch .LBB121_34
.LBB121_71:
	s_delay_alu instid0(VALU_DEP_1) | instskip(NEXT) | instid1(VALU_DEP_1)
	v_dual_mov_b32 v7, 0 :: v_dual_add_nc_u32 v6, v5, v0
	v_lshlrev_b64 v[6:7], 2, v[6:7]
	s_waitcnt lgkmcnt(0)
	s_delay_alu instid0(VALU_DEP_1) | instskip(NEXT) | instid1(VALU_DEP_1)
	v_add_co_u32 v6, s3, s8, v6
	v_add_co_ci_u32_e64 v7, s3, s9, v7, s3
	global_store_b32 v[6:7], v31, off
	s_or_b32 exec_lo, exec_lo, s5
	s_and_saveexec_b32 s5, s0
	s_cbranch_execz .LBB121_37
.LBB121_72:
	s_delay_alu instid0(VALU_DEP_1) | instskip(NEXT) | instid1(VALU_DEP_1)
	v_dual_mov_b32 v7, 0 :: v_dual_add_nc_u32 v6, v5, v2
	v_lshlrev_b64 v[6:7], 2, v[6:7]
	s_waitcnt lgkmcnt(0)
	s_delay_alu instid0(VALU_DEP_1) | instskip(NEXT) | instid1(VALU_DEP_1)
	v_add_co_u32 v6, s3, s8, v6
	v_add_co_ci_u32_e64 v7, s3, s9, v7, s3
	global_store_b32 v[6:7], v29, off
	s_or_b32 exec_lo, exec_lo, s5
	s_and_saveexec_b32 s5, s1
	s_cbranch_execz .LBB121_38
.LBB121_73:
	v_dual_mov_b32 v7, 0 :: v_dual_add_nc_u32 v6, v5, v3
	s_delay_alu instid0(VALU_DEP_1) | instskip(SKIP_1) | instid1(VALU_DEP_1)
	v_lshlrev_b64 v[6:7], 2, v[6:7]
	s_waitcnt lgkmcnt(0)
	v_add_co_u32 v6, s3, s8, v6
	s_delay_alu instid0(VALU_DEP_1)
	v_add_co_ci_u32_e64 v7, s3, s9, v7, s3
	global_store_b32 v[6:7], v28, off
	s_or_b32 exec_lo, exec_lo, s5
	s_and_saveexec_b32 s5, s2
	s_cbranch_execnz .LBB121_39
	s_branch .LBB121_40
.LBB121_74:
	s_delay_alu instid0(VALU_DEP_1) | instskip(NEXT) | instid1(VALU_DEP_1)
	v_dual_mov_b32 v7, 0 :: v_dual_add_nc_u32 v6, v5, v0
	v_lshlrev_b64 v[6:7], 2, v[6:7]
	s_waitcnt lgkmcnt(0)
	s_delay_alu instid0(VALU_DEP_1) | instskip(NEXT) | instid1(VALU_DEP_1)
	v_add_co_u32 v6, s3, s8, v6
	v_add_co_ci_u32_e64 v7, s3, s9, v7, s3
	global_store_b32 v[6:7], v26, off
	s_or_b32 exec_lo, exec_lo, s5
	s_and_saveexec_b32 s5, s0
	s_cbranch_execz .LBB121_43
.LBB121_75:
	s_delay_alu instid0(VALU_DEP_1) | instskip(NEXT) | instid1(VALU_DEP_1)
	v_dual_mov_b32 v7, 0 :: v_dual_add_nc_u32 v6, v5, v2
	v_lshlrev_b64 v[6:7], 2, v[6:7]
	s_waitcnt lgkmcnt(0)
	s_delay_alu instid0(VALU_DEP_1) | instskip(NEXT) | instid1(VALU_DEP_1)
	v_add_co_u32 v6, s3, s8, v6
	v_add_co_ci_u32_e64 v7, s3, s9, v7, s3
	global_store_b32 v[6:7], v23, off
	s_or_b32 exec_lo, exec_lo, s5
	s_and_saveexec_b32 s5, s1
	s_cbranch_execz .LBB121_44
.LBB121_76:
	v_dual_mov_b32 v7, 0 :: v_dual_add_nc_u32 v6, v5, v3
	s_delay_alu instid0(VALU_DEP_1) | instskip(SKIP_1) | instid1(VALU_DEP_1)
	v_lshlrev_b64 v[6:7], 2, v[6:7]
	s_waitcnt lgkmcnt(0)
	v_add_co_u32 v6, s3, s8, v6
	s_delay_alu instid0(VALU_DEP_1)
	v_add_co_ci_u32_e64 v7, s3, s9, v7, s3
	global_store_b32 v[6:7], v22, off
	s_or_b32 exec_lo, exec_lo, s5
	s_and_saveexec_b32 s5, s2
	s_cbranch_execnz .LBB121_45
	s_branch .LBB121_46
.LBB121_77:
	s_delay_alu instid0(VALU_DEP_1) | instskip(NEXT) | instid1(VALU_DEP_1)
	v_dual_mov_b32 v7, 0 :: v_dual_add_nc_u32 v6, v5, v0
	v_lshlrev_b64 v[6:7], 2, v[6:7]
	s_waitcnt lgkmcnt(0)
	s_delay_alu instid0(VALU_DEP_1) | instskip(NEXT) | instid1(VALU_DEP_1)
	v_add_co_u32 v6, s3, s8, v6
	v_add_co_ci_u32_e64 v7, s3, s9, v7, s3
	global_store_b32 v[6:7], v20, off
	s_or_b32 exec_lo, exec_lo, s5
	s_and_saveexec_b32 s5, s0
	s_cbranch_execz .LBB121_49
.LBB121_78:
	s_delay_alu instid0(VALU_DEP_1) | instskip(NEXT) | instid1(VALU_DEP_1)
	v_dual_mov_b32 v7, 0 :: v_dual_add_nc_u32 v6, v5, v2
	v_lshlrev_b64 v[6:7], 2, v[6:7]
	s_waitcnt lgkmcnt(0)
	s_delay_alu instid0(VALU_DEP_1) | instskip(NEXT) | instid1(VALU_DEP_1)
	v_add_co_u32 v6, s3, s8, v6
	v_add_co_ci_u32_e64 v7, s3, s9, v7, s3
	global_store_b32 v[6:7], v19, off
	s_or_b32 exec_lo, exec_lo, s5
	s_and_saveexec_b32 s5, s1
	s_cbranch_execz .LBB121_50
.LBB121_79:
	v_dual_mov_b32 v7, 0 :: v_dual_add_nc_u32 v6, v5, v3
	s_delay_alu instid0(VALU_DEP_1) | instskip(SKIP_1) | instid1(VALU_DEP_1)
	v_lshlrev_b64 v[6:7], 2, v[6:7]
	s_waitcnt lgkmcnt(0)
	v_add_co_u32 v6, s3, s8, v6
	s_delay_alu instid0(VALU_DEP_1)
	v_add_co_ci_u32_e64 v7, s3, s9, v7, s3
	global_store_b32 v[6:7], v18, off
	s_or_b32 exec_lo, exec_lo, s5
	s_and_saveexec_b32 s5, s2
	s_cbranch_execnz .LBB121_51
	s_branch .LBB121_52
.LBB121_80:
	s_delay_alu instid0(VALU_DEP_1) | instskip(NEXT) | instid1(VALU_DEP_1)
	v_dual_mov_b32 v7, 0 :: v_dual_add_nc_u32 v6, v5, v0
	v_lshlrev_b64 v[6:7], 2, v[6:7]
	s_waitcnt lgkmcnt(0)
	s_delay_alu instid0(VALU_DEP_1) | instskip(NEXT) | instid1(VALU_DEP_1)
	v_add_co_u32 v6, s3, s8, v6
	v_add_co_ci_u32_e64 v7, s3, s9, v7, s3
	global_store_b32 v[6:7], v16, off
	s_or_b32 exec_lo, exec_lo, s5
	s_and_saveexec_b32 s5, s0
	s_cbranch_execz .LBB121_55
.LBB121_81:
	s_delay_alu instid0(VALU_DEP_1) | instskip(NEXT) | instid1(VALU_DEP_1)
	v_dual_mov_b32 v7, 0 :: v_dual_add_nc_u32 v6, v5, v2
	v_lshlrev_b64 v[6:7], 2, v[6:7]
	s_waitcnt lgkmcnt(0)
	s_delay_alu instid0(VALU_DEP_1) | instskip(NEXT) | instid1(VALU_DEP_1)
	v_add_co_u32 v6, s3, s8, v6
	v_add_co_ci_u32_e64 v7, s3, s9, v7, s3
	global_store_b32 v[6:7], v15, off
	s_or_b32 exec_lo, exec_lo, s5
	s_and_saveexec_b32 s5, s1
	s_cbranch_execz .LBB121_56
.LBB121_82:
	v_dual_mov_b32 v7, 0 :: v_dual_add_nc_u32 v6, v5, v3
	s_delay_alu instid0(VALU_DEP_1) | instskip(SKIP_1) | instid1(VALU_DEP_1)
	v_lshlrev_b64 v[6:7], 2, v[6:7]
	s_waitcnt lgkmcnt(0)
	v_add_co_u32 v6, s3, s8, v6
	s_delay_alu instid0(VALU_DEP_1)
	v_add_co_ci_u32_e64 v7, s3, s9, v7, s3
	global_store_b32 v[6:7], v14, off
	s_or_b32 exec_lo, exec_lo, s5
	s_and_saveexec_b32 s5, s2
	s_cbranch_execnz .LBB121_57
	s_branch .LBB121_58
.LBB121_83:
	s_delay_alu instid0(VALU_DEP_1) | instskip(NEXT) | instid1(VALU_DEP_1)
	v_dual_mov_b32 v6, 0 :: v_dual_add_nc_u32 v5, v1, v0
	v_lshlrev_b64 v[5:6], 2, v[5:6]
	s_waitcnt lgkmcnt(0)
	s_delay_alu instid0(VALU_DEP_1) | instskip(NEXT) | instid1(VALU_DEP_2)
	v_add_co_u32 v5, vcc_lo, s8, v5
	v_add_co_ci_u32_e32 v6, vcc_lo, s9, v6, vcc_lo
	global_store_b32 v[5:6], v12, off
	s_or_b32 exec_lo, exec_lo, s3
	s_and_saveexec_b32 s3, s0
	s_cbranch_execz .LBB121_61
.LBB121_84:
	s_delay_alu instid0(VALU_DEP_1) | instskip(NEXT) | instid1(VALU_DEP_1)
	v_dual_mov_b32 v6, 0 :: v_dual_add_nc_u32 v5, v1, v2
	v_lshlrev_b64 v[5:6], 2, v[5:6]
	s_waitcnt lgkmcnt(0)
	s_delay_alu instid0(VALU_DEP_1) | instskip(NEXT) | instid1(VALU_DEP_2)
	v_add_co_u32 v5, vcc_lo, s8, v5
	v_add_co_ci_u32_e32 v6, vcc_lo, s9, v6, vcc_lo
	global_store_b32 v[5:6], v11, off
	s_or_b32 exec_lo, exec_lo, s3
	s_and_saveexec_b32 s0, s1
	s_cbranch_execz .LBB121_62
.LBB121_85:
	v_dual_mov_b32 v3, 0 :: v_dual_add_nc_u32 v2, v1, v3
	s_delay_alu instid0(VALU_DEP_1) | instskip(SKIP_1) | instid1(VALU_DEP_1)
	v_lshlrev_b64 v[2:3], 2, v[2:3]
	s_waitcnt lgkmcnt(0)
	v_add_co_u32 v2, vcc_lo, s8, v2
	s_delay_alu instid0(VALU_DEP_2) | instskip(SKIP_2) | instid1(SALU_CYCLE_1)
	v_add_co_ci_u32_e32 v3, vcc_lo, s9, v3, vcc_lo
	global_store_b32 v[2:3], v10, off
	s_or_b32 exec_lo, exec_lo, s0
	s_and_b32 exec_lo, exec_lo, s2
	s_cbranch_execnz .LBB121_63
	s_branch .LBB121_64
	.section	.rodata,"a",@progbits
	.p2align	6, 0x0
	.amdhsa_kernel _ZL12mul_mat_q5_0IfLb0EEvPKvS1_PT_iiiii
		.amdhsa_group_segment_fixed_size 46720
		.amdhsa_private_segment_fixed_size 0
		.amdhsa_kernarg_size 44
		.amdhsa_user_sgpr_count 14
		.amdhsa_user_sgpr_dispatch_ptr 0
		.amdhsa_user_sgpr_queue_ptr 0
		.amdhsa_user_sgpr_kernarg_segment_ptr 1
		.amdhsa_user_sgpr_dispatch_id 0
		.amdhsa_user_sgpr_private_segment_size 0
		.amdhsa_wavefront_size32 1
		.amdhsa_uses_dynamic_stack 0
		.amdhsa_enable_private_segment 0
		.amdhsa_system_sgpr_workgroup_id_x 1
		.amdhsa_system_sgpr_workgroup_id_y 1
		.amdhsa_system_sgpr_workgroup_id_z 0
		.amdhsa_system_sgpr_workgroup_info 0
		.amdhsa_system_vgpr_workitem_id 1
		.amdhsa_next_free_vgpr 195
		.amdhsa_next_free_sgpr 16
		.amdhsa_reserve_vcc 1
		.amdhsa_float_round_mode_32 0
		.amdhsa_float_round_mode_16_64 0
		.amdhsa_float_denorm_mode_32 3
		.amdhsa_float_denorm_mode_16_64 3
		.amdhsa_dx10_clamp 1
		.amdhsa_ieee_mode 1
		.amdhsa_fp16_overflow 0
		.amdhsa_workgroup_processor_mode 1
		.amdhsa_memory_ordered 1
		.amdhsa_forward_progress 0
		.amdhsa_shared_vgpr_count 0
		.amdhsa_exception_fp_ieee_invalid_op 0
		.amdhsa_exception_fp_denorm_src 0
		.amdhsa_exception_fp_ieee_div_zero 0
		.amdhsa_exception_fp_ieee_overflow 0
		.amdhsa_exception_fp_ieee_underflow 0
		.amdhsa_exception_fp_ieee_inexact 0
		.amdhsa_exception_int_div_zero 0
	.end_amdhsa_kernel
	.section	.text._ZL12mul_mat_q5_0IfLb0EEvPKvS1_PT_iiiii,"axG",@progbits,_ZL12mul_mat_q5_0IfLb0EEvPKvS1_PT_iiiii,comdat
.Lfunc_end121:
	.size	_ZL12mul_mat_q5_0IfLb0EEvPKvS1_PT_iiiii, .Lfunc_end121-_ZL12mul_mat_q5_0IfLb0EEvPKvS1_PT_iiiii
                                        ; -- End function
	.section	.AMDGPU.csdata,"",@progbits
; Kernel info:
; codeLenInByte = 18980
; NumSgprs: 18
; NumVgprs: 195
; ScratchSize: 0
; MemoryBound: 0
; FloatMode: 240
; IeeeMode: 1
; LDSByteSize: 46720 bytes/workgroup (compile time only)
; SGPRBlocks: 2
; VGPRBlocks: 24
; NumSGPRsForWavesPerEU: 18
; NumVGPRsForWavesPerEU: 195
; Occupancy: 4
; WaveLimiterHint : 0
; COMPUTE_PGM_RSRC2:SCRATCH_EN: 0
; COMPUTE_PGM_RSRC2:USER_SGPR: 14
; COMPUTE_PGM_RSRC2:TRAP_HANDLER: 0
; COMPUTE_PGM_RSRC2:TGID_X_EN: 1
; COMPUTE_PGM_RSRC2:TGID_Y_EN: 1
; COMPUTE_PGM_RSRC2:TGID_Z_EN: 0
; COMPUTE_PGM_RSRC2:TIDIG_COMP_CNT: 1
	.section	.text._ZL12mul_mat_q5_0IfLb1EEvPKvS1_PT_iiiii,"axG",@progbits,_ZL12mul_mat_q5_0IfLb1EEvPKvS1_PT_iiiii,comdat
	.globl	_ZL12mul_mat_q5_0IfLb1EEvPKvS1_PT_iiiii ; -- Begin function _ZL12mul_mat_q5_0IfLb1EEvPKvS1_PT_iiiii
	.p2align	8
	.type	_ZL12mul_mat_q5_0IfLb1EEvPKvS1_PT_iiiii,@function
_ZL12mul_mat_q5_0IfLb1EEvPKvS1_PT_iiiii: ; @_ZL12mul_mat_q5_0IfLb1EEvPKvS1_PT_iiiii
; %bb.0:
	s_clause 0x1
	s_load_b128 s[4:7], s[0:1], 0x18
	s_load_b32 s10, s[0:1], 0x28
	v_bfe_u32 v36, v0, 10, 10
	v_and_b32_e32 v37, 0x3ff, v0
	s_lshl_b32 s11, s15, 6
	s_waitcnt lgkmcnt(0)
	s_cmp_gt_i32 s4, 31
	s_cbranch_scc1 .LBB122_2
; %bb.1:
	v_bfe_u32 v1, v0, 10, 10
	v_and_b32_e32 v0, 0x3ff, v0
	s_mov_b32 s2, 0
	s_mov_b32 s3, 0
	s_delay_alu instid0(VALU_DEP_2)
	v_add_nc_u32_e32 v47, s11, v1
	s_branch .LBB122_3
.LBB122_2:
	s_mov_b32 s2, -1
                                        ; implicit-def: $sgpr3
                                        ; implicit-def: $vgpr1
                                        ; implicit-def: $vgpr0
                                        ; implicit-def: $vgpr47
.LBB122_3:
	s_load_b64 s[8:9], s[0:1], 0x10
	v_dual_mov_b32 v25, s3 :: v_dual_mov_b32 v40, s3
	v_dual_mov_b32 v29, s3 :: v_dual_mov_b32 v44, s3
	;; [unrolled: 1-line block ×16, first 2 shown]
	s_and_not1_b32 vcc_lo, exec_lo, s2
	s_lshl_b32 s12, s14, 7
	s_cbranch_vccnz .LBB122_13
; %bb.4:
	s_load_b128 s[0:3], s[0:1], 0x0
	s_ashr_i32 s13, s4, 31
	s_ashr_i32 s14, s7, 31
	s_lshr_b32 s13, s13, 27
	v_add_nc_u32_e32 v35, 8, v36
	s_add_i32 s4, s4, s13
	s_lshr_b32 s13, s14, 27
	s_ashr_i32 s4, s4, 5
	s_add_i32 s7, s7, s13
	s_mul_i32 s13, s4, s12
	s_ashr_i32 s14, s7, 5
	s_mul_i32 s7, s13, 22
	s_mul_hi_i32 s13, s13, 22
	v_lshlrev_b32_e32 v1, 3, v37
	v_dual_mov_b32 v69, 0 :: v_dual_add_nc_u32 v38, 16, v36
	v_add_nc_u32_e32 v42, 24, v36
	v_add_nc_u32_e32 v43, 32, v36
	;; [unrolled: 1-line block ×3, first 2 shown]
	v_dual_mov_b32 v77, 0 :: v_dual_add_nc_u32 v46, 48, v36
	s_waitcnt lgkmcnt(0)
	s_add_u32 s7, s0, s7
	s_addc_u32 s13, s1, s13
	s_not_b32 s0, s12
	v_dual_mov_b32 v67, 0 :: v_dual_add_nc_u32 v48, 56, v36
	s_add_i32 s0, s0, s5
	v_add_nc_u32_e32 v12, 0x48, v36
	v_min_i32_e32 v2, s0, v36
	v_min_i32_e32 v3, s0, v35
	;; [unrolled: 1-line block ×4, first 2 shown]
	s_add_i32 s1, s6, -1
	v_mad_u64_u32 v[4:5], null, 0x104, v2, v[1:2]
	v_mul_lo_u32 v50, v2, s4
	v_mad_u64_u32 v[5:6], null, 0x104, v3, v[1:2]
	v_min_i32_e32 v2, s0, v42
	v_mul_lo_u32 v51, v3, s4
	v_mul_lo_u32 v52, v8, s4
	v_min_i32_e32 v3, s0, v43
	v_mul_lo_u32 v59, v13, s4
	v_mad_u64_u32 v[6:7], null, 0x104, v8, v[1:2]
	v_mul_lo_u32 v54, v2, s4
	v_mad_u64_u32 v[7:8], null, 0x104, v2, v[1:2]
	v_min_i32_e32 v2, s0, v44
	v_mul_lo_u32 v55, v3, s4
	v_add_nc_u32_e32 v47, s11, v36
	v_dual_mov_b32 v72, 0 :: v_dual_add_nc_u32 v17, 0x58, v36
	s_delay_alu instid0(VALU_DEP_4) | instskip(SKIP_4) | instid1(VALU_DEP_4)
	v_mad_u64_u32 v[8:9], null, 0x104, v3, v[1:2]
	v_min_i32_e32 v3, s0, v46
	v_mul_lo_u32 v56, v2, s4
	v_mad_u64_u32 v[9:10], null, 0x104, v2, v[1:2]
	v_add_nc_u32_e32 v2, 64, v36
	v_mul_lo_u32 v57, v3, s4
	v_add_nc_u32_e32 v15, 16, v47
	v_add_nc_u32_e32 v27, 32, v47
	v_cvt_f64_u32_e32 v[19:20], v47
	v_mad_u64_u32 v[10:11], null, 0x104, v3, v[1:2]
	v_min_i32_e32 v2, s0, v2
	v_min_i32_e32 v3, s0, v12
	v_cvt_f64_u32_e32 v[23:24], v15
	v_cvt_f64_u32_e32 v[27:28], v27
	v_add_nc_u32_e32 v18, 24, v47
	v_mad_u64_u32 v[11:12], null, 0x104, v13, v[1:2]
	v_mul_lo_u32 v60, v2, s4
	v_mad_u64_u32 v[12:13], null, 0x104, v2, v[1:2]
	v_add_nc_u32_e32 v2, 0x50, v36
	v_mul_lo_u32 v62, v3, s4
	v_cvt_f64_u32_e32 v[25:26], v18
	v_add_nc_u32_e32 v18, 0x60, v36
	v_add_nc_u32_e32 v40, 0x68, v36
	v_mad_u64_u32 v[13:14], null, 0x104, v3, v[1:2]
	v_min_i32_e32 v16, s0, v2
	v_cvt_f64_i32_e32 v[2:3], s1
	v_add_nc_u32_e32 v14, 8, v47
	v_min_i32_e32 v17, s0, v17
	v_min_i32_e32 v18, s0, v18
	v_mul_lo_u32 v68, v16, s4
	v_add_nc_u32_e32 v41, 0x70, v36
	v_cvt_f64_u32_e32 v[21:22], v14
	v_min_i32_e32 v40, s0, v40
	v_mul_lo_u32 v71, v17, s4
	v_mul_lo_u32 v73, v18, s4
	v_min_i32_e32 v53, s0, v41
	v_lshrrev_b32_e32 v74, 3, v37
	v_mul_lo_u32 v75, v40, s4
	v_add_nc_u32_e32 v61, 0x78, v36
	v_lshrrev_b32_e32 v45, 2, v37
	v_mul_lo_u32 v76, v53, s4
	v_lshl_add_u32 v58, v36, 2, v74
	v_and_b32_e32 v79, 7, v37
	v_dual_mov_b32 v39, 0 :: v_dual_and_b32 v0, 3, v37
	v_mul_u32_u24_e32 v101, 0x104, v37
	s_delay_alu instid0(VALU_DEP_4) | instskip(SKIP_1) | instid1(VALU_DEP_4)
	v_min_i32_e32 v63, s0, v58
	v_add_nc_u32_e32 v64, 64, v58
	v_lshlrev_b32_e32 v49, 2, v0
	v_lshl_add_u32 v108, v36, 4, 0xb280
	s_mov_b32 s5, 0
	v_mul_lo_u32 v80, v63, s4
	v_mov_b32_e32 v70, 0
	v_mad_u64_u32 v[14:15], null, 0x104, v16, v[1:2]
	v_add_nc_u32_e32 v15, 40, v47
	v_add_nc_u32_e32 v16, 48, v47
	v_min_f64 v[27:28], v[27:28], v[2:3]
	v_min_f64 v[23:24], v[23:24], v[2:3]
	;; [unrolled: 1-line block ×3, first 2 shown]
	v_cvt_f64_u32_e32 v[29:30], v15
	v_cvt_f64_u32_e32 v[31:32], v16
	v_add_nc_u32_e32 v15, 56, v47
	v_min_f64 v[25:26], v[25:26], v[2:3]
	s_delay_alu instid0(VALU_DEP_2)
	v_cvt_f64_u32_e32 v[33:34], v15
	v_mad_u64_u32 v[15:16], null, 0x104, v17, v[1:2]
	v_mad_u64_u32 v[16:17], null, 0x104, v18, v[1:2]
	;; [unrolled: 1-line block ×3, first 2 shown]
	v_min_f64 v[40:41], v[19:20], v[2:3]
	v_mad_u64_u32 v[18:19], null, 0x104, v53, v[1:2]
	v_add_nc_u32_e32 v19, 32, v58
	v_min_i32_e32 v53, s0, v61
	v_ashrrev_i32_e32 v20, 31, v63
	s_delay_alu instid0(VALU_DEP_3) | instskip(NEXT) | instid1(VALU_DEP_3)
	v_min_i32_e32 v61, s0, v19
	v_mul_lo_u32 v78, v53, s4
	s_delay_alu instid0(VALU_DEP_3) | instskip(NEXT) | instid1(VALU_DEP_3)
	v_lshrrev_b32_e32 v19, 30, v20
	v_ashrrev_i32_e32 v20, 31, v61
	v_mul_lo_u32 v81, v61, s4
	s_delay_alu instid0(VALU_DEP_3) | instskip(NEXT) | instid1(VALU_DEP_3)
	v_add_nc_u32_e32 v65, v63, v19
	v_lshrrev_b32_e32 v66, 30, v20
	v_cvt_i32_f64_e32 v27, v[27:28]
	v_cvt_i32_f64_e32 v24, v[23:24]
	v_lshlrev_b32_e32 v23, 2, v37
	v_min_f64 v[29:30], v[29:30], v[2:3]
	v_min_f64 v[31:32], v[31:32], v[2:3]
	v_cvt_i32_f64_e32 v25, v[25:26]
	v_min_f64 v[2:3], v[33:34], v[2:3]
	v_add_nc_u32_e32 v34, v61, v66
	v_mov_b32_e32 v66, 0
	s_delay_alu instid0(VALU_DEP_2) | instskip(SKIP_4) | instid1(VALU_DEP_1)
	v_and_b32_e32 v34, -4, v34
	v_cvt_i32_f64_e32 v40, v[40:41]
	v_lshlrev_b32_e32 v41, 5, v61
	v_cvt_i32_f64_e32 v61, v[21:22]
	v_lshl_add_u32 v22, v36, 3, v45
	v_and_b32_e32 v22, 63, v22
	v_mul_lo_u32 v93, s14, v27
	v_mul_lo_u32 v89, s14, v24
	v_and_b32_e32 v27, 0xfc, v37
	v_cvt_i32_f64_e32 v28, v[29:30]
	v_cvt_i32_f64_e32 v29, v[31:32]
	v_or_b32_e32 v30, s11, v22
	v_lshl_or_b32 v32, v22, 4, v49
	v_mul_lo_u32 v91, s14, v25
	v_mad_u64_u32 v[19:20], null, 0x104, v53, v[1:2]
	v_add_nc_u32_e32 v53, 0x60, v58
	v_lshlrev_b32_e32 v58, 5, v63
	v_cvt_i32_f64_e32 v2, v[2:3]
	v_and_b32_e32 v1, -4, v65
	v_lshlrev_b32_e32 v20, 2, v79
	v_min_i32_e32 v53, s0, v53
	v_mul_lo_u32 v85, s14, v40
	v_mov_b32_e32 v40, 0
	v_min_i32_e32 v30, s1, v30
	v_add3_u32 v1, v1, v20, 0xa200
	v_ashrrev_i32_e32 v63, 31, v53
	v_add3_u32 v34, v34, v20, 0xa200
	v_mul_lo_u32 v83, v53, s4
	v_lshlrev_b32_e32 v31, 5, v53
	v_mul_lo_u32 v87, s14, v61
	v_lshrrev_b32_e32 v21, 30, v63
	v_lshlrev_b32_e32 v63, 7, v36
	v_add_nc_u32_e32 v84, 0xb280, v32
	v_add_nc_u32_e32 v114, v1, v58
	;; [unrolled: 1-line block ×4, first 2 shown]
	v_dual_mov_b32 v32, 0 :: v_dual_add_nc_u32 v107, 0x8200, v63
	v_mov_b32_e32 v61, 0
	v_mov_b32_e32 v41, 0
	s_delay_alu instid0(VALU_DEP_4)
	v_dual_mov_b32 v34, 0 :: v_dual_and_b32 v21, -4, v21
	v_dual_mov_b32 v65, 0 :: v_dual_mov_b32 v58, 0
	v_mul_lo_u32 v95, s14, v28
	v_mul_lo_u32 v97, s14, v29
	v_mov_b32_e32 v29, 0
	v_min_i32_e32 v64, s0, v64
	v_add3_u32 v3, v21, v20, 0xa200
	v_and_b32_e32 v21, 28, v23
	v_mad_u64_u32 v[22:23], null, v30, s14, v[0:1]
	s_delay_alu instid0(VALU_DEP_4)
	v_ashrrev_i32_e32 v33, 31, v64
	v_mov_b32_e32 v28, 0
	v_mul_lo_u32 v82, v64, s4
	v_mul_lo_u32 v99, s14, v2
	v_add_nc_u32_e32 v2, 0x60, v37
	v_lshrrev_b32_e32 v33, 30, v33
	v_lshlrev_b32_e32 v26, 5, v64
	v_add_nc_u32_e32 v117, v3, v31
	s_delay_alu instid0(VALU_DEP_4) | instskip(NEXT) | instid1(VALU_DEP_4)
	v_dual_mov_b32 v31, 0 :: v_dual_and_b32 v2, 0x1fc, v2
	v_dual_mov_b32 v30, 0 :: v_dual_add_nc_u32 v33, v64, v33
	s_delay_alu instid0(VALU_DEP_1) | instskip(NEXT) | instid1(VALU_DEP_1)
	v_and_b32_e32 v33, -4, v33
	v_add3_u32 v33, v33, v20, 0xa200
	v_and_b32_e32 v20, 31, v37
	s_delay_alu instid0(VALU_DEP_2) | instskip(NEXT) | instid1(VALU_DEP_2)
	v_add_nc_u32_e32 v116, v33, v26
	v_lshlrev_b32_e32 v53, 2, v20
	v_add_co_u32 v20, s0, s2, v21
	s_delay_alu instid0(VALU_DEP_1) | instskip(NEXT) | instid1(VALU_DEP_3)
	v_add_co_ci_u32_e64 v21, null, s3, 0, s0
	v_lshl_or_b32 v23, v38, 7, v53
	v_mov_b32_e32 v38, 0
	v_lshl_or_b32 v0, v35, 7, v53
	v_lshl_or_b32 v24, v46, 7, v53
	v_or_b32_e32 v64, v63, v53
	v_add_nc_u32_e32 v90, 0x8200, v23
	v_lshl_or_b32 v23, v43, 7, v53
	v_add_nc_u32_e32 v88, 0x8200, v0
	v_lshl_or_b32 v0, v42, 7, v53
	v_dual_mov_b32 v43, 0 :: v_dual_add_nc_u32 v98, 0x8200, v24
	s_delay_alu instid0(VALU_DEP_4) | instskip(SKIP_1) | instid1(VALU_DEP_4)
	v_add_nc_u32_e32 v94, 0x8200, v23
	v_add_nc_u32_e32 v23, 64, v37
	;; [unrolled: 1-line block ×3, first 2 shown]
	v_lshl_or_b32 v0, v44, 7, v53
	v_add_nc_u32_e32 v24, 32, v37
	s_movk_i32 s0, 0x80
	v_and_b32_e32 v23, 0x1fc, v23
	v_add_nc_u32_e32 v86, 0x8200, v64
	v_add_nc_u32_e32 v96, 0x8200, v0
	v_lshl_or_b32 v0, v48, 7, v53
	v_and_b32_e32 v25, 0x1fc, v24
	v_lshrrev_b32_e32 v102, 3, v24
	v_mad_u32_u24 v113, 0x104, v37, s0
	v_mov_b32_e32 v64, 0
	v_add_nc_u32_e32 v100, 0x8200, v0
	v_dual_mov_b32 v53, 0 :: v_dual_lshlrev_b32 v0, 5, v37
	v_dual_mov_b32 v63, 0 :: v_dual_mov_b32 v48, 0
	v_mov_b32_e32 v42, 0
	s_delay_alu instid0(VALU_DEP_3) | instskip(SKIP_3) | instid1(VALU_DEP_4)
	v_add_nc_u32_e32 v2, v0, v2
	v_add_nc_u32_e32 v23, v0, v23
	;; [unrolled: 1-line block ×3, first 2 shown]
	v_dual_mov_b32 v35, 0 :: v_dual_add_nc_u32 v0, v0, v27
	v_add_nc_u32_e32 v103, 0xae00, v2
	s_delay_alu instid0(VALU_DEP_4) | instskip(NEXT) | instid1(VALU_DEP_4)
	v_add_nc_u32_e32 v104, 0xaa00, v23
	v_add_nc_u32_e32 v105, 0xa600, v25
	s_delay_alu instid0(VALU_DEP_4)
	v_add_nc_u32_e32 v106, 0xa200, v0
	v_add_nc_u32_e32 v109, 0xae10, v2
	;; [unrolled: 1-line block ×4, first 2 shown]
	v_dual_mov_b32 v25, 0 :: v_dual_add_nc_u32 v112, 0xa210, v0
	v_dual_mov_b32 v27, 0 :: v_dual_mov_b32 v46, 0
	v_mov_b32_e32 v26, 0
	v_dual_mov_b32 v44, 0 :: v_dual_mov_b32 v33, 0
	s_branch .LBB122_6
.LBB122_5:                              ;   in Loop: Header=BB122_6 Depth=1
	s_add_i32 s5, s5, 8
	s_delay_alu instid0(SALU_CYCLE_1)
	s_cmp_ge_i32 s5, s4
	s_cbranch_scc1 .LBB122_12
.LBB122_6:                              ; =>This Loop Header: Depth=1
                                        ;     Child Loop BB122_7 Depth 2
                                        ;     Child Loop BB122_10 Depth 2
	s_mul_i32 s0, s5, 22
	s_mul_hi_u32 s1, s5, 22
	s_add_u32 s0, s7, s0
	s_addc_u32 s1, s13, s1
	s_delay_alu instid0(SALU_CYCLE_1) | instskip(NEXT) | instid1(VALU_DEP_1)
	v_mad_u64_u32 v[0:1], null, v45, 22, s[0:1]
	v_mad_i64_i32 v[2:3], null, v50, 22, v[0:1]
	v_mad_i64_i32 v[118:119], null, v52, 22, v[0:1]
	;; [unrolled: 1-line block ×4, first 2 shown]
	s_delay_alu instid0(VALU_DEP_4)
	v_add_co_u32 v122, vcc_lo, v2, v49
	v_add_co_ci_u32_e32 v123, vcc_lo, 0, v3, vcc_lo
	v_add_co_u32 v124, vcc_lo, v118, v49
	v_add_co_ci_u32_e32 v125, vcc_lo, 0, v119, vcc_lo
	;; [unrolled: 2-line block ×4, first 2 shown]
	s_clause 0x7
	global_load_b32 v127, v[126:127], off offset:6
	global_load_b32 v128, v[120:121], off offset:2
	;; [unrolled: 1-line block ×8, first 2 shown]
	v_mad_i64_i32 v[2:3], null, v55, 22, v[0:1]
	v_mad_i64_i32 v[23:24], null, v56, 22, v[0:1]
	;; [unrolled: 1-line block ×4, first 2 shown]
	s_delay_alu instid0(VALU_DEP_4)
	v_add_co_u32 v135, vcc_lo, v2, v49
	v_add_co_ci_u32_e32 v136, vcc_lo, 0, v3, vcc_lo
	v_add_co_u32 v137, vcc_lo, v23, v49
	v_add_co_ci_u32_e32 v138, vcc_lo, 0, v24, vcc_lo
	s_clause 0x5
	global_load_b32 v123, v[120:121], off offset:2
	global_load_b32 v125, v[118:119], off offset:2
	;; [unrolled: 1-line block ×6, first 2 shown]
	v_add_co_u32 v2, vcc_lo, v118, v49
	v_add_co_ci_u32_e32 v3, vcc_lo, 0, v119, vcc_lo
	v_add_co_u32 v23, vcc_lo, v120, v49
	v_add_co_ci_u32_e32 v24, vcc_lo, 0, v121, vcc_lo
	s_clause 0x1
	global_load_b32 v124, v[2:3], off offset:6
	global_load_b32 v23, v[23:24], off offset:6
	v_mad_i64_i32 v[135:136], null, v60, 22, v[0:1]
	v_mad_i64_i32 v[118:119], null, v68, 22, v[0:1]
	;; [unrolled: 1-line block ×4, first 2 shown]
	s_delay_alu instid0(VALU_DEP_4)
	v_add_co_u32 v139, vcc_lo, v135, v49
	v_add_co_ci_u32_e32 v140, vcc_lo, 0, v136, vcc_lo
	v_add_co_u32 v141, vcc_lo, v118, v49
	v_add_co_ci_u32_e32 v142, vcc_lo, 0, v119, vcc_lo
	;; [unrolled: 2-line block ×4, first 2 shown]
	s_clause 0x7
	global_load_b32 v2, v[2:3], off offset:6
	global_load_b32 v3, v[137:138], off offset:2
	;; [unrolled: 1-line block ×8, first 2 shown]
	s_waitcnt vmcnt(23)
	v_and_b32_e32 v138, 0xf0f0f0f, v127
	s_waitcnt vmcnt(22)
	v_ashrrev_i32_e32 v128, v49, v128
	s_waitcnt vmcnt(21)
	v_and_b32_e32 v137, 0xf0f0f0f, v129
	s_waitcnt vmcnt(20)
	v_ashrrev_i32_e32 v130, v49, v130
	;; [unrolled: 4-line block ×4, first 2 shown]
	v_lshlrev_b32_e32 v158, 4, v130
	v_lshlrev_b32_e32 v159, 11, v130
	;; [unrolled: 1-line block ×5, first 2 shown]
	v_lshrrev_b32_e32 v148, 12, v134
	v_lshrrev_b32_e32 v149, 5, v134
	v_lshlrev_b32_e32 v150, 2, v134
	v_lshlrev_b32_e32 v153, 18, v132
	;; [unrolled: 1-line block ×3, first 2 shown]
	v_lshrrev_b32_e32 v155, 12, v132
	v_lshrrev_b32_e32 v156, 5, v132
	v_lshlrev_b32_e32 v157, 2, v132
	s_waitcnt vmcnt(13)
	v_ashrrev_i32_e32 v142, v49, v145
	s_waitcnt vmcnt(12)
	v_ashrrev_i32_e32 v139, v49, v146
	s_waitcnt vmcnt(11)
	v_and_b32_e32 v140, 0xf0f0f0f, v147
	v_lshrrev_b32_e32 v141, 4, v147
	v_lshlrev_b32_e32 v145, 11, v134
	v_lshlrev_b32_e32 v146, 18, v134
	;; [unrolled: 1-line block ×5, first 2 shown]
	v_lshrrev_b32_e32 v162, 12, v130
	v_lshrrev_b32_e32 v163, 5, v130
	v_lshlrev_b32_e32 v164, 2, v130
	v_lshrrev_b32_e32 v133, 4, v133
	v_lshlrev_b32_e32 v134, 9, v134
	v_lshlrev_b32_e32 v165, 4, v128
	;; [unrolled: 1-line block ×5, first 2 shown]
	v_lshrrev_b32_e32 v169, 12, v128
	v_lshrrev_b32_e32 v170, 5, v128
	v_lshlrev_b32_e32 v171, 2, v128
	v_lshlrev_b32_e32 v172, 4, v139
	;; [unrolled: 1-line block ×5, first 2 shown]
	v_and_b32_e32 v144, 16, v144
	v_and_b32_e32 v145, 0x1000, v145
	;; [unrolled: 1-line block ×7, first 2 shown]
	v_lshrrev_b32_e32 v131, 4, v131
	v_lshlrev_b32_e32 v132, 9, v132
	v_lshrrev_b32_e32 v176, 12, v139
	v_lshrrev_b32_e32 v177, 5, v139
	v_lshlrev_b32_e32 v178, 2, v139
	v_lshlrev_b32_e32 v179, 4, v142
	v_lshlrev_b32_e32 v180, 11, v142
	v_lshlrev_b32_e32 v181, 18, v142
	v_lshlrev_b32_e32 v182, 25, v142
	v_and_b32_e32 v151, 16, v151
	v_and_b32_e32 v152, 0x1000, v152
	;; [unrolled: 1-line block ×7, first 2 shown]
	v_lshrrev_b32_e32 v129, 4, v129
	v_lshlrev_b32_e32 v130, 9, v130
	v_and_b32_e32 v158, 16, v158
	v_and_b32_e32 v159, 0x1000, v159
	;; [unrolled: 1-line block ×7, first 2 shown]
	v_lshrrev_b32_e32 v127, 4, v127
	v_and_b32_e32 v133, 0xf0f0f0f, v133
	v_lshlrev_b32_e32 v128, 9, v128
	v_and_b32_e32 v134, 0x10000000, v134
	v_and_b32_e32 v165, 16, v165
	;; [unrolled: 1-line block ×12, first 2 shown]
	v_or3_b32 v144, v144, v135, v145
	v_or3_b32 v135, v135, v146, v147
	;; [unrolled: 1-line block ×3, first 2 shown]
	s_waitcnt vmcnt(10)
	v_and_b32_e32 v143, 0xf0f0f0f, v126
	v_and_b32_e32 v131, 0xf0f0f0f, v131
	v_lshlrev_b32_e32 v139, 9, v139
	v_and_b32_e32 v132, 0x10000000, v132
	v_and_b32_e32 v176, 16, v176
	;; [unrolled: 1-line block ×8, first 2 shown]
	v_or3_b32 v146, v151, v136, v152
	v_or3_b32 v136, v136, v153, v154
	;; [unrolled: 1-line block ×3, first 2 shown]
	v_and_b32_e32 v129, 0xf0f0f0f, v129
	v_and_b32_e32 v130, 0x10000000, v130
	v_or3_b32 v148, v158, v137, v159
	v_or3_b32 v137, v137, v160, v161
	;; [unrolled: 1-line block ×3, first 2 shown]
	v_and_b32_e32 v127, 0xf0f0f0f, v127
	v_and_b32_e32 v128, 0x10000000, v128
	v_or3_b32 v150, v165, v138, v166
	v_or3_b32 v138, v138, v167, v168
	;; [unrolled: 1-line block ×5, first 2 shown]
	v_lshrrev_b32_e32 v135, 16, v135
	v_and_b32_e32 v155, 0x1f00, v144
	v_lshlrev_b16 v144, 8, v144
	v_or3_b32 v133, v145, v134, v133
	v_and_b32_e32 v141, 0xf0f0f0f, v141
	v_and_b32_e32 v139, 0x10000000, v139
	v_or3_b32 v153, v177, v176, v178
	v_or3_b32 v154, v179, v143, v180
	;; [unrolled: 1-line block ×3, first 2 shown]
	v_lshrrev_b32_e32 v134, 16, v136
	v_lshlrev_b16 v145, 8, v146
	v_or3_b32 v131, v147, v132, v131
	v_and_b32_e32 v136, 0x1f00, v146
	v_lshrrev_b32_e32 v132, 16, v137
	v_lshlrev_b16 v146, 8, v148
	v_or3_b32 v129, v149, v130, v129
	v_and_b32_e32 v137, 0x1f00, v148
	v_lshrrev_b32_e32 v130, 16, v138
	v_and_b32_e32 v138, 0x1f00, v150
	v_lshlrev_b16 v147, 8, v150
	v_or3_b32 v127, v151, v128, v127
	v_lshrrev_b32_e32 v128, 16, v140
	v_and_b32_e32 v140, 0x1f00, v152
	v_lshlrev_b16 v148, 8, v152
	v_add_nc_u16 v144, v144, 0xf000
	v_and_b32_e32 v150, 0x1f00, v135
	v_lshlrev_b16 v135, 8, v135
	v_lshrrev_b32_e32 v151, 16, v133
	v_and_b32_e32 v152, 0x1f00, v133
	v_lshlrev_b16 v133, 8, v133
	v_or3_b32 v139, v153, v139, v141
	v_lshrrev_b32_e32 v141, 16, v143
	v_and_b32_e32 v143, 0x1f00, v154
	v_lshlrev_b16 v149, 8, v154
	v_add_nc_u16 v145, v145, 0xf000
	v_and_b32_e32 v153, 0x1f00, v134
	v_lshlrev_b16 v134, 8, v134
	v_lshrrev_b32_e32 v154, 16, v131
	v_and_b32_e32 v156, 0x1f00, v131
	v_lshlrev_b16 v131, 8, v131
	v_add_nc_u16 v146, v146, 0xf000
	v_and_b32_e32 v157, 0x1f00, v132
	v_lshlrev_b16 v132, 8, v132
	v_lshrrev_b32_e32 v158, 16, v129
	v_and_b32_e32 v159, 0x1f00, v129
	v_lshlrev_b16 v129, 8, v129
	v_lshrrev_b16 v144, 8, v144
	v_add_nc_u16 v135, v135, 0xf000
	v_add_nc_i16 v133, v133, 0xf000 clamp
	v_and_b32_e32 v167, 0xffffff00, v151
	v_lshlrev_b16 v151, 8, v151
	v_lshrrev_b16 v145, 8, v145
	v_add_nc_u16 v134, v134, 0xf000
	v_add_nc_i16 v131, v131, 0xf000 clamp
	;; [unrolled: 5-line block ×3, first 2 shown]
	v_and_b32_e32 v169, 0xffffff00, v158
	v_lshlrev_b16 v158, 8, v158
	v_or_b32_e32 v144, v155, v144
	v_lshrrev_b16 v135, 8, v135
	v_lshrrev_b16 v133, 8, v133
	v_add_nc_i16 v155, v167, 0xf000 clamp
	v_add_nc_i16 v151, v151, 0xf000 clamp
	v_or_b32_e32 v136, v136, v145
	v_lshrrev_b16 v134, 8, v134
	v_lshrrev_b16 v131, 8, v131
	v_add_nc_i16 v145, v168, 0xf000 clamp
	v_add_nc_i16 v154, v154, 0xf000 clamp
	;; [unrolled: 5-line block ×3, first 2 shown]
	v_or_b32_e32 v135, v150, v135
	v_or_b32_e32 v133, v152, v133
	v_and_b32_e32 v150, 0xffffff00, v155
	v_lshrrev_b16 v151, 8, v151
	v_or_b32_e32 v134, v153, v134
	v_or_b32_e32 v131, v156, v131
	v_and_b32_e32 v145, 0xffffff00, v145
	v_lshrrev_b16 v152, 8, v154
	;; [unrolled: 4-line block ×3, first 2 shown]
	v_add_nc_u16 v147, v147, 0xf000
	v_and_b32_e32 v160, 0x1f00, v130
	v_lshlrev_b16 v130, 8, v130
	v_lshrrev_b32_e32 v161, 16, v127
	v_and_b32_e32 v162, 0x1f00, v127
	v_lshlrev_b16 v127, 8, v127
	v_add_nc_u16 v144, v144, 0xf000
	v_add_nc_u16 v135, v135, 0xf000
	;; [unrolled: 1-line block ×3, first 2 shown]
	v_or_b32_e32 v150, v151, v150
	v_add_nc_u16 v148, v148, 0xf000
	v_and_b32_e32 v163, 0x1f00, v128
	v_lshlrev_b16 v128, 8, v128
	v_lshrrev_b32_e32 v164, 16, v139
	v_and_b32_e32 v165, 0x1f00, v139
	v_lshlrev_b16 v139, 8, v139
	v_add_nc_u16 v136, v136, 0xf000
	v_add_nc_u16 v134, v134, 0xf000
	;; [unrolled: 1-line block ×3, first 2 shown]
	v_or_b32_e32 v145, v152, v145
	v_add_nc_u16 v137, v137, 0xf000
	v_add_nc_u16 v132, v132, 0xf000
	;; [unrolled: 1-line block ×3, first 2 shown]
	v_or_b32_e32 v146, v153, v146
	v_lshlrev_b16 v166, 8, v141
	v_lshrrev_b16 v147, 8, v147
	v_add_nc_u16 v130, v130, 0xf000
	v_add_nc_i16 v127, v127, 0xf000 clamp
	v_and_b32_e32 v170, 0xffffff00, v161
	v_lshlrev_b16 v161, 8, v161
	v_and_b32_e32 v144, 0xffff, v144
	v_lshlrev_b32_e32 v135, 16, v135
	v_and_b32_e32 v133, 0xffff, v133
	v_lshlrev_b32_e32 v150, 16, v150
	v_lshrrev_b16 v148, 8, v148
	v_add_nc_u16 v128, v128, 0xf000
	v_add_nc_i16 v139, v139, 0xf000 clamp
	v_and_b32_e32 v171, 0xffffff00, v164
	v_lshlrev_b16 v164, 8, v164
	v_and_b32_e32 v136, 0xffff, v136
	v_lshlrev_b32_e32 v134, 16, v134
	v_and_b32_e32 v131, 0xffff, v131
	v_lshlrev_b32_e32 v145, 16, v145
	;; [unrolled: 2-line block ×4, first 2 shown]
	v_add_nc_u16 v149, v149, 0xf000
	v_add_nc_u16 v166, v166, 0xf000
	v_or_b32_e32 v138, v138, v147
	v_lshrrev_b16 v130, 8, v130
	v_lshrrev_b16 v127, 8, v127
	v_add_nc_i16 v147, v170, 0xf000 clamp
	v_add_nc_i16 v161, v161, 0xf000 clamp
	v_or_b32_e32 v135, v144, v135
	v_or_b32_e32 v133, v133, v150
	;; [unrolled: 1-line block ×3, first 2 shown]
	v_lshrrev_b16 v128, 8, v128
	v_lshrrev_b16 v139, 8, v139
	v_add_nc_i16 v148, v171, 0xf000 clamp
	v_add_nc_i16 v164, v164, 0xf000 clamp
	v_or_b32_e32 v134, v136, v134
	v_or_b32_e32 v131, v131, v145
	;; [unrolled: 1-line block ×4, first 2 shown]
	v_lshrrev_b16 v149, 8, v149
	v_or_b32_e32 v130, v160, v130
	v_or_b32_e32 v127, v162, v127
	v_and_b32_e32 v147, 0xffffff00, v147
	v_lshrrev_b16 v154, 8, v161
	ds_store_2addr_b32 v4, v135, v133 offset1:1
	ds_store_2addr_b32 v5, v134, v131 offset1:1
	;; [unrolled: 1-line block ×3, first 2 shown]
	v_and_b32_e32 v129, 0x1f00, v141
	v_lshrrev_b32_e32 v131, 12, v142
	v_lshrrev_b32_e32 v132, 5, v142
	v_lshrrev_b16 v133, 8, v166
	v_lshlrev_b32_e32 v134, 2, v142
	v_or_b32_e32 v128, v163, v128
	v_or_b32_e32 v139, v165, v139
	v_and_b32_e32 v148, 0xffffff00, v148
	v_lshrrev_b16 v155, 8, v164
	v_add_nc_u16 v138, v138, 0xf000
	v_add_nc_u16 v130, v130, 0xf000
	;; [unrolled: 1-line block ×3, first 2 shown]
	v_or_b32_e32 v147, v154, v147
	v_lshrrev_b32_e32 v126, 4, v126
	v_and_b32_e32 v131, 16, v131
	v_and_b32_e32 v132, 0x1000, v132
	v_lshlrev_b32_e32 v135, 9, v142
	v_and_b32_e32 v134, 0x100000, v134
	v_or_b32_e32 v136, v143, v149
	v_or_b32_e32 v129, v129, v133
	v_add_nc_u16 v140, v140, 0xf000
	v_add_nc_u16 v128, v128, 0xf000
	;; [unrolled: 1-line block ×3, first 2 shown]
	v_or_b32_e32 v148, v155, v148
	v_and_b32_e32 v138, 0xffff, v138
	v_lshlrev_b32_e32 v130, 16, v130
	v_and_b32_e32 v127, 0xffff, v127
	v_lshlrev_b32_e32 v147, 16, v147
	v_and_b32_e32 v126, 0xf0f0f0f, v126
	v_and_b32_e32 v133, 0x10000000, v135
	v_or3_b32 v131, v132, v131, v134
	v_add_nc_u16 v132, v136, 0xf000
	v_add_nc_u16 v129, v129, 0xf000
	v_and_b32_e32 v140, 0xffff, v140
	v_lshlrev_b32_e32 v128, 16, v128
	v_and_b32_e32 v139, 0xffff, v139
	v_lshlrev_b32_e32 v148, 16, v148
	v_or_b32_e32 v130, v138, v130
	v_or_b32_e32 v127, v127, v147
	v_or3_b32 v126, v131, v133, v126
	v_and_b32_e32 v131, 0xffff, v132
	v_lshlrev_b32_e32 v129, 16, v129
	v_ashrrev_i32_e32 v125, v49, v125
	v_or_b32_e32 v128, v140, v128
	v_or_b32_e32 v134, v139, v148
	ds_store_2addr_b32 v7, v130, v127 offset1:1
	ds_store_2addr_b32 v8, v128, v134 offset1:1
	v_lshlrev_b16 v127, 8, v126
	v_lshrrev_b32_e32 v128, 16, v126
	v_or_b32_e32 v137, v131, v129
	v_lshlrev_b32_e32 v130, 4, v125
	v_lshlrev_b32_e32 v131, 11, v125
	;; [unrolled: 1-line block ×4, first 2 shown]
	v_add_nc_i16 v127, v127, 0xf000 clamp
	v_and_b32_e32 v129, 0xffffff00, v128
	s_waitcnt vmcnt(9)
	v_and_b32_e32 v134, 0xf0f0f0f, v124
	v_and_b32_e32 v130, 16, v130
	;; [unrolled: 1-line block ×6, first 2 shown]
	v_lshlrev_b16 v128, 8, v128
	v_lshrrev_b16 v127, 8, v127
	v_add_nc_i16 v129, v129, 0xf000 clamp
	v_or3_b32 v130, v130, v134, v131
	v_or3_b32 v131, v134, v132, v133
	v_lshrrev_b32_e32 v132, 12, v125
	v_lshrrev_b32_e32 v133, 5, v125
	v_lshlrev_b32_e32 v134, 2, v125
	v_add_nc_i16 v128, v128, 0xf000 clamp
	v_or_b32_e32 v126, v126, v127
	v_and_b32_e32 v127, 0xffffff00, v129
	v_lshlrev_b16 v129, 8, v130
	v_lshrrev_b32_e32 v124, 4, v124
	v_and_b32_e32 v132, 16, v132
	v_and_b32_e32 v133, 0x1000, v133
	v_lshlrev_b32_e32 v125, 9, v125
	v_and_b32_e32 v134, 0x100000, v134
	v_lshrrev_b32_e32 v131, 16, v131
	v_lshrrev_b16 v128, 8, v128
	v_add_nc_u16 v129, v129, 0xf000
	v_and_b32_e32 v124, 0xf0f0f0f, v124
	v_and_b32_e32 v125, 0x10000000, v125
	v_or3_b32 v132, v133, v132, v134
	v_lshlrev_b16 v135, 8, v131
	v_and_b32_e32 v130, 0x1f00, v130
	v_lshrrev_b16 v129, 8, v129
	v_add_nc_u16 v126, v126, 0xf000
	v_or_b32_e32 v127, v128, v127
	v_or3_b32 v124, v132, v125, v124
	v_add_nc_u16 v133, v135, 0xf000
	v_or_b32_e32 v128, v130, v129
	v_and_b32_e32 v126, 0xffff, v126
	v_lshlrev_b32_e32 v127, 16, v127
	v_lshlrev_b16 v130, 8, v124
	v_and_b32_e32 v125, 0x1f00, v131
	v_lshrrev_b16 v129, 8, v133
	v_ashrrev_i32_e32 v140, v49, v123
	v_or_b32_e32 v138, v126, v127
	v_add_nc_i16 v126, v130, 0xf000 clamp
	v_add_nc_u16 v128, v128, 0xf000
	v_or_b32_e32 v125, v125, v129
	v_lshrrev_b32_e32 v129, 16, v124
	v_and_b32_e32 v124, 0x1f00, v124
	v_lshrrev_b16 v126, 8, v126
	v_and_b32_e32 v139, 0xffff, v128
	v_add_nc_u16 v125, v125, 0xf000
	v_and_b32_e32 v127, 0xffffff00, v129
	s_waitcnt vmcnt(8)
	v_and_b32_e32 v144, 0xf0f0f0f, v23
	v_or_b32_e32 v142, v124, v126
	v_lshlrev_b32_e32 v124, 4, v140
	v_lshlrev_b32_e32 v126, 11, v140
	;; [unrolled: 1-line block ×3, first 2 shown]
	v_add_nc_i16 v123, v127, 0xf000 clamp
	v_lshlrev_b16 v125, 8, v129
	v_and_b32_e32 v124, 16, v124
	v_and_b32_e32 v127, 0x1000, v126
	v_lshlrev_b32_e32 v128, 18, v140
	v_and_b32_e32 v143, 0xffffff00, v123
	v_add_nc_i16 v123, v125, 0xf000 clamp
	v_mad_i64_i32 v[125:126], null, v73, 22, v[0:1]
	v_lshlrev_b32_e32 v129, 25, v140
	v_or3_b32 v146, v124, v144, v127
	v_and_b32_e32 v147, 0x100000, v128
	v_mad_i64_i32 v[127:128], null, v76, 22, v[0:1]
	v_lshrrev_b16 v145, 8, v123
	v_mad_i64_i32 v[123:124], null, v78, 22, v[0:1]
	v_and_b32_e32 v148, 0x10000000, v129
	v_add_co_u32 v129, vcc_lo, v125, v49
	v_add_co_ci_u32_e32 v130, vcc_lo, 0, v126, vcc_lo
	v_mad_i64_i32 v[131:132], null, v75, 22, v[0:1]
	v_add_co_u32 v133, vcc_lo, v127, v49
	v_add_co_ci_u32_e32 v134, vcc_lo, 0, v128, vcc_lo
	v_add_co_u32 v0, vcc_lo, v123, v49
	v_add_co_ci_u32_e32 v1, vcc_lo, 0, v124, vcc_lo
	;; [unrolled: 2-line block ×3, first 2 shown]
	s_clause 0x7
	global_load_b32 v0, v[0:1], off offset:6
	global_load_b32 v1, v[123:124], off offset:2
	;; [unrolled: 1-line block ×8, first 2 shown]
	v_lshlrev_b16 v125, 8, v146
	v_or3_b32 v128, v144, v147, v148
	v_lshrrev_b32_e32 v131, 12, v140
	v_lshrrev_b32_e32 v132, 5, v140
	v_lshlrev_b32_e32 v134, 2, v140
	v_add_nc_u16 v125, v125, 0xf000
	v_lshrrev_b32_e32 v128, 16, v128
	v_add_nc_u16 v126, v142, 0xf000
	v_or_b32_e32 v127, v145, v143
	v_and_b32_e32 v130, 0x1f00, v146
	v_lshrrev_b16 v125, 8, v125
	v_lshlrev_b16 v133, 8, v128
	v_lshrrev_b32_e32 v23, 4, v23
	v_and_b32_e32 v131, 16, v131
	v_and_b32_e32 v132, 0x1000, v132
	v_lshlrev_b32_e32 v135, 9, v140
	v_and_b32_e32 v134, 0x100000, v134
	v_and_b32_e32 v126, 0xffff, v126
	v_lshlrev_b32_e32 v127, 16, v127
	v_or_b32_e32 v125, v130, v125
	v_add_nc_u16 v130, v133, 0xf000
	v_and_b32_e32 v23, 0xf0f0f0f, v23
	v_and_b32_e32 v133, 0x10000000, v135
	v_or3_b32 v131, v132, v131, v134
	v_or_b32_e32 v129, v139, v141
	v_and_b32_e32 v128, 0x1f00, v128
	v_lshrrev_b16 v130, 8, v130
	v_or_b32_e32 v126, v126, v127
	v_or3_b32 v23, v131, v133, v23
	s_waitcnt vmcnt(8)
	v_ashrrev_i32_e32 v122, v49, v122
	ds_store_2addr_b32 v9, v137, v138 offset1:1
	v_or_b32_e32 v127, v128, v130
	ds_store_2addr_b32 v10, v129, v126 offset1:1
	v_lshlrev_b16 v126, 8, v23
	v_lshlrev_b32_e32 v130, 18, v122
	v_lshlrev_b32_e32 v131, 25, v122
	v_lshrrev_b32_e32 v128, 16, v23
	v_lshlrev_b32_e32 v129, 4, v122
	v_add_nc_i16 v126, v126, 0xf000 clamp
	v_lshlrev_b32_e32 v132, 11, v122
	v_and_b32_e32 v133, 0xf0f0f0f, v121
	v_and_b32_e32 v130, 0x100000, v130
	;; [unrolled: 1-line block ×7, first 2 shown]
	v_lshlrev_b16 v128, 8, v128
	v_lshrrev_b16 v126, 8, v126
	v_or3_b32 v130, v133, v130, v131
	v_or3_b32 v129, v129, v133, v132
	v_add_nc_i16 v131, v134, 0xf000 clamp
	v_add_nc_i16 v128, v128, 0xf000 clamp
	v_or_b32_e32 v23, v23, v126
	v_lshrrev_b32_e32 v126, 16, v130
	v_lshlrev_b16 v130, 8, v129
	v_and_b32_e32 v131, 0xffffff00, v131
	v_lshrrev_b16 v128, 8, v128
	v_lshrrev_b32_e32 v133, 5, v122
	v_lshlrev_b16 v132, 8, v126
	v_add_nc_u16 v130, v130, 0xf000
	v_lshlrev_b32_e32 v134, 2, v122
	v_or_b32_e32 v128, v128, v131
	v_and_b32_e32 v129, 0x1f00, v129
	v_add_nc_u16 v131, v132, 0xf000
	v_lshrrev_b32_e32 v132, 12, v122
	v_lshrrev_b16 v130, 8, v130
	v_and_b32_e32 v126, 0x1f00, v126
	v_lshrrev_b32_e32 v121, 4, v121
	v_lshrrev_b16 v131, 8, v131
	v_and_b32_e32 v132, 16, v132
	v_and_b32_e32 v133, 0x1000, v133
	v_lshlrev_b32_e32 v122, 9, v122
	v_and_b32_e32 v134, 0x100000, v134
	v_add_nc_u16 v125, v125, 0xf000
	v_add_nc_u16 v127, v127, 0xf000
	;; [unrolled: 1-line block ×3, first 2 shown]
	v_or_b32_e32 v129, v129, v130
	v_or_b32_e32 v126, v126, v131
	v_and_b32_e32 v121, 0xf0f0f0f, v121
	v_and_b32_e32 v122, 0x10000000, v122
	v_or3_b32 v130, v133, v132, v134
	v_and_b32_e32 v125, 0xffff, v125
	v_lshlrev_b32_e32 v127, 16, v127
	v_add_nc_u16 v129, v129, 0xf000
	v_add_nc_u16 v126, v126, 0xf000
	v_and_b32_e32 v23, 0xffff, v23
	v_lshlrev_b32_e32 v128, 16, v128
	v_or3_b32 v121, v130, v122, v121
	v_ashrrev_i32_e32 v120, v49, v120
	v_and_b32_e32 v122, 0xffff, v129
	v_lshlrev_b32_e32 v126, 16, v126
	v_or_b32_e32 v125, v125, v127
	v_or_b32_e32 v127, v23, v128
	v_lshlrev_b16 v23, 8, v121
	v_lshrrev_b32_e32 v128, 16, v121
	v_lshlrev_b32_e32 v129, 4, v120
	v_lshlrev_b32_e32 v130, 11, v120
	v_or_b32_e32 v122, v122, v126
	v_add_nc_i16 v23, v23, 0xf000 clamp
	v_and_b32_e32 v126, 0xffffff00, v128
	v_lshlrev_b32_e32 v131, 18, v120
	v_lshlrev_b32_e32 v132, 25, v120
	v_and_b32_e32 v133, 0xf0f0f0f, v119
	v_and_b32_e32 v129, 16, v129
	;; [unrolled: 1-line block ×6, first 2 shown]
	v_lshrrev_b16 v23, 8, v23
	v_add_nc_i16 v126, v126, 0xf000 clamp
	v_or3_b32 v129, v129, v133, v130
	v_lshlrev_b16 v128, 8, v128
	v_or3_b32 v130, v133, v131, v132
	v_or_b32_e32 v23, v121, v23
	v_and_b32_e32 v121, 0xffffff00, v126
	v_lshlrev_b16 v126, 8, v129
	v_lshrrev_b32_e32 v131, 12, v120
	v_lshrrev_b32_e32 v132, 5, v120
	v_lshlrev_b32_e32 v133, 2, v120
	v_add_nc_i16 v128, v128, 0xf000 clamp
	v_add_nc_u16 v126, v126, 0xf000
	v_lshrrev_b32_e32 v119, 4, v119
	v_and_b32_e32 v131, 16, v131
	v_and_b32_e32 v132, 0x1000, v132
	v_lshlrev_b32_e32 v120, 9, v120
	v_and_b32_e32 v133, 0x100000, v133
	v_lshrrev_b16 v128, 8, v128
	v_lshrrev_b32_e32 v130, 16, v130
	v_and_b32_e32 v129, 0x1f00, v129
	v_lshrrev_b16 v126, 8, v126
	v_and_b32_e32 v119, 0xf0f0f0f, v119
	v_and_b32_e32 v120, 0x10000000, v120
	v_or3_b32 v131, v132, v131, v133
	v_add_nc_u16 v23, v23, 0xf000
	v_lshlrev_b16 v132, 8, v130
	v_or_b32_e32 v121, v128, v121
	v_or_b32_e32 v126, v129, v126
	v_or3_b32 v119, v131, v120, v119
	v_and_b32_e32 v23, 0xffff, v23
	v_add_nc_u16 v120, v132, 0xf000
	v_lshlrev_b32_e32 v121, 16, v121
	v_add_nc_u16 v126, v126, 0xf000
	v_lshlrev_b16 v128, 8, v119
	v_ashrrev_i32_e32 v118, v49, v118
	v_and_b32_e32 v129, 0x1f00, v130
	v_lshrrev_b16 v120, 8, v120
	v_or_b32_e32 v121, v23, v121
	v_and_b32_e32 v23, 0xffff, v126
	v_add_nc_i16 v126, v128, 0xf000 clamp
	v_lshrrev_b32_e32 v128, 16, v119
	v_lshlrev_b32_e32 v130, 18, v118
	v_lshlrev_b32_e32 v131, 25, v118
	v_or_b32_e32 v120, v129, v120
	v_and_b32_e32 v134, 0xf0f0f0f, v24
	v_and_b32_e32 v129, 0xffffff00, v128
	v_lshlrev_b16 v128, 8, v128
	v_and_b32_e32 v130, 0x100000, v130
	v_and_b32_e32 v131, 0x10000000, v131
	v_lshlrev_b32_e32 v132, 4, v118
	v_lshlrev_b32_e32 v133, 11, v118
	v_add_nc_i16 v129, v129, 0xf000 clamp
	v_add_nc_i16 v128, v128, 0xf000 clamp
	v_or3_b32 v130, v134, v130, v131
	v_and_b32_e32 v119, 0x1f00, v119
	v_lshrrev_b16 v126, 8, v126
	v_and_b32_e32 v132, 16, v132
	v_and_b32_e32 v133, 0x1000, v133
	;; [unrolled: 1-line block ×3, first 2 shown]
	v_lshrrev_b16 v128, 8, v128
	v_lshrrev_b32_e32 v130, 16, v130
	v_or_b32_e32 v119, v119, v126
	v_or3_b32 v126, v132, v134, v133
	v_add_nc_u16 v120, v120, 0xf000
	v_or_b32_e32 v128, v128, v129
	v_lshlrev_b16 v129, 8, v130
	v_add_nc_u16 v119, v119, 0xf000
	v_lshlrev_b16 v131, 8, v126
	v_lshlrev_b32_e32 v120, 16, v120
	v_lshlrev_b32_e32 v128, 16, v128
	v_add_nc_u16 v129, v129, 0xf000
	v_and_b32_e32 v119, 0xffff, v119
	v_add_nc_u16 v131, v131, 0xf000
	v_or_b32_e32 v120, v23, v120
	v_and_b32_e32 v23, 0x1f00, v130
	v_lshrrev_b16 v129, 8, v129
	v_and_b32_e32 v126, 0x1f00, v126
	v_lshrrev_b16 v131, 8, v131
	v_or_b32_e32 v119, v119, v128
	v_lshrrev_b32_e32 v128, 12, v118
	v_lshrrev_b32_e32 v130, 5, v118
	v_or_b32_e32 v23, v23, v129
	v_lshlrev_b32_e32 v129, 2, v118
	v_or_b32_e32 v126, v126, v131
	v_lshrrev_b32_e32 v24, 4, v24
	v_and_b32_e32 v128, 16, v128
	v_and_b32_e32 v130, 0x1000, v130
	;; [unrolled: 1-line block ×3, first 2 shown]
	v_add_nc_u16 v23, v23, 0xf000
	v_lshlrev_b32_e32 v118, 9, v118
	v_add_nc_u16 v126, v126, 0xf000
	v_and_b32_e32 v131, 0xf0f0f0f, v24
	v_or3_b32 v128, v130, v128, v129
	v_lshlrev_b32_e32 v129, 16, v23
	v_mad_u64_u32 v[23:24], null, v79, 22, s[0:1]
	v_and_b32_e32 v118, 0x10000000, v118
	v_and_b32_e32 v126, 0xffff, v126
	ds_store_2addr_b32 v11, v125, v127 offset1:1
	ds_store_2addr_b32 v12, v122, v121 offset1:1
	ds_store_2addr_b32 v13, v120, v119 offset1:1
	v_ashrrev_i32_e32 v3, v49, v3
	s_mov_b32 s0, -4
	v_or3_b32 v130, v128, v118, v131
	v_mad_i64_i32 v[118:119], null, v80, 22, v[23:24]
	v_mad_i64_i32 v[120:121], null, v81, 22, v[23:24]
	v_or_b32_e32 v137, v126, v129
	v_mad_i64_i32 v[125:126], null, v82, 22, v[23:24]
	v_add_nc_u32_e32 v131, s5, v74
	v_mad_i64_i32 v[127:128], null, v83, 22, v[23:24]
	s_clause 0x3
	global_load_u16 v141, v[118:119], off
	global_load_u16 v142, v[120:121], off
	;; [unrolled: 1-line block ×4, first 2 shown]
	v_add_nc_u32_e32 v122, v131, v85
	v_add_nc_u32_e32 v118, s5, v22
	;; [unrolled: 1-line block ×6, first 2 shown]
	v_lshrrev_b32_e32 v138, 16, v130
	v_and_b32_e32 v139, 0x1f00, v130
	v_lshlrev_b16 v140, 8, v130
	v_mad_i64_i32 v[23:24], null, v122, 36, v[20:21]
	v_mad_i64_i32 v[119:120], null, v121, 36, v[20:21]
	;; [unrolled: 1-line block ×5, first 2 shown]
	v_mad_u64_u32 v[129:130], null, v118, 36, s[2:3]
	v_add_nc_u32_e32 v133, v131, v95
	v_add_nc_u32_e32 v135, v131, v97
	;; [unrolled: 1-line block ×3, first 2 shown]
	s_delay_alu instid0(VALU_DEP_3) | instskip(NEXT) | instid1(VALU_DEP_3)
	v_mad_i64_i32 v[131:132], null, v133, 36, v[20:21]
	v_mad_i64_i32 v[133:134], null, v135, 36, v[20:21]
	s_delay_alu instid0(VALU_DEP_3)
	v_mad_i64_i32 v[135:136], null, v145, 36, v[20:21]
	s_clause 0x8
	global_load_b32 v129, v[129:130], off
	global_load_b32 v23, v[23:24], off offset:4
	global_load_b32 v24, v[119:120], off offset:4
	;; [unrolled: 1-line block ×8, first 2 shown]
	v_lshlrev_b32_e32 v131, 4, v3
	v_lshlrev_b32_e32 v132, 11, v3
	;; [unrolled: 1-line block ×4, first 2 shown]
	v_add_nc_i16 v127, v140, 0xf000 clamp
	v_and_b32_e32 v135, 0xf0f0f0f, v2
	v_and_b32_e32 v131, 16, v131
	;; [unrolled: 1-line block ×5, first 2 shown]
	v_lshrrev_b16 v127, 8, v127
	v_lshlrev_b32_e32 v136, 2, v3
	v_or3_b32 v131, v131, v135, v132
	v_and_b32_e32 v128, 0xffffff00, v138
	v_or3_b32 v132, v135, v133, v134
	v_lshrrev_b32_e32 v134, 12, v3
	v_lshrrev_b32_e32 v135, 5, v3
	v_lshlrev_b16 v130, 8, v138
	v_or_b32_e32 v127, v139, v127
	v_lshlrev_b16 v133, 8, v131
	v_lshrrev_b32_e32 v132, 16, v132
	v_lshrrev_b32_e32 v2, 4, v2
	v_and_b32_e32 v134, 16, v134
	v_and_b32_e32 v135, 0x1000, v135
	v_lshlrev_b32_e32 v3, 9, v3
	v_and_b32_e32 v136, 0x100000, v136
	v_add_nc_i16 v128, v128, 0xf000 clamp
	v_add_nc_i16 v130, v130, 0xf000 clamp
	v_add_nc_u16 v133, v133, 0xf000
	v_and_b32_e32 v2, 0xf0f0f0f, v2
	v_and_b32_e32 v3, 0x10000000, v3
	v_or3_b32 v134, v135, v134, v136
	v_add_nc_u16 v127, v127, 0xf000
	v_lshlrev_b16 v135, 8, v132
	v_and_b32_e32 v128, 0xffffff00, v128
	v_lshrrev_b16 v130, 8, v130
	v_and_b32_e32 v131, 0x1f00, v131
	v_lshrrev_b16 v133, 8, v133
	v_or3_b32 v2, v134, v3, v2
	v_and_b32_e32 v3, 0xffff, v127
	v_add_nc_u16 v127, v135, 0xf000
	v_or_b32_e32 v128, v130, v128
	v_or_b32_e32 v130, v131, v133
	v_and_b32_e32 v132, 0x1f00, v132
	v_lshlrev_b16 v131, 8, v2
	v_lshrrev_b16 v127, 8, v127
	v_lshlrev_b32_e32 v128, 16, v128
	v_add_nc_u16 v130, v130, 0xf000
	s_delay_alu instid0(VALU_DEP_3) | instskip(NEXT) | instid1(VALU_DEP_3)
	v_or_b32_e32 v127, v132, v127
	v_or_b32_e32 v3, v3, v128
	s_delay_alu instid0(VALU_DEP_3)
	v_and_b32_e32 v128, 0xffff, v130
	v_add_nc_i16 v130, v131, 0xf000 clamp
	v_lshrrev_b32_e32 v131, 16, v2
	v_and_b32_e32 v2, 0x1f00, v2
	v_add_nc_u16 v127, v127, 0xf000
	ds_store_2addr_b32 v14, v137, v3 offset1:1
	v_lshrrev_b16 v130, 8, v130
	v_and_b32_e32 v133, 0xffffff00, v131
	s_waitcnt vmcnt(13)
	v_ashrrev_i32_e32 v132, v49, v152
	v_lshlrev_b16 v131, 8, v131
	v_and_b32_e32 v139, 0xf0f0f0f, v151
	v_or_b32_e32 v2, v2, v130
	v_add_nc_i16 v133, v133, 0xf000 clamp
	v_lshlrev_b32_e32 v135, 18, v132
	v_lshlrev_b32_e32 v136, 25, v132
	;; [unrolled: 1-line block ×4, first 2 shown]
	v_add_nc_i16 v131, v131, 0xf000 clamp
	v_and_b32_e32 v135, 0x100000, v135
	v_and_b32_e32 v136, 0x10000000, v136
	;; [unrolled: 1-line block ×5, first 2 shown]
	v_lshrrev_b16 v131, 8, v131
	v_or3_b32 v130, v139, v135, v136
	v_lshrrev_b32_e32 v136, 12, v132
	v_or3_b32 v134, v134, v139, v138
	v_lshrrev_b32_e32 v138, 5, v132
	v_or_b32_e32 v131, v131, v133
	v_lshrrev_b32_e32 v130, 16, v130
	v_lshlrev_b32_e32 v139, 2, v132
	v_lshlrev_b16 v135, 8, v134
	v_and_b32_e32 v134, 0x1f00, v134
	v_add_nc_u16 v2, v2, 0xf000
	v_lshlrev_b16 v133, 8, v130
	v_and_b32_e32 v130, 0x1f00, v130
	v_add_nc_u16 v135, v135, 0xf000
	v_lshlrev_b32_e32 v127, 16, v127
	v_lshrrev_b32_e32 v140, 4, v151
	v_add_nc_u16 v133, v133, 0xf000
	v_and_b32_e32 v136, 16, v136
	v_lshrrev_b16 v135, 8, v135
	v_and_b32_e32 v138, 0x1000, v138
	v_lshlrev_b32_e32 v132, 9, v132
	v_lshrrev_b16 v133, 8, v133
	v_and_b32_e32 v139, 0x100000, v139
	v_or_b32_e32 v134, v134, v135
	v_and_b32_e32 v2, 0xffff, v2
	v_lshlrev_b32_e32 v131, 16, v131
	v_or_b32_e32 v130, v130, v133
	v_and_b32_e32 v133, 0xf0f0f0f, v140
	v_and_b32_e32 v132, 0x10000000, v132
	v_or3_b32 v135, v138, v136, v139
	v_or_b32_e32 v127, v128, v127
	v_add_nc_u16 v128, v134, 0xf000
	v_add_nc_u16 v130, v130, 0xf000
	v_or_b32_e32 v2, v2, v131
	v_or3_b32 v131, v135, v132, v133
	v_and_b32_e32 v136, 0xf0f0f0f, v149
	v_and_b32_e32 v3, 0xffff, v128
	v_lshlrev_b32_e32 v128, 16, v130
	v_ashrrev_i32_e32 v130, v49, v150
	ds_store_2addr_b32 v15, v127, v2 offset1:1
	v_lshlrev_b16 v2, 8, v131
	v_lshrrev_b32_e32 v127, 16, v131
	v_or_b32_e32 v3, v3, v128
	v_lshlrev_b32_e32 v133, 18, v130
	v_lshlrev_b32_e32 v134, 25, v130
	v_and_b32_e32 v128, 0x1f00, v131
	v_add_nc_i16 v2, v2, 0xf000 clamp
	v_and_b32_e32 v131, 0xffffff00, v127
	v_lshlrev_b32_e32 v132, 4, v130
	v_lshlrev_b32_e32 v135, 11, v130
	v_and_b32_e32 v133, 0x100000, v133
	v_and_b32_e32 v134, 0x10000000, v134
	v_lshrrev_b16 v2, 8, v2
	v_and_b32_e32 v132, 16, v132
	v_and_b32_e32 v135, 0x1000, v135
	v_add_nc_i16 v131, v131, 0xf000 clamp
	v_or3_b32 v133, v136, v133, v134
	v_or_b32_e32 v2, v128, v2
	v_lshrrev_b32_e32 v134, 12, v130
	v_or3_b32 v132, v132, v136, v135
	v_and_b32_e32 v128, 0xffffff00, v131
	v_lshrrev_b32_e32 v131, 16, v133
	v_lshrrev_b32_e32 v135, 5, v130
	v_lshlrev_b32_e32 v137, 2, v130
	v_lshlrev_b16 v127, 8, v127
	v_and_b32_e32 v133, 0x1f00, v132
	v_lshlrev_b16 v132, 8, v132
	v_lshlrev_b16 v136, 8, v131
	v_lshrrev_b32_e32 v138, 4, v149
	v_and_b32_e32 v134, 16, v134
	v_and_b32_e32 v135, 0x1000, v135
	v_lshlrev_b32_e32 v130, 9, v130
	v_and_b32_e32 v137, 0x100000, v137
	v_add_nc_i16 v127, v127, 0xf000 clamp
	v_add_nc_u16 v132, v132, 0xf000
	v_add_nc_u16 v136, v136, 0xf000
	v_and_b32_e32 v138, 0xf0f0f0f, v138
	v_and_b32_e32 v130, 0x10000000, v130
	v_or3_b32 v134, v135, v134, v137
	v_lshrrev_b16 v132, 8, v132
	v_and_b32_e32 v131, 0x1f00, v131
	v_lshrrev_b16 v135, 8, v136
	v_lshrrev_b16 v127, 8, v127
	v_or3_b32 v130, v134, v130, v138
	v_or_b32_e32 v132, v133, v132
	v_add_nc_u16 v2, v2, 0xf000
	v_or_b32_e32 v131, v131, v135
	v_or_b32_e32 v127, v127, v128
	v_lshlrev_b16 v128, 8, v130
	v_add_nc_u16 v132, v132, 0xf000
	v_lshrrev_b32_e32 v133, 16, v130
	v_add_nc_u16 v131, v131, 0xf000
	v_and_b32_e32 v2, 0xffff, v2
	v_add_nc_i16 v128, v128, 0xf000 clamp
	v_lshlrev_b32_e32 v127, 16, v127
	v_and_b32_e32 v132, 0xffff, v132
	v_lshlrev_b32_e32 v131, 16, v131
	v_and_b32_e32 v130, 0x1f00, v130
	v_lshrrev_b16 v128, 8, v128
	v_and_b32_e32 v134, 0xffffff00, v133
	v_ashrrev_i32_e32 v124, v49, v124
	v_or_b32_e32 v2, v2, v127
	v_or_b32_e32 v127, v132, v131
	;; [unrolled: 1-line block ×3, first 2 shown]
	v_add_nc_i16 v130, v134, 0xf000 clamp
	v_lshlrev_b16 v131, 8, v133
	v_lshlrev_b32_e32 v132, 18, v124
	v_lshlrev_b32_e32 v133, 25, v124
	;; [unrolled: 1-line block ×4, first 2 shown]
	v_and_b32_e32 v136, 0xf0f0f0f, v123
	v_and_b32_e32 v132, 0x100000, v132
	;; [unrolled: 1-line block ×5, first 2 shown]
	v_lshrrev_b32_e32 v123, 4, v123
	v_add_nc_i16 v131, v131, 0xf000 clamp
	v_or3_b32 v132, v136, v132, v133
	v_and_b32_e32 v130, 0xffffff00, v130
	v_or3_b32 v133, v134, v136, v135
	v_lshrrev_b32_e32 v134, 12, v124
	v_lshrrev_b32_e32 v135, 5, v124
	v_lshlrev_b32_e32 v136, 2, v124
	v_lshrrev_b32_e32 v132, 16, v132
	v_lshlrev_b32_e32 v124, 9, v124
	v_and_b32_e32 v134, 16, v134
	v_and_b32_e32 v135, 0x1000, v135
	;; [unrolled: 1-line block ×3, first 2 shown]
	v_lshlrev_b16 v137, 8, v133
	v_lshlrev_b16 v138, 8, v132
	v_and_b32_e32 v123, 0xf0f0f0f, v123
	v_and_b32_e32 v124, 0x10000000, v124
	v_or3_b32 v134, v135, v134, v136
	v_add_nc_u16 v135, v137, 0xf000
	v_lshrrev_b16 v131, 8, v131
	v_add_nc_u16 v136, v138, 0xf000
	v_and_b32_e32 v133, 0x1f00, v133
	v_or3_b32 v123, v134, v124, v123
	v_lshrrev_b16 v124, 8, v135
	v_and_b32_e32 v132, 0x1f00, v132
	v_lshrrev_b16 v134, 8, v136
	v_or_b32_e32 v130, v131, v130
	v_lshlrev_b16 v131, 8, v123
	v_add_nc_u16 v128, v128, 0xf000
	v_or_b32_e32 v124, v133, v124
	v_or_b32_e32 v132, v132, v134
	v_lshrrev_b32_e32 v133, 16, v123
	v_add_nc_i16 v131, v131, 0xf000 clamp
	v_and_b32_e32 v128, 0xffff, v128
	v_lshlrev_b32_e32 v130, 16, v130
	v_add_nc_u16 v124, v124, 0xf000
	v_add_nc_u16 v132, v132, 0xf000
	v_and_b32_e32 v123, 0x1f00, v123
	v_lshrrev_b16 v131, 8, v131
	v_and_b32_e32 v134, 0xffffff00, v133
	v_or_b32_e32 v128, v128, v130
	v_and_b32_e32 v124, 0xffff, v124
	v_lshlrev_b32_e32 v130, 16, v132
	v_or_b32_e32 v123, v123, v131
	v_add_nc_i16 v131, v134, 0xf000 clamp
	v_ashrrev_i32_e32 v1, v49, v1
	v_lshlrev_b16 v132, 8, v133
	v_or_b32_e32 v124, v124, v130
	v_and_b32_e32 v135, 0xf0f0f0f, v0
	v_and_b32_e32 v130, 0xffffff00, v131
	v_lshlrev_b32_e32 v131, 4, v1
	v_lshlrev_b32_e32 v133, 11, v1
	;; [unrolled: 1-line block ×4, first 2 shown]
	v_lshrrev_b32_e32 v137, 12, v1
	v_lshrrev_b32_e32 v138, 5, v1
	v_lshlrev_b32_e32 v139, 2, v1
	v_and_b32_e32 v131, 16, v131
	v_and_b32_e32 v133, 0x1000, v133
	v_and_b32_e32 v134, 0x100000, v134
	v_and_b32_e32 v136, 0x10000000, v136
	v_lshrrev_b32_e32 v0, 4, v0
	v_and_b32_e32 v137, 16, v137
	v_and_b32_e32 v138, 0x1000, v138
	v_lshlrev_b32_e32 v1, 9, v1
	v_and_b32_e32 v139, 0x100000, v139
	v_add_nc_i16 v132, v132, 0xf000 clamp
	v_or3_b32 v131, v131, v135, v133
	v_or3_b32 v133, v135, v134, v136
	v_and_b32_e32 v0, 0xf0f0f0f, v0
	v_and_b32_e32 v1, 0x10000000, v1
	v_or3_b32 v134, v138, v137, v139
	v_lshrrev_b16 v132, 8, v132
	v_lshlrev_b16 v135, 8, v131
	v_lshrrev_b32_e32 v133, 16, v133
	v_and_b32_e32 v131, 0x1f00, v131
	v_or3_b32 v0, v134, v1, v0
	v_or_b32_e32 v1, v132, v130
	v_add_nc_u16 v130, v135, 0xf000
	v_lshlrev_b16 v132, 8, v133
	v_and_b32_e32 v133, 0x1f00, v133
	v_lshlrev_b16 v134, 8, v0
	v_lshrrev_b32_e32 v135, 16, v0
	v_lshrrev_b16 v130, 8, v130
	v_add_nc_u16 v132, v132, 0xf000
	v_and_b32_e32 v0, 0x1f00, v0
	v_add_nc_i16 v134, v134, 0xf000 clamp
	v_and_b32_e32 v136, 0xffffff00, v135
	v_lshlrev_b16 v135, 8, v135
	v_lshrrev_b16 v132, 8, v132
	v_add_nc_u16 v123, v123, 0xf000
	v_lshrrev_b16 v134, 8, v134
	v_add_nc_i16 v136, v136, 0xf000 clamp
	v_add_nc_i16 v135, v135, 0xf000 clamp
	v_or_b32_e32 v130, v131, v130
	v_or_b32_e32 v131, v133, v132
	;; [unrolled: 1-line block ×3, first 2 shown]
	v_and_b32_e32 v132, 0xffffff00, v136
	v_lshrrev_b16 v133, 8, v135
	v_and_b32_e32 v123, 0xffff, v123
	v_lshlrev_b32_e32 v1, 16, v1
	v_add_nc_u16 v130, v130, 0xf000
	v_add_nc_u16 v131, v131, 0xf000
	;; [unrolled: 1-line block ×3, first 2 shown]
	v_or_b32_e32 v132, v133, v132
	v_or_b32_e32 v1, v123, v1
	v_and_b32_e32 v123, 0xffff, v130
	v_lshlrev_b32_e32 v130, 16, v131
	v_and_b32_e32 v0, 0xffff, v0
	v_lshlrev_b32_e32 v131, 16, v132
	ds_store_2addr_b32 v16, v3, v2 offset1:1
	ds_store_2addr_b32 v17, v127, v128 offset1:1
	;; [unrolled: 1-line block ×3, first 2 shown]
	s_waitcnt vmcnt(12)
	v_cvt_f32_f16_e64 v2, v141
	v_or_b32_e32 v1, v123, v130
	s_waitcnt vmcnt(11)
	v_cvt_f32_f16_e64 v3, v142
	v_or_b32_e32 v0, v0, v131
	s_waitcnt vmcnt(10)
	v_cvt_f32_f16_e64 v123, v143
	s_waitcnt vmcnt(9)
	v_cvt_f32_f16_e64 v124, v144
	ds_store_2addr_b32 v19, v1, v0 offset1:1
	ds_store_b32 v114, v2
	ds_store_b32 v115, v3
	;; [unrolled: 1-line block ×4, first 2 shown]
	v_mov_b32_e32 v124, v104
	s_waitcnt vmcnt(8)
	v_cvt_f32_f16_e64 v0, v129
	s_waitcnt vmcnt(6)
	ds_store_b32 v88, v24
	s_waitcnt vmcnt(5)
	ds_store_b32 v90, v119
	;; [unrolled: 2-line block ×7, first 2 shown]
	ds_store_b32 v86, v23
	ds_store_b32 v84, v0
	v_dual_mov_b32 v119, v108 :: v_dual_mov_b32 v120, v107
	v_dual_mov_b32 v121, v101 :: v_dual_mov_b32 v122, v106
	v_mov_b32_e32 v123, v105
	v_mov_b32_e32 v125, v103
	s_waitcnt lgkmcnt(0)
	s_barrier
	buffer_gl0_inv
.LBB122_7:                              ;   Parent Loop BB122_6 Depth=1
                                        ; =>  This Inner Loop Header: Depth=2
	ds_load_2addr_b32 v[23:24], v121 offset1:1
	ds_load_b128 v[0:3], v120
	ds_load_b128 v[126:129], v120 offset:16
	ds_load_2addr_b32 v[158:159], v121 offset0:2 offset1:3
	v_add_nc_u32_e32 v131, 0x2080, v121
	v_add_nc_u32_e32 v132, 0x4100, v121
	;; [unrolled: 1-line block ×3, first 2 shown]
	ds_load_2addr_b32 v[172:173], v121 offset0:4 offset1:5
	ds_load_2addr_b32 v[178:179], v121 offset0:6 offset1:7
	ds_load_2addr_b32 v[160:161], v131 offset1:1
	ds_load_2addr_b32 v[162:163], v132 offset1:1
	;; [unrolled: 1-line block ×3, first 2 shown]
	s_add_i32 s0, s0, 4
	s_delay_alu instid0(SALU_CYCLE_1) | instskip(SKIP_3) | instid1(VALU_DEP_1)
	s_cmp_lt_u32 s0, 12
	s_waitcnt lgkmcnt(7)
	v_dot4_i32_iu8 v130, v23, v0, 0 neg_lo:[1,1,0]
	s_waitcnt lgkmcnt(6)
	v_dot4_i32_iu8 v130, v24, v126, v130 neg_lo:[1,1,0]
	;; [unrolled: 2-line block ×4, first 2 shown]
	v_dot4_i32_iu8 v130, v158, v1, v130 neg_lo:[1,1,0]
	s_waitcnt lgkmcnt(0)
	v_dot4_i32_iu8 v0, v164, v0, 0 neg_lo:[1,1,0]
	v_dot4_i32_iu8 v131, v161, v126, v131 neg_lo:[1,1,0]
	;; [unrolled: 1-line block ×3, first 2 shown]
	s_delay_alu instid0(VALU_DEP_3)
	v_dot4_i32_iu8 v0, v165, v126, v0 neg_lo:[1,1,0]
	v_dot4_i32_iu8 v126, v159, v127, v130 neg_lo:[1,1,0]
	v_add_nc_u32_e32 v130, 0x2088, v121
	ds_load_2addr_b32 v[166:167], v130 offset1:1
	s_waitcnt lgkmcnt(0)
	v_dot4_i32_iu8 v130, v166, v1, v131 neg_lo:[1,1,0]
	v_add_nc_u32_e32 v131, 0x4108, v121
	s_delay_alu instid0(VALU_DEP_2) | instskip(SKIP_4) | instid1(VALU_DEP_2)
	v_dot4_i32_iu8 v130, v167, v127, v130 neg_lo:[1,1,0]
	ds_load_2addr_b32 v[168:169], v131 offset1:1
	s_waitcnt lgkmcnt(0)
	v_dot4_i32_iu8 v131, v168, v1, v132 neg_lo:[1,1,0]
	v_add_nc_u32_e32 v132, 0x6188, v121
	v_dot4_i32_iu8 v131, v169, v127, v131 neg_lo:[1,1,0]
	ds_load_2addr_b32 v[170:171], v132 offset1:1
	v_add_nc_u32_e32 v132, 0x4110, v121
	ds_load_2addr_b32 v[174:175], v132 offset1:1
	v_add_nc_u32_e32 v132, 0x6190, v121
	ds_load_2addr_b32 v[176:177], v132 offset1:1
	s_waitcnt lgkmcnt(2)
	v_dot4_i32_iu8 v0, v170, v1, v0 neg_lo:[1,1,0]
	v_dot4_i32_iu8 v1, v172, v2, v126 neg_lo:[1,1,0]
	v_add_nc_u32_e32 v126, 0x2090, v121
	s_delay_alu instid0(VALU_DEP_3) | instskip(NEXT) | instid1(VALU_DEP_3)
	v_dot4_i32_iu8 v0, v171, v127, v0 neg_lo:[1,1,0]
	v_dot4_i32_iu8 v1, v173, v128, v1 neg_lo:[1,1,0]
	ds_load_2addr_b32 v[126:127], v126 offset1:1
	s_waitcnt lgkmcnt(2)
	v_dot4_i32_iu8 v131, v174, v2, v131 neg_lo:[1,1,0]
	v_dot4_i32_iu8 v186, v178, v3, v1 neg_lo:[1,1,0]
	s_waitcnt lgkmcnt(1)
	v_dot4_i32_iu8 v0, v176, v2, v0 neg_lo:[1,1,0]
	s_delay_alu instid0(VALU_DEP_1) | instskip(SKIP_3) | instid1(VALU_DEP_2)
	v_dot4_i32_iu8 v0, v177, v128, v0 neg_lo:[1,1,0]
	s_waitcnt lgkmcnt(0)
	v_dot4_i32_iu8 v130, v126, v2, v130 neg_lo:[1,1,0]
	v_dot4_i32_iu8 v2, v175, v128, v131 neg_lo:[1,1,0]
	;; [unrolled: 1-line block ×3, first 2 shown]
	v_add_nc_u32_e32 v128, 0x2098, v121
	ds_load_b128 v[130:133], v120 offset:1040
	ds_load_2addr_b32 v[180:181], v128 offset1:1
	s_waitcnt lgkmcnt(0)
	v_dot4_i32_iu8 v128, v180, v3, v1 neg_lo:[1,1,0]
	v_add_nc_u32_e32 v1, 0x4118, v121
	ds_load_2addr_b32 v[182:183], v1 offset1:1
	v_add_nc_u32_e32 v1, 0x6198, v121
	v_add_nc_u32_e32 v121, 32, v121
	ds_load_2addr_b32 v[184:185], v1 offset1:1
	s_waitcnt lgkmcnt(1)
	v_dot4_i32_iu8 v187, v182, v3, v2 neg_lo:[1,1,0]
	s_waitcnt lgkmcnt(0)
	v_dot4_i32_iu8 v188, v184, v3, v0 neg_lo:[1,1,0]
	ds_load_b128 v[0:3], v120 offset:1024
	s_waitcnt lgkmcnt(0)
	v_dot4_i32_iu8 v134, v0, v23, 0 neg_lo:[1,1,0]
	v_dot4_i32_iu8 v135, v0, v160, 0 neg_lo:[1,1,0]
	v_dot4_i32_iu8 v136, v0, v162, 0 neg_lo:[1,1,0]
	v_dot4_i32_iu8 v0, v0, v164, 0 neg_lo:[1,1,0]
	s_delay_alu instid0(VALU_DEP_4) | instskip(NEXT) | instid1(VALU_DEP_4)
	v_dot4_i32_iu8 v134, v130, v24, v134 neg_lo:[1,1,0]
	v_dot4_i32_iu8 v135, v130, v161, v135 neg_lo:[1,1,0]
	s_delay_alu instid0(VALU_DEP_4) | instskip(NEXT) | instid1(VALU_DEP_4)
	v_dot4_i32_iu8 v136, v130, v163, v136 neg_lo:[1,1,0]
	v_dot4_i32_iu8 v0, v130, v165, v0 neg_lo:[1,1,0]
	s_delay_alu instid0(VALU_DEP_4) | instskip(NEXT) | instid1(VALU_DEP_4)
	v_dot4_i32_iu8 v130, v1, v158, v134 neg_lo:[1,1,0]
	v_dot4_i32_iu8 v134, v1, v166, v135 neg_lo:[1,1,0]
	s_delay_alu instid0(VALU_DEP_4) | instskip(NEXT) | instid1(VALU_DEP_4)
	v_dot4_i32_iu8 v135, v1, v168, v136 neg_lo:[1,1,0]
	v_dot4_i32_iu8 v0, v1, v170, v0 neg_lo:[1,1,0]
	s_delay_alu instid0(VALU_DEP_4) | instskip(NEXT) | instid1(VALU_DEP_4)
	v_dot4_i32_iu8 v1, v131, v159, v130 neg_lo:[1,1,0]
	v_dot4_i32_iu8 v130, v131, v167, v134 neg_lo:[1,1,0]
	s_delay_alu instid0(VALU_DEP_4) | instskip(NEXT) | instid1(VALU_DEP_4)
	v_dot4_i32_iu8 v134, v131, v169, v135 neg_lo:[1,1,0]
	v_dot4_i32_iu8 v0, v131, v171, v0 neg_lo:[1,1,0]
	s_delay_alu instid0(VALU_DEP_4) | instskip(NEXT) | instid1(VALU_DEP_4)
	v_dot4_i32_iu8 v1, v2, v172, v1 neg_lo:[1,1,0]
	v_dot4_i32_iu8 v130, v2, v126, v130 neg_lo:[1,1,0]
	s_delay_alu instid0(VALU_DEP_4) | instskip(NEXT) | instid1(VALU_DEP_4)
	v_dot4_i32_iu8 v131, v2, v174, v134 neg_lo:[1,1,0]
	v_dot4_i32_iu8 v0, v2, v176, v0 neg_lo:[1,1,0]
	ds_load_b128 v[134:137], v120 offset:2064
	v_dot4_i32_iu8 v1, v132, v173, v1 neg_lo:[1,1,0]
	v_dot4_i32_iu8 v2, v132, v127, v130 neg_lo:[1,1,0]
	v_dot4_i32_iu8 v130, v132, v175, v131 neg_lo:[1,1,0]
	v_dot4_i32_iu8 v0, v132, v177, v0 neg_lo:[1,1,0]
	s_delay_alu instid0(VALU_DEP_4) | instskip(NEXT) | instid1(VALU_DEP_4)
	v_dot4_i32_iu8 v131, v3, v178, v1 neg_lo:[1,1,0]
	v_dot4_i32_iu8 v132, v3, v180, v2 neg_lo:[1,1,0]
	s_delay_alu instid0(VALU_DEP_4) | instskip(NEXT) | instid1(VALU_DEP_4)
	v_dot4_i32_iu8 v130, v3, v182, v130 neg_lo:[1,1,0]
	v_dot4_i32_iu8 v189, v3, v184, v0 neg_lo:[1,1,0]
	ds_load_b128 v[0:3], v120 offset:2048
	v_dot4_i32_iu8 v130, v133, v183, v130 neg_lo:[1,1,0]
	s_waitcnt lgkmcnt(0)
	v_dot4_i32_iu8 v138, v0, v23, 0 neg_lo:[1,1,0]
	v_dot4_i32_iu8 v139, v0, v160, 0 neg_lo:[1,1,0]
	v_dot4_i32_iu8 v140, v0, v162, 0 neg_lo:[1,1,0]
	v_dot4_i32_iu8 v0, v0, v164, 0 neg_lo:[1,1,0]
	s_delay_alu instid0(VALU_DEP_4) | instskip(NEXT) | instid1(VALU_DEP_4)
	v_dot4_i32_iu8 v138, v134, v24, v138 neg_lo:[1,1,0]
	v_dot4_i32_iu8 v139, v134, v161, v139 neg_lo:[1,1,0]
	s_delay_alu instid0(VALU_DEP_4) | instskip(NEXT) | instid1(VALU_DEP_4)
	v_dot4_i32_iu8 v140, v134, v163, v140 neg_lo:[1,1,0]
	v_dot4_i32_iu8 v0, v134, v165, v0 neg_lo:[1,1,0]
	s_delay_alu instid0(VALU_DEP_4) | instskip(NEXT) | instid1(VALU_DEP_4)
	v_dot4_i32_iu8 v134, v1, v158, v138 neg_lo:[1,1,0]
	v_dot4_i32_iu8 v138, v1, v166, v139 neg_lo:[1,1,0]
	s_delay_alu instid0(VALU_DEP_4) | instskip(NEXT) | instid1(VALU_DEP_4)
	v_dot4_i32_iu8 v139, v1, v168, v140 neg_lo:[1,1,0]
	v_dot4_i32_iu8 v0, v1, v170, v0 neg_lo:[1,1,0]
	s_delay_alu instid0(VALU_DEP_4) | instskip(NEXT) | instid1(VALU_DEP_4)
	v_dot4_i32_iu8 v1, v135, v159, v134 neg_lo:[1,1,0]
	v_dot4_i32_iu8 v134, v135, v167, v138 neg_lo:[1,1,0]
	s_delay_alu instid0(VALU_DEP_4) | instskip(NEXT) | instid1(VALU_DEP_4)
	v_dot4_i32_iu8 v138, v135, v169, v139 neg_lo:[1,1,0]
	v_dot4_i32_iu8 v0, v135, v171, v0 neg_lo:[1,1,0]
	s_delay_alu instid0(VALU_DEP_4) | instskip(NEXT) | instid1(VALU_DEP_4)
	v_dot4_i32_iu8 v1, v2, v172, v1 neg_lo:[1,1,0]
	v_dot4_i32_iu8 v134, v2, v126, v134 neg_lo:[1,1,0]
	s_delay_alu instid0(VALU_DEP_4) | instskip(NEXT) | instid1(VALU_DEP_4)
	v_dot4_i32_iu8 v135, v2, v174, v138 neg_lo:[1,1,0]
	v_dot4_i32_iu8 v0, v2, v176, v0 neg_lo:[1,1,0]
	ds_load_b128 v[138:141], v120 offset:3088
	v_dot4_i32_iu8 v1, v136, v173, v1 neg_lo:[1,1,0]
	v_dot4_i32_iu8 v2, v136, v127, v134 neg_lo:[1,1,0]
	v_dot4_i32_iu8 v134, v136, v175, v135 neg_lo:[1,1,0]
	v_dot4_i32_iu8 v0, v136, v177, v0 neg_lo:[1,1,0]
	s_delay_alu instid0(VALU_DEP_4) | instskip(NEXT) | instid1(VALU_DEP_4)
	v_dot4_i32_iu8 v135, v3, v178, v1 neg_lo:[1,1,0]
	v_dot4_i32_iu8 v136, v3, v180, v2 neg_lo:[1,1,0]
	s_delay_alu instid0(VALU_DEP_4) | instskip(NEXT) | instid1(VALU_DEP_4)
	v_dot4_i32_iu8 v134, v3, v182, v134 neg_lo:[1,1,0]
	v_dot4_i32_iu8 v190, v3, v184, v0 neg_lo:[1,1,0]
	ds_load_b128 v[0:3], v120 offset:3072
	v_dot4_i32_iu8 v134, v137, v183, v134 neg_lo:[1,1,0]
	;; [unrolled: 42-line block ×5, first 2 shown]
	s_waitcnt lgkmcnt(0)
	v_dot4_i32_iu8 v154, v0, v23, 0 neg_lo:[1,1,0]
	v_dot4_i32_iu8 v155, v0, v160, 0 neg_lo:[1,1,0]
	;; [unrolled: 1-line block ×4, first 2 shown]
	s_delay_alu instid0(VALU_DEP_4) | instskip(NEXT) | instid1(VALU_DEP_4)
	v_dot4_i32_iu8 v154, v150, v24, v154 neg_lo:[1,1,0]
	v_dot4_i32_iu8 v155, v150, v161, v155 neg_lo:[1,1,0]
	s_delay_alu instid0(VALU_DEP_4) | instskip(NEXT) | instid1(VALU_DEP_4)
	v_dot4_i32_iu8 v156, v150, v163, v156 neg_lo:[1,1,0]
	v_dot4_i32_iu8 v0, v150, v165, v0 neg_lo:[1,1,0]
	;; [unrolled: 3-line block ×8, first 2 shown]
	ds_load_b128 v[154:157], v120 offset:7184
	v_dot4_i32_iu8 v1, v152, v173, v1 neg_lo:[1,1,0]
	v_dot4_i32_iu8 v2, v152, v127, v150 neg_lo:[1,1,0]
	;; [unrolled: 1-line block ×4, first 2 shown]
	s_delay_alu instid0(VALU_DEP_4) | instskip(NEXT) | instid1(VALU_DEP_4)
	v_dot4_i32_iu8 v151, v3, v178, v1 neg_lo:[1,1,0]
	v_dot4_i32_iu8 v152, v3, v180, v2 neg_lo:[1,1,0]
	s_delay_alu instid0(VALU_DEP_4) | instskip(NEXT) | instid1(VALU_DEP_4)
	v_dot4_i32_iu8 v150, v3, v182, v150 neg_lo:[1,1,0]
	v_dot4_i32_iu8 v194, v3, v184, v0 neg_lo:[1,1,0]
	ds_load_b128 v[0:3], v120 offset:7168
	v_add_nc_u32_e32 v120, 32, v120
	v_dot4_i32_iu8 v150, v153, v183, v150 neg_lo:[1,1,0]
	s_waitcnt lgkmcnt(0)
	v_dot4_i32_iu8 v23, v0, v23, 0 neg_lo:[1,1,0]
	s_delay_alu instid0(VALU_DEP_1) | instskip(SKIP_3) | instid1(VALU_DEP_4)
	v_dot4_i32_iu8 v23, v154, v24, v23 neg_lo:[1,1,0]
	v_dot4_i32_iu8 v24, v0, v160, 0 neg_lo:[1,1,0]
	;; [unrolled: 1-line block ×5, first 2 shown]
	s_delay_alu instid0(VALU_DEP_4) | instskip(NEXT) | instid1(VALU_DEP_4)
	v_dot4_i32_iu8 v24, v154, v161, v24 neg_lo:[1,1,0]
	v_dot4_i32_iu8 v160, v154, v163, v160 neg_lo:[1,1,0]
	s_delay_alu instid0(VALU_DEP_4) | instskip(NEXT) | instid1(VALU_DEP_4)
	v_dot4_i32_iu8 v0, v154, v165, v0 neg_lo:[1,1,0]
	v_dot4_i32_iu8 v23, v155, v159, v23 neg_lo:[1,1,0]
	;; [unrolled: 3-line block ×7, first 2 shown]
	s_delay_alu instid0(VALU_DEP_4)
	v_dot4_i32_iu8 v0, v2, v176, v0 neg_lo:[1,1,0]
	v_dot4_i32_iu8 v126, v183, v129, v187 neg_lo:[1,1,0]
	;; [unrolled: 1-line block ×7, first 2 shown]
	s_delay_alu instid0(VALU_DEP_4) | instskip(NEXT) | instid1(VALU_DEP_4)
	v_dot4_i32_iu8 v2, v3, v180, v23 neg_lo:[1,1,0]
	v_dot4_i32_iu8 v23, v3, v182, v24 neg_lo:[1,1,0]
	s_delay_alu instid0(VALU_DEP_4)
	v_dot4_i32_iu8 v0, v3, v184, v0 neg_lo:[1,1,0]
	v_dot4_i32_iu8 v3, v179, v129, v186 neg_lo:[1,1,0]
	;; [unrolled: 1-line block ×25, first 2 shown]
	ds_load_b32 v154, v122
	ds_load_b32 v155, v123
	;; [unrolled: 1-line block ×4, first 2 shown]
	ds_load_2addr_b32 v[0:1], v119 offset1:32
	v_cvt_f32_i32_e32 v3, v3
	v_add_nc_u32_e32 v125, 4, v125
	v_add_nc_u32_e32 v124, 4, v124
	;; [unrolled: 1-line block ×4, first 2 shown]
	s_waitcnt lgkmcnt(0)
	v_mul_f32_e32 v158, v0, v154
	v_mul_f32_e32 v159, v0, v155
	;; [unrolled: 1-line block ×7, first 2 shown]
	v_fmac_f32_e32 v39, v158, v3
	v_cvt_f32_i32_e32 v3, v128
	v_mul_f32_e32 v164, v156, v1
	ds_load_2addr_b32 v[0:1], v119 offset0:64 offset1:96
	v_fmac_f32_e32 v69, v162, v3
	v_cvt_f32_i32_e32 v3, v132
	s_waitcnt lgkmcnt(0)
	v_mul_f32_e32 v166, v154, v0
	v_mul_f32_e32 v167, v155, v0
	v_mul_f32_e32 v168, v156, v0
	v_dual_mul_f32 v169, v157, v0 :: v_dual_mul_f32 v170, v154, v1
	v_mul_f32_e32 v171, v155, v1
	v_dual_mul_f32 v173, v157, v1 :: v_dual_fmac_f32 v64, v166, v3
	v_cvt_f32_i32_e32 v3, v136
	v_mul_f32_e32 v172, v156, v1
	ds_load_2addr_b32 v[0:1], v119 offset0:128 offset1:160
	v_fmac_f32_e32 v53, v170, v3
	v_cvt_f32_i32_e32 v3, v140
	s_waitcnt lgkmcnt(0)
	v_mul_f32_e32 v174, v154, v0
	v_mul_f32_e32 v178, v154, v1
	v_dual_mul_f32 v180, v156, v1 :: v_dual_mul_f32 v175, v155, v0
	s_delay_alu instid0(VALU_DEP_3) | instskip(SKIP_2) | instid1(VALU_DEP_2)
	v_dual_mul_f32 v176, v156, v0 :: v_dual_fmac_f32 v43, v174, v3
	v_cvt_f32_i32_e32 v3, v144
	v_mul_f32_e32 v177, v157, v0
	v_dual_mul_f32 v179, v155, v1 :: v_dual_fmac_f32 v38, v178, v3
	v_cvt_f32_i32_e32 v3, v148
	v_mul_f32_e32 v181, v157, v1
	ds_load_2addr_b32 v[0:1], v119 offset0:192 offset1:224
	s_waitcnt lgkmcnt(0)
	v_dual_mul_f32 v182, v154, v0 :: v_dual_add_nc_u32 v119, 4, v119
	v_dual_mul_f32 v154, v154, v1 :: v_dual_mul_f32 v183, v155, v0
	v_mul_f32_e32 v184, v156, v0
	v_mul_f32_e32 v0, v157, v0
	s_delay_alu instid0(VALU_DEP_4) | instskip(SKIP_1) | instid1(VALU_DEP_1)
	v_fmac_f32_e32 v32, v182, v3
	v_cvt_f32_i32_e32 v3, v152
	v_dual_mul_f32 v155, v155, v1 :: v_dual_fmac_f32 v28, v154, v3
	v_cvt_f32_i32_e32 v3, v24
	s_delay_alu instid0(VALU_DEP_1) | instskip(SKIP_1) | instid1(VALU_DEP_1)
	v_fmac_f32_e32 v77, v159, v3
	v_cvt_f32_i32_e32 v3, v126
	v_fmac_f32_e32 v72, v160, v3
	v_cvt_f32_i32_e32 v3, v127
	s_delay_alu instid0(VALU_DEP_1) | instskip(SKIP_1) | instid1(VALU_DEP_1)
	v_fmac_f32_e32 v70, v161, v3
	v_cvt_f32_i32_e32 v3, v129
	v_fmac_f32_e32 v67, v163, v3
	;; [unrolled: 5-line block ×7, first 2 shown]
	v_cvt_f32_i32_e32 v3, v143
	s_delay_alu instid0(VALU_DEP_1) | instskip(SKIP_1) | instid1(VALU_DEP_1)
	v_fmac_f32_e32 v40, v177, v3
	v_cvt_f32_i32_e32 v3, v145
	v_dual_mul_f32 v156, v156, v1 :: v_dual_fmac_f32 v35, v179, v3
	v_cvt_f32_i32_e32 v3, v146
	s_delay_alu instid0(VALU_DEP_1) | instskip(SKIP_1) | instid1(VALU_DEP_1)
	v_dual_mul_f32 v1, v157, v1 :: v_dual_fmac_f32 v34, v180, v3
	v_cvt_f32_i32_e32 v3, v147
	v_fmac_f32_e32 v33, v181, v3
	v_cvt_f32_i32_e32 v3, v149
	s_delay_alu instid0(VALU_DEP_1) | instskip(SKIP_1) | instid1(VALU_DEP_1)
	v_fmac_f32_e32 v31, v183, v3
	v_cvt_f32_i32_e32 v3, v150
	v_fmac_f32_e32 v30, v184, v3
	v_cvt_f32_i32_e32 v3, v151
	s_delay_alu instid0(VALU_DEP_1) | instskip(SKIP_1) | instid1(VALU_DEP_1)
	v_fmac_f32_e32 v29, v0, v3
	;; [unrolled: 5-line block ×3, first 2 shown]
	v_cvt_f32_i32_e32 v0, v153
	v_fmac_f32_e32 v25, v1, v0
	s_cbranch_scc1 .LBB122_7
; %bb.8:                                ;   in Loop: Header=BB122_6 Depth=1
	s_or_b32 s0, s5, 4
	s_delay_alu instid0(SALU_CYCLE_1)
	s_cmp_ge_i32 s0, s4
	s_barrier
	buffer_gl0_inv
	s_cbranch_scc1 .LBB122_5
; %bb.9:                                ;   in Loop: Header=BB122_6 Depth=1
	v_add_nc_u32_e32 v125, s5, v102
	v_add_nc_u32_e32 v118, 4, v118
	s_mov_b32 s0, 12
	s_delay_alu instid0(VALU_DEP_2)
	v_add_nc_u32_e32 v2, v125, v85
	v_add_nc_u32_e32 v23, v125, v87
	;; [unrolled: 1-line block ×5, first 2 shown]
	v_mad_i64_i32 v[0:1], null, v2, 36, v[20:21]
	v_mad_i64_i32 v[2:3], null, v23, 36, v[20:21]
	;; [unrolled: 1-line block ×5, first 2 shown]
	v_add_nc_u32_e32 v127, v125, v95
	v_mad_u64_u32 v[123:124], null, v118, 36, s[2:3]
	v_add_nc_u32_e32 v129, v125, v97
	v_add_nc_u32_e32 v118, v125, v99
	s_delay_alu instid0(VALU_DEP_4) | instskip(NEXT) | instid1(VALU_DEP_3)
	v_mad_i64_i32 v[125:126], null, v127, 36, v[20:21]
	v_mad_i64_i32 v[127:128], null, v129, 36, v[20:21]
	s_delay_alu instid0(VALU_DEP_3)
	v_mad_i64_i32 v[129:130], null, v118, 36, v[20:21]
	s_clause 0x8
	global_load_b32 v131, v[123:124], off
	global_load_b32 v2, v[2:3], off offset:4
	global_load_b32 v3, v[23:24], off offset:4
	;; [unrolled: 1-line block ×8, first 2 shown]
	v_dual_mov_b32 v123, v110 :: v_dual_mov_b32 v118, v108
	v_dual_mov_b32 v119, v107 :: v_dual_mov_b32 v120, v113
	;; [unrolled: 1-line block ×3, first 2 shown]
	v_mov_b32_e32 v124, v109
	s_waitcnt vmcnt(8)
	v_cvt_f32_f16_e64 v1, v131
	s_waitcnt vmcnt(7)
	ds_store_b32 v88, v2
	s_waitcnt vmcnt(6)
	ds_store_b32 v90, v3
	;; [unrolled: 2-line block ×8, first 2 shown]
	ds_store_b32 v84, v1
	s_waitcnt lgkmcnt(0)
	s_barrier
	buffer_gl0_inv
.LBB122_10:                             ;   Parent Loop BB122_6 Depth=1
                                        ; =>  This Inner Loop Header: Depth=2
	ds_load_2addr_b32 v[23:24], v120 offset1:1
	ds_load_b128 v[0:3], v119
	ds_load_b128 v[125:128], v119 offset:16
	ds_load_2addr_b32 v[157:158], v120 offset0:2 offset1:3
	v_add_nc_u32_e32 v130, 0x2080, v120
	v_add_nc_u32_e32 v131, 0x4100, v120
	;; [unrolled: 1-line block ×3, first 2 shown]
	ds_load_2addr_b32 v[171:172], v120 offset0:4 offset1:5
	ds_load_2addr_b32 v[177:178], v120 offset0:6 offset1:7
	ds_load_2addr_b32 v[159:160], v130 offset1:1
	ds_load_2addr_b32 v[161:162], v131 offset1:1
	ds_load_2addr_b32 v[163:164], v132 offset1:1
	s_add_i32 s0, s0, 4
	s_delay_alu instid0(SALU_CYCLE_1) | instskip(SKIP_3) | instid1(VALU_DEP_1)
	s_cmp_lt_u32 s0, 28
	s_waitcnt lgkmcnt(7)
	v_dot4_i32_iu8 v129, v23, v0, 0 neg_lo:[1,1,0]
	s_waitcnt lgkmcnt(6)
	v_dot4_i32_iu8 v129, v24, v125, v129 neg_lo:[1,1,0]
	;; [unrolled: 2-line block ×4, first 2 shown]
	v_dot4_i32_iu8 v129, v157, v1, v129 neg_lo:[1,1,0]
	s_waitcnt lgkmcnt(0)
	v_dot4_i32_iu8 v0, v163, v0, 0 neg_lo:[1,1,0]
	v_dot4_i32_iu8 v130, v160, v125, v130 neg_lo:[1,1,0]
	;; [unrolled: 1-line block ×3, first 2 shown]
	s_delay_alu instid0(VALU_DEP_3)
	v_dot4_i32_iu8 v0, v164, v125, v0 neg_lo:[1,1,0]
	v_dot4_i32_iu8 v125, v158, v126, v129 neg_lo:[1,1,0]
	v_add_nc_u32_e32 v129, 0x2088, v120
	ds_load_2addr_b32 v[165:166], v129 offset1:1
	s_waitcnt lgkmcnt(0)
	v_dot4_i32_iu8 v129, v165, v1, v130 neg_lo:[1,1,0]
	v_add_nc_u32_e32 v130, 0x4108, v120
	s_delay_alu instid0(VALU_DEP_2) | instskip(SKIP_4) | instid1(VALU_DEP_2)
	v_dot4_i32_iu8 v129, v166, v126, v129 neg_lo:[1,1,0]
	ds_load_2addr_b32 v[167:168], v130 offset1:1
	s_waitcnt lgkmcnt(0)
	v_dot4_i32_iu8 v130, v167, v1, v131 neg_lo:[1,1,0]
	v_add_nc_u32_e32 v131, 0x6188, v120
	v_dot4_i32_iu8 v130, v168, v126, v130 neg_lo:[1,1,0]
	ds_load_2addr_b32 v[169:170], v131 offset1:1
	v_add_nc_u32_e32 v131, 0x4110, v120
	ds_load_2addr_b32 v[173:174], v131 offset1:1
	v_add_nc_u32_e32 v131, 0x6190, v120
	ds_load_2addr_b32 v[175:176], v131 offset1:1
	s_waitcnt lgkmcnt(2)
	v_dot4_i32_iu8 v0, v169, v1, v0 neg_lo:[1,1,0]
	v_dot4_i32_iu8 v1, v171, v2, v125 neg_lo:[1,1,0]
	v_add_nc_u32_e32 v125, 0x2090, v120
	s_delay_alu instid0(VALU_DEP_3) | instskip(NEXT) | instid1(VALU_DEP_3)
	v_dot4_i32_iu8 v0, v170, v126, v0 neg_lo:[1,1,0]
	v_dot4_i32_iu8 v1, v172, v127, v1 neg_lo:[1,1,0]
	ds_load_2addr_b32 v[125:126], v125 offset1:1
	s_waitcnt lgkmcnt(2)
	v_dot4_i32_iu8 v130, v173, v2, v130 neg_lo:[1,1,0]
	v_dot4_i32_iu8 v185, v177, v3, v1 neg_lo:[1,1,0]
	s_waitcnt lgkmcnt(1)
	v_dot4_i32_iu8 v0, v175, v2, v0 neg_lo:[1,1,0]
	s_delay_alu instid0(VALU_DEP_1) | instskip(SKIP_3) | instid1(VALU_DEP_2)
	v_dot4_i32_iu8 v0, v176, v127, v0 neg_lo:[1,1,0]
	s_waitcnt lgkmcnt(0)
	v_dot4_i32_iu8 v129, v125, v2, v129 neg_lo:[1,1,0]
	v_dot4_i32_iu8 v2, v174, v127, v130 neg_lo:[1,1,0]
	;; [unrolled: 1-line block ×3, first 2 shown]
	v_add_nc_u32_e32 v127, 0x2098, v120
	ds_load_b128 v[129:132], v119 offset:1040
	ds_load_2addr_b32 v[179:180], v127 offset1:1
	s_waitcnt lgkmcnt(0)
	v_dot4_i32_iu8 v127, v179, v3, v1 neg_lo:[1,1,0]
	v_add_nc_u32_e32 v1, 0x4118, v120
	ds_load_2addr_b32 v[181:182], v1 offset1:1
	v_add_nc_u32_e32 v1, 0x6198, v120
	v_add_nc_u32_e32 v120, 32, v120
	ds_load_2addr_b32 v[183:184], v1 offset1:1
	s_waitcnt lgkmcnt(1)
	v_dot4_i32_iu8 v186, v181, v3, v2 neg_lo:[1,1,0]
	s_waitcnt lgkmcnt(0)
	v_dot4_i32_iu8 v187, v183, v3, v0 neg_lo:[1,1,0]
	ds_load_b128 v[0:3], v119 offset:1024
	s_waitcnt lgkmcnt(0)
	v_dot4_i32_iu8 v133, v0, v23, 0 neg_lo:[1,1,0]
	v_dot4_i32_iu8 v134, v0, v159, 0 neg_lo:[1,1,0]
	v_dot4_i32_iu8 v135, v0, v161, 0 neg_lo:[1,1,0]
	v_dot4_i32_iu8 v0, v0, v163, 0 neg_lo:[1,1,0]
	s_delay_alu instid0(VALU_DEP_4) | instskip(NEXT) | instid1(VALU_DEP_4)
	v_dot4_i32_iu8 v133, v129, v24, v133 neg_lo:[1,1,0]
	v_dot4_i32_iu8 v134, v129, v160, v134 neg_lo:[1,1,0]
	s_delay_alu instid0(VALU_DEP_4) | instskip(NEXT) | instid1(VALU_DEP_4)
	v_dot4_i32_iu8 v135, v129, v162, v135 neg_lo:[1,1,0]
	v_dot4_i32_iu8 v0, v129, v164, v0 neg_lo:[1,1,0]
	s_delay_alu instid0(VALU_DEP_4) | instskip(NEXT) | instid1(VALU_DEP_4)
	v_dot4_i32_iu8 v129, v1, v157, v133 neg_lo:[1,1,0]
	v_dot4_i32_iu8 v133, v1, v165, v134 neg_lo:[1,1,0]
	s_delay_alu instid0(VALU_DEP_4) | instskip(NEXT) | instid1(VALU_DEP_4)
	v_dot4_i32_iu8 v134, v1, v167, v135 neg_lo:[1,1,0]
	v_dot4_i32_iu8 v0, v1, v169, v0 neg_lo:[1,1,0]
	s_delay_alu instid0(VALU_DEP_4) | instskip(NEXT) | instid1(VALU_DEP_4)
	v_dot4_i32_iu8 v1, v130, v158, v129 neg_lo:[1,1,0]
	v_dot4_i32_iu8 v129, v130, v166, v133 neg_lo:[1,1,0]
	s_delay_alu instid0(VALU_DEP_4) | instskip(NEXT) | instid1(VALU_DEP_4)
	v_dot4_i32_iu8 v133, v130, v168, v134 neg_lo:[1,1,0]
	v_dot4_i32_iu8 v0, v130, v170, v0 neg_lo:[1,1,0]
	s_delay_alu instid0(VALU_DEP_4) | instskip(NEXT) | instid1(VALU_DEP_4)
	v_dot4_i32_iu8 v1, v2, v171, v1 neg_lo:[1,1,0]
	v_dot4_i32_iu8 v129, v2, v125, v129 neg_lo:[1,1,0]
	s_delay_alu instid0(VALU_DEP_4) | instskip(NEXT) | instid1(VALU_DEP_4)
	v_dot4_i32_iu8 v130, v2, v173, v133 neg_lo:[1,1,0]
	v_dot4_i32_iu8 v0, v2, v175, v0 neg_lo:[1,1,0]
	ds_load_b128 v[133:136], v119 offset:2064
	v_dot4_i32_iu8 v1, v131, v172, v1 neg_lo:[1,1,0]
	v_dot4_i32_iu8 v2, v131, v126, v129 neg_lo:[1,1,0]
	v_dot4_i32_iu8 v129, v131, v174, v130 neg_lo:[1,1,0]
	v_dot4_i32_iu8 v0, v131, v176, v0 neg_lo:[1,1,0]
	s_delay_alu instid0(VALU_DEP_4) | instskip(NEXT) | instid1(VALU_DEP_4)
	v_dot4_i32_iu8 v130, v3, v177, v1 neg_lo:[1,1,0]
	v_dot4_i32_iu8 v131, v3, v179, v2 neg_lo:[1,1,0]
	s_delay_alu instid0(VALU_DEP_4) | instskip(NEXT) | instid1(VALU_DEP_4)
	v_dot4_i32_iu8 v129, v3, v181, v129 neg_lo:[1,1,0]
	v_dot4_i32_iu8 v188, v3, v183, v0 neg_lo:[1,1,0]
	ds_load_b128 v[0:3], v119 offset:2048
	v_dot4_i32_iu8 v129, v132, v182, v129 neg_lo:[1,1,0]
	s_waitcnt lgkmcnt(0)
	v_dot4_i32_iu8 v137, v0, v23, 0 neg_lo:[1,1,0]
	v_dot4_i32_iu8 v138, v0, v159, 0 neg_lo:[1,1,0]
	v_dot4_i32_iu8 v139, v0, v161, 0 neg_lo:[1,1,0]
	v_dot4_i32_iu8 v0, v0, v163, 0 neg_lo:[1,1,0]
	s_delay_alu instid0(VALU_DEP_4) | instskip(NEXT) | instid1(VALU_DEP_4)
	v_dot4_i32_iu8 v137, v133, v24, v137 neg_lo:[1,1,0]
	v_dot4_i32_iu8 v138, v133, v160, v138 neg_lo:[1,1,0]
	s_delay_alu instid0(VALU_DEP_4) | instskip(NEXT) | instid1(VALU_DEP_4)
	v_dot4_i32_iu8 v139, v133, v162, v139 neg_lo:[1,1,0]
	v_dot4_i32_iu8 v0, v133, v164, v0 neg_lo:[1,1,0]
	s_delay_alu instid0(VALU_DEP_4) | instskip(NEXT) | instid1(VALU_DEP_4)
	v_dot4_i32_iu8 v133, v1, v157, v137 neg_lo:[1,1,0]
	v_dot4_i32_iu8 v137, v1, v165, v138 neg_lo:[1,1,0]
	s_delay_alu instid0(VALU_DEP_4) | instskip(NEXT) | instid1(VALU_DEP_4)
	v_dot4_i32_iu8 v138, v1, v167, v139 neg_lo:[1,1,0]
	v_dot4_i32_iu8 v0, v1, v169, v0 neg_lo:[1,1,0]
	s_delay_alu instid0(VALU_DEP_4) | instskip(NEXT) | instid1(VALU_DEP_4)
	v_dot4_i32_iu8 v1, v134, v158, v133 neg_lo:[1,1,0]
	v_dot4_i32_iu8 v133, v134, v166, v137 neg_lo:[1,1,0]
	s_delay_alu instid0(VALU_DEP_4) | instskip(NEXT) | instid1(VALU_DEP_4)
	v_dot4_i32_iu8 v137, v134, v168, v138 neg_lo:[1,1,0]
	v_dot4_i32_iu8 v0, v134, v170, v0 neg_lo:[1,1,0]
	s_delay_alu instid0(VALU_DEP_4) | instskip(NEXT) | instid1(VALU_DEP_4)
	v_dot4_i32_iu8 v1, v2, v171, v1 neg_lo:[1,1,0]
	v_dot4_i32_iu8 v133, v2, v125, v133 neg_lo:[1,1,0]
	s_delay_alu instid0(VALU_DEP_4) | instskip(NEXT) | instid1(VALU_DEP_4)
	v_dot4_i32_iu8 v134, v2, v173, v137 neg_lo:[1,1,0]
	v_dot4_i32_iu8 v0, v2, v175, v0 neg_lo:[1,1,0]
	ds_load_b128 v[137:140], v119 offset:3088
	v_dot4_i32_iu8 v1, v135, v172, v1 neg_lo:[1,1,0]
	v_dot4_i32_iu8 v2, v135, v126, v133 neg_lo:[1,1,0]
	v_dot4_i32_iu8 v133, v135, v174, v134 neg_lo:[1,1,0]
	v_dot4_i32_iu8 v0, v135, v176, v0 neg_lo:[1,1,0]
	s_delay_alu instid0(VALU_DEP_4) | instskip(NEXT) | instid1(VALU_DEP_4)
	v_dot4_i32_iu8 v134, v3, v177, v1 neg_lo:[1,1,0]
	v_dot4_i32_iu8 v135, v3, v179, v2 neg_lo:[1,1,0]
	s_delay_alu instid0(VALU_DEP_4) | instskip(NEXT) | instid1(VALU_DEP_4)
	v_dot4_i32_iu8 v133, v3, v181, v133 neg_lo:[1,1,0]
	v_dot4_i32_iu8 v189, v3, v183, v0 neg_lo:[1,1,0]
	ds_load_b128 v[0:3], v119 offset:3072
	v_dot4_i32_iu8 v133, v136, v182, v133 neg_lo:[1,1,0]
	;; [unrolled: 42-line block ×5, first 2 shown]
	s_waitcnt lgkmcnt(0)
	v_dot4_i32_iu8 v153, v0, v23, 0 neg_lo:[1,1,0]
	v_dot4_i32_iu8 v154, v0, v159, 0 neg_lo:[1,1,0]
	;; [unrolled: 1-line block ×4, first 2 shown]
	s_delay_alu instid0(VALU_DEP_4) | instskip(NEXT) | instid1(VALU_DEP_4)
	v_dot4_i32_iu8 v153, v149, v24, v153 neg_lo:[1,1,0]
	v_dot4_i32_iu8 v154, v149, v160, v154 neg_lo:[1,1,0]
	s_delay_alu instid0(VALU_DEP_4) | instskip(NEXT) | instid1(VALU_DEP_4)
	v_dot4_i32_iu8 v155, v149, v162, v155 neg_lo:[1,1,0]
	v_dot4_i32_iu8 v0, v149, v164, v0 neg_lo:[1,1,0]
	;; [unrolled: 3-line block ×8, first 2 shown]
	ds_load_b128 v[153:156], v119 offset:7184
	v_dot4_i32_iu8 v1, v151, v172, v1 neg_lo:[1,1,0]
	v_dot4_i32_iu8 v2, v151, v126, v149 neg_lo:[1,1,0]
	v_dot4_i32_iu8 v149, v151, v174, v150 neg_lo:[1,1,0]
	v_dot4_i32_iu8 v0, v151, v176, v0 neg_lo:[1,1,0]
	s_delay_alu instid0(VALU_DEP_4) | instskip(NEXT) | instid1(VALU_DEP_4)
	v_dot4_i32_iu8 v150, v3, v177, v1 neg_lo:[1,1,0]
	v_dot4_i32_iu8 v151, v3, v179, v2 neg_lo:[1,1,0]
	s_delay_alu instid0(VALU_DEP_4) | instskip(NEXT) | instid1(VALU_DEP_4)
	v_dot4_i32_iu8 v149, v3, v181, v149 neg_lo:[1,1,0]
	v_dot4_i32_iu8 v193, v3, v183, v0 neg_lo:[1,1,0]
	ds_load_b128 v[0:3], v119 offset:7168
	v_add_nc_u32_e32 v119, 32, v119
	v_dot4_i32_iu8 v149, v152, v182, v149 neg_lo:[1,1,0]
	s_waitcnt lgkmcnt(0)
	v_dot4_i32_iu8 v23, v0, v23, 0 neg_lo:[1,1,0]
	s_delay_alu instid0(VALU_DEP_1) | instskip(SKIP_3) | instid1(VALU_DEP_4)
	v_dot4_i32_iu8 v23, v153, v24, v23 neg_lo:[1,1,0]
	v_dot4_i32_iu8 v24, v0, v159, 0 neg_lo:[1,1,0]
	;; [unrolled: 1-line block ×5, first 2 shown]
	s_delay_alu instid0(VALU_DEP_4) | instskip(NEXT) | instid1(VALU_DEP_4)
	v_dot4_i32_iu8 v24, v153, v160, v24 neg_lo:[1,1,0]
	v_dot4_i32_iu8 v159, v153, v162, v159 neg_lo:[1,1,0]
	s_delay_alu instid0(VALU_DEP_4) | instskip(NEXT) | instid1(VALU_DEP_4)
	v_dot4_i32_iu8 v0, v153, v164, v0 neg_lo:[1,1,0]
	v_dot4_i32_iu8 v23, v154, v158, v23 neg_lo:[1,1,0]
	;; [unrolled: 3-line block ×7, first 2 shown]
	s_delay_alu instid0(VALU_DEP_4)
	v_dot4_i32_iu8 v0, v2, v175, v0 neg_lo:[1,1,0]
	v_dot4_i32_iu8 v125, v182, v128, v186 neg_lo:[1,1,0]
	;; [unrolled: 1-line block ×7, first 2 shown]
	s_delay_alu instid0(VALU_DEP_4) | instskip(NEXT) | instid1(VALU_DEP_4)
	v_dot4_i32_iu8 v2, v3, v179, v23 neg_lo:[1,1,0]
	v_dot4_i32_iu8 v23, v3, v181, v24 neg_lo:[1,1,0]
	s_delay_alu instid0(VALU_DEP_4)
	v_dot4_i32_iu8 v0, v3, v183, v0 neg_lo:[1,1,0]
	v_dot4_i32_iu8 v3, v178, v128, v185 neg_lo:[1,1,0]
	;; [unrolled: 1-line block ×25, first 2 shown]
	ds_load_b32 v153, v121
	ds_load_b32 v154, v122
	;; [unrolled: 1-line block ×4, first 2 shown]
	ds_load_2addr_b32 v[0:1], v118 offset1:32
	v_cvt_f32_i32_e32 v3, v3
	v_add_nc_u32_e32 v124, 4, v124
	v_add_nc_u32_e32 v123, 4, v123
	;; [unrolled: 1-line block ×4, first 2 shown]
	s_waitcnt lgkmcnt(0)
	v_mul_f32_e32 v157, v0, v153
	v_mul_f32_e32 v158, v0, v154
	;; [unrolled: 1-line block ×3, first 2 shown]
	v_dual_mul_f32 v160, v0, v156 :: v_dual_mul_f32 v163, v155, v1
	v_mul_f32_e32 v161, v153, v1
	v_mul_f32_e32 v162, v154, v1
	;; [unrolled: 1-line block ×3, first 2 shown]
	ds_load_2addr_b32 v[0:1], v118 offset0:64 offset1:96
	v_fmac_f32_e32 v39, v157, v3
	v_cvt_f32_i32_e32 v3, v127
	s_delay_alu instid0(VALU_DEP_1)
	v_fmac_f32_e32 v69, v161, v3
	v_cvt_f32_i32_e32 v3, v131
	s_waitcnt lgkmcnt(0)
	v_mul_f32_e32 v165, v153, v0
	v_dual_mul_f32 v166, v154, v0 :: v_dual_mul_f32 v169, v153, v1
	v_mul_f32_e32 v167, v155, v0
	v_dual_mul_f32 v168, v156, v0 :: v_dual_mul_f32 v171, v155, v1
	v_mul_f32_e32 v170, v154, v1
	v_mul_f32_e32 v172, v156, v1
	ds_load_2addr_b32 v[0:1], v118 offset0:128 offset1:160
	s_waitcnt lgkmcnt(0)
	v_mul_f32_e32 v173, v153, v0
	v_dual_mul_f32 v174, v154, v0 :: v_dual_mul_f32 v177, v153, v1
	v_mul_f32_e32 v175, v155, v0
	v_dual_mul_f32 v176, v156, v0 :: v_dual_mul_f32 v179, v155, v1
	v_mul_f32_e32 v178, v154, v1
	v_mul_f32_e32 v180, v156, v1
	ds_load_2addr_b32 v[0:1], v118 offset0:192 offset1:224
	s_waitcnt lgkmcnt(0)
	v_dual_mul_f32 v181, v153, v0 :: v_dual_add_nc_u32 v118, 4, v118
	v_dual_mul_f32 v153, v153, v1 :: v_dual_mul_f32 v182, v154, v0
	v_mul_f32_e32 v154, v154, v1
	v_fmac_f32_e32 v64, v165, v3
	v_cvt_f32_i32_e32 v3, v135
	s_delay_alu instid0(VALU_DEP_1) | instskip(SKIP_1) | instid1(VALU_DEP_1)
	v_fmac_f32_e32 v53, v169, v3
	v_cvt_f32_i32_e32 v3, v139
	v_fmac_f32_e32 v43, v173, v3
	v_cvt_f32_i32_e32 v3, v143
	s_delay_alu instid0(VALU_DEP_1) | instskip(SKIP_1) | instid1(VALU_DEP_1)
	v_fmac_f32_e32 v38, v177, v3
	v_cvt_f32_i32_e32 v3, v147
	;; [unrolled: 5-line block ×6, first 2 shown]
	v_fmac_f32_e32 v63, v166, v3
	v_cvt_f32_i32_e32 v3, v133
	s_delay_alu instid0(VALU_DEP_1) | instskip(SKIP_3) | instid1(VALU_DEP_3)
	v_fmac_f32_e32 v61, v167, v3
	v_cvt_f32_i32_e32 v3, v134
	v_mul_f32_e32 v183, v155, v0
	v_dual_mul_f32 v155, v155, v1 :: v_dual_mul_f32 v0, v156, v0
	v_fmac_f32_e32 v58, v168, v3
	v_cvt_f32_i32_e32 v3, v136
	s_delay_alu instid0(VALU_DEP_1) | instskip(SKIP_1) | instid1(VALU_DEP_1)
	v_dual_mul_f32 v1, v156, v1 :: v_dual_fmac_f32 v48, v170, v3
	v_cvt_f32_i32_e32 v3, v137
	v_fmac_f32_e32 v46, v171, v3
	v_cvt_f32_i32_e32 v3, v138
	s_delay_alu instid0(VALU_DEP_1) | instskip(SKIP_1) | instid1(VALU_DEP_1)
	v_fmac_f32_e32 v44, v172, v3
	v_cvt_f32_i32_e32 v3, v140
	v_fmac_f32_e32 v42, v174, v3
	v_cvt_f32_i32_e32 v3, v141
	s_delay_alu instid0(VALU_DEP_1) | instskip(SKIP_1) | instid1(VALU_DEP_1)
	v_fmac_f32_e32 v41, v175, v3
	;; [unrolled: 5-line block ×6, first 2 shown]
	v_cvt_f32_i32_e32 v0, v23
	v_fmac_f32_e32 v26, v155, v0
	v_cvt_f32_i32_e32 v0, v152
	s_delay_alu instid0(VALU_DEP_1)
	v_fmac_f32_e32 v25, v1, v0
	s_cbranch_scc1 .LBB122_10
; %bb.11:                               ;   in Loop: Header=BB122_6 Depth=1
	s_barrier
	buffer_gl0_inv
	s_branch .LBB122_5
.LBB122_12:
	v_dual_mov_b32 v1, v36 :: v_dual_mov_b32 v0, v37
.LBB122_13:
	s_mov_b32 s0, exec_lo
	v_cmpx_gt_u32_e64 s6, v47
	s_cbranch_execz .LBB122_64
; %bb.14:
	s_delay_alu instid0(VALU_DEP_2) | instskip(SKIP_1) | instid1(VALU_DEP_2)
	v_add_nc_u32_e32 v0, s12, v0
	v_mul_lo_u32 v5, v47, s10
	v_cmp_gt_u32_e32 vcc_lo, s10, v0
	s_and_saveexec_b32 s1, vcc_lo
	s_cbranch_execz .LBB122_16
; %bb.15:
	s_delay_alu instid0(VALU_DEP_2) | instskip(NEXT) | instid1(VALU_DEP_1)
	v_dual_mov_b32 v3, 0 :: v_dual_add_nc_u32 v2, v0, v5
	v_lshlrev_b64 v[2:3], 2, v[2:3]
	s_waitcnt lgkmcnt(0)
	s_delay_alu instid0(VALU_DEP_1) | instskip(NEXT) | instid1(VALU_DEP_1)
	v_add_co_u32 v2, s0, s8, v2
	v_add_co_ci_u32_e64 v3, s0, s9, v3, s0
	global_store_b32 v[2:3], v39, off
.LBB122_16:
	s_or_b32 exec_lo, exec_lo, s1
	v_add_nc_u32_e32 v2, 32, v0
	s_delay_alu instid0(VALU_DEP_1) | instskip(NEXT) | instid1(VALU_DEP_1)
	v_cmp_gt_u32_e64 s0, s10, v2
	s_and_saveexec_b32 s2, s0
	s_cbranch_execz .LBB122_18
; %bb.17:
	v_dual_mov_b32 v4, 0 :: v_dual_add_nc_u32 v3, v2, v5
	s_delay_alu instid0(VALU_DEP_1) | instskip(SKIP_1) | instid1(VALU_DEP_1)
	v_lshlrev_b64 v[3:4], 2, v[3:4]
	s_waitcnt lgkmcnt(0)
	v_add_co_u32 v3, s1, s8, v3
	s_delay_alu instid0(VALU_DEP_1)
	v_add_co_ci_u32_e64 v4, s1, s9, v4, s1
	global_store_b32 v[3:4], v77, off
.LBB122_18:
	s_or_b32 exec_lo, exec_lo, s2
	v_add_nc_u32_e32 v3, 64, v0
	s_delay_alu instid0(VALU_DEP_1) | instskip(NEXT) | instid1(VALU_DEP_1)
	v_cmp_gt_u32_e64 s1, s10, v3
	s_and_saveexec_b32 s3, s1
	s_cbranch_execz .LBB122_20
; %bb.19:
	v_dual_mov_b32 v7, 0 :: v_dual_add_nc_u32 v6, v3, v5
	s_delay_alu instid0(VALU_DEP_1) | instskip(SKIP_1) | instid1(VALU_DEP_1)
	v_lshlrev_b64 v[6:7], 2, v[6:7]
	s_waitcnt lgkmcnt(0)
	v_add_co_u32 v6, s2, s8, v6
	s_delay_alu instid0(VALU_DEP_1)
	v_add_co_ci_u32_e64 v7, s2, s9, v7, s2
	global_store_b32 v[6:7], v72, off
.LBB122_20:
	;; [unrolled: 16-line block ×3, first 2 shown]
	s_or_b32 exec_lo, exec_lo, s4
	v_add3_u32 v5, v1, s11, 8
	s_delay_alu instid0(VALU_DEP_1) | instskip(NEXT) | instid1(VALU_DEP_1)
	v_cmp_gt_u32_e64 s3, s6, v5
	s_and_b32 exec_lo, exec_lo, s3
	s_cbranch_execz .LBB122_64
; %bb.23:
	v_mul_lo_u32 v5, v5, s10
	s_and_saveexec_b32 s4, vcc_lo
	s_cbranch_execnz .LBB122_65
; %bb.24:
	s_or_b32 exec_lo, exec_lo, s4
	s_and_saveexec_b32 s4, s0
	s_cbranch_execnz .LBB122_66
.LBB122_25:
	s_or_b32 exec_lo, exec_lo, s4
	s_and_saveexec_b32 s4, s1
	s_cbranch_execnz .LBB122_67
.LBB122_26:
	s_or_b32 exec_lo, exec_lo, s4
	s_and_saveexec_b32 s4, s2
	s_cbranch_execz .LBB122_28
.LBB122_27:
	v_dual_mov_b32 v6, 0 :: v_dual_add_nc_u32 v5, v5, v4
	s_delay_alu instid0(VALU_DEP_1) | instskip(SKIP_1) | instid1(VALU_DEP_1)
	v_lshlrev_b64 v[5:6], 2, v[5:6]
	s_waitcnt lgkmcnt(0)
	v_add_co_u32 v5, s3, s8, v5
	s_delay_alu instid0(VALU_DEP_1)
	v_add_co_ci_u32_e64 v6, s3, s9, v6, s3
	global_store_b32 v[5:6], v65, off
.LBB122_28:
	s_or_b32 exec_lo, exec_lo, s4
	v_add3_u32 v5, v1, s11, 16
	s_delay_alu instid0(VALU_DEP_1) | instskip(NEXT) | instid1(VALU_DEP_1)
	v_cmp_gt_u32_e64 s3, s6, v5
	s_and_b32 exec_lo, exec_lo, s3
	s_cbranch_execz .LBB122_64
; %bb.29:
	v_mul_lo_u32 v5, v5, s10
	s_and_saveexec_b32 s4, vcc_lo
	s_cbranch_execnz .LBB122_68
; %bb.30:
	s_or_b32 exec_lo, exec_lo, s4
	s_and_saveexec_b32 s4, s0
	s_cbranch_execnz .LBB122_69
.LBB122_31:
	s_or_b32 exec_lo, exec_lo, s4
	s_and_saveexec_b32 s4, s1
	s_cbranch_execnz .LBB122_70
.LBB122_32:
	s_or_b32 exec_lo, exec_lo, s4
	s_and_saveexec_b32 s4, s2
	s_cbranch_execz .LBB122_34
.LBB122_33:
	v_dual_mov_b32 v6, 0 :: v_dual_add_nc_u32 v5, v5, v4
	s_delay_alu instid0(VALU_DEP_1) | instskip(SKIP_1) | instid1(VALU_DEP_1)
	v_lshlrev_b64 v[5:6], 2, v[5:6]
	s_waitcnt lgkmcnt(0)
	v_add_co_u32 v5, s3, s8, v5
	s_delay_alu instid0(VALU_DEP_1)
	v_add_co_ci_u32_e64 v6, s3, s9, v6, s3
	global_store_b32 v[5:6], v58, off
.LBB122_34:
	s_or_b32 exec_lo, exec_lo, s4
	v_add3_u32 v5, v1, s11, 24
	s_delay_alu instid0(VALU_DEP_1) | instskip(NEXT) | instid1(VALU_DEP_1)
	v_cmp_gt_u32_e64 s3, s6, v5
	s_and_b32 exec_lo, exec_lo, s3
	s_cbranch_execz .LBB122_64
; %bb.35:
	v_mul_lo_u32 v5, v5, s10
	s_and_saveexec_b32 s4, vcc_lo
	s_cbranch_execnz .LBB122_71
; %bb.36:
	s_or_b32 exec_lo, exec_lo, s4
	s_and_saveexec_b32 s4, s0
	s_cbranch_execnz .LBB122_72
.LBB122_37:
	s_or_b32 exec_lo, exec_lo, s4
	s_and_saveexec_b32 s4, s1
	s_cbranch_execnz .LBB122_73
.LBB122_38:
	s_or_b32 exec_lo, exec_lo, s4
	s_and_saveexec_b32 s4, s2
	s_cbranch_execz .LBB122_40
.LBB122_39:
	v_dual_mov_b32 v6, 0 :: v_dual_add_nc_u32 v5, v5, v4
	s_delay_alu instid0(VALU_DEP_1) | instskip(SKIP_1) | instid1(VALU_DEP_1)
	v_lshlrev_b64 v[5:6], 2, v[5:6]
	s_waitcnt lgkmcnt(0)
	v_add_co_u32 v5, s3, s8, v5
	s_delay_alu instid0(VALU_DEP_1)
	v_add_co_ci_u32_e64 v6, s3, s9, v6, s3
	global_store_b32 v[5:6], v44, off
.LBB122_40:
	s_or_b32 exec_lo, exec_lo, s4
	v_add3_u32 v5, v1, s11, 32
	s_delay_alu instid0(VALU_DEP_1) | instskip(NEXT) | instid1(VALU_DEP_1)
	v_cmp_gt_u32_e64 s3, s6, v5
	s_and_b32 exec_lo, exec_lo, s3
	s_cbranch_execz .LBB122_64
; %bb.41:
	v_mul_lo_u32 v5, v5, s10
	s_and_saveexec_b32 s4, vcc_lo
	s_cbranch_execnz .LBB122_74
; %bb.42:
	s_or_b32 exec_lo, exec_lo, s4
	s_and_saveexec_b32 s4, s0
	s_cbranch_execnz .LBB122_75
.LBB122_43:
	s_or_b32 exec_lo, exec_lo, s4
	s_and_saveexec_b32 s4, s1
	s_cbranch_execnz .LBB122_76
.LBB122_44:
	s_or_b32 exec_lo, exec_lo, s4
	s_and_saveexec_b32 s4, s2
	s_cbranch_execz .LBB122_46
.LBB122_45:
	v_dual_mov_b32 v6, 0 :: v_dual_add_nc_u32 v5, v5, v4
	s_delay_alu instid0(VALU_DEP_1) | instskip(SKIP_1) | instid1(VALU_DEP_1)
	v_lshlrev_b64 v[5:6], 2, v[5:6]
	s_waitcnt lgkmcnt(0)
	v_add_co_u32 v5, s3, s8, v5
	s_delay_alu instid0(VALU_DEP_1)
	v_add_co_ci_u32_e64 v6, s3, s9, v6, s3
	global_store_b32 v[5:6], v40, off
.LBB122_46:
	s_or_b32 exec_lo, exec_lo, s4
	v_add3_u32 v5, v1, s11, 40
	s_delay_alu instid0(VALU_DEP_1) | instskip(NEXT) | instid1(VALU_DEP_1)
	v_cmp_gt_u32_e64 s3, s6, v5
	s_and_b32 exec_lo, exec_lo, s3
	s_cbranch_execz .LBB122_64
; %bb.47:
	v_mul_lo_u32 v5, v5, s10
	s_and_saveexec_b32 s4, vcc_lo
	s_cbranch_execnz .LBB122_77
; %bb.48:
	s_or_b32 exec_lo, exec_lo, s4
	s_and_saveexec_b32 s4, s0
	s_cbranch_execnz .LBB122_78
.LBB122_49:
	s_or_b32 exec_lo, exec_lo, s4
	s_and_saveexec_b32 s4, s1
	s_cbranch_execnz .LBB122_79
.LBB122_50:
	s_or_b32 exec_lo, exec_lo, s4
	s_and_saveexec_b32 s4, s2
	s_cbranch_execz .LBB122_52
.LBB122_51:
	v_dual_mov_b32 v6, 0 :: v_dual_add_nc_u32 v5, v5, v4
	s_delay_alu instid0(VALU_DEP_1) | instskip(SKIP_1) | instid1(VALU_DEP_1)
	v_lshlrev_b64 v[5:6], 2, v[5:6]
	s_waitcnt lgkmcnt(0)
	v_add_co_u32 v5, s3, s8, v5
	s_delay_alu instid0(VALU_DEP_1)
	v_add_co_ci_u32_e64 v6, s3, s9, v6, s3
	global_store_b32 v[5:6], v33, off
.LBB122_52:
	s_or_b32 exec_lo, exec_lo, s4
	v_add3_u32 v5, v1, s11, 48
	s_delay_alu instid0(VALU_DEP_1) | instskip(NEXT) | instid1(VALU_DEP_1)
	v_cmp_gt_u32_e64 s3, s6, v5
	s_and_b32 exec_lo, exec_lo, s3
	s_cbranch_execz .LBB122_64
; %bb.53:
	v_mul_lo_u32 v5, v5, s10
	s_and_saveexec_b32 s4, vcc_lo
	s_cbranch_execnz .LBB122_80
; %bb.54:
	s_or_b32 exec_lo, exec_lo, s4
	s_and_saveexec_b32 s4, s0
	s_cbranch_execnz .LBB122_81
.LBB122_55:
	s_or_b32 exec_lo, exec_lo, s4
	s_and_saveexec_b32 s4, s1
	s_cbranch_execnz .LBB122_82
.LBB122_56:
	s_or_b32 exec_lo, exec_lo, s4
	s_and_saveexec_b32 s4, s2
	s_cbranch_execz .LBB122_58
.LBB122_57:
	v_dual_mov_b32 v6, 0 :: v_dual_add_nc_u32 v5, v5, v4
	s_delay_alu instid0(VALU_DEP_1) | instskip(SKIP_1) | instid1(VALU_DEP_1)
	v_lshlrev_b64 v[5:6], 2, v[5:6]
	s_waitcnt lgkmcnt(0)
	v_add_co_u32 v5, s3, s8, v5
	s_delay_alu instid0(VALU_DEP_1)
	v_add_co_ci_u32_e64 v6, s3, s9, v6, s3
	global_store_b32 v[5:6], v29, off
.LBB122_58:
	s_or_b32 exec_lo, exec_lo, s4
	v_add3_u32 v1, v1, s11, 56
	s_delay_alu instid0(VALU_DEP_1) | instskip(NEXT) | instid1(VALU_DEP_1)
	v_cmp_gt_u32_e64 s3, s6, v1
	s_and_b32 exec_lo, exec_lo, s3
	s_cbranch_execz .LBB122_64
; %bb.59:
	v_mul_lo_u32 v1, v1, s10
	s_and_saveexec_b32 s3, vcc_lo
	s_cbranch_execnz .LBB122_83
; %bb.60:
	s_or_b32 exec_lo, exec_lo, s3
	s_and_saveexec_b32 s3, s0
	s_cbranch_execnz .LBB122_84
.LBB122_61:
	s_or_b32 exec_lo, exec_lo, s3
	s_and_saveexec_b32 s0, s1
	s_cbranch_execnz .LBB122_85
.LBB122_62:
	s_or_b32 exec_lo, exec_lo, s0
	s_delay_alu instid0(SALU_CYCLE_1)
	s_and_b32 exec_lo, exec_lo, s2
	s_cbranch_execz .LBB122_64
.LBB122_63:
	v_dual_mov_b32 v1, 0 :: v_dual_add_nc_u32 v0, v1, v4
	s_delay_alu instid0(VALU_DEP_1) | instskip(SKIP_1) | instid1(VALU_DEP_1)
	v_lshlrev_b64 v[0:1], 2, v[0:1]
	s_waitcnt lgkmcnt(0)
	v_add_co_u32 v0, vcc_lo, s8, v0
	s_delay_alu instid0(VALU_DEP_2)
	v_add_co_ci_u32_e32 v1, vcc_lo, s9, v1, vcc_lo
	global_store_b32 v[0:1], v25, off
.LBB122_64:
	s_nop 0
	s_sendmsg sendmsg(MSG_DEALLOC_VGPRS)
	s_endpgm
.LBB122_65:
	s_delay_alu instid0(VALU_DEP_1) | instskip(NEXT) | instid1(VALU_DEP_1)
	v_dual_mov_b32 v7, 0 :: v_dual_add_nc_u32 v6, v5, v0
	v_lshlrev_b64 v[6:7], 2, v[6:7]
	s_waitcnt lgkmcnt(0)
	s_delay_alu instid0(VALU_DEP_1) | instskip(NEXT) | instid1(VALU_DEP_1)
	v_add_co_u32 v6, s3, s8, v6
	v_add_co_ci_u32_e64 v7, s3, s9, v7, s3
	global_store_b32 v[6:7], v69, off
	s_or_b32 exec_lo, exec_lo, s4
	s_and_saveexec_b32 s4, s0
	s_cbranch_execz .LBB122_25
.LBB122_66:
	s_delay_alu instid0(VALU_DEP_1) | instskip(NEXT) | instid1(VALU_DEP_1)
	v_dual_mov_b32 v7, 0 :: v_dual_add_nc_u32 v6, v5, v2
	v_lshlrev_b64 v[6:7], 2, v[6:7]
	s_waitcnt lgkmcnt(0)
	s_delay_alu instid0(VALU_DEP_1) | instskip(NEXT) | instid1(VALU_DEP_1)
	v_add_co_u32 v6, s3, s8, v6
	v_add_co_ci_u32_e64 v7, s3, s9, v7, s3
	global_store_b32 v[6:7], v67, off
	s_or_b32 exec_lo, exec_lo, s4
	s_and_saveexec_b32 s4, s1
	s_cbranch_execz .LBB122_26
.LBB122_67:
	v_dual_mov_b32 v7, 0 :: v_dual_add_nc_u32 v6, v5, v3
	s_delay_alu instid0(VALU_DEP_1) | instskip(SKIP_1) | instid1(VALU_DEP_1)
	v_lshlrev_b64 v[6:7], 2, v[6:7]
	s_waitcnt lgkmcnt(0)
	v_add_co_u32 v6, s3, s8, v6
	s_delay_alu instid0(VALU_DEP_1)
	v_add_co_ci_u32_e64 v7, s3, s9, v7, s3
	global_store_b32 v[6:7], v66, off
	s_or_b32 exec_lo, exec_lo, s4
	s_and_saveexec_b32 s4, s2
	s_cbranch_execnz .LBB122_27
	s_branch .LBB122_28
.LBB122_68:
	s_delay_alu instid0(VALU_DEP_1) | instskip(NEXT) | instid1(VALU_DEP_1)
	v_dual_mov_b32 v7, 0 :: v_dual_add_nc_u32 v6, v5, v0
	v_lshlrev_b64 v[6:7], 2, v[6:7]
	s_waitcnt lgkmcnt(0)
	s_delay_alu instid0(VALU_DEP_1) | instskip(NEXT) | instid1(VALU_DEP_1)
	v_add_co_u32 v6, s3, s8, v6
	v_add_co_ci_u32_e64 v7, s3, s9, v7, s3
	global_store_b32 v[6:7], v64, off
	s_or_b32 exec_lo, exec_lo, s4
	s_and_saveexec_b32 s4, s0
	s_cbranch_execz .LBB122_31
.LBB122_69:
	s_delay_alu instid0(VALU_DEP_1) | instskip(NEXT) | instid1(VALU_DEP_1)
	v_dual_mov_b32 v7, 0 :: v_dual_add_nc_u32 v6, v5, v2
	v_lshlrev_b64 v[6:7], 2, v[6:7]
	s_waitcnt lgkmcnt(0)
	s_delay_alu instid0(VALU_DEP_1) | instskip(NEXT) | instid1(VALU_DEP_1)
	v_add_co_u32 v6, s3, s8, v6
	v_add_co_ci_u32_e64 v7, s3, s9, v7, s3
	global_store_b32 v[6:7], v63, off
	s_or_b32 exec_lo, exec_lo, s4
	s_and_saveexec_b32 s4, s1
	s_cbranch_execz .LBB122_32
.LBB122_70:
	v_dual_mov_b32 v7, 0 :: v_dual_add_nc_u32 v6, v5, v3
	s_delay_alu instid0(VALU_DEP_1) | instskip(SKIP_1) | instid1(VALU_DEP_1)
	v_lshlrev_b64 v[6:7], 2, v[6:7]
	s_waitcnt lgkmcnt(0)
	v_add_co_u32 v6, s3, s8, v6
	s_delay_alu instid0(VALU_DEP_1)
	v_add_co_ci_u32_e64 v7, s3, s9, v7, s3
	global_store_b32 v[6:7], v61, off
	s_or_b32 exec_lo, exec_lo, s4
	s_and_saveexec_b32 s4, s2
	s_cbranch_execnz .LBB122_33
	s_branch .LBB122_34
.LBB122_71:
	s_delay_alu instid0(VALU_DEP_1) | instskip(NEXT) | instid1(VALU_DEP_1)
	v_dual_mov_b32 v7, 0 :: v_dual_add_nc_u32 v6, v5, v0
	v_lshlrev_b64 v[6:7], 2, v[6:7]
	s_waitcnt lgkmcnt(0)
	s_delay_alu instid0(VALU_DEP_1) | instskip(NEXT) | instid1(VALU_DEP_1)
	v_add_co_u32 v6, s3, s8, v6
	v_add_co_ci_u32_e64 v7, s3, s9, v7, s3
	global_store_b32 v[6:7], v53, off
	s_or_b32 exec_lo, exec_lo, s4
	s_and_saveexec_b32 s4, s0
	s_cbranch_execz .LBB122_37
.LBB122_72:
	s_delay_alu instid0(VALU_DEP_1) | instskip(NEXT) | instid1(VALU_DEP_1)
	v_dual_mov_b32 v7, 0 :: v_dual_add_nc_u32 v6, v5, v2
	v_lshlrev_b64 v[6:7], 2, v[6:7]
	s_waitcnt lgkmcnt(0)
	s_delay_alu instid0(VALU_DEP_1) | instskip(NEXT) | instid1(VALU_DEP_1)
	v_add_co_u32 v6, s3, s8, v6
	v_add_co_ci_u32_e64 v7, s3, s9, v7, s3
	global_store_b32 v[6:7], v48, off
	s_or_b32 exec_lo, exec_lo, s4
	s_and_saveexec_b32 s4, s1
	s_cbranch_execz .LBB122_38
.LBB122_73:
	v_dual_mov_b32 v7, 0 :: v_dual_add_nc_u32 v6, v5, v3
	s_delay_alu instid0(VALU_DEP_1) | instskip(SKIP_1) | instid1(VALU_DEP_1)
	v_lshlrev_b64 v[6:7], 2, v[6:7]
	s_waitcnt lgkmcnt(0)
	v_add_co_u32 v6, s3, s8, v6
	s_delay_alu instid0(VALU_DEP_1)
	v_add_co_ci_u32_e64 v7, s3, s9, v7, s3
	global_store_b32 v[6:7], v46, off
	s_or_b32 exec_lo, exec_lo, s4
	s_and_saveexec_b32 s4, s2
	s_cbranch_execnz .LBB122_39
	s_branch .LBB122_40
.LBB122_74:
	s_delay_alu instid0(VALU_DEP_1) | instskip(NEXT) | instid1(VALU_DEP_1)
	v_dual_mov_b32 v7, 0 :: v_dual_add_nc_u32 v6, v5, v0
	v_lshlrev_b64 v[6:7], 2, v[6:7]
	s_waitcnt lgkmcnt(0)
	s_delay_alu instid0(VALU_DEP_1) | instskip(NEXT) | instid1(VALU_DEP_1)
	v_add_co_u32 v6, s3, s8, v6
	v_add_co_ci_u32_e64 v7, s3, s9, v7, s3
	global_store_b32 v[6:7], v43, off
	s_or_b32 exec_lo, exec_lo, s4
	s_and_saveexec_b32 s4, s0
	s_cbranch_execz .LBB122_43
.LBB122_75:
	s_delay_alu instid0(VALU_DEP_1) | instskip(NEXT) | instid1(VALU_DEP_1)
	v_dual_mov_b32 v7, 0 :: v_dual_add_nc_u32 v6, v5, v2
	v_lshlrev_b64 v[6:7], 2, v[6:7]
	s_waitcnt lgkmcnt(0)
	s_delay_alu instid0(VALU_DEP_1) | instskip(NEXT) | instid1(VALU_DEP_1)
	v_add_co_u32 v6, s3, s8, v6
	v_add_co_ci_u32_e64 v7, s3, s9, v7, s3
	global_store_b32 v[6:7], v42, off
	s_or_b32 exec_lo, exec_lo, s4
	s_and_saveexec_b32 s4, s1
	s_cbranch_execz .LBB122_44
.LBB122_76:
	v_dual_mov_b32 v7, 0 :: v_dual_add_nc_u32 v6, v5, v3
	s_delay_alu instid0(VALU_DEP_1) | instskip(SKIP_1) | instid1(VALU_DEP_1)
	v_lshlrev_b64 v[6:7], 2, v[6:7]
	s_waitcnt lgkmcnt(0)
	v_add_co_u32 v6, s3, s8, v6
	s_delay_alu instid0(VALU_DEP_1)
	v_add_co_ci_u32_e64 v7, s3, s9, v7, s3
	global_store_b32 v[6:7], v41, off
	s_or_b32 exec_lo, exec_lo, s4
	s_and_saveexec_b32 s4, s2
	s_cbranch_execnz .LBB122_45
	s_branch .LBB122_46
.LBB122_77:
	s_delay_alu instid0(VALU_DEP_1) | instskip(NEXT) | instid1(VALU_DEP_1)
	v_dual_mov_b32 v7, 0 :: v_dual_add_nc_u32 v6, v5, v0
	v_lshlrev_b64 v[6:7], 2, v[6:7]
	s_waitcnt lgkmcnt(0)
	s_delay_alu instid0(VALU_DEP_1) | instskip(NEXT) | instid1(VALU_DEP_1)
	v_add_co_u32 v6, s3, s8, v6
	v_add_co_ci_u32_e64 v7, s3, s9, v7, s3
	global_store_b32 v[6:7], v38, off
	s_or_b32 exec_lo, exec_lo, s4
	s_and_saveexec_b32 s4, s0
	s_cbranch_execz .LBB122_49
.LBB122_78:
	s_delay_alu instid0(VALU_DEP_1) | instskip(NEXT) | instid1(VALU_DEP_1)
	v_dual_mov_b32 v7, 0 :: v_dual_add_nc_u32 v6, v5, v2
	v_lshlrev_b64 v[6:7], 2, v[6:7]
	s_waitcnt lgkmcnt(0)
	s_delay_alu instid0(VALU_DEP_1) | instskip(NEXT) | instid1(VALU_DEP_1)
	v_add_co_u32 v6, s3, s8, v6
	v_add_co_ci_u32_e64 v7, s3, s9, v7, s3
	global_store_b32 v[6:7], v35, off
	s_or_b32 exec_lo, exec_lo, s4
	s_and_saveexec_b32 s4, s1
	s_cbranch_execz .LBB122_50
.LBB122_79:
	v_dual_mov_b32 v7, 0 :: v_dual_add_nc_u32 v6, v5, v3
	s_delay_alu instid0(VALU_DEP_1) | instskip(SKIP_1) | instid1(VALU_DEP_1)
	v_lshlrev_b64 v[6:7], 2, v[6:7]
	s_waitcnt lgkmcnt(0)
	v_add_co_u32 v6, s3, s8, v6
	s_delay_alu instid0(VALU_DEP_1)
	v_add_co_ci_u32_e64 v7, s3, s9, v7, s3
	global_store_b32 v[6:7], v34, off
	s_or_b32 exec_lo, exec_lo, s4
	s_and_saveexec_b32 s4, s2
	s_cbranch_execnz .LBB122_51
	s_branch .LBB122_52
.LBB122_80:
	s_delay_alu instid0(VALU_DEP_1) | instskip(NEXT) | instid1(VALU_DEP_1)
	v_dual_mov_b32 v7, 0 :: v_dual_add_nc_u32 v6, v5, v0
	v_lshlrev_b64 v[6:7], 2, v[6:7]
	s_waitcnt lgkmcnt(0)
	s_delay_alu instid0(VALU_DEP_1) | instskip(NEXT) | instid1(VALU_DEP_1)
	v_add_co_u32 v6, s3, s8, v6
	v_add_co_ci_u32_e64 v7, s3, s9, v7, s3
	global_store_b32 v[6:7], v32, off
	s_or_b32 exec_lo, exec_lo, s4
	s_and_saveexec_b32 s4, s0
	s_cbranch_execz .LBB122_55
.LBB122_81:
	s_delay_alu instid0(VALU_DEP_1) | instskip(NEXT) | instid1(VALU_DEP_1)
	v_dual_mov_b32 v7, 0 :: v_dual_add_nc_u32 v6, v5, v2
	v_lshlrev_b64 v[6:7], 2, v[6:7]
	s_waitcnt lgkmcnt(0)
	s_delay_alu instid0(VALU_DEP_1) | instskip(NEXT) | instid1(VALU_DEP_1)
	v_add_co_u32 v6, s3, s8, v6
	v_add_co_ci_u32_e64 v7, s3, s9, v7, s3
	global_store_b32 v[6:7], v31, off
	s_or_b32 exec_lo, exec_lo, s4
	s_and_saveexec_b32 s4, s1
	s_cbranch_execz .LBB122_56
.LBB122_82:
	v_dual_mov_b32 v7, 0 :: v_dual_add_nc_u32 v6, v5, v3
	s_delay_alu instid0(VALU_DEP_1) | instskip(SKIP_1) | instid1(VALU_DEP_1)
	v_lshlrev_b64 v[6:7], 2, v[6:7]
	s_waitcnt lgkmcnt(0)
	v_add_co_u32 v6, s3, s8, v6
	s_delay_alu instid0(VALU_DEP_1)
	v_add_co_ci_u32_e64 v7, s3, s9, v7, s3
	global_store_b32 v[6:7], v30, off
	s_or_b32 exec_lo, exec_lo, s4
	s_and_saveexec_b32 s4, s2
	s_cbranch_execnz .LBB122_57
	s_branch .LBB122_58
.LBB122_83:
	s_delay_alu instid0(VALU_DEP_1) | instskip(NEXT) | instid1(VALU_DEP_1)
	v_dual_mov_b32 v6, 0 :: v_dual_add_nc_u32 v5, v1, v0
	v_lshlrev_b64 v[5:6], 2, v[5:6]
	s_waitcnt lgkmcnt(0)
	s_delay_alu instid0(VALU_DEP_1) | instskip(NEXT) | instid1(VALU_DEP_2)
	v_add_co_u32 v5, vcc_lo, s8, v5
	v_add_co_ci_u32_e32 v6, vcc_lo, s9, v6, vcc_lo
	global_store_b32 v[5:6], v28, off
	s_or_b32 exec_lo, exec_lo, s3
	s_and_saveexec_b32 s3, s0
	s_cbranch_execz .LBB122_61
.LBB122_84:
	s_delay_alu instid0(VALU_DEP_1) | instskip(NEXT) | instid1(VALU_DEP_1)
	v_dual_mov_b32 v6, 0 :: v_dual_add_nc_u32 v5, v1, v2
	v_lshlrev_b64 v[5:6], 2, v[5:6]
	s_waitcnt lgkmcnt(0)
	s_delay_alu instid0(VALU_DEP_1) | instskip(NEXT) | instid1(VALU_DEP_2)
	v_add_co_u32 v5, vcc_lo, s8, v5
	v_add_co_ci_u32_e32 v6, vcc_lo, s9, v6, vcc_lo
	global_store_b32 v[5:6], v27, off
	s_or_b32 exec_lo, exec_lo, s3
	s_and_saveexec_b32 s0, s1
	s_cbranch_execz .LBB122_62
.LBB122_85:
	v_dual_mov_b32 v3, 0 :: v_dual_add_nc_u32 v2, v1, v3
	s_delay_alu instid0(VALU_DEP_1) | instskip(SKIP_1) | instid1(VALU_DEP_1)
	v_lshlrev_b64 v[2:3], 2, v[2:3]
	s_waitcnt lgkmcnt(0)
	v_add_co_u32 v2, vcc_lo, s8, v2
	s_delay_alu instid0(VALU_DEP_2) | instskip(SKIP_2) | instid1(SALU_CYCLE_1)
	v_add_co_ci_u32_e32 v3, vcc_lo, s9, v3, vcc_lo
	global_store_b32 v[2:3], v26, off
	s_or_b32 exec_lo, exec_lo, s0
	s_and_b32 exec_lo, exec_lo, s2
	s_cbranch_execnz .LBB122_63
	s_branch .LBB122_64
	.section	.rodata,"a",@progbits
	.p2align	6, 0x0
	.amdhsa_kernel _ZL12mul_mat_q5_0IfLb1EEvPKvS1_PT_iiiii
		.amdhsa_group_segment_fixed_size 46720
		.amdhsa_private_segment_fixed_size 0
		.amdhsa_kernarg_size 44
		.amdhsa_user_sgpr_count 14
		.amdhsa_user_sgpr_dispatch_ptr 0
		.amdhsa_user_sgpr_queue_ptr 0
		.amdhsa_user_sgpr_kernarg_segment_ptr 1
		.amdhsa_user_sgpr_dispatch_id 0
		.amdhsa_user_sgpr_private_segment_size 0
		.amdhsa_wavefront_size32 1
		.amdhsa_uses_dynamic_stack 0
		.amdhsa_enable_private_segment 0
		.amdhsa_system_sgpr_workgroup_id_x 1
		.amdhsa_system_sgpr_workgroup_id_y 1
		.amdhsa_system_sgpr_workgroup_id_z 0
		.amdhsa_system_sgpr_workgroup_info 0
		.amdhsa_system_vgpr_workitem_id 1
		.amdhsa_next_free_vgpr 195
		.amdhsa_next_free_sgpr 16
		.amdhsa_reserve_vcc 1
		.amdhsa_float_round_mode_32 0
		.amdhsa_float_round_mode_16_64 0
		.amdhsa_float_denorm_mode_32 3
		.amdhsa_float_denorm_mode_16_64 3
		.amdhsa_dx10_clamp 1
		.amdhsa_ieee_mode 1
		.amdhsa_fp16_overflow 0
		.amdhsa_workgroup_processor_mode 1
		.amdhsa_memory_ordered 1
		.amdhsa_forward_progress 0
		.amdhsa_shared_vgpr_count 0
		.amdhsa_exception_fp_ieee_invalid_op 0
		.amdhsa_exception_fp_denorm_src 0
		.amdhsa_exception_fp_ieee_div_zero 0
		.amdhsa_exception_fp_ieee_overflow 0
		.amdhsa_exception_fp_ieee_underflow 0
		.amdhsa_exception_fp_ieee_inexact 0
		.amdhsa_exception_int_div_zero 0
	.end_amdhsa_kernel
	.section	.text._ZL12mul_mat_q5_0IfLb1EEvPKvS1_PT_iiiii,"axG",@progbits,_ZL12mul_mat_q5_0IfLb1EEvPKvS1_PT_iiiii,comdat
.Lfunc_end122:
	.size	_ZL12mul_mat_q5_0IfLb1EEvPKvS1_PT_iiiii, .Lfunc_end122-_ZL12mul_mat_q5_0IfLb1EEvPKvS1_PT_iiiii
                                        ; -- End function
	.section	.AMDGPU.csdata,"",@progbits
; Kernel info:
; codeLenInByte = 19396
; NumSgprs: 18
; NumVgprs: 195
; ScratchSize: 0
; MemoryBound: 0
; FloatMode: 240
; IeeeMode: 1
; LDSByteSize: 46720 bytes/workgroup (compile time only)
; SGPRBlocks: 2
; VGPRBlocks: 24
; NumSGPRsForWavesPerEU: 18
; NumVGPRsForWavesPerEU: 195
; Occupancy: 4
; WaveLimiterHint : 0
; COMPUTE_PGM_RSRC2:SCRATCH_EN: 0
; COMPUTE_PGM_RSRC2:USER_SGPR: 14
; COMPUTE_PGM_RSRC2:TRAP_HANDLER: 0
; COMPUTE_PGM_RSRC2:TGID_X_EN: 1
; COMPUTE_PGM_RSRC2:TGID_Y_EN: 1
; COMPUTE_PGM_RSRC2:TGID_Z_EN: 0
; COMPUTE_PGM_RSRC2:TIDIG_COMP_CNT: 1
	.section	.text._ZL12mul_mat_q5_1IfLb0EEvPKvS1_PT_iiiii,"axG",@progbits,_ZL12mul_mat_q5_1IfLb0EEvPKvS1_PT_iiiii,comdat
	.globl	_ZL12mul_mat_q5_1IfLb0EEvPKvS1_PT_iiiii ; -- Begin function _ZL12mul_mat_q5_1IfLb0EEvPKvS1_PT_iiiii
	.p2align	8
	.type	_ZL12mul_mat_q5_1IfLb0EEvPKvS1_PT_iiiii,@function
_ZL12mul_mat_q5_1IfLb0EEvPKvS1_PT_iiiii: ; @_ZL12mul_mat_q5_1IfLb0EEvPKvS1_PT_iiiii
; %bb.0:
	s_clause 0x1
	s_load_b32 s11, s[0:1], 0x18
	s_load_b128 s[4:7], s[0:1], 0x20
	v_bfe_u32 v24, v0, 10, 10
	v_and_b32_e32 v25, 0x3ff, v0
	s_waitcnt lgkmcnt(0)
	s_lshl_b32 s7, s15, 6
	s_cmp_gt_i32 s11, 31
	s_cbranch_scc1 .LBB123_2
; %bb.1:
	v_bfe_u32 v1, v0, 10, 10
	v_and_b32_e32 v0, 0x3ff, v0
	s_mov_b32 s2, 0
	s_mov_b32 s3, 0
	s_delay_alu instid0(VALU_DEP_2)
	v_add_nc_u32_e32 v30, s7, v1
	s_branch .LBB123_3
.LBB123_2:
	s_mov_b32 s2, -1
                                        ; implicit-def: $sgpr3
                                        ; implicit-def: $vgpr1
                                        ; implicit-def: $vgpr0
                                        ; implicit-def: $vgpr30
.LBB123_3:
	s_load_b64 s[8:9], s[0:1], 0x10
	v_dual_mov_b32 v9, s3 :: v_dual_mov_b32 v32, s3
	v_dual_mov_b32 v13, s3 :: v_dual_mov_b32 v10, s3
	v_dual_mov_b32 v17, s3 :: v_dual_mov_b32 v14, s3
	v_dual_mov_b32 v21, s3 :: v_dual_mov_b32 v18, s3
	v_dual_mov_b32 v27, s3 :: v_dual_mov_b32 v22, s3
	v_dual_mov_b32 v37, s3 :: v_dual_mov_b32 v28, s3
	v_dual_mov_b32 v41, s3 :: v_dual_mov_b32 v38, s3
	v_dual_mov_b32 v33, s3 :: v_dual_mov_b32 v34, s3
	v_dual_mov_b32 v43, s3 :: v_dual_mov_b32 v12, s3
	v_dual_mov_b32 v11, s3 :: v_dual_mov_b32 v16, s3
	v_dual_mov_b32 v15, s3 :: v_dual_mov_b32 v20, s3
	v_dual_mov_b32 v19, s3 :: v_dual_mov_b32 v26, s3
	v_dual_mov_b32 v23, s3 :: v_dual_mov_b32 v40, s3
	v_dual_mov_b32 v29, s3 :: v_dual_mov_b32 v36, s3
	v_mov_b32_e32 v39, s3
	v_mov_b32_e32 v53, s3
	;; [unrolled: 1-line block ×4, first 2 shown]
	s_and_not1_b32 vcc_lo, exec_lo, s2
	s_lshl_b32 s10, s14, 7
	s_cbranch_vccnz .LBB123_13
; %bb.4:
	s_load_b128 s[0:3], s[0:1], 0x0
	s_ashr_i32 s12, s11, 31
	s_ashr_i32 s13, s5, 31
	s_lshr_b32 s12, s12, 27
	s_lshr_b32 s13, s13, 27
	s_add_i32 s14, s11, s12
	v_dual_mov_b32 v35, 0 :: v_dual_add_nc_u32 v30, s7, v24
	s_add_i32 s11, s5, s13
	s_ashr_i32 s5, s14, 5
	s_ashr_i32 s13, s11, 5
	s_mul_i32 s12, s5, s10
	v_dual_mov_b32 v31, 0 :: v_dual_add_nc_u32 v2, 8, v30
	v_dual_mov_b32 v39, 0 :: v_dual_add_nc_u32 v8, 24, v30
	;; [unrolled: 1-line block ×3, first 2 shown]
	s_mul_hi_i32 s15, s12, 24
	s_mul_i32 s12, s12, 24
	v_add_nc_u32_e32 v14, 48, v30
	s_waitcnt lgkmcnt(0)
	s_add_u32 s11, s0, s12
	s_addc_u32 s12, s1, s15
	s_add_i32 s0, s4, -1
	v_cvt_f64_u32_e32 v[0:1], v30
	v_cvt_f64_u32_e32 v[2:3], v2
	v_cvt_f64_i32_e32 v[6:7], s0
	v_cvt_f64_u32_e32 v[8:9], v8
	v_cvt_f64_u32_e32 v[10:11], v10
	;; [unrolled: 1-line block ×3, first 2 shown]
	v_dual_mov_b32 v53, 0 :: v_dual_add_nc_u32 v4, 16, v30
	v_add_nc_u32_e32 v12, 40, v30
	v_add_nc_u32_e32 v16, 56, v30
	v_lshrrev_b32_e32 v42, 2, v25
	s_delay_alu instid0(VALU_DEP_4)
	v_cvt_f64_u32_e32 v[4:5], v4
	v_dual_mov_b32 v36, 0 :: v_dual_lshlrev_b32 v19, 3, v25
	v_cvt_f64_u32_e32 v[12:13], v12
	v_cvt_f64_u32_e32 v[16:17], v16
	v_lshrrev_b32_e32 v45, 3, v25
	v_and_b32_e32 v18, 3, v25
	v_dual_mov_b32 v43, 0 :: v_dual_and_b32 v44, 7, v25
	v_mad_u32_u24 v48, 0x104, v24, v19
	s_delay_alu instid0(VALU_DEP_4)
	v_lshl_add_u32 v19, v24, 2, v45
	v_lshl_add_u32 v26, v24, 3, v42
	v_mul_lo_u32 v47, s5, v24
	v_lshlrev_b32_e32 v23, 2, v44
	s_lshl_b32 s1, s5, 3
	v_add_nc_u32_e32 v28, 64, v19
	v_and_b32_e32 v26, 63, v26
	v_add_nc_u32_e32 v27, 32, v19
	v_mul_lo_u32 v71, s5, v19
	v_dual_mov_b32 v33, 0 :: v_dual_and_b32 v20, 31, v25
	v_add_nc_u32_e32 v49, s1, v47
	v_dual_mov_b32 v40, 0 :: v_dual_lshlrev_b32 v21, 2, v25
	v_dual_mov_b32 v41, 0 :: v_dual_lshlrev_b32 v22, 7, v24
	s_and_not1_b32 s14, s14, 31
	s_delay_alu instid0(VALU_DEP_2)
	v_and_b32_e32 v21, 28, v21
	v_add_nc_u32_e32 v83, s14, v71
	v_min_f64 v[0:1], v[0:1], v[6:7]
	v_min_f64 v[2:3], v[2:3], v[6:7]
	;; [unrolled: 1-line block ×5, first 2 shown]
	v_lshl_or_b32 v20, v20, 2, v22
	v_add_nc_u32_e32 v85, s14, v83
	v_add_nc_u32_e32 v50, 0x820, v48
	;; [unrolled: 1-line block ×3, first 2 shown]
	v_min_f64 v[4:5], v[4:5], v[6:7]
	v_add_nc_u32_e32 v73, 0x8200, v20
	v_add_nc_u32_e32 v75, 0x8600, v20
	v_min_f64 v[12:13], v[12:13], v[6:7]
	v_min_f64 v[6:7], v[16:17], v[6:7]
	v_and_b32_e32 v16, 0x7fc, v19
	v_lshlrev_b32_e32 v17, 5, v19
	v_add_nc_u32_e32 v19, 0x60, v19
	v_add_nc_u32_e32 v76, 0x8a00, v20
	;; [unrolled: 1-line block ×7, first 2 shown]
	v_mov_b32_e32 v20, 0
	v_add_nc_u32_e32 v52, 0x1860, v48
	v_add_nc_u32_e32 v54, 0x2080, v48
	v_dual_mov_b32 v38, 0 :: v_dual_add_nc_u32 v57, 0x28a0, v48
	v_add_nc_u32_e32 v58, 0x30c0, v48
	v_add_nc_u32_e32 v59, 0x38e0, v48
	;; [unrolled: 1-line block ×9, first 2 shown]
	v_dual_mov_b32 v32, 0 :: v_dual_add_nc_u32 v69, 0x79e0, v48
	v_cvt_i32_f64_e32 v0, v[0:1]
	v_cvt_i32_f64_e32 v1, v[2:3]
	;; [unrolled: 1-line block ×5, first 2 shown]
	v_add3_u32 v10, v16, v23, 0xa200
	v_lshlrev_b32_e32 v14, 5, v28
	v_lshlrev_b32_e32 v15, 5, v19
	v_cvt_i32_f64_e32 v2, v[4:5]
	v_and_b32_e32 v5, 0xffc, v28
	v_and_b32_e32 v4, 0xffc, v27
	v_cvt_i32_f64_e32 v9, v[12:13]
	v_cvt_i32_f64_e32 v12, v[6:7]
	v_or_b32_e32 v7, s7, v26
	v_lshlrev_b32_e32 v13, 5, v27
	v_and_b32_e32 v6, 0xffc, v19
	v_add_nc_u32_e32 v88, s14, v85
	v_mul_u32_u24_e32 v101, 0x104, v25
	v_add_nc_u32_e32 v107, 0x8200, v22
	v_lshl_add_u32 v108, v24, 4, 0xb280
	v_add_nc_u32_e32 v114, v10, v17
	v_mov_b32_e32 v28, 0
	v_mov_b32_e32 v22, 0
	v_dual_mov_b32 v10, 0 :: v_dual_mov_b32 v27, 0
	v_mov_b32_e32 v17, 0
	v_dual_mov_b32 v37, 0 :: v_dual_mov_b32 v34, 0
	v_mul_lo_u32 v90, s13, v0
	v_mul_lo_u32 v91, s13, v1
	v_add_nc_u32_e32 v0, 0x60, v25
	v_add_nc_u32_e32 v1, 64, v25
	v_mul_lo_u32 v97, s13, v11
	v_dual_mov_b32 v11, 0 :: v_dual_lshlrev_b32 v46, 2, v18
	v_mul_lo_u32 v93, s13, v3
	v_mul_lo_u32 v92, s13, v2
	v_add_nc_u32_e32 v2, 32, v25
	v_mul_lo_u32 v94, s13, v8
	v_lshl_or_b32 v16, v26, 4, v46
	v_add3_u32 v26, v5, v23, 0xa200
	v_lshlrev_b32_e32 v3, 5, v25
	v_and_b32_e32 v0, 0x1fc, v0
	v_and_b32_e32 v1, 0x1fc, v1
	v_dual_mov_b32 v16, 0 :: v_dual_add_nc_u32 v87, 0xb280, v16
	v_add_nc_u32_e32 v55, s1, v49
	v_add_nc_u32_e32 v116, v26, v14
	v_mov_b32_e32 v26, 0
	v_add3_u32 v19, v4, v23, 0xa200
	v_mov_b32_e32 v14, 0
	v_add_nc_u32_e32 v56, s1, v55
	v_add_co_u32 v4, s15, s2, v21
	s_delay_alu instid0(VALU_DEP_4) | instskip(NEXT) | instid1(VALU_DEP_3)
	v_add_nc_u32_e32 v115, v19, v13
	v_dual_mov_b32 v13, 0 :: v_dual_add_nc_u32 v60, s1, v56
	v_min_i32_e32 v21, s0, v7
	v_add3_u32 v23, v6, v23, 0xa200
	v_and_b32_e32 v8, 0xfc, v25
	v_add_nc_u32_e32 v0, v3, v0
	v_add_nc_u32_e32 v65, s1, v60
	v_mad_u64_u32 v[6:7], null, v21, s13, v[18:19]
	v_and_b32_e32 v7, 0x1fc, v2
	v_add_nc_u32_e32 v1, v3, v1
	s_delay_alu instid0(VALU_DEP_4)
	v_add_nc_u32_e32 v70, s1, v65
	v_mul_lo_u32 v95, s13, v9
	v_mul_lo_u32 v99, s13, v12
	v_add_nc_u32_e32 v7, v3, v7
	v_add_nc_u32_e32 v3, v3, v8
	;; [unrolled: 1-line block ×3, first 2 shown]
	s_movk_i32 s0, 0x80
	v_add_co_ci_u32_e64 v5, null, s3, 0, s15
	v_lshrrev_b32_e32 v102, 3, v2
	s_delay_alu instid0(VALU_DEP_3)
	v_add_nc_u32_e32 v74, s1, v72
	v_add_nc_u32_e32 v103, 0xae00, v0
	;; [unrolled: 1-line block ×11, first 2 shown]
	v_mad_u32_u24 v113, 0x104, v25, s0
	v_dual_mov_b32 v12, 0 :: v_dual_add_nc_u32 v117, v23, v15
	v_mov_b32_e32 v23, 0
	s_delay_alu instid0(VALU_DEP_4) | instskip(SKIP_2) | instid1(VALU_DEP_3)
	v_add_nc_u32_e32 v81, s1, v80
	v_mov_b32_e32 v19, 0
	v_dual_mov_b32 v15, 0 :: v_dual_mov_b32 v18, 0
	v_dual_mov_b32 v21, 0 :: v_dual_add_nc_u32 v82, s1, v81
	v_mov_b32_e32 v9, 0
	s_mov_b32 s13, 0
	s_delay_alu instid0(VALU_DEP_2) | instskip(NEXT) | instid1(VALU_DEP_1)
	v_add_nc_u32_e32 v84, s1, v82
	v_add_nc_u32_e32 v86, s1, v84
	s_delay_alu instid0(VALU_DEP_1)
	v_add_nc_u32_e32 v89, s1, v86
	s_branch .LBB123_6
.LBB123_5:                              ;   in Loop: Header=BB123_6 Depth=1
	s_add_i32 s13, s13, 8
	s_delay_alu instid0(SALU_CYCLE_1)
	s_cmp_ge_i32 s13, s5
	s_cbranch_scc1 .LBB123_12
.LBB123_6:                              ; =>This Loop Header: Depth=1
                                        ;     Child Loop BB123_7 Depth 2
                                        ;     Child Loop BB123_10 Depth 2
	s_mul_i32 s0, s13, 24
	s_mul_hi_u32 s1, s13, 24
	s_add_u32 s0, s11, s0
	s_addc_u32 s1, s12, s1
	s_delay_alu instid0(SALU_CYCLE_1) | instskip(NEXT) | instid1(VALU_DEP_1)
	v_mad_u64_u32 v[0:1], null, v42, 24, s[0:1]
	v_mad_u64_u32 v[122:123], null, v47, 24, v[0:1]
	;; [unrolled: 1-line block ×5, first 2 shown]
	s_delay_alu instid0(VALU_DEP_4)
	v_add_co_u32 v124, vcc_lo, v122, v46
	v_add_co_ci_u32_e32 v125, vcc_lo, 0, v123, vcc_lo
	v_add_co_u32 v126, vcc_lo, v118, v46
	v_add_co_ci_u32_e32 v127, vcc_lo, 0, v119, vcc_lo
	;; [unrolled: 2-line block ×4, first 2 shown]
	s_clause 0x7
	global_load_b32 v2, v[2:3], off offset:8
	global_load_b32 v3, v[7:8], off offset:4
	;; [unrolled: 1-line block ×8, first 2 shown]
	v_mad_u64_u32 v[123:124], null, v65, 24, v[0:1]
	v_mad_u64_u32 v[125:126], null, v60, 24, v[0:1]
	;; [unrolled: 1-line block ×4, first 2 shown]
	s_delay_alu instid0(VALU_DEP_4)
	v_add_co_u32 v131, vcc_lo, v123, v46
	v_add_co_ci_u32_e32 v132, vcc_lo, 0, v124, vcc_lo
	v_add_co_u32 v133, vcc_lo, v125, v46
	v_add_co_ci_u32_e32 v134, vcc_lo, 0, v126, vcc_lo
	s_clause 0x5
	global_load_b32 v150, v[129:130], off offset:4
	global_load_b32 v151, v[127:128], off offset:4
	;; [unrolled: 1-line block ×6, first 2 shown]
	v_add_co_u32 v123, vcc_lo, v127, v46
	v_add_co_ci_u32_e32 v124, vcc_lo, 0, v128, vcc_lo
	v_add_co_u32 v125, vcc_lo, v129, v46
	v_add_co_ci_u32_e32 v126, vcc_lo, 0, v130, vcc_lo
	s_clause 0x1
	global_load_b32 v156, v[123:124], off offset:8
	global_load_b32 v157, v[125:126], off offset:8
	v_mad_u64_u32 v[126:127], null, v81, 24, v[0:1]
	v_mad_u64_u32 v[128:129], null, v80, 24, v[0:1]
	;; [unrolled: 1-line block ×4, first 2 shown]
	s_clause 0x3
	global_load_b32 v123, v[126:127], off offset:4
	global_load_b32 v158, v[128:129], off offset:4
	;; [unrolled: 1-line block ×4, first 2 shown]
	v_mad_u64_u32 v[140:141], null, v86, 24, v[0:1]
	v_add_co_u32 v130, vcc_lo, v130, v46
	v_add_co_ci_u32_e32 v131, vcc_lo, 0, v131, vcc_lo
	v_add_co_u32 v124, vcc_lo, v124, v46
	v_add_co_ci_u32_e32 v125, vcc_lo, 0, v125, vcc_lo
	global_load_b32 v161, v[130:131], off offset:8
	v_mad_u64_u32 v[142:143], null, v89, 24, v[0:1]
	global_load_b32 v162, v[124:125], off offset:8
	v_add_co_u32 v124, vcc_lo, v128, v46
	v_add_co_ci_u32_e32 v125, vcc_lo, 0, v129, vcc_lo
	v_add_nc_u32_e32 v128, s13, v45
	v_add_co_u32 v126, vcc_lo, v126, v46
	global_load_b32 v163, v[124:125], off offset:8
	v_add_co_ci_u32_e32 v127, vcc_lo, 0, v127, vcc_lo
	v_add_nc_u32_e32 v130, v128, v90
	v_add_nc_u32_e32 v132, v128, v91
	v_add_nc_u32_e32 v134, v128, v92
	v_add_nc_u32_e32 v136, v128, v93
	v_add_nc_u32_e32 v165, v128, v94
	v_add_nc_u32_e32 v166, v128, v95
	v_add_nc_u32_e32 v167, v128, v97
	v_add_nc_u32_e32 v168, v128, v99
	v_mad_i64_i32 v[128:129], null, v130, 36, v[4:5]
	v_mad_i64_i32 v[130:131], null, v132, 36, v[4:5]
	;; [unrolled: 1-line block ×4, first 2 shown]
	v_mad_u64_u32 v[136:137], null, v82, 24, v[0:1]
	v_mad_u64_u32 v[138:139], null, v84, 24, v[0:1]
	global_load_b32 v164, v[126:127], off offset:8
	v_add_nc_u32_e32 v118, s13, v6
	v_mad_u64_u32 v[124:125], null, v44, 24, s[0:1]
	v_add_co_u32 v0, vcc_lo, v136, v46
	v_add_co_ci_u32_e32 v1, vcc_lo, 0, v137, vcc_lo
	v_add_co_u32 v144, vcc_lo, v140, v46
	v_add_co_ci_u32_e32 v145, vcc_lo, 0, v141, vcc_lo
	;; [unrolled: 2-line block ×4, first 2 shown]
	s_clause 0x7
	global_load_b32 v169, v[146:147], off offset:8
	global_load_b32 v170, v[142:143], off offset:4
	;; [unrolled: 1-line block ×8, first 2 shown]
	v_mad_u64_u32 v[126:127], null, v118, 36, s[2:3]
	v_mad_i64_i32 v[0:1], null, v165, 36, v[4:5]
	v_mad_i64_i32 v[136:137], null, v166, 36, v[4:5]
	;; [unrolled: 1-line block ×4, first 2 shown]
	v_mad_u64_u32 v[142:143], null, v71, 24, v[124:125]
	v_mad_u64_u32 v[144:145], null, v83, 24, v[124:125]
	;; [unrolled: 1-line block ×4, first 2 shown]
	s_clause 0x8
	global_load_b32 v124, v[126:127], off
	global_load_b32 v125, v[128:129], off offset:4
	global_load_b32 v126, v[130:131], off offset:4
	;; [unrolled: 1-line block ×8, first 2 shown]
	s_clause 0x3
	global_load_b32 v131, v[142:143], off
	global_load_b32 v132, v[144:145], off
	;; [unrolled: 1-line block ×4, first 2 shown]
	s_mov_b32 s0, -4
	s_waitcnt vmcnt(44)
	v_and_b32_e32 v138, 0xf0f0f0f, v2
	s_waitcnt vmcnt(43)
	v_ashrrev_i32_e32 v3, v46, v3
	s_waitcnt vmcnt(42)
	v_and_b32_e32 v137, 0xf0f0f0f, v7
	s_waitcnt vmcnt(41)
	v_ashrrev_i32_e32 v8, v46, v8
	;; [unrolled: 4-line block ×4, first 2 shown]
	v_lshrrev_b32_e32 v121, 4, v121
	v_lshrrev_b32_e32 v119, 4, v119
	v_lshlrev_b32_e32 v165, 4, v120
	v_lshlrev_b32_e32 v166, 11, v120
	v_lshrrev_b32_e32 v177, 12, v120
	v_lshrrev_b32_e32 v178, 5, v120
	;; [unrolled: 1-line block ×3, first 2 shown]
	v_lshlrev_b32_e32 v180, 4, v8
	v_lshlrev_b32_e32 v181, 11, v8
	v_lshrrev_b32_e32 v184, 12, v8
	v_lshrrev_b32_e32 v185, 5, v8
	;; [unrolled: 1-line block ×3, first 2 shown]
	s_waitcnt vmcnt(35)
	v_ashrrev_i32_e32 v145, v46, v151
	s_waitcnt vmcnt(34)
	v_and_b32_e32 v143, 0xf0f0f0f, v152
	s_waitcnt vmcnt(33)
	v_ashrrev_i32_e32 v142, v46, v153
	v_lshrrev_b32_e32 v144, 4, v152
	s_waitcnt vmcnt(31)
	v_ashrrev_i32_e32 v139, v46, v155
	v_lshlrev_b32_e32 v151, 4, v122
	v_lshlrev_b32_e32 v152, 11, v122
	v_lshrrev_b32_e32 v155, 12, v122
	v_lshlrev_b32_e32 v187, 4, v3
	v_lshlrev_b32_e32 v188, 11, v3
	v_lshrrev_b32_e32 v191, 12, v3
	v_lshrrev_b32_e32 v192, 5, v3
	;; [unrolled: 1-line block ×3, first 2 shown]
	v_lshlrev_b32_e32 v194, 4, v139
	s_waitcnt vmcnt(30)
	v_and_b32_e32 v146, 0xf0f0f0f, v156
	v_lshrrev_b32_e32 v147, 4, v156
	v_lshrrev_b32_e32 v156, 5, v122
	v_lshlrev_b32_e32 v195, 11, v139
	v_lshrrev_b32_e32 v198, 12, v139
	v_lshrrev_b32_e32 v199, 5, v139
	v_and_b32_e32 v140, 0xf0f0f0f, v154
	v_ashrrev_i32_e32 v148, v46, v150
	s_waitcnt vmcnt(29)
	v_and_b32_e32 v149, 0xf0f0f0f, v157
	v_lshrrev_b32_e32 v150, 4, v157
	v_lshlrev_b32_e32 v153, 18, v122
	v_lshlrev_b32_e32 v154, 25, v122
	v_and_b32_e32 v121, 0xf0f0f0f, v121
	v_lshlrev_b32_e32 v157, 2, v122
	v_lshlrev_b32_e32 v122, 9, v122
	;; [unrolled: 1-line block ×4, first 2 shown]
	v_lshrrev_b32_e32 v205, 12, v142
	v_lshrrev_b32_e32 v206, 5, v142
	v_and_b32_e32 v151, 16, v151
	v_and_b32_e32 v152, 0x1000, v152
	v_and_b32_e32 v155, 16, v155
	v_and_b32_e32 v156, 0x1000, v156
	v_lshlrev_b32_e32 v167, 18, v120
	v_lshlrev_b32_e32 v168, 25, v120
	v_and_b32_e32 v119, 0xf0f0f0f, v119
	v_lshlrev_b32_e32 v179, 2, v120
	v_lshlrev_b32_e32 v120, 9, v120
	v_and_b32_e32 v165, 16, v165
	v_and_b32_e32 v166, 0x1000, v166
	v_and_b32_e32 v177, 16, v177
	v_and_b32_e32 v178, 0x1000, v178
	v_lshlrev_b32_e32 v182, 18, v8
	v_lshlrev_b32_e32 v183, 25, v8
	v_and_b32_e32 v7, 0xf0f0f0f, v7
	v_lshlrev_b32_e32 v186, 2, v8
	v_lshlrev_b32_e32 v8, 9, v8
	;; [unrolled: 9-line block ×5, first 2 shown]
	v_and_b32_e32 v153, 0x100000, v153
	v_and_b32_e32 v154, 0x10000000, v154
	;; [unrolled: 1-line block ×8, first 2 shown]
	v_or3_b32 v135, v151, v135, v152
	v_or3_b32 v121, v155, v121, v156
	v_and_b32_e32 v167, 0x100000, v167
	v_and_b32_e32 v168, 0x10000000, v168
	v_and_b32_e32 v179, 0x100000, v179
	v_and_b32_e32 v120, 0x10000000, v120
	v_or3_b32 v136, v165, v136, v166
	v_or3_b32 v119, v177, v119, v178
	v_and_b32_e32 v182, 0x100000, v182
	v_and_b32_e32 v183, 0x10000000, v183
	v_and_b32_e32 v186, 0x100000, v186
	v_and_b32_e32 v8, 0x10000000, v8
	;; [unrolled: 6-line block ×4, first 2 shown]
	v_or3_b32 v140, v194, v140, v195
	v_or3_b32 v141, v198, v141, v199
	v_lshrrev_b32_e32 v219, 12, v148
	v_lshrrev_b32_e32 v220, 5, v148
	v_and_b32_e32 v203, 0x100000, v203
	v_and_b32_e32 v204, 0x10000000, v204
	v_and_b32_e32 v207, 0x100000, v207
	v_and_b32_e32 v142, 0x10000000, v142
	v_or3_b32 v143, v201, v143, v202
	v_or3_b32 v144, v205, v144, v206
	;; [unrolled: 1-line block ×14, first 2 shown]
	ds_store_2addr_b32 v48, v135, v121 offset1:1
	ds_store_2addr_b32 v50, v122, v119 offset1:1
	;; [unrolled: 1-line block ×6, first 2 shown]
	v_and_b32_e32 v2, 0xf0f0f0f, v150
	v_and_b32_e32 v3, 16, v219
	;; [unrolled: 1-line block ×3, first 2 shown]
	s_waitcnt vmcnt(25)
	v_ashrrev_i32_e32 v8, v46, v160
	v_lshlrev_b32_e32 v120, 2, v148
	v_lshlrev_b32_e32 v121, 9, v148
	s_waitcnt vmcnt(24)
	v_and_b32_e32 v122, 0xf0f0f0f, v161
	v_or3_b32 v2, v3, v2, v7
	v_lshlrev_b32_e32 v3, 4, v8
	v_lshlrev_b32_e32 v7, 11, v8
	v_and_b32_e32 v120, 0x100000, v120
	v_and_b32_e32 v121, 0x10000000, v121
	v_lshlrev_b32_e32 v208, 4, v145
	v_and_b32_e32 v3, 16, v3
	v_and_b32_e32 v7, 0x1000, v7
	v_lshlrev_b32_e32 v209, 11, v145
	v_lshrrev_b32_e32 v212, 12, v145
	v_lshrrev_b32_e32 v213, 5, v145
	v_lshlrev_b32_e32 v215, 4, v148
	v_lshlrev_b32_e32 v216, 11, v148
	v_or3_b32 v2, v2, v120, v121
	v_or3_b32 v3, v3, v122, v7
	v_lshrrev_b32_e32 v7, 4, v161
	v_lshrrev_b32_e32 v121, 12, v8
	;; [unrolled: 1-line block ×3, first 2 shown]
	v_lshlrev_b32_e32 v210, 18, v145
	v_lshlrev_b32_e32 v211, 25, v145
	v_and_b32_e32 v147, 0xf0f0f0f, v147
	v_lshlrev_b32_e32 v214, 2, v145
	v_lshlrev_b32_e32 v145, 9, v145
	;; [unrolled: 1-line block ×4, first 2 shown]
	v_and_b32_e32 v208, 16, v208
	v_and_b32_e32 v209, 0x1000, v209
	;; [unrolled: 1-line block ×9, first 2 shown]
	v_ashrrev_i32_e32 v136, v46, v159
	v_and_b32_e32 v210, 0x100000, v210
	v_and_b32_e32 v211, 0x10000000, v211
	;; [unrolled: 1-line block ×5, first 2 shown]
	v_or3_b32 v146, v208, v146, v209
	v_or3_b32 v147, v212, v147, v213
	;; [unrolled: 1-line block ×3, first 2 shown]
	v_and_b32_e32 v119, 0x10000000, v218
	v_lshlrev_b32_e32 v120, 18, v8
	v_lshlrev_b32_e32 v135, 25, v8
	;; [unrolled: 1-line block ×4, first 2 shown]
	v_or3_b32 v7, v121, v7, v122
	v_lshlrev_b32_e32 v121, 4, v136
	v_lshlrev_b32_e32 v122, 11, v136
	v_or3_b32 v139, v146, v210, v211
	v_or3_b32 v140, v147, v214, v145
	;; [unrolled: 1-line block ×3, first 2 shown]
	v_and_b32_e32 v120, 0x100000, v120
	v_and_b32_e32 v135, 0x10000000, v135
	;; [unrolled: 1-line block ×4, first 2 shown]
	s_waitcnt vmcnt(23)
	v_and_b32_e32 v138, 0xf0f0f0f, v162
	v_and_b32_e32 v121, 16, v121
	;; [unrolled: 1-line block ×3, first 2 shown]
	ds_store_2addr_b32 v58, v139, v140 offset1:1
	ds_store_2addr_b32 v59, v119, v2 offset1:1
	v_or3_b32 v2, v3, v120, v135
	v_or3_b32 v3, v7, v137, v8
	;; [unrolled: 1-line block ×3, first 2 shown]
	v_lshrrev_b32_e32 v119, 4, v162
	v_lshrrev_b32_e32 v120, 12, v136
	;; [unrolled: 1-line block ×3, first 2 shown]
	v_ashrrev_i32_e32 v135, v46, v158
	v_lshlrev_b32_e32 v7, 18, v136
	v_and_b32_e32 v119, 0xf0f0f0f, v119
	v_and_b32_e32 v120, 16, v120
	;; [unrolled: 1-line block ×3, first 2 shown]
	v_lshlrev_b32_e32 v122, 25, v136
	v_lshlrev_b32_e32 v137, 2, v136
	v_lshlrev_b32_e32 v136, 9, v136
	v_and_b32_e32 v7, 0x100000, v7
	v_or3_b32 v119, v120, v119, v121
	v_lshlrev_b32_e32 v120, 4, v135
	v_lshlrev_b32_e32 v121, 11, v135
	v_and_b32_e32 v122, 0x10000000, v122
	v_and_b32_e32 v137, 0x100000, v137
	;; [unrolled: 1-line block ×3, first 2 shown]
	s_waitcnt vmcnt(22)
	v_and_b32_e32 v138, 0xf0f0f0f, v163
	v_and_b32_e32 v120, 16, v120
	;; [unrolled: 1-line block ×3, first 2 shown]
	ds_store_2addr_b32 v61, v2, v3 offset1:1
	v_or3_b32 v2, v8, v7, v122
	v_or3_b32 v3, v119, v137, v136
	v_lshrrev_b32_e32 v119, 4, v163
	v_or3_b32 v8, v120, v138, v121
	v_lshrrev_b32_e32 v120, 12, v135
	v_lshrrev_b32_e32 v121, 5, v135
	v_ashrrev_i32_e32 v123, v46, v123
	v_and_b32_e32 v119, 0xf0f0f0f, v119
	v_lshlrev_b32_e32 v7, 18, v135
	v_and_b32_e32 v120, 16, v120
	v_and_b32_e32 v121, 0x1000, v121
	v_lshlrev_b32_e32 v122, 25, v135
	v_lshlrev_b32_e32 v136, 2, v135
	;; [unrolled: 1-line block ×3, first 2 shown]
	v_and_b32_e32 v7, 0x100000, v7
	v_or3_b32 v119, v120, v119, v121
	v_lshlrev_b32_e32 v120, 4, v123
	v_lshlrev_b32_e32 v121, 11, v123
	v_and_b32_e32 v122, 0x10000000, v122
	v_and_b32_e32 v136, 0x100000, v136
	;; [unrolled: 1-line block ×3, first 2 shown]
	s_waitcnt vmcnt(21)
	v_and_b32_e32 v137, 0xf0f0f0f, v164
	v_and_b32_e32 v120, 16, v120
	;; [unrolled: 1-line block ×3, first 2 shown]
	ds_store_2addr_b32 v62, v2, v3 offset1:1
	v_or3_b32 v2, v8, v7, v122
	v_or3_b32 v3, v119, v136, v135
	v_lshrrev_b32_e32 v119, 4, v164
	v_or3_b32 v8, v120, v137, v121
	v_lshrrev_b32_e32 v120, 12, v123
	v_lshrrev_b32_e32 v121, 5, v123
	s_waitcnt vmcnt(13)
	v_ashrrev_i32_e32 v135, v46, v176
	v_and_b32_e32 v119, 0xf0f0f0f, v119
	v_lshlrev_b32_e32 v7, 18, v123
	v_and_b32_e32 v120, 16, v120
	v_and_b32_e32 v121, 0x1000, v121
	v_lshlrev_b32_e32 v122, 25, v123
	v_lshlrev_b32_e32 v136, 2, v123
	;; [unrolled: 1-line block ×3, first 2 shown]
	v_and_b32_e32 v7, 0x100000, v7
	v_or3_b32 v119, v120, v119, v121
	v_lshlrev_b32_e32 v120, 4, v135
	v_lshlrev_b32_e32 v121, 11, v135
	v_and_b32_e32 v122, 0x10000000, v122
	v_and_b32_e32 v136, 0x100000, v136
	;; [unrolled: 1-line block ×6, first 2 shown]
	ds_store_2addr_b32 v63, v2, v3 offset1:1
	v_or3_b32 v2, v8, v7, v122
	v_or3_b32 v3, v119, v136, v123
	v_lshrrev_b32_e32 v119, 4, v175
	v_or3_b32 v8, v120, v137, v121
	v_lshrrev_b32_e32 v120, 12, v135
	v_lshrrev_b32_e32 v121, 5, v135
	v_ashrrev_i32_e32 v123, v46, v174
	v_and_b32_e32 v119, 0xf0f0f0f, v119
	v_lshlrev_b32_e32 v7, 18, v135
	v_and_b32_e32 v120, 16, v120
	v_and_b32_e32 v121, 0x1000, v121
	v_lshlrev_b32_e32 v122, 25, v135
	v_lshlrev_b32_e32 v136, 2, v135
	;; [unrolled: 1-line block ×3, first 2 shown]
	v_and_b32_e32 v7, 0x100000, v7
	v_or3_b32 v119, v120, v119, v121
	v_lshlrev_b32_e32 v120, 4, v123
	v_lshlrev_b32_e32 v121, 11, v123
	v_and_b32_e32 v122, 0x10000000, v122
	v_and_b32_e32 v136, 0x100000, v136
	;; [unrolled: 1-line block ×6, first 2 shown]
	v_lshlrev_b32_e32 v138, 18, v123
	v_lshlrev_b32_e32 v139, 25, v123
	v_or3_b32 v7, v8, v7, v122
	v_or3_b32 v8, v119, v136, v135
	;; [unrolled: 1-line block ×3, first 2 shown]
	v_and_b32_e32 v120, 0x100000, v138
	v_and_b32_e32 v121, 0x10000000, v139
	v_lshrrev_b32_e32 v122, 4, v173
	v_lshrrev_b32_e32 v135, 12, v123
	;; [unrolled: 1-line block ×3, first 2 shown]
	v_ashrrev_i32_e32 v137, v46, v172
	v_or3_b32 v119, v119, v120, v121
	v_and_b32_e32 v120, 0xf0f0f0f, v122
	v_and_b32_e32 v121, 16, v135
	;; [unrolled: 1-line block ×3, first 2 shown]
	v_lshlrev_b32_e32 v135, 4, v137
	v_lshlrev_b32_e32 v136, 11, v137
	;; [unrolled: 1-line block ×4, first 2 shown]
	v_and_b32_e32 v139, 0xf0f0f0f, v171
	v_and_b32_e32 v135, 16, v135
	;; [unrolled: 1-line block ×3, first 2 shown]
	v_lshlrev_b32_e32 v140, 18, v137
	v_or3_b32 v120, v121, v120, v122
	v_and_b32_e32 v122, 0x10000000, v123
	v_and_b32_e32 v121, 0x100000, v138
	v_or3_b32 v123, v135, v139, v136
	v_and_b32_e32 v135, 0x100000, v140
	v_ashrrev_i32_e32 v140, v46, v170
	v_lshrrev_b32_e32 v136, 4, v171
	v_lshrrev_b32_e32 v138, 12, v137
	;; [unrolled: 1-line block ×3, first 2 shown]
	v_lshlrev_b32_e32 v144, 2, v137
	v_lshlrev_b32_e32 v142, 4, v140
	;; [unrolled: 1-line block ×3, first 2 shown]
	v_and_b32_e32 v136, 0xf0f0f0f, v136
	v_and_b32_e32 v138, 16, v138
	;; [unrolled: 1-line block ×6, first 2 shown]
	v_lshlrev_b32_e32 v141, 25, v137
	v_or3_b32 v136, v138, v136, v139
	v_and_b32_e32 v138, 0x100000, v144
	v_lshrrev_b32_e32 v144, 5, v140
	v_or3_b32 v139, v142, v145, v143
	v_lshrrev_b32_e32 v142, 4, v169
	v_lshrrev_b32_e32 v143, 12, v140
	v_lshlrev_b32_e32 v137, 9, v137
	v_lshlrev_b32_e32 v145, 18, v140
	;; [unrolled: 1-line block ×3, first 2 shown]
	v_and_b32_e32 v142, 0xf0f0f0f, v142
	v_and_b32_e32 v143, 16, v143
	;; [unrolled: 1-line block ×3, first 2 shown]
	v_lshlrev_b32_e32 v147, 2, v140
	v_lshlrev_b32_e32 v140, 9, v140
	v_and_b32_e32 v141, 0x10000000, v141
	v_and_b32_e32 v137, 0x10000000, v137
	;; [unrolled: 1-line block ×4, first 2 shown]
	v_or3_b32 v142, v143, v142, v144
	v_and_b32_e32 v143, 0x100000, v147
	v_and_b32_e32 v140, 0x10000000, v140
	v_or3_b32 v120, v120, v121, v122
	v_or3_b32 v121, v123, v135, v141
	;; [unrolled: 1-line block ×5, first 2 shown]
	ds_store_2addr_b32 v64, v2, v3 offset1:1
	ds_store_2addr_b32 v66, v7, v8 offset1:1
	;; [unrolled: 1-line block ×5, first 2 shown]
	s_waitcnt vmcnt(3)
	ds_store_b32 v114, v131
	s_waitcnt vmcnt(2)
	ds_store_b32 v115, v132
	;; [unrolled: 2-line block ×4, first 2 shown]
	ds_store_b32 v73, v125
	ds_store_b32 v75, v126
	;; [unrolled: 1-line block ×9, first 2 shown]
	v_mov_b32_e32 v124, v104
	v_dual_mov_b32 v119, v108 :: v_dual_mov_b32 v120, v101
	v_dual_mov_b32 v121, v107 :: v_dual_mov_b32 v122, v106
	v_mov_b32_e32 v123, v105
	v_mov_b32_e32 v125, v103
	s_waitcnt lgkmcnt(0)
	s_barrier
	buffer_gl0_inv
.LBB123_7:                              ;   Parent Loop BB123_6 Depth=1
                                        ; =>  This Inner Loop Header: Depth=2
	ds_load_2addr_b32 v[7:8], v120 offset1:1
	ds_load_b128 v[0:3], v121
	ds_load_b128 v[126:129], v121 offset:16
	v_add_nc_u32_e32 v131, 0x2080, v120
	v_add_nc_u32_e32 v132, 0x4100, v120
	;; [unrolled: 1-line block ×3, first 2 shown]
	ds_load_2addr_b32 v[158:159], v120 offset0:2 offset1:3
	ds_load_2addr_b32 v[172:173], v120 offset0:4 offset1:5
	;; [unrolled: 1-line block ×3, first 2 shown]
	ds_load_2addr_b32 v[160:161], v131 offset1:1
	ds_load_2addr_b32 v[162:163], v132 offset1:1
	;; [unrolled: 1-line block ×3, first 2 shown]
	s_add_i32 s0, s0, 4
	s_delay_alu instid0(SALU_CYCLE_1) | instskip(SKIP_3) | instid1(VALU_DEP_1)
	s_cmp_lt_u32 s0, 12
	s_waitcnt lgkmcnt(7)
	v_dot4_i32_iu8 v130, v7, v0, 0 neg_lo:[1,1,0]
	s_waitcnt lgkmcnt(6)
	v_dot4_i32_iu8 v130, v8, v126, v130 neg_lo:[1,1,0]
	;; [unrolled: 2-line block ×4, first 2 shown]
	v_dot4_i32_iu8 v130, v158, v1, v130 neg_lo:[1,1,0]
	s_waitcnt lgkmcnt(0)
	v_dot4_i32_iu8 v0, v164, v0, 0 neg_lo:[1,1,0]
	v_dot4_i32_iu8 v131, v161, v126, v131 neg_lo:[1,1,0]
	;; [unrolled: 1-line block ×3, first 2 shown]
	s_delay_alu instid0(VALU_DEP_3)
	v_dot4_i32_iu8 v0, v165, v126, v0 neg_lo:[1,1,0]
	v_dot4_i32_iu8 v126, v159, v127, v130 neg_lo:[1,1,0]
	v_add_nc_u32_e32 v130, 0x2088, v120
	ds_load_2addr_b32 v[166:167], v130 offset1:1
	s_waitcnt lgkmcnt(0)
	v_dot4_i32_iu8 v130, v166, v1, v131 neg_lo:[1,1,0]
	v_add_nc_u32_e32 v131, 0x4108, v120
	s_delay_alu instid0(VALU_DEP_2) | instskip(SKIP_4) | instid1(VALU_DEP_2)
	v_dot4_i32_iu8 v130, v167, v127, v130 neg_lo:[1,1,0]
	ds_load_2addr_b32 v[168:169], v131 offset1:1
	s_waitcnt lgkmcnt(0)
	v_dot4_i32_iu8 v131, v168, v1, v132 neg_lo:[1,1,0]
	v_add_nc_u32_e32 v132, 0x6188, v120
	v_dot4_i32_iu8 v131, v169, v127, v131 neg_lo:[1,1,0]
	ds_load_2addr_b32 v[170:171], v132 offset1:1
	v_add_nc_u32_e32 v132, 0x4110, v120
	ds_load_2addr_b32 v[174:175], v132 offset1:1
	v_add_nc_u32_e32 v132, 0x6190, v120
	ds_load_2addr_b32 v[176:177], v132 offset1:1
	s_waitcnt lgkmcnt(2)
	v_dot4_i32_iu8 v0, v170, v1, v0 neg_lo:[1,1,0]
	v_dot4_i32_iu8 v1, v172, v2, v126 neg_lo:[1,1,0]
	v_add_nc_u32_e32 v126, 0x2090, v120
	s_delay_alu instid0(VALU_DEP_3) | instskip(NEXT) | instid1(VALU_DEP_3)
	v_dot4_i32_iu8 v0, v171, v127, v0 neg_lo:[1,1,0]
	v_dot4_i32_iu8 v1, v173, v128, v1 neg_lo:[1,1,0]
	ds_load_2addr_b32 v[126:127], v126 offset1:1
	s_waitcnt lgkmcnt(2)
	v_dot4_i32_iu8 v131, v174, v2, v131 neg_lo:[1,1,0]
	v_dot4_i32_iu8 v186, v178, v3, v1 neg_lo:[1,1,0]
	s_waitcnt lgkmcnt(1)
	v_dot4_i32_iu8 v0, v176, v2, v0 neg_lo:[1,1,0]
	s_delay_alu instid0(VALU_DEP_1) | instskip(SKIP_3) | instid1(VALU_DEP_2)
	v_dot4_i32_iu8 v0, v177, v128, v0 neg_lo:[1,1,0]
	s_waitcnt lgkmcnt(0)
	v_dot4_i32_iu8 v130, v126, v2, v130 neg_lo:[1,1,0]
	v_dot4_i32_iu8 v2, v175, v128, v131 neg_lo:[1,1,0]
	v_dot4_i32_iu8 v1, v127, v128, v130 neg_lo:[1,1,0]
	v_add_nc_u32_e32 v128, 0x2098, v120
	ds_load_b128 v[130:133], v121 offset:1040
	ds_load_2addr_b32 v[180:181], v128 offset1:1
	s_waitcnt lgkmcnt(0)
	v_dot4_i32_iu8 v128, v180, v3, v1 neg_lo:[1,1,0]
	v_add_nc_u32_e32 v1, 0x4118, v120
	ds_load_2addr_b32 v[182:183], v1 offset1:1
	v_add_nc_u32_e32 v1, 0x6198, v120
	v_add_nc_u32_e32 v120, 32, v120
	ds_load_2addr_b32 v[184:185], v1 offset1:1
	s_waitcnt lgkmcnt(1)
	v_dot4_i32_iu8 v187, v182, v3, v2 neg_lo:[1,1,0]
	s_waitcnt lgkmcnt(0)
	v_dot4_i32_iu8 v188, v184, v3, v0 neg_lo:[1,1,0]
	ds_load_b128 v[0:3], v121 offset:1024
	s_waitcnt lgkmcnt(0)
	v_dot4_i32_iu8 v134, v0, v7, 0 neg_lo:[1,1,0]
	v_dot4_i32_iu8 v135, v0, v160, 0 neg_lo:[1,1,0]
	v_dot4_i32_iu8 v136, v0, v162, 0 neg_lo:[1,1,0]
	v_dot4_i32_iu8 v0, v0, v164, 0 neg_lo:[1,1,0]
	s_delay_alu instid0(VALU_DEP_4) | instskip(NEXT) | instid1(VALU_DEP_4)
	v_dot4_i32_iu8 v134, v130, v8, v134 neg_lo:[1,1,0]
	v_dot4_i32_iu8 v135, v130, v161, v135 neg_lo:[1,1,0]
	s_delay_alu instid0(VALU_DEP_4) | instskip(NEXT) | instid1(VALU_DEP_4)
	v_dot4_i32_iu8 v136, v130, v163, v136 neg_lo:[1,1,0]
	v_dot4_i32_iu8 v0, v130, v165, v0 neg_lo:[1,1,0]
	s_delay_alu instid0(VALU_DEP_4) | instskip(NEXT) | instid1(VALU_DEP_4)
	v_dot4_i32_iu8 v130, v1, v158, v134 neg_lo:[1,1,0]
	v_dot4_i32_iu8 v134, v1, v166, v135 neg_lo:[1,1,0]
	s_delay_alu instid0(VALU_DEP_4) | instskip(NEXT) | instid1(VALU_DEP_4)
	v_dot4_i32_iu8 v135, v1, v168, v136 neg_lo:[1,1,0]
	v_dot4_i32_iu8 v0, v1, v170, v0 neg_lo:[1,1,0]
	s_delay_alu instid0(VALU_DEP_4) | instskip(NEXT) | instid1(VALU_DEP_4)
	v_dot4_i32_iu8 v1, v131, v159, v130 neg_lo:[1,1,0]
	v_dot4_i32_iu8 v130, v131, v167, v134 neg_lo:[1,1,0]
	s_delay_alu instid0(VALU_DEP_4) | instskip(NEXT) | instid1(VALU_DEP_4)
	v_dot4_i32_iu8 v134, v131, v169, v135 neg_lo:[1,1,0]
	v_dot4_i32_iu8 v0, v131, v171, v0 neg_lo:[1,1,0]
	s_delay_alu instid0(VALU_DEP_4) | instskip(NEXT) | instid1(VALU_DEP_4)
	v_dot4_i32_iu8 v1, v2, v172, v1 neg_lo:[1,1,0]
	v_dot4_i32_iu8 v130, v2, v126, v130 neg_lo:[1,1,0]
	s_delay_alu instid0(VALU_DEP_4) | instskip(NEXT) | instid1(VALU_DEP_4)
	v_dot4_i32_iu8 v131, v2, v174, v134 neg_lo:[1,1,0]
	v_dot4_i32_iu8 v0, v2, v176, v0 neg_lo:[1,1,0]
	ds_load_b128 v[134:137], v121 offset:2064
	v_dot4_i32_iu8 v1, v132, v173, v1 neg_lo:[1,1,0]
	v_dot4_i32_iu8 v2, v132, v127, v130 neg_lo:[1,1,0]
	v_dot4_i32_iu8 v130, v132, v175, v131 neg_lo:[1,1,0]
	v_dot4_i32_iu8 v0, v132, v177, v0 neg_lo:[1,1,0]
	s_delay_alu instid0(VALU_DEP_4) | instskip(NEXT) | instid1(VALU_DEP_4)
	v_dot4_i32_iu8 v131, v3, v178, v1 neg_lo:[1,1,0]
	v_dot4_i32_iu8 v132, v3, v180, v2 neg_lo:[1,1,0]
	s_delay_alu instid0(VALU_DEP_4) | instskip(NEXT) | instid1(VALU_DEP_4)
	v_dot4_i32_iu8 v130, v3, v182, v130 neg_lo:[1,1,0]
	v_dot4_i32_iu8 v189, v3, v184, v0 neg_lo:[1,1,0]
	ds_load_b128 v[0:3], v121 offset:2048
	v_dot4_i32_iu8 v130, v133, v183, v130 neg_lo:[1,1,0]
	s_waitcnt lgkmcnt(0)
	v_dot4_i32_iu8 v138, v0, v7, 0 neg_lo:[1,1,0]
	v_dot4_i32_iu8 v139, v0, v160, 0 neg_lo:[1,1,0]
	v_dot4_i32_iu8 v140, v0, v162, 0 neg_lo:[1,1,0]
	v_dot4_i32_iu8 v0, v0, v164, 0 neg_lo:[1,1,0]
	s_delay_alu instid0(VALU_DEP_4) | instskip(NEXT) | instid1(VALU_DEP_4)
	v_dot4_i32_iu8 v138, v134, v8, v138 neg_lo:[1,1,0]
	v_dot4_i32_iu8 v139, v134, v161, v139 neg_lo:[1,1,0]
	s_delay_alu instid0(VALU_DEP_4) | instskip(NEXT) | instid1(VALU_DEP_4)
	v_dot4_i32_iu8 v140, v134, v163, v140 neg_lo:[1,1,0]
	v_dot4_i32_iu8 v0, v134, v165, v0 neg_lo:[1,1,0]
	s_delay_alu instid0(VALU_DEP_4) | instskip(NEXT) | instid1(VALU_DEP_4)
	v_dot4_i32_iu8 v134, v1, v158, v138 neg_lo:[1,1,0]
	v_dot4_i32_iu8 v138, v1, v166, v139 neg_lo:[1,1,0]
	s_delay_alu instid0(VALU_DEP_4) | instskip(NEXT) | instid1(VALU_DEP_4)
	v_dot4_i32_iu8 v139, v1, v168, v140 neg_lo:[1,1,0]
	v_dot4_i32_iu8 v0, v1, v170, v0 neg_lo:[1,1,0]
	s_delay_alu instid0(VALU_DEP_4) | instskip(NEXT) | instid1(VALU_DEP_4)
	v_dot4_i32_iu8 v1, v135, v159, v134 neg_lo:[1,1,0]
	v_dot4_i32_iu8 v134, v135, v167, v138 neg_lo:[1,1,0]
	s_delay_alu instid0(VALU_DEP_4) | instskip(NEXT) | instid1(VALU_DEP_4)
	v_dot4_i32_iu8 v138, v135, v169, v139 neg_lo:[1,1,0]
	v_dot4_i32_iu8 v0, v135, v171, v0 neg_lo:[1,1,0]
	s_delay_alu instid0(VALU_DEP_4) | instskip(NEXT) | instid1(VALU_DEP_4)
	v_dot4_i32_iu8 v1, v2, v172, v1 neg_lo:[1,1,0]
	v_dot4_i32_iu8 v134, v2, v126, v134 neg_lo:[1,1,0]
	s_delay_alu instid0(VALU_DEP_4) | instskip(NEXT) | instid1(VALU_DEP_4)
	v_dot4_i32_iu8 v135, v2, v174, v138 neg_lo:[1,1,0]
	v_dot4_i32_iu8 v0, v2, v176, v0 neg_lo:[1,1,0]
	ds_load_b128 v[138:141], v121 offset:3088
	v_dot4_i32_iu8 v1, v136, v173, v1 neg_lo:[1,1,0]
	v_dot4_i32_iu8 v2, v136, v127, v134 neg_lo:[1,1,0]
	v_dot4_i32_iu8 v134, v136, v175, v135 neg_lo:[1,1,0]
	v_dot4_i32_iu8 v0, v136, v177, v0 neg_lo:[1,1,0]
	s_delay_alu instid0(VALU_DEP_4) | instskip(NEXT) | instid1(VALU_DEP_4)
	v_dot4_i32_iu8 v135, v3, v178, v1 neg_lo:[1,1,0]
	v_dot4_i32_iu8 v136, v3, v180, v2 neg_lo:[1,1,0]
	s_delay_alu instid0(VALU_DEP_4) | instskip(NEXT) | instid1(VALU_DEP_4)
	v_dot4_i32_iu8 v134, v3, v182, v134 neg_lo:[1,1,0]
	v_dot4_i32_iu8 v190, v3, v184, v0 neg_lo:[1,1,0]
	ds_load_b128 v[0:3], v121 offset:3072
	v_dot4_i32_iu8 v134, v137, v183, v134 neg_lo:[1,1,0]
	;; [unrolled: 42-line block ×5, first 2 shown]
	s_waitcnt lgkmcnt(0)
	v_dot4_i32_iu8 v154, v0, v7, 0 neg_lo:[1,1,0]
	v_dot4_i32_iu8 v155, v0, v160, 0 neg_lo:[1,1,0]
	;; [unrolled: 1-line block ×4, first 2 shown]
	s_delay_alu instid0(VALU_DEP_4) | instskip(NEXT) | instid1(VALU_DEP_4)
	v_dot4_i32_iu8 v154, v150, v8, v154 neg_lo:[1,1,0]
	v_dot4_i32_iu8 v155, v150, v161, v155 neg_lo:[1,1,0]
	s_delay_alu instid0(VALU_DEP_4) | instskip(NEXT) | instid1(VALU_DEP_4)
	v_dot4_i32_iu8 v156, v150, v163, v156 neg_lo:[1,1,0]
	v_dot4_i32_iu8 v0, v150, v165, v0 neg_lo:[1,1,0]
	;; [unrolled: 3-line block ×8, first 2 shown]
	ds_load_b128 v[154:157], v121 offset:7184
	v_dot4_i32_iu8 v1, v152, v173, v1 neg_lo:[1,1,0]
	v_dot4_i32_iu8 v2, v152, v127, v150 neg_lo:[1,1,0]
	;; [unrolled: 1-line block ×4, first 2 shown]
	s_delay_alu instid0(VALU_DEP_4) | instskip(NEXT) | instid1(VALU_DEP_4)
	v_dot4_i32_iu8 v151, v3, v178, v1 neg_lo:[1,1,0]
	v_dot4_i32_iu8 v152, v3, v180, v2 neg_lo:[1,1,0]
	s_delay_alu instid0(VALU_DEP_4) | instskip(NEXT) | instid1(VALU_DEP_4)
	v_dot4_i32_iu8 v150, v3, v182, v150 neg_lo:[1,1,0]
	v_dot4_i32_iu8 v194, v3, v184, v0 neg_lo:[1,1,0]
	ds_load_b128 v[0:3], v121 offset:7168
	v_add_nc_u32_e32 v121, 32, v121
	v_dot4_i32_iu8 v150, v153, v183, v150 neg_lo:[1,1,0]
	s_waitcnt lgkmcnt(0)
	v_dot4_i32_iu8 v7, v0, v7, 0 neg_lo:[1,1,0]
	s_delay_alu instid0(VALU_DEP_1) | instskip(SKIP_3) | instid1(VALU_DEP_4)
	v_dot4_i32_iu8 v7, v154, v8, v7 neg_lo:[1,1,0]
	v_dot4_i32_iu8 v8, v0, v160, 0 neg_lo:[1,1,0]
	;; [unrolled: 1-line block ×5, first 2 shown]
	s_delay_alu instid0(VALU_DEP_4) | instskip(NEXT) | instid1(VALU_DEP_4)
	v_dot4_i32_iu8 v8, v154, v161, v8 neg_lo:[1,1,0]
	v_dot4_i32_iu8 v160, v154, v163, v160 neg_lo:[1,1,0]
	s_delay_alu instid0(VALU_DEP_4) | instskip(NEXT) | instid1(VALU_DEP_4)
	v_dot4_i32_iu8 v0, v154, v165, v0 neg_lo:[1,1,0]
	v_dot4_i32_iu8 v7, v155, v159, v7 neg_lo:[1,1,0]
	;; [unrolled: 3-line block ×7, first 2 shown]
	s_delay_alu instid0(VALU_DEP_4)
	v_dot4_i32_iu8 v0, v2, v176, v0 neg_lo:[1,1,0]
	v_dot4_i32_iu8 v126, v183, v129, v187 neg_lo:[1,1,0]
	;; [unrolled: 1-line block ×7, first 2 shown]
	s_delay_alu instid0(VALU_DEP_4) | instskip(NEXT) | instid1(VALU_DEP_4)
	v_dot4_i32_iu8 v2, v3, v180, v7 neg_lo:[1,1,0]
	v_dot4_i32_iu8 v7, v3, v182, v8 neg_lo:[1,1,0]
	s_delay_alu instid0(VALU_DEP_4)
	v_dot4_i32_iu8 v0, v3, v184, v0 neg_lo:[1,1,0]
	v_dot4_i32_iu8 v3, v179, v129, v186 neg_lo:[1,1,0]
	v_dot4_i32_iu8 v8, v181, v129, v128 neg_lo:[1,1,0]
	v_dot4_i32_iu8 v128, v133, v179, v131 neg_lo:[1,1,0]
	v_dot4_i32_iu8 v129, v133, v181, v132 neg_lo:[1,1,0]
	v_dot4_i32_iu8 v131, v133, v185, v189 neg_lo:[1,1,0]
	v_dot4_i32_iu8 v132, v137, v179, v135 neg_lo:[1,1,0]
	v_dot4_i32_iu8 v133, v137, v181, v136 neg_lo:[1,1,0]
	v_dot4_i32_iu8 v135, v137, v185, v190 neg_lo:[1,1,0]
	v_dot4_i32_iu8 v136, v141, v179, v139 neg_lo:[1,1,0]
	v_dot4_i32_iu8 v137, v141, v181, v140 neg_lo:[1,1,0]
	v_dot4_i32_iu8 v139, v141, v185, v191 neg_lo:[1,1,0]
	v_dot4_i32_iu8 v140, v145, v179, v143 neg_lo:[1,1,0]
	v_dot4_i32_iu8 v141, v145, v181, v144 neg_lo:[1,1,0]
	v_dot4_i32_iu8 v143, v145, v185, v192 neg_lo:[1,1,0]
	v_dot4_i32_iu8 v144, v149, v179, v147 neg_lo:[1,1,0]
	v_dot4_i32_iu8 v145, v149, v181, v148 neg_lo:[1,1,0]
	v_dot4_i32_iu8 v147, v149, v185, v193 neg_lo:[1,1,0]
	v_dot4_i32_iu8 v148, v153, v179, v151 neg_lo:[1,1,0]
	v_dot4_i32_iu8 v149, v153, v181, v152 neg_lo:[1,1,0]
	v_dot4_i32_iu8 v151, v153, v185, v194 neg_lo:[1,1,0]
	v_dot4_i32_iu8 v152, v157, v179, v1 neg_lo:[1,1,0]
	v_dot4_i32_iu8 v2, v157, v181, v2 neg_lo:[1,1,0]
	v_dot4_i32_iu8 v7, v157, v183, v7 neg_lo:[1,1,0]
	v_dot4_i32_iu8 v153, v157, v185, v0 neg_lo:[1,1,0]
	ds_load_b32 v154, v122
	ds_load_b32 v155, v123
	;; [unrolled: 1-line block ×4, first 2 shown]
	ds_load_2addr_b32 v[0:1], v119 offset1:32
	v_cvt_f32_i32_e32 v136, v136
	v_cvt_f32_i32_e32 v3, v3
	;; [unrolled: 1-line block ×10, first 2 shown]
	v_add_nc_u32_e32 v124, 4, v124
	v_add_nc_u32_e32 v122, 4, v122
	;; [unrolled: 1-line block ×4, first 2 shown]
	s_waitcnt lgkmcnt(0)
	v_pk_mul_f16 v158, v0, v154
	v_pk_mul_f16 v159, v0, v155
	v_pk_mul_f16 v160, v0, v156
	v_pk_mul_f16 v161, v0, v157
	v_pk_mul_f16 v162, v154, v1
	v_pk_mul_f16 v163, v155, v1
	v_pk_mul_f16 v164, v156, v1
	v_pk_mul_f16 v165, v157, v1
	ds_load_2addr_b32 v[0:1], v119 offset0:64 offset1:96
	v_fma_mix_f32 v3, v158, v3, v158 op_sel:[0,0,1] op_sel_hi:[1,0,1]
	v_fma_mix_f32 v128, v162, v128, v162 op_sel:[0,0,1] op_sel_hi:[1,0,1]
	s_delay_alu instid0(VALU_DEP_2)
	v_add_f32_e32 v36, v36, v3
	v_cvt_f32_i32_e32 v3, v8
	v_cvt_f32_i32_e32 v8, v126
	;; [unrolled: 1-line block ×9, first 2 shown]
	v_fma_mix_f32 v3, v159, v3, v159 op_sel:[0,0,1] op_sel_hi:[1,0,1]
	v_fma_mix_f32 v8, v160, v8, v160 op_sel:[0,0,1] op_sel_hi:[1,0,1]
	;; [unrolled: 1-line block ×4, first 2 shown]
	s_waitcnt lgkmcnt(0)
	v_pk_mul_f16 v166, v154, v0
	v_pk_mul_f16 v167, v155, v0
	;; [unrolled: 1-line block ×8, first 2 shown]
	ds_load_2addr_b32 v[0:1], v119 offset0:128 offset1:160
	v_fma_mix_f32 v136, v170, v136, v170 op_sel:[0,0,1] op_sel_hi:[1,0,1]
	v_fma_mix_f32 v132, v166, v132, v166 op_sel:[0,0,1] op_sel_hi:[1,0,1]
	;; [unrolled: 1-line block ×5, first 2 shown]
	v_add_f32_e32 v31, v31, v136
	v_cvt_f32_i32_e32 v136, v141
	v_cvt_f32_i32_e32 v141, v147
	v_add_f32_e32 v53, v53, v3
	v_add_f32_e32 v43, v43, v8
	;; [unrolled: 1-line block ×5, first 2 shown]
	v_dual_add_f32 v33, v33, v131 :: v_dual_add_f32 v28, v28, v134
	s_waitcnt lgkmcnt(0)
	v_pk_mul_f16 v174, v154, v0
	v_pk_mul_f16 v175, v155, v0
	;; [unrolled: 1-line block ×8, first 2 shown]
	ds_load_2addr_b32 v[0:1], v119 offset0:192 offset1:224
	v_fma_mix_f32 v144, v178, v144, v178 op_sel:[0,0,1] op_sel_hi:[1,0,1]
	v_fma_mix_f32 v140, v174, v140, v174 op_sel:[0,0,1] op_sel_hi:[1,0,1]
	v_fma_mix_f32 v138, v177, v138, v177 op_sel:[0,0,1] op_sel_hi:[1,0,1]
	v_fma_mix_f32 v141, v181, v141, v181 op_sel:[0,0,1] op_sel_hi:[1,0,1]
	v_add_f32_e32 v40, v40, v128
	v_add_f32_e32 v20, v20, v144
	v_cvt_f32_i32_e32 v144, v151
	v_cvt_f32_i32_e32 v128, v130
	v_add_f32_e32 v17, v17, v141
	v_cvt_f32_i32_e32 v130, v133
	v_cvt_f32_i32_e32 v133, v137
	;; [unrolled: 1-line block ×4, first 2 shown]
	v_fma_mix_f32 v128, v164, v128, v164 op_sel:[0,0,1] op_sel_hi:[1,0,1]
	v_fma_mix_f32 v130, v167, v130, v167 op_sel:[0,0,1] op_sel_hi:[1,0,1]
	;; [unrolled: 1-line block ×5, first 2 shown]
	v_add_f32_e32 v21, v21, v138
	s_waitcnt lgkmcnt(0)
	v_pk_mul_f16 v184, v156, v0
	v_pk_mul_f16 v156, v156, v1
	;; [unrolled: 1-line block ×6, first 2 shown]
	v_fma_mix_f32 v7, v156, v7, v156 op_sel:[0,0,1] op_sel_hi:[1,0,1]
	v_add_f32_e32 v35, v35, v132
	v_cvt_f32_i32_e32 v132, v135
	v_cvt_f32_i32_e32 v135, v139
	;; [unrolled: 1-line block ×3, first 2 shown]
	v_add_f32_e32 v10, v10, v7
	v_pk_mul_f16 v155, v155, v1
	v_pk_mul_f16 v1, v157, v1
	v_fma_mix_f32 v0, v0, v144, v0 op_sel:[0,0,1] op_sel_hi:[1,0,1]
	v_fma_mix_f32 v139, v179, v139, v179 op_sel:[0,0,1] op_sel_hi:[1,0,1]
	v_add_f32_e32 v26, v26, v140
	v_cvt_f32_i32_e32 v140, v146
	v_cvt_f32_i32_e32 v144, v153
	v_fma_mix_f32 v148, v182, v148, v182 op_sel:[0,0,1] op_sel_hi:[1,0,1]
	v_add_f32_e32 v19, v19, v139
	v_fma_mix_f32 v152, v154, v152, v154 op_sel:[0,0,1] op_sel_hi:[1,0,1]
	v_fma_mix_f32 v132, v169, v132, v169 op_sel:[0,0,1] op_sel_hi:[1,0,1]
	;; [unrolled: 1-line block ×8, first 2 shown]
	s_delay_alu instid0(VALU_DEP_4) | instskip(NEXT) | instid1(VALU_DEP_3)
	v_dual_add_f32 v16, v16, v148 :: v_dual_add_f32 v15, v15, v142
	v_dual_add_f32 v12, v12, v152 :: v_dual_add_f32 v11, v11, v2
	s_delay_alu instid0(VALU_DEP_3)
	v_dual_add_f32 v38, v38, v128 :: v_dual_add_f32 v9, v9, v1
	v_add_f32_e32 v34, v34, v130
	v_dual_add_f32 v32, v32, v132 :: v_dual_add_f32 v29, v29, v133
	v_add_f32_e32 v27, v27, v135
	;; [unrolled: 2-line block ×3, first 2 shown]
	v_dual_add_f32 v14, v14, v143 :: v_dual_add_f32 v13, v13, v0
	v_add_nc_u32_e32 v119, 4, v119
	s_cbranch_scc1 .LBB123_7
; %bb.8:                                ;   in Loop: Header=BB123_6 Depth=1
	s_or_b32 s0, s13, 4
	s_delay_alu instid0(SALU_CYCLE_1)
	s_cmp_ge_i32 s0, s5
	s_barrier
	buffer_gl0_inv
	s_cbranch_scc1 .LBB123_5
; %bb.9:                                ;   in Loop: Header=BB123_6 Depth=1
	v_add_nc_u32_e32 v125, s13, v102
	v_add_nc_u32_e32 v118, 4, v118
	s_mov_b32 s0, 12
	s_delay_alu instid0(VALU_DEP_2)
	v_add_nc_u32_e32 v2, v125, v90
	v_add_nc_u32_e32 v7, v125, v91
	;; [unrolled: 1-line block ×5, first 2 shown]
	v_mad_i64_i32 v[0:1], null, v2, 36, v[4:5]
	v_add_nc_u32_e32 v126, v125, v95
	v_mad_i64_i32 v[2:3], null, v7, 36, v[4:5]
	v_add_nc_u32_e32 v127, v125, v97
	;; [unrolled: 2-line block ×3, first 2 shown]
	v_mad_i64_i32 v[119:120], null, v121, 36, v[4:5]
	v_mad_i64_i32 v[121:122], null, v123, 36, v[4:5]
	;; [unrolled: 1-line block ×5, first 2 shown]
	v_mad_u64_u32 v[129:130], null, v118, 36, s[2:3]
	s_clause 0x8
	global_load_b32 v0, v[0:1], off offset:4
	global_load_b32 v1, v[2:3], off offset:4
	;; [unrolled: 1-line block ×8, first 2 shown]
	global_load_b32 v127, v[129:130], off
	v_mov_b32_e32 v121, v112
	v_dual_mov_b32 v118, v108 :: v_dual_mov_b32 v119, v107
	v_mov_b32_e32 v120, v113
	v_dual_mov_b32 v122, v111 :: v_dual_mov_b32 v123, v110
	v_mov_b32_e32 v124, v109
	s_waitcnt vmcnt(8)
	ds_store_b32 v73, v0
	s_waitcnt vmcnt(7)
	ds_store_b32 v75, v1
	;; [unrolled: 2-line block ×9, first 2 shown]
	s_waitcnt lgkmcnt(0)
	s_barrier
	buffer_gl0_inv
.LBB123_10:                             ;   Parent Loop BB123_6 Depth=1
                                        ; =>  This Inner Loop Header: Depth=2
	ds_load_2addr_b32 v[7:8], v120 offset1:1
	ds_load_b128 v[0:3], v119
	ds_load_b128 v[125:128], v119 offset:16
	ds_load_2addr_b32 v[157:158], v120 offset0:2 offset1:3
	v_add_nc_u32_e32 v130, 0x2080, v120
	v_add_nc_u32_e32 v131, 0x4100, v120
	;; [unrolled: 1-line block ×3, first 2 shown]
	ds_load_2addr_b32 v[171:172], v120 offset0:4 offset1:5
	ds_load_2addr_b32 v[177:178], v120 offset0:6 offset1:7
	ds_load_2addr_b32 v[159:160], v130 offset1:1
	ds_load_2addr_b32 v[161:162], v131 offset1:1
	ds_load_2addr_b32 v[163:164], v132 offset1:1
	s_add_i32 s0, s0, 4
	s_delay_alu instid0(SALU_CYCLE_1) | instskip(SKIP_3) | instid1(VALU_DEP_1)
	s_cmp_lt_u32 s0, 28
	s_waitcnt lgkmcnt(7)
	v_dot4_i32_iu8 v129, v7, v0, 0 neg_lo:[1,1,0]
	s_waitcnt lgkmcnt(6)
	v_dot4_i32_iu8 v129, v8, v125, v129 neg_lo:[1,1,0]
	;; [unrolled: 2-line block ×4, first 2 shown]
	v_dot4_i32_iu8 v129, v157, v1, v129 neg_lo:[1,1,0]
	s_waitcnt lgkmcnt(0)
	v_dot4_i32_iu8 v0, v163, v0, 0 neg_lo:[1,1,0]
	v_dot4_i32_iu8 v130, v160, v125, v130 neg_lo:[1,1,0]
	;; [unrolled: 1-line block ×3, first 2 shown]
	s_delay_alu instid0(VALU_DEP_3)
	v_dot4_i32_iu8 v0, v164, v125, v0 neg_lo:[1,1,0]
	v_dot4_i32_iu8 v125, v158, v126, v129 neg_lo:[1,1,0]
	v_add_nc_u32_e32 v129, 0x2088, v120
	ds_load_2addr_b32 v[165:166], v129 offset1:1
	s_waitcnt lgkmcnt(0)
	v_dot4_i32_iu8 v129, v165, v1, v130 neg_lo:[1,1,0]
	v_add_nc_u32_e32 v130, 0x4108, v120
	s_delay_alu instid0(VALU_DEP_2) | instskip(SKIP_4) | instid1(VALU_DEP_2)
	v_dot4_i32_iu8 v129, v166, v126, v129 neg_lo:[1,1,0]
	ds_load_2addr_b32 v[167:168], v130 offset1:1
	s_waitcnt lgkmcnt(0)
	v_dot4_i32_iu8 v130, v167, v1, v131 neg_lo:[1,1,0]
	v_add_nc_u32_e32 v131, 0x6188, v120
	v_dot4_i32_iu8 v130, v168, v126, v130 neg_lo:[1,1,0]
	ds_load_2addr_b32 v[169:170], v131 offset1:1
	v_add_nc_u32_e32 v131, 0x4110, v120
	ds_load_2addr_b32 v[173:174], v131 offset1:1
	v_add_nc_u32_e32 v131, 0x6190, v120
	ds_load_2addr_b32 v[175:176], v131 offset1:1
	s_waitcnt lgkmcnt(2)
	v_dot4_i32_iu8 v0, v169, v1, v0 neg_lo:[1,1,0]
	v_dot4_i32_iu8 v1, v171, v2, v125 neg_lo:[1,1,0]
	v_add_nc_u32_e32 v125, 0x2090, v120
	s_delay_alu instid0(VALU_DEP_3) | instskip(NEXT) | instid1(VALU_DEP_3)
	v_dot4_i32_iu8 v0, v170, v126, v0 neg_lo:[1,1,0]
	v_dot4_i32_iu8 v1, v172, v127, v1 neg_lo:[1,1,0]
	ds_load_2addr_b32 v[125:126], v125 offset1:1
	s_waitcnt lgkmcnt(2)
	v_dot4_i32_iu8 v130, v173, v2, v130 neg_lo:[1,1,0]
	v_dot4_i32_iu8 v185, v177, v3, v1 neg_lo:[1,1,0]
	s_waitcnt lgkmcnt(1)
	v_dot4_i32_iu8 v0, v175, v2, v0 neg_lo:[1,1,0]
	s_delay_alu instid0(VALU_DEP_1) | instskip(SKIP_3) | instid1(VALU_DEP_2)
	v_dot4_i32_iu8 v0, v176, v127, v0 neg_lo:[1,1,0]
	s_waitcnt lgkmcnt(0)
	v_dot4_i32_iu8 v129, v125, v2, v129 neg_lo:[1,1,0]
	v_dot4_i32_iu8 v2, v174, v127, v130 neg_lo:[1,1,0]
	;; [unrolled: 1-line block ×3, first 2 shown]
	v_add_nc_u32_e32 v127, 0x2098, v120
	ds_load_b128 v[129:132], v119 offset:1040
	ds_load_2addr_b32 v[179:180], v127 offset1:1
	s_waitcnt lgkmcnt(0)
	v_dot4_i32_iu8 v127, v179, v3, v1 neg_lo:[1,1,0]
	v_add_nc_u32_e32 v1, 0x4118, v120
	ds_load_2addr_b32 v[181:182], v1 offset1:1
	v_add_nc_u32_e32 v1, 0x6198, v120
	v_add_nc_u32_e32 v120, 32, v120
	ds_load_2addr_b32 v[183:184], v1 offset1:1
	s_waitcnt lgkmcnt(1)
	v_dot4_i32_iu8 v186, v181, v3, v2 neg_lo:[1,1,0]
	s_waitcnt lgkmcnt(0)
	v_dot4_i32_iu8 v187, v183, v3, v0 neg_lo:[1,1,0]
	ds_load_b128 v[0:3], v119 offset:1024
	s_waitcnt lgkmcnt(0)
	v_dot4_i32_iu8 v133, v0, v7, 0 neg_lo:[1,1,0]
	v_dot4_i32_iu8 v134, v0, v159, 0 neg_lo:[1,1,0]
	v_dot4_i32_iu8 v135, v0, v161, 0 neg_lo:[1,1,0]
	v_dot4_i32_iu8 v0, v0, v163, 0 neg_lo:[1,1,0]
	s_delay_alu instid0(VALU_DEP_4) | instskip(NEXT) | instid1(VALU_DEP_4)
	v_dot4_i32_iu8 v133, v129, v8, v133 neg_lo:[1,1,0]
	v_dot4_i32_iu8 v134, v129, v160, v134 neg_lo:[1,1,0]
	s_delay_alu instid0(VALU_DEP_4) | instskip(NEXT) | instid1(VALU_DEP_4)
	v_dot4_i32_iu8 v135, v129, v162, v135 neg_lo:[1,1,0]
	v_dot4_i32_iu8 v0, v129, v164, v0 neg_lo:[1,1,0]
	s_delay_alu instid0(VALU_DEP_4) | instskip(NEXT) | instid1(VALU_DEP_4)
	v_dot4_i32_iu8 v129, v1, v157, v133 neg_lo:[1,1,0]
	v_dot4_i32_iu8 v133, v1, v165, v134 neg_lo:[1,1,0]
	s_delay_alu instid0(VALU_DEP_4) | instskip(NEXT) | instid1(VALU_DEP_4)
	v_dot4_i32_iu8 v134, v1, v167, v135 neg_lo:[1,1,0]
	v_dot4_i32_iu8 v0, v1, v169, v0 neg_lo:[1,1,0]
	s_delay_alu instid0(VALU_DEP_4) | instskip(NEXT) | instid1(VALU_DEP_4)
	v_dot4_i32_iu8 v1, v130, v158, v129 neg_lo:[1,1,0]
	v_dot4_i32_iu8 v129, v130, v166, v133 neg_lo:[1,1,0]
	s_delay_alu instid0(VALU_DEP_4) | instskip(NEXT) | instid1(VALU_DEP_4)
	v_dot4_i32_iu8 v133, v130, v168, v134 neg_lo:[1,1,0]
	v_dot4_i32_iu8 v0, v130, v170, v0 neg_lo:[1,1,0]
	s_delay_alu instid0(VALU_DEP_4) | instskip(NEXT) | instid1(VALU_DEP_4)
	v_dot4_i32_iu8 v1, v2, v171, v1 neg_lo:[1,1,0]
	v_dot4_i32_iu8 v129, v2, v125, v129 neg_lo:[1,1,0]
	s_delay_alu instid0(VALU_DEP_4) | instskip(NEXT) | instid1(VALU_DEP_4)
	v_dot4_i32_iu8 v130, v2, v173, v133 neg_lo:[1,1,0]
	v_dot4_i32_iu8 v0, v2, v175, v0 neg_lo:[1,1,0]
	ds_load_b128 v[133:136], v119 offset:2064
	v_dot4_i32_iu8 v1, v131, v172, v1 neg_lo:[1,1,0]
	v_dot4_i32_iu8 v2, v131, v126, v129 neg_lo:[1,1,0]
	v_dot4_i32_iu8 v129, v131, v174, v130 neg_lo:[1,1,0]
	v_dot4_i32_iu8 v0, v131, v176, v0 neg_lo:[1,1,0]
	s_delay_alu instid0(VALU_DEP_4) | instskip(NEXT) | instid1(VALU_DEP_4)
	v_dot4_i32_iu8 v130, v3, v177, v1 neg_lo:[1,1,0]
	v_dot4_i32_iu8 v131, v3, v179, v2 neg_lo:[1,1,0]
	s_delay_alu instid0(VALU_DEP_4) | instskip(NEXT) | instid1(VALU_DEP_4)
	v_dot4_i32_iu8 v129, v3, v181, v129 neg_lo:[1,1,0]
	v_dot4_i32_iu8 v188, v3, v183, v0 neg_lo:[1,1,0]
	ds_load_b128 v[0:3], v119 offset:2048
	v_dot4_i32_iu8 v129, v132, v182, v129 neg_lo:[1,1,0]
	s_waitcnt lgkmcnt(0)
	v_dot4_i32_iu8 v137, v0, v7, 0 neg_lo:[1,1,0]
	v_dot4_i32_iu8 v138, v0, v159, 0 neg_lo:[1,1,0]
	v_dot4_i32_iu8 v139, v0, v161, 0 neg_lo:[1,1,0]
	v_dot4_i32_iu8 v0, v0, v163, 0 neg_lo:[1,1,0]
	s_delay_alu instid0(VALU_DEP_4) | instskip(NEXT) | instid1(VALU_DEP_4)
	v_dot4_i32_iu8 v137, v133, v8, v137 neg_lo:[1,1,0]
	v_dot4_i32_iu8 v138, v133, v160, v138 neg_lo:[1,1,0]
	s_delay_alu instid0(VALU_DEP_4) | instskip(NEXT) | instid1(VALU_DEP_4)
	v_dot4_i32_iu8 v139, v133, v162, v139 neg_lo:[1,1,0]
	v_dot4_i32_iu8 v0, v133, v164, v0 neg_lo:[1,1,0]
	s_delay_alu instid0(VALU_DEP_4) | instskip(NEXT) | instid1(VALU_DEP_4)
	v_dot4_i32_iu8 v133, v1, v157, v137 neg_lo:[1,1,0]
	v_dot4_i32_iu8 v137, v1, v165, v138 neg_lo:[1,1,0]
	s_delay_alu instid0(VALU_DEP_4) | instskip(NEXT) | instid1(VALU_DEP_4)
	v_dot4_i32_iu8 v138, v1, v167, v139 neg_lo:[1,1,0]
	v_dot4_i32_iu8 v0, v1, v169, v0 neg_lo:[1,1,0]
	s_delay_alu instid0(VALU_DEP_4) | instskip(NEXT) | instid1(VALU_DEP_4)
	v_dot4_i32_iu8 v1, v134, v158, v133 neg_lo:[1,1,0]
	v_dot4_i32_iu8 v133, v134, v166, v137 neg_lo:[1,1,0]
	s_delay_alu instid0(VALU_DEP_4) | instskip(NEXT) | instid1(VALU_DEP_4)
	v_dot4_i32_iu8 v137, v134, v168, v138 neg_lo:[1,1,0]
	v_dot4_i32_iu8 v0, v134, v170, v0 neg_lo:[1,1,0]
	s_delay_alu instid0(VALU_DEP_4) | instskip(NEXT) | instid1(VALU_DEP_4)
	v_dot4_i32_iu8 v1, v2, v171, v1 neg_lo:[1,1,0]
	v_dot4_i32_iu8 v133, v2, v125, v133 neg_lo:[1,1,0]
	s_delay_alu instid0(VALU_DEP_4) | instskip(NEXT) | instid1(VALU_DEP_4)
	v_dot4_i32_iu8 v134, v2, v173, v137 neg_lo:[1,1,0]
	v_dot4_i32_iu8 v0, v2, v175, v0 neg_lo:[1,1,0]
	ds_load_b128 v[137:140], v119 offset:3088
	v_dot4_i32_iu8 v1, v135, v172, v1 neg_lo:[1,1,0]
	v_dot4_i32_iu8 v2, v135, v126, v133 neg_lo:[1,1,0]
	v_dot4_i32_iu8 v133, v135, v174, v134 neg_lo:[1,1,0]
	v_dot4_i32_iu8 v0, v135, v176, v0 neg_lo:[1,1,0]
	s_delay_alu instid0(VALU_DEP_4) | instskip(NEXT) | instid1(VALU_DEP_4)
	v_dot4_i32_iu8 v134, v3, v177, v1 neg_lo:[1,1,0]
	v_dot4_i32_iu8 v135, v3, v179, v2 neg_lo:[1,1,0]
	s_delay_alu instid0(VALU_DEP_4) | instskip(NEXT) | instid1(VALU_DEP_4)
	v_dot4_i32_iu8 v133, v3, v181, v133 neg_lo:[1,1,0]
	v_dot4_i32_iu8 v189, v3, v183, v0 neg_lo:[1,1,0]
	ds_load_b128 v[0:3], v119 offset:3072
	v_dot4_i32_iu8 v133, v136, v182, v133 neg_lo:[1,1,0]
	;; [unrolled: 42-line block ×5, first 2 shown]
	s_waitcnt lgkmcnt(0)
	v_dot4_i32_iu8 v153, v0, v7, 0 neg_lo:[1,1,0]
	v_dot4_i32_iu8 v154, v0, v159, 0 neg_lo:[1,1,0]
	;; [unrolled: 1-line block ×4, first 2 shown]
	s_delay_alu instid0(VALU_DEP_4) | instskip(NEXT) | instid1(VALU_DEP_4)
	v_dot4_i32_iu8 v153, v149, v8, v153 neg_lo:[1,1,0]
	v_dot4_i32_iu8 v154, v149, v160, v154 neg_lo:[1,1,0]
	s_delay_alu instid0(VALU_DEP_4) | instskip(NEXT) | instid1(VALU_DEP_4)
	v_dot4_i32_iu8 v155, v149, v162, v155 neg_lo:[1,1,0]
	v_dot4_i32_iu8 v0, v149, v164, v0 neg_lo:[1,1,0]
	;; [unrolled: 3-line block ×8, first 2 shown]
	ds_load_b128 v[153:156], v119 offset:7184
	v_dot4_i32_iu8 v1, v151, v172, v1 neg_lo:[1,1,0]
	v_dot4_i32_iu8 v2, v151, v126, v149 neg_lo:[1,1,0]
	;; [unrolled: 1-line block ×4, first 2 shown]
	s_delay_alu instid0(VALU_DEP_4) | instskip(NEXT) | instid1(VALU_DEP_4)
	v_dot4_i32_iu8 v150, v3, v177, v1 neg_lo:[1,1,0]
	v_dot4_i32_iu8 v151, v3, v179, v2 neg_lo:[1,1,0]
	s_delay_alu instid0(VALU_DEP_4) | instskip(NEXT) | instid1(VALU_DEP_4)
	v_dot4_i32_iu8 v149, v3, v181, v149 neg_lo:[1,1,0]
	v_dot4_i32_iu8 v193, v3, v183, v0 neg_lo:[1,1,0]
	ds_load_b128 v[0:3], v119 offset:7168
	v_add_nc_u32_e32 v119, 32, v119
	v_dot4_i32_iu8 v149, v152, v182, v149 neg_lo:[1,1,0]
	s_waitcnt lgkmcnt(0)
	v_dot4_i32_iu8 v7, v0, v7, 0 neg_lo:[1,1,0]
	s_delay_alu instid0(VALU_DEP_1) | instskip(SKIP_3) | instid1(VALU_DEP_4)
	v_dot4_i32_iu8 v7, v153, v8, v7 neg_lo:[1,1,0]
	v_dot4_i32_iu8 v8, v0, v159, 0 neg_lo:[1,1,0]
	;; [unrolled: 1-line block ×5, first 2 shown]
	s_delay_alu instid0(VALU_DEP_4) | instskip(NEXT) | instid1(VALU_DEP_4)
	v_dot4_i32_iu8 v8, v153, v160, v8 neg_lo:[1,1,0]
	v_dot4_i32_iu8 v159, v153, v162, v159 neg_lo:[1,1,0]
	s_delay_alu instid0(VALU_DEP_4) | instskip(NEXT) | instid1(VALU_DEP_4)
	v_dot4_i32_iu8 v0, v153, v164, v0 neg_lo:[1,1,0]
	v_dot4_i32_iu8 v7, v154, v158, v7 neg_lo:[1,1,0]
	;; [unrolled: 3-line block ×7, first 2 shown]
	s_delay_alu instid0(VALU_DEP_4)
	v_dot4_i32_iu8 v0, v2, v175, v0 neg_lo:[1,1,0]
	v_dot4_i32_iu8 v125, v182, v128, v186 neg_lo:[1,1,0]
	;; [unrolled: 1-line block ×7, first 2 shown]
	s_delay_alu instid0(VALU_DEP_4) | instskip(NEXT) | instid1(VALU_DEP_4)
	v_dot4_i32_iu8 v2, v3, v179, v7 neg_lo:[1,1,0]
	v_dot4_i32_iu8 v7, v3, v181, v8 neg_lo:[1,1,0]
	s_delay_alu instid0(VALU_DEP_4)
	v_dot4_i32_iu8 v0, v3, v183, v0 neg_lo:[1,1,0]
	v_dot4_i32_iu8 v3, v178, v128, v185 neg_lo:[1,1,0]
	;; [unrolled: 1-line block ×25, first 2 shown]
	ds_load_b32 v153, v121
	ds_load_b32 v154, v122
	;; [unrolled: 1-line block ×4, first 2 shown]
	ds_load_2addr_b32 v[0:1], v118 offset1:32
	v_cvt_f32_i32_e32 v143, v143
	v_cvt_f32_i32_e32 v3, v3
	;; [unrolled: 1-line block ×10, first 2 shown]
	v_add_nc_u32_e32 v124, 4, v124
	v_add_nc_u32_e32 v123, 4, v123
	;; [unrolled: 1-line block ×4, first 2 shown]
	s_waitcnt lgkmcnt(0)
	v_pk_mul_f16 v157, v0, v153
	v_pk_mul_f16 v158, v0, v154
	v_pk_mul_f16 v159, v0, v155
	v_pk_mul_f16 v160, v0, v156
	v_pk_mul_f16 v161, v153, v1
	v_pk_mul_f16 v162, v154, v1
	v_pk_mul_f16 v163, v155, v1
	v_pk_mul_f16 v164, v156, v1
	ds_load_2addr_b32 v[0:1], v118 offset0:64 offset1:96
	v_fma_mix_f32 v3, v157, v3, v157 op_sel:[0,0,1] op_sel_hi:[1,0,1]
	v_fma_mix_f32 v127, v161, v127, v161 op_sel:[0,0,1] op_sel_hi:[1,0,1]
	s_delay_alu instid0(VALU_DEP_2)
	v_add_f32_e32 v36, v36, v3
	v_cvt_f32_i32_e32 v3, v8
	v_cvt_f32_i32_e32 v8, v125
	;; [unrolled: 1-line block ×3, first 2 shown]
	v_add_f32_e32 v40, v40, v127
	v_cvt_f32_i32_e32 v126, v128
	v_cvt_f32_i32_e32 v127, v129
	;; [unrolled: 1-line block ×9, first 2 shown]
	s_waitcnt lgkmcnt(0)
	v_pk_mul_f16 v165, v153, v0
	v_pk_mul_f16 v166, v154, v0
	;; [unrolled: 1-line block ×8, first 2 shown]
	ds_load_2addr_b32 v[0:1], v118 offset0:128 offset1:160
	v_fma_mix_f32 v131, v165, v131, v165 op_sel:[0,0,1] op_sel_hi:[1,0,1]
	v_fma_mix_f32 v135, v169, v135, v169 op_sel:[0,0,1] op_sel_hi:[1,0,1]
	v_cvt_f32_i32_e32 v141, v148
	v_cvt_f32_i32_e32 v142, v149
	v_fma_mix_f32 v3, v158, v3, v158 op_sel:[0,0,1] op_sel_hi:[1,0,1]
	v_add_f32_e32 v35, v35, v131
	v_cvt_f32_i32_e32 v131, v134
	v_add_f32_e32 v31, v31, v135
	v_cvt_f32_i32_e32 v134, v138
	v_cvt_f32_i32_e32 v135, v140
	;; [unrolled: 1-line block ×4, first 2 shown]
	v_fma_mix_f32 v8, v159, v8, v159 op_sel:[0,0,1] op_sel_hi:[1,0,1]
	v_fma_mix_f32 v125, v160, v125, v160 op_sel:[0,0,1] op_sel_hi:[1,0,1]
	v_fma_mix_f32 v126, v162, v126, v162 op_sel:[0,0,1] op_sel_hi:[1,0,1]
	v_fma_mix_f32 v127, v163, v127, v163 op_sel:[0,0,1] op_sel_hi:[1,0,1]
	v_fma_mix_f32 v128, v164, v128, v164 op_sel:[0,0,1] op_sel_hi:[1,0,1]
	v_fma_mix_f32 v129, v166, v129, v166 op_sel:[0,0,1] op_sel_hi:[1,0,1]
	v_fma_mix_f32 v130, v167, v130, v167 op_sel:[0,0,1] op_sel_hi:[1,0,1]
	s_waitcnt lgkmcnt(0)
	v_pk_mul_f16 v173, v153, v0
	v_pk_mul_f16 v174, v154, v0
	;; [unrolled: 1-line block ×8, first 2 shown]
	ds_load_2addr_b32 v[0:1], v118 offset0:192 offset1:224
	v_fma_mix_f32 v143, v177, v143, v177 op_sel:[0,0,1] op_sel_hi:[1,0,1]
	v_fma_mix_f32 v139, v173, v139, v173 op_sel:[0,0,1] op_sel_hi:[1,0,1]
	;; [unrolled: 1-line block ×5, first 2 shown]
	v_add_f32_e32 v20, v20, v143
	v_cvt_f32_i32_e32 v143, v150
	v_add_f32_e32 v26, v26, v139
	v_cvt_f32_i32_e32 v139, v145
	v_fma_mix_f32 v134, v172, v134, v172 op_sel:[0,0,1] op_sel_hi:[1,0,1]
	v_fma_mix_f32 v135, v174, v135, v174 op_sel:[0,0,1] op_sel_hi:[1,0,1]
	;; [unrolled: 1-line block ×7, first 2 shown]
	v_add_f32_e32 v53, v53, v3
	v_dual_add_f32 v43, v43, v8 :: v_dual_add_f32 v28, v28, v133
	s_waitcnt lgkmcnt(0)
	v_pk_mul_f16 v181, v153, v0
	v_pk_mul_f16 v182, v154, v0
	;; [unrolled: 1-line block ×8, first 2 shown]
	v_fma_mix_f32 v0, v0, v143, v0 op_sel:[0,0,1] op_sel_hi:[1,0,1]
	v_cvt_f32_i32_e32 v143, v152
	v_fma_mix_f32 v147, v181, v147, v181 op_sel:[0,0,1] op_sel_hi:[1,0,1]
	v_fma_mix_f32 v151, v153, v151, v153 op_sel:[0,0,1] op_sel_hi:[1,0,1]
	;; [unrolled: 1-line block ×7, first 2 shown]
	v_add_f32_e32 v16, v16, v147
	v_dual_add_f32 v12, v12, v151 :: v_dual_add_f32 v41, v41, v125
	v_dual_add_f32 v22, v22, v136 :: v_dual_add_f32 v39, v39, v126
	v_add_f32_e32 v18, v18, v139
	v_dual_add_f32 v38, v38, v127 :: v_dual_add_f32 v37, v37, v128
	v_add_f32_e32 v14, v14, v142
	;; [unrolled: 2-line block ×4, first 2 shown]
	v_add_f32_e32 v23, v23, v135
	v_dual_add_f32 v21, v21, v137 :: v_dual_add_nc_u32 v118, 4, v118
	v_add_f32_e32 v19, v19, v138
	v_add_f32_e32 v17, v17, v140
	;; [unrolled: 1-line block ×6, first 2 shown]
	s_cbranch_scc1 .LBB123_10
; %bb.11:                               ;   in Loop: Header=BB123_6 Depth=1
	s_barrier
	buffer_gl0_inv
	s_branch .LBB123_5
.LBB123_12:
	v_dual_mov_b32 v1, v24 :: v_dual_mov_b32 v0, v25
.LBB123_13:
	s_mov_b32 s0, exec_lo
	v_cmpx_gt_u32_e64 s4, v30
	s_cbranch_execz .LBB123_64
; %bb.14:
	s_delay_alu instid0(VALU_DEP_2) | instskip(SKIP_1) | instid1(VALU_DEP_2)
	v_add_nc_u32_e32 v0, s10, v0
	v_mul_lo_u32 v5, v30, s6
	v_cmp_gt_u32_e32 vcc_lo, s6, v0
	s_and_saveexec_b32 s1, vcc_lo
	s_cbranch_execz .LBB123_16
; %bb.15:
	s_delay_alu instid0(VALU_DEP_2) | instskip(NEXT) | instid1(VALU_DEP_1)
	v_dual_mov_b32 v3, 0 :: v_dual_add_nc_u32 v2, v0, v5
	v_lshlrev_b64 v[2:3], 2, v[2:3]
	s_waitcnt lgkmcnt(0)
	s_delay_alu instid0(VALU_DEP_1) | instskip(NEXT) | instid1(VALU_DEP_1)
	v_add_co_u32 v2, s0, s8, v2
	v_add_co_ci_u32_e64 v3, s0, s9, v3, s0
	global_store_b32 v[2:3], v36, off
.LBB123_16:
	s_or_b32 exec_lo, exec_lo, s1
	v_add_nc_u32_e32 v2, 32, v0
	s_delay_alu instid0(VALU_DEP_1) | instskip(NEXT) | instid1(VALU_DEP_1)
	v_cmp_gt_u32_e64 s0, s6, v2
	s_and_saveexec_b32 s2, s0
	s_cbranch_execz .LBB123_18
; %bb.17:
	v_dual_mov_b32 v4, 0 :: v_dual_add_nc_u32 v3, v2, v5
	s_delay_alu instid0(VALU_DEP_1) | instskip(SKIP_1) | instid1(VALU_DEP_1)
	v_lshlrev_b64 v[3:4], 2, v[3:4]
	s_waitcnt lgkmcnt(0)
	v_add_co_u32 v3, s1, s8, v3
	s_delay_alu instid0(VALU_DEP_1)
	v_add_co_ci_u32_e64 v4, s1, s9, v4, s1
	global_store_b32 v[3:4], v53, off
.LBB123_18:
	s_or_b32 exec_lo, exec_lo, s2
	v_add_nc_u32_e32 v3, 64, v0
	s_delay_alu instid0(VALU_DEP_1) | instskip(NEXT) | instid1(VALU_DEP_1)
	v_cmp_gt_u32_e64 s1, s6, v3
	s_and_saveexec_b32 s3, s1
	s_cbranch_execz .LBB123_20
; %bb.19:
	v_dual_mov_b32 v7, 0 :: v_dual_add_nc_u32 v6, v3, v5
	s_delay_alu instid0(VALU_DEP_1) | instskip(SKIP_1) | instid1(VALU_DEP_1)
	v_lshlrev_b64 v[6:7], 2, v[6:7]
	s_waitcnt lgkmcnt(0)
	v_add_co_u32 v6, s2, s8, v6
	s_delay_alu instid0(VALU_DEP_1)
	v_add_co_ci_u32_e64 v7, s2, s9, v7, s2
	global_store_b32 v[6:7], v43, off
.LBB123_20:
	;; [unrolled: 16-line block ×3, first 2 shown]
	s_or_b32 exec_lo, exec_lo, s5
	v_add3_u32 v5, v1, s7, 8
	s_delay_alu instid0(VALU_DEP_1) | instskip(NEXT) | instid1(VALU_DEP_1)
	v_cmp_gt_u32_e64 s3, s4, v5
	s_and_b32 exec_lo, exec_lo, s3
	s_cbranch_execz .LBB123_64
; %bb.23:
	v_mul_lo_u32 v5, v5, s6
	s_and_saveexec_b32 s5, vcc_lo
	s_cbranch_execnz .LBB123_65
; %bb.24:
	s_or_b32 exec_lo, exec_lo, s5
	s_and_saveexec_b32 s5, s0
	s_cbranch_execnz .LBB123_66
.LBB123_25:
	s_or_b32 exec_lo, exec_lo, s5
	s_and_saveexec_b32 s5, s1
	s_cbranch_execnz .LBB123_67
.LBB123_26:
	s_or_b32 exec_lo, exec_lo, s5
	s_and_saveexec_b32 s5, s2
	s_cbranch_execz .LBB123_28
.LBB123_27:
	v_dual_mov_b32 v6, 0 :: v_dual_add_nc_u32 v5, v5, v4
	s_delay_alu instid0(VALU_DEP_1) | instskip(SKIP_1) | instid1(VALU_DEP_1)
	v_lshlrev_b64 v[5:6], 2, v[5:6]
	s_waitcnt lgkmcnt(0)
	v_add_co_u32 v5, s3, s8, v5
	s_delay_alu instid0(VALU_DEP_1)
	v_add_co_ci_u32_e64 v6, s3, s9, v6, s3
	global_store_b32 v[5:6], v37, off
.LBB123_28:
	s_or_b32 exec_lo, exec_lo, s5
	v_add3_u32 v5, v1, s7, 16
	s_delay_alu instid0(VALU_DEP_1) | instskip(NEXT) | instid1(VALU_DEP_1)
	v_cmp_gt_u32_e64 s3, s4, v5
	s_and_b32 exec_lo, exec_lo, s3
	s_cbranch_execz .LBB123_64
; %bb.29:
	v_mul_lo_u32 v5, v5, s6
	s_and_saveexec_b32 s5, vcc_lo
	s_cbranch_execnz .LBB123_68
; %bb.30:
	s_or_b32 exec_lo, exec_lo, s5
	s_and_saveexec_b32 s5, s0
	s_cbranch_execnz .LBB123_69
.LBB123_31:
	s_or_b32 exec_lo, exec_lo, s5
	s_and_saveexec_b32 s5, s1
	s_cbranch_execnz .LBB123_70
.LBB123_32:
	s_or_b32 exec_lo, exec_lo, s5
	s_and_saveexec_b32 s5, s2
	s_cbranch_execz .LBB123_34
.LBB123_33:
	v_dual_mov_b32 v6, 0 :: v_dual_add_nc_u32 v5, v5, v4
	s_delay_alu instid0(VALU_DEP_1) | instskip(SKIP_1) | instid1(VALU_DEP_1)
	v_lshlrev_b64 v[5:6], 2, v[5:6]
	s_waitcnt lgkmcnt(0)
	v_add_co_u32 v5, s3, s8, v5
	s_delay_alu instid0(VALU_DEP_1)
	v_add_co_ci_u32_e64 v6, s3, s9, v6, s3
	global_store_b32 v[5:6], v32, off
.LBB123_34:
	s_or_b32 exec_lo, exec_lo, s5
	v_add3_u32 v5, v1, s7, 24
	s_delay_alu instid0(VALU_DEP_1) | instskip(NEXT) | instid1(VALU_DEP_1)
	v_cmp_gt_u32_e64 s3, s4, v5
	s_and_b32 exec_lo, exec_lo, s3
	s_cbranch_execz .LBB123_64
; %bb.35:
	v_mul_lo_u32 v5, v5, s6
	s_and_saveexec_b32 s5, vcc_lo
	s_cbranch_execnz .LBB123_71
; %bb.36:
	s_or_b32 exec_lo, exec_lo, s5
	s_and_saveexec_b32 s5, s0
	s_cbranch_execnz .LBB123_72
.LBB123_37:
	s_or_b32 exec_lo, exec_lo, s5
	s_and_saveexec_b32 s5, s1
	s_cbranch_execnz .LBB123_73
.LBB123_38:
	s_or_b32 exec_lo, exec_lo, s5
	s_and_saveexec_b32 s5, s2
	s_cbranch_execz .LBB123_40
.LBB123_39:
	v_dual_mov_b32 v6, 0 :: v_dual_add_nc_u32 v5, v5, v4
	s_delay_alu instid0(VALU_DEP_1) | instskip(SKIP_1) | instid1(VALU_DEP_1)
	v_lshlrev_b64 v[5:6], 2, v[5:6]
	s_waitcnt lgkmcnt(0)
	v_add_co_u32 v5, s3, s8, v5
	s_delay_alu instid0(VALU_DEP_1)
	v_add_co_ci_u32_e64 v6, s3, s9, v6, s3
	global_store_b32 v[5:6], v27, off
.LBB123_40:
	s_or_b32 exec_lo, exec_lo, s5
	v_add3_u32 v5, v1, s7, 32
	s_delay_alu instid0(VALU_DEP_1) | instskip(NEXT) | instid1(VALU_DEP_1)
	v_cmp_gt_u32_e64 s3, s4, v5
	s_and_b32 exec_lo, exec_lo, s3
	s_cbranch_execz .LBB123_64
; %bb.41:
	v_mul_lo_u32 v5, v5, s6
	s_and_saveexec_b32 s5, vcc_lo
	s_cbranch_execnz .LBB123_74
; %bb.42:
	s_or_b32 exec_lo, exec_lo, s5
	s_and_saveexec_b32 s5, s0
	s_cbranch_execnz .LBB123_75
.LBB123_43:
	s_or_b32 exec_lo, exec_lo, s5
	s_and_saveexec_b32 s5, s1
	s_cbranch_execnz .LBB123_76
.LBB123_44:
	s_or_b32 exec_lo, exec_lo, s5
	s_and_saveexec_b32 s5, s2
	s_cbranch_execz .LBB123_46
.LBB123_45:
	v_dual_mov_b32 v6, 0 :: v_dual_add_nc_u32 v5, v5, v4
	s_delay_alu instid0(VALU_DEP_1) | instskip(SKIP_1) | instid1(VALU_DEP_1)
	v_lshlrev_b64 v[5:6], 2, v[5:6]
	s_waitcnt lgkmcnt(0)
	v_add_co_u32 v5, s3, s8, v5
	s_delay_alu instid0(VALU_DEP_1)
	v_add_co_ci_u32_e64 v6, s3, s9, v6, s3
	global_store_b32 v[5:6], v21, off
.LBB123_46:
	s_or_b32 exec_lo, exec_lo, s5
	v_add3_u32 v5, v1, s7, 40
	s_delay_alu instid0(VALU_DEP_1) | instskip(NEXT) | instid1(VALU_DEP_1)
	v_cmp_gt_u32_e64 s3, s4, v5
	s_and_b32 exec_lo, exec_lo, s3
	s_cbranch_execz .LBB123_64
; %bb.47:
	v_mul_lo_u32 v5, v5, s6
	s_and_saveexec_b32 s5, vcc_lo
	s_cbranch_execnz .LBB123_77
; %bb.48:
	s_or_b32 exec_lo, exec_lo, s5
	s_and_saveexec_b32 s5, s0
	s_cbranch_execnz .LBB123_78
.LBB123_49:
	s_or_b32 exec_lo, exec_lo, s5
	s_and_saveexec_b32 s5, s1
	s_cbranch_execnz .LBB123_79
.LBB123_50:
	s_or_b32 exec_lo, exec_lo, s5
	s_and_saveexec_b32 s5, s2
	s_cbranch_execz .LBB123_52
.LBB123_51:
	v_dual_mov_b32 v6, 0 :: v_dual_add_nc_u32 v5, v5, v4
	s_delay_alu instid0(VALU_DEP_1) | instskip(SKIP_1) | instid1(VALU_DEP_1)
	v_lshlrev_b64 v[5:6], 2, v[5:6]
	s_waitcnt lgkmcnt(0)
	v_add_co_u32 v5, s3, s8, v5
	s_delay_alu instid0(VALU_DEP_1)
	v_add_co_ci_u32_e64 v6, s3, s9, v6, s3
	global_store_b32 v[5:6], v17, off
.LBB123_52:
	s_or_b32 exec_lo, exec_lo, s5
	v_add3_u32 v5, v1, s7, 48
	s_delay_alu instid0(VALU_DEP_1) | instskip(NEXT) | instid1(VALU_DEP_1)
	v_cmp_gt_u32_e64 s3, s4, v5
	s_and_b32 exec_lo, exec_lo, s3
	s_cbranch_execz .LBB123_64
; %bb.53:
	v_mul_lo_u32 v5, v5, s6
	s_and_saveexec_b32 s5, vcc_lo
	s_cbranch_execnz .LBB123_80
; %bb.54:
	s_or_b32 exec_lo, exec_lo, s5
	s_and_saveexec_b32 s5, s0
	s_cbranch_execnz .LBB123_81
.LBB123_55:
	s_or_b32 exec_lo, exec_lo, s5
	s_and_saveexec_b32 s5, s1
	s_cbranch_execnz .LBB123_82
.LBB123_56:
	s_or_b32 exec_lo, exec_lo, s5
	s_and_saveexec_b32 s5, s2
	s_cbranch_execz .LBB123_58
.LBB123_57:
	v_dual_mov_b32 v6, 0 :: v_dual_add_nc_u32 v5, v5, v4
	s_delay_alu instid0(VALU_DEP_1) | instskip(SKIP_1) | instid1(VALU_DEP_1)
	v_lshlrev_b64 v[5:6], 2, v[5:6]
	s_waitcnt lgkmcnt(0)
	v_add_co_u32 v5, s3, s8, v5
	s_delay_alu instid0(VALU_DEP_1)
	v_add_co_ci_u32_e64 v6, s3, s9, v6, s3
	global_store_b32 v[5:6], v13, off
.LBB123_58:
	s_or_b32 exec_lo, exec_lo, s5
	v_add3_u32 v1, v1, s7, 56
	s_delay_alu instid0(VALU_DEP_1) | instskip(NEXT) | instid1(VALU_DEP_1)
	v_cmp_gt_u32_e64 s3, s4, v1
	s_and_b32 exec_lo, exec_lo, s3
	s_cbranch_execz .LBB123_64
; %bb.59:
	v_mul_lo_u32 v1, v1, s6
	s_and_saveexec_b32 s3, vcc_lo
	s_cbranch_execnz .LBB123_83
; %bb.60:
	s_or_b32 exec_lo, exec_lo, s3
	s_and_saveexec_b32 s3, s0
	s_cbranch_execnz .LBB123_84
.LBB123_61:
	s_or_b32 exec_lo, exec_lo, s3
	s_and_saveexec_b32 s0, s1
	s_cbranch_execnz .LBB123_85
.LBB123_62:
	s_or_b32 exec_lo, exec_lo, s0
	s_delay_alu instid0(SALU_CYCLE_1)
	s_and_b32 exec_lo, exec_lo, s2
	s_cbranch_execz .LBB123_64
.LBB123_63:
	v_dual_mov_b32 v1, 0 :: v_dual_add_nc_u32 v0, v1, v4
	s_delay_alu instid0(VALU_DEP_1) | instskip(SKIP_1) | instid1(VALU_DEP_1)
	v_lshlrev_b64 v[0:1], 2, v[0:1]
	s_waitcnt lgkmcnt(0)
	v_add_co_u32 v0, vcc_lo, s8, v0
	s_delay_alu instid0(VALU_DEP_2)
	v_add_co_ci_u32_e32 v1, vcc_lo, s9, v1, vcc_lo
	global_store_b32 v[0:1], v9, off
.LBB123_64:
	s_nop 0
	s_sendmsg sendmsg(MSG_DEALLOC_VGPRS)
	s_endpgm
.LBB123_65:
	s_delay_alu instid0(VALU_DEP_1) | instskip(NEXT) | instid1(VALU_DEP_1)
	v_dual_mov_b32 v7, 0 :: v_dual_add_nc_u32 v6, v5, v0
	v_lshlrev_b64 v[6:7], 2, v[6:7]
	s_waitcnt lgkmcnt(0)
	s_delay_alu instid0(VALU_DEP_1) | instskip(NEXT) | instid1(VALU_DEP_1)
	v_add_co_u32 v6, s3, s8, v6
	v_add_co_ci_u32_e64 v7, s3, s9, v7, s3
	global_store_b32 v[6:7], v40, off
	s_or_b32 exec_lo, exec_lo, s5
	s_and_saveexec_b32 s5, s0
	s_cbranch_execz .LBB123_25
.LBB123_66:
	s_delay_alu instid0(VALU_DEP_1) | instskip(NEXT) | instid1(VALU_DEP_1)
	v_dual_mov_b32 v7, 0 :: v_dual_add_nc_u32 v6, v5, v2
	v_lshlrev_b64 v[6:7], 2, v[6:7]
	s_waitcnt lgkmcnt(0)
	s_delay_alu instid0(VALU_DEP_1) | instskip(NEXT) | instid1(VALU_DEP_1)
	v_add_co_u32 v6, s3, s8, v6
	v_add_co_ci_u32_e64 v7, s3, s9, v7, s3
	global_store_b32 v[6:7], v39, off
	s_or_b32 exec_lo, exec_lo, s5
	s_and_saveexec_b32 s5, s1
	s_cbranch_execz .LBB123_26
.LBB123_67:
	v_dual_mov_b32 v7, 0 :: v_dual_add_nc_u32 v6, v5, v3
	s_delay_alu instid0(VALU_DEP_1) | instskip(SKIP_1) | instid1(VALU_DEP_1)
	v_lshlrev_b64 v[6:7], 2, v[6:7]
	s_waitcnt lgkmcnt(0)
	v_add_co_u32 v6, s3, s8, v6
	s_delay_alu instid0(VALU_DEP_1)
	v_add_co_ci_u32_e64 v7, s3, s9, v7, s3
	global_store_b32 v[6:7], v38, off
	s_or_b32 exec_lo, exec_lo, s5
	s_and_saveexec_b32 s5, s2
	s_cbranch_execnz .LBB123_27
	s_branch .LBB123_28
.LBB123_68:
	s_delay_alu instid0(VALU_DEP_1) | instskip(NEXT) | instid1(VALU_DEP_1)
	v_dual_mov_b32 v7, 0 :: v_dual_add_nc_u32 v6, v5, v0
	v_lshlrev_b64 v[6:7], 2, v[6:7]
	s_waitcnt lgkmcnt(0)
	s_delay_alu instid0(VALU_DEP_1) | instskip(NEXT) | instid1(VALU_DEP_1)
	v_add_co_u32 v6, s3, s8, v6
	v_add_co_ci_u32_e64 v7, s3, s9, v7, s3
	global_store_b32 v[6:7], v35, off
	s_or_b32 exec_lo, exec_lo, s5
	s_and_saveexec_b32 s5, s0
	s_cbranch_execz .LBB123_31
.LBB123_69:
	s_delay_alu instid0(VALU_DEP_1) | instskip(NEXT) | instid1(VALU_DEP_1)
	v_dual_mov_b32 v7, 0 :: v_dual_add_nc_u32 v6, v5, v2
	v_lshlrev_b64 v[6:7], 2, v[6:7]
	s_waitcnt lgkmcnt(0)
	s_delay_alu instid0(VALU_DEP_1) | instskip(NEXT) | instid1(VALU_DEP_1)
	v_add_co_u32 v6, s3, s8, v6
	v_add_co_ci_u32_e64 v7, s3, s9, v7, s3
	global_store_b32 v[6:7], v34, off
	s_or_b32 exec_lo, exec_lo, s5
	s_and_saveexec_b32 s5, s1
	s_cbranch_execz .LBB123_32
.LBB123_70:
	v_dual_mov_b32 v7, 0 :: v_dual_add_nc_u32 v6, v5, v3
	s_delay_alu instid0(VALU_DEP_1) | instskip(SKIP_1) | instid1(VALU_DEP_1)
	v_lshlrev_b64 v[6:7], 2, v[6:7]
	s_waitcnt lgkmcnt(0)
	v_add_co_u32 v6, s3, s8, v6
	s_delay_alu instid0(VALU_DEP_1)
	v_add_co_ci_u32_e64 v7, s3, s9, v7, s3
	global_store_b32 v[6:7], v33, off
	s_or_b32 exec_lo, exec_lo, s5
	s_and_saveexec_b32 s5, s2
	s_cbranch_execnz .LBB123_33
	s_branch .LBB123_34
.LBB123_71:
	s_delay_alu instid0(VALU_DEP_1) | instskip(NEXT) | instid1(VALU_DEP_1)
	v_dual_mov_b32 v7, 0 :: v_dual_add_nc_u32 v6, v5, v0
	v_lshlrev_b64 v[6:7], 2, v[6:7]
	s_waitcnt lgkmcnt(0)
	s_delay_alu instid0(VALU_DEP_1) | instskip(NEXT) | instid1(VALU_DEP_1)
	v_add_co_u32 v6, s3, s8, v6
	v_add_co_ci_u32_e64 v7, s3, s9, v7, s3
	global_store_b32 v[6:7], v31, off
	s_or_b32 exec_lo, exec_lo, s5
	s_and_saveexec_b32 s5, s0
	s_cbranch_execz .LBB123_37
.LBB123_72:
	s_delay_alu instid0(VALU_DEP_1) | instskip(NEXT) | instid1(VALU_DEP_1)
	v_dual_mov_b32 v7, 0 :: v_dual_add_nc_u32 v6, v5, v2
	v_lshlrev_b64 v[6:7], 2, v[6:7]
	s_waitcnt lgkmcnt(0)
	s_delay_alu instid0(VALU_DEP_1) | instskip(NEXT) | instid1(VALU_DEP_1)
	v_add_co_u32 v6, s3, s8, v6
	v_add_co_ci_u32_e64 v7, s3, s9, v7, s3
	global_store_b32 v[6:7], v29, off
	s_or_b32 exec_lo, exec_lo, s5
	s_and_saveexec_b32 s5, s1
	s_cbranch_execz .LBB123_38
.LBB123_73:
	v_dual_mov_b32 v7, 0 :: v_dual_add_nc_u32 v6, v5, v3
	s_delay_alu instid0(VALU_DEP_1) | instskip(SKIP_1) | instid1(VALU_DEP_1)
	v_lshlrev_b64 v[6:7], 2, v[6:7]
	s_waitcnt lgkmcnt(0)
	v_add_co_u32 v6, s3, s8, v6
	s_delay_alu instid0(VALU_DEP_1)
	v_add_co_ci_u32_e64 v7, s3, s9, v7, s3
	global_store_b32 v[6:7], v28, off
	s_or_b32 exec_lo, exec_lo, s5
	s_and_saveexec_b32 s5, s2
	s_cbranch_execnz .LBB123_39
	s_branch .LBB123_40
.LBB123_74:
	s_delay_alu instid0(VALU_DEP_1) | instskip(NEXT) | instid1(VALU_DEP_1)
	v_dual_mov_b32 v7, 0 :: v_dual_add_nc_u32 v6, v5, v0
	v_lshlrev_b64 v[6:7], 2, v[6:7]
	s_waitcnt lgkmcnt(0)
	s_delay_alu instid0(VALU_DEP_1) | instskip(NEXT) | instid1(VALU_DEP_1)
	v_add_co_u32 v6, s3, s8, v6
	v_add_co_ci_u32_e64 v7, s3, s9, v7, s3
	global_store_b32 v[6:7], v26, off
	s_or_b32 exec_lo, exec_lo, s5
	s_and_saveexec_b32 s5, s0
	s_cbranch_execz .LBB123_43
.LBB123_75:
	s_delay_alu instid0(VALU_DEP_1) | instskip(NEXT) | instid1(VALU_DEP_1)
	v_dual_mov_b32 v7, 0 :: v_dual_add_nc_u32 v6, v5, v2
	v_lshlrev_b64 v[6:7], 2, v[6:7]
	s_waitcnt lgkmcnt(0)
	s_delay_alu instid0(VALU_DEP_1) | instskip(NEXT) | instid1(VALU_DEP_1)
	v_add_co_u32 v6, s3, s8, v6
	v_add_co_ci_u32_e64 v7, s3, s9, v7, s3
	global_store_b32 v[6:7], v23, off
	s_or_b32 exec_lo, exec_lo, s5
	s_and_saveexec_b32 s5, s1
	s_cbranch_execz .LBB123_44
.LBB123_76:
	v_dual_mov_b32 v7, 0 :: v_dual_add_nc_u32 v6, v5, v3
	s_delay_alu instid0(VALU_DEP_1) | instskip(SKIP_1) | instid1(VALU_DEP_1)
	v_lshlrev_b64 v[6:7], 2, v[6:7]
	s_waitcnt lgkmcnt(0)
	v_add_co_u32 v6, s3, s8, v6
	s_delay_alu instid0(VALU_DEP_1)
	v_add_co_ci_u32_e64 v7, s3, s9, v7, s3
	global_store_b32 v[6:7], v22, off
	s_or_b32 exec_lo, exec_lo, s5
	s_and_saveexec_b32 s5, s2
	s_cbranch_execnz .LBB123_45
	s_branch .LBB123_46
.LBB123_77:
	s_delay_alu instid0(VALU_DEP_1) | instskip(NEXT) | instid1(VALU_DEP_1)
	v_dual_mov_b32 v7, 0 :: v_dual_add_nc_u32 v6, v5, v0
	v_lshlrev_b64 v[6:7], 2, v[6:7]
	s_waitcnt lgkmcnt(0)
	s_delay_alu instid0(VALU_DEP_1) | instskip(NEXT) | instid1(VALU_DEP_1)
	v_add_co_u32 v6, s3, s8, v6
	v_add_co_ci_u32_e64 v7, s3, s9, v7, s3
	global_store_b32 v[6:7], v20, off
	s_or_b32 exec_lo, exec_lo, s5
	s_and_saveexec_b32 s5, s0
	s_cbranch_execz .LBB123_49
.LBB123_78:
	s_delay_alu instid0(VALU_DEP_1) | instskip(NEXT) | instid1(VALU_DEP_1)
	v_dual_mov_b32 v7, 0 :: v_dual_add_nc_u32 v6, v5, v2
	v_lshlrev_b64 v[6:7], 2, v[6:7]
	s_waitcnt lgkmcnt(0)
	s_delay_alu instid0(VALU_DEP_1) | instskip(NEXT) | instid1(VALU_DEP_1)
	v_add_co_u32 v6, s3, s8, v6
	v_add_co_ci_u32_e64 v7, s3, s9, v7, s3
	global_store_b32 v[6:7], v19, off
	s_or_b32 exec_lo, exec_lo, s5
	s_and_saveexec_b32 s5, s1
	s_cbranch_execz .LBB123_50
.LBB123_79:
	v_dual_mov_b32 v7, 0 :: v_dual_add_nc_u32 v6, v5, v3
	s_delay_alu instid0(VALU_DEP_1) | instskip(SKIP_1) | instid1(VALU_DEP_1)
	v_lshlrev_b64 v[6:7], 2, v[6:7]
	s_waitcnt lgkmcnt(0)
	v_add_co_u32 v6, s3, s8, v6
	s_delay_alu instid0(VALU_DEP_1)
	v_add_co_ci_u32_e64 v7, s3, s9, v7, s3
	global_store_b32 v[6:7], v18, off
	s_or_b32 exec_lo, exec_lo, s5
	s_and_saveexec_b32 s5, s2
	s_cbranch_execnz .LBB123_51
	s_branch .LBB123_52
.LBB123_80:
	s_delay_alu instid0(VALU_DEP_1) | instskip(NEXT) | instid1(VALU_DEP_1)
	v_dual_mov_b32 v7, 0 :: v_dual_add_nc_u32 v6, v5, v0
	v_lshlrev_b64 v[6:7], 2, v[6:7]
	s_waitcnt lgkmcnt(0)
	s_delay_alu instid0(VALU_DEP_1) | instskip(NEXT) | instid1(VALU_DEP_1)
	v_add_co_u32 v6, s3, s8, v6
	v_add_co_ci_u32_e64 v7, s3, s9, v7, s3
	global_store_b32 v[6:7], v16, off
	s_or_b32 exec_lo, exec_lo, s5
	s_and_saveexec_b32 s5, s0
	s_cbranch_execz .LBB123_55
.LBB123_81:
	s_delay_alu instid0(VALU_DEP_1) | instskip(NEXT) | instid1(VALU_DEP_1)
	v_dual_mov_b32 v7, 0 :: v_dual_add_nc_u32 v6, v5, v2
	v_lshlrev_b64 v[6:7], 2, v[6:7]
	s_waitcnt lgkmcnt(0)
	s_delay_alu instid0(VALU_DEP_1) | instskip(NEXT) | instid1(VALU_DEP_1)
	v_add_co_u32 v6, s3, s8, v6
	v_add_co_ci_u32_e64 v7, s3, s9, v7, s3
	global_store_b32 v[6:7], v15, off
	s_or_b32 exec_lo, exec_lo, s5
	s_and_saveexec_b32 s5, s1
	s_cbranch_execz .LBB123_56
.LBB123_82:
	v_dual_mov_b32 v7, 0 :: v_dual_add_nc_u32 v6, v5, v3
	s_delay_alu instid0(VALU_DEP_1) | instskip(SKIP_1) | instid1(VALU_DEP_1)
	v_lshlrev_b64 v[6:7], 2, v[6:7]
	s_waitcnt lgkmcnt(0)
	v_add_co_u32 v6, s3, s8, v6
	s_delay_alu instid0(VALU_DEP_1)
	v_add_co_ci_u32_e64 v7, s3, s9, v7, s3
	global_store_b32 v[6:7], v14, off
	s_or_b32 exec_lo, exec_lo, s5
	s_and_saveexec_b32 s5, s2
	s_cbranch_execnz .LBB123_57
	s_branch .LBB123_58
.LBB123_83:
	s_delay_alu instid0(VALU_DEP_1) | instskip(NEXT) | instid1(VALU_DEP_1)
	v_dual_mov_b32 v6, 0 :: v_dual_add_nc_u32 v5, v1, v0
	v_lshlrev_b64 v[5:6], 2, v[5:6]
	s_waitcnt lgkmcnt(0)
	s_delay_alu instid0(VALU_DEP_1) | instskip(NEXT) | instid1(VALU_DEP_2)
	v_add_co_u32 v5, vcc_lo, s8, v5
	v_add_co_ci_u32_e32 v6, vcc_lo, s9, v6, vcc_lo
	global_store_b32 v[5:6], v12, off
	s_or_b32 exec_lo, exec_lo, s3
	s_and_saveexec_b32 s3, s0
	s_cbranch_execz .LBB123_61
.LBB123_84:
	s_delay_alu instid0(VALU_DEP_1) | instskip(NEXT) | instid1(VALU_DEP_1)
	v_dual_mov_b32 v6, 0 :: v_dual_add_nc_u32 v5, v1, v2
	v_lshlrev_b64 v[5:6], 2, v[5:6]
	s_waitcnt lgkmcnt(0)
	s_delay_alu instid0(VALU_DEP_1) | instskip(NEXT) | instid1(VALU_DEP_2)
	v_add_co_u32 v5, vcc_lo, s8, v5
	v_add_co_ci_u32_e32 v6, vcc_lo, s9, v6, vcc_lo
	global_store_b32 v[5:6], v11, off
	s_or_b32 exec_lo, exec_lo, s3
	s_and_saveexec_b32 s0, s1
	s_cbranch_execz .LBB123_62
.LBB123_85:
	v_dual_mov_b32 v3, 0 :: v_dual_add_nc_u32 v2, v1, v3
	s_delay_alu instid0(VALU_DEP_1) | instskip(SKIP_1) | instid1(VALU_DEP_1)
	v_lshlrev_b64 v[2:3], 2, v[2:3]
	s_waitcnt lgkmcnt(0)
	v_add_co_u32 v2, vcc_lo, s8, v2
	s_delay_alu instid0(VALU_DEP_2) | instskip(SKIP_2) | instid1(SALU_CYCLE_1)
	v_add_co_ci_u32_e32 v3, vcc_lo, s9, v3, vcc_lo
	global_store_b32 v[2:3], v10, off
	s_or_b32 exec_lo, exec_lo, s0
	s_and_b32 exec_lo, exec_lo, s2
	s_cbranch_execnz .LBB123_63
	s_branch .LBB123_64
	.section	.rodata,"a",@progbits
	.p2align	6, 0x0
	.amdhsa_kernel _ZL12mul_mat_q5_1IfLb0EEvPKvS1_PT_iiiii
		.amdhsa_group_segment_fixed_size 46720
		.amdhsa_private_segment_fixed_size 0
		.amdhsa_kernarg_size 44
		.amdhsa_user_sgpr_count 14
		.amdhsa_user_sgpr_dispatch_ptr 0
		.amdhsa_user_sgpr_queue_ptr 0
		.amdhsa_user_sgpr_kernarg_segment_ptr 1
		.amdhsa_user_sgpr_dispatch_id 0
		.amdhsa_user_sgpr_private_segment_size 0
		.amdhsa_wavefront_size32 1
		.amdhsa_uses_dynamic_stack 0
		.amdhsa_enable_private_segment 0
		.amdhsa_system_sgpr_workgroup_id_x 1
		.amdhsa_system_sgpr_workgroup_id_y 1
		.amdhsa_system_sgpr_workgroup_id_z 0
		.amdhsa_system_sgpr_workgroup_info 0
		.amdhsa_system_vgpr_workitem_id 1
		.amdhsa_next_free_vgpr 221
		.amdhsa_next_free_sgpr 16
		.amdhsa_reserve_vcc 1
		.amdhsa_float_round_mode_32 0
		.amdhsa_float_round_mode_16_64 0
		.amdhsa_float_denorm_mode_32 3
		.amdhsa_float_denorm_mode_16_64 3
		.amdhsa_dx10_clamp 1
		.amdhsa_ieee_mode 1
		.amdhsa_fp16_overflow 0
		.amdhsa_workgroup_processor_mode 1
		.amdhsa_memory_ordered 1
		.amdhsa_forward_progress 0
		.amdhsa_shared_vgpr_count 0
		.amdhsa_exception_fp_ieee_invalid_op 0
		.amdhsa_exception_fp_denorm_src 0
		.amdhsa_exception_fp_ieee_div_zero 0
		.amdhsa_exception_fp_ieee_overflow 0
		.amdhsa_exception_fp_ieee_underflow 0
		.amdhsa_exception_fp_ieee_inexact 0
		.amdhsa_exception_int_div_zero 0
	.end_amdhsa_kernel
	.section	.text._ZL12mul_mat_q5_1IfLb0EEvPKvS1_PT_iiiii,"axG",@progbits,_ZL12mul_mat_q5_1IfLb0EEvPKvS1_PT_iiiii,comdat
.Lfunc_end123:
	.size	_ZL12mul_mat_q5_1IfLb0EEvPKvS1_PT_iiiii, .Lfunc_end123-_ZL12mul_mat_q5_1IfLb0EEvPKvS1_PT_iiiii
                                        ; -- End function
	.section	.AMDGPU.csdata,"",@progbits
; Kernel info:
; codeLenInByte = 15452
; NumSgprs: 18
; NumVgprs: 221
; ScratchSize: 0
; MemoryBound: 0
; FloatMode: 240
; IeeeMode: 1
; LDSByteSize: 46720 bytes/workgroup (compile time only)
; SGPRBlocks: 2
; VGPRBlocks: 27
; NumSGPRsForWavesPerEU: 18
; NumVGPRsForWavesPerEU: 221
; Occupancy: 4
; WaveLimiterHint : 0
; COMPUTE_PGM_RSRC2:SCRATCH_EN: 0
; COMPUTE_PGM_RSRC2:USER_SGPR: 14
; COMPUTE_PGM_RSRC2:TRAP_HANDLER: 0
; COMPUTE_PGM_RSRC2:TGID_X_EN: 1
; COMPUTE_PGM_RSRC2:TGID_Y_EN: 1
; COMPUTE_PGM_RSRC2:TGID_Z_EN: 0
; COMPUTE_PGM_RSRC2:TIDIG_COMP_CNT: 1
	.section	.text._ZL12mul_mat_q5_1IfLb1EEvPKvS1_PT_iiiii,"axG",@progbits,_ZL12mul_mat_q5_1IfLb1EEvPKvS1_PT_iiiii,comdat
	.globl	_ZL12mul_mat_q5_1IfLb1EEvPKvS1_PT_iiiii ; -- Begin function _ZL12mul_mat_q5_1IfLb1EEvPKvS1_PT_iiiii
	.p2align	8
	.type	_ZL12mul_mat_q5_1IfLb1EEvPKvS1_PT_iiiii,@function
_ZL12mul_mat_q5_1IfLb1EEvPKvS1_PT_iiiii: ; @_ZL12mul_mat_q5_1IfLb1EEvPKvS1_PT_iiiii
; %bb.0:
	s_clause 0x1
	s_load_b128 s[4:7], s[0:1], 0x18
	s_load_b32 s10, s[0:1], 0x28
	v_bfe_u32 v36, v0, 10, 10
	v_and_b32_e32 v37, 0x3ff, v0
	s_lshl_b32 s11, s15, 6
	s_waitcnt lgkmcnt(0)
	s_cmp_gt_i32 s4, 31
	s_cbranch_scc1 .LBB124_2
; %bb.1:
	v_bfe_u32 v1, v0, 10, 10
	v_and_b32_e32 v0, 0x3ff, v0
	s_mov_b32 s2, 0
	s_mov_b32 s3, 0
	s_delay_alu instid0(VALU_DEP_2)
	v_add_nc_u32_e32 v47, s11, v1
	s_branch .LBB124_3
.LBB124_2:
	s_mov_b32 s2, -1
                                        ; implicit-def: $sgpr3
                                        ; implicit-def: $vgpr1
                                        ; implicit-def: $vgpr0
                                        ; implicit-def: $vgpr47
.LBB124_3:
	s_load_b64 s[8:9], s[0:1], 0x10
	v_dual_mov_b32 v25, s3 :: v_dual_mov_b32 v40, s3
	v_dual_mov_b32 v29, s3 :: v_dual_mov_b32 v44, s3
	;; [unrolled: 1-line block ×16, first 2 shown]
	s_and_not1_b32 vcc_lo, exec_lo, s2
	s_lshl_b32 s12, s14, 7
	s_cbranch_vccnz .LBB124_13
; %bb.4:
	s_load_b128 s[0:3], s[0:1], 0x0
	s_ashr_i32 s13, s4, 31
	s_ashr_i32 s14, s7, 31
	s_lshr_b32 s13, s13, 27
	v_add_nc_u32_e32 v35, 8, v36
	s_add_i32 s4, s4, s13
	s_lshr_b32 s13, s14, 27
	s_ashr_i32 s4, s4, 5
	s_add_i32 s7, s7, s13
	s_mul_i32 s13, s4, s12
	s_ashr_i32 s14, s7, 5
	s_mul_i32 s7, s13, 24
	s_mul_hi_i32 s13, s13, 24
	v_lshlrev_b32_e32 v1, 3, v37
	v_dual_mov_b32 v69, 0 :: v_dual_add_nc_u32 v38, 16, v36
	v_add_nc_u32_e32 v42, 24, v36
	v_add_nc_u32_e32 v43, 32, v36
	;; [unrolled: 1-line block ×3, first 2 shown]
	v_dual_mov_b32 v77, 0 :: v_dual_add_nc_u32 v46, 48, v36
	s_waitcnt lgkmcnt(0)
	s_add_u32 s7, s0, s7
	s_addc_u32 s13, s1, s13
	s_not_b32 s0, s12
	v_dual_mov_b32 v67, 0 :: v_dual_add_nc_u32 v48, 56, v36
	s_add_i32 s0, s0, s5
	v_add_nc_u32_e32 v12, 0x48, v36
	v_min_i32_e32 v2, s0, v36
	v_min_i32_e32 v3, s0, v35
	;; [unrolled: 1-line block ×4, first 2 shown]
	s_add_i32 s1, s6, -1
	v_mad_u64_u32 v[4:5], null, 0x104, v2, v[1:2]
	v_mul_lo_u32 v50, v2, s4
	v_mad_u64_u32 v[5:6], null, 0x104, v3, v[1:2]
	v_min_i32_e32 v2, s0, v42
	v_mul_lo_u32 v51, v3, s4
	v_mul_lo_u32 v52, v8, s4
	v_min_i32_e32 v3, s0, v43
	v_mul_lo_u32 v59, v13, s4
	v_mad_u64_u32 v[6:7], null, 0x104, v8, v[1:2]
	v_mul_lo_u32 v54, v2, s4
	v_mad_u64_u32 v[7:8], null, 0x104, v2, v[1:2]
	v_min_i32_e32 v2, s0, v44
	v_mul_lo_u32 v55, v3, s4
	v_add_nc_u32_e32 v47, s11, v36
	v_dual_mov_b32 v72, 0 :: v_dual_add_nc_u32 v17, 0x58, v36
	s_delay_alu instid0(VALU_DEP_4) | instskip(SKIP_4) | instid1(VALU_DEP_4)
	v_mad_u64_u32 v[8:9], null, 0x104, v3, v[1:2]
	v_min_i32_e32 v3, s0, v46
	v_mul_lo_u32 v56, v2, s4
	v_mad_u64_u32 v[9:10], null, 0x104, v2, v[1:2]
	v_add_nc_u32_e32 v2, 64, v36
	v_mul_lo_u32 v57, v3, s4
	v_add_nc_u32_e32 v15, 16, v47
	v_add_nc_u32_e32 v27, 32, v47
	v_cvt_f64_u32_e32 v[19:20], v47
	v_mad_u64_u32 v[10:11], null, 0x104, v3, v[1:2]
	v_min_i32_e32 v2, s0, v2
	v_min_i32_e32 v3, s0, v12
	v_cvt_f64_u32_e32 v[23:24], v15
	v_cvt_f64_u32_e32 v[27:28], v27
	v_add_nc_u32_e32 v18, 24, v47
	v_mad_u64_u32 v[11:12], null, 0x104, v13, v[1:2]
	v_mul_lo_u32 v60, v2, s4
	v_mad_u64_u32 v[12:13], null, 0x104, v2, v[1:2]
	v_add_nc_u32_e32 v2, 0x50, v36
	v_mul_lo_u32 v62, v3, s4
	v_cvt_f64_u32_e32 v[25:26], v18
	v_add_nc_u32_e32 v18, 0x60, v36
	v_add_nc_u32_e32 v40, 0x68, v36
	v_mad_u64_u32 v[13:14], null, 0x104, v3, v[1:2]
	v_min_i32_e32 v16, s0, v2
	v_cvt_f64_i32_e32 v[2:3], s1
	v_add_nc_u32_e32 v14, 8, v47
	v_min_i32_e32 v17, s0, v17
	v_min_i32_e32 v18, s0, v18
	v_mul_lo_u32 v68, v16, s4
	v_add_nc_u32_e32 v41, 0x70, v36
	v_cvt_f64_u32_e32 v[21:22], v14
	v_min_i32_e32 v40, s0, v40
	v_mul_lo_u32 v71, v17, s4
	v_mul_lo_u32 v73, v18, s4
	v_min_i32_e32 v53, s0, v41
	v_lshrrev_b32_e32 v74, 3, v37
	v_mul_lo_u32 v75, v40, s4
	v_add_nc_u32_e32 v61, 0x78, v36
	v_lshrrev_b32_e32 v45, 2, v37
	v_mul_lo_u32 v76, v53, s4
	v_lshl_add_u32 v58, v36, 2, v74
	v_and_b32_e32 v79, 7, v37
	v_dual_mov_b32 v39, 0 :: v_dual_and_b32 v0, 3, v37
	v_mul_u32_u24_e32 v101, 0x104, v37
	s_delay_alu instid0(VALU_DEP_4) | instskip(SKIP_1) | instid1(VALU_DEP_4)
	v_min_i32_e32 v63, s0, v58
	v_add_nc_u32_e32 v64, 64, v58
	v_lshlrev_b32_e32 v49, 2, v0
	v_lshl_add_u32 v108, v36, 4, 0xb280
	s_mov_b32 s5, 0
	v_mul_lo_u32 v80, v63, s4
	v_mov_b32_e32 v70, 0
	v_mad_u64_u32 v[14:15], null, 0x104, v16, v[1:2]
	v_add_nc_u32_e32 v15, 40, v47
	v_add_nc_u32_e32 v16, 48, v47
	v_min_f64 v[27:28], v[27:28], v[2:3]
	v_min_f64 v[23:24], v[23:24], v[2:3]
	;; [unrolled: 1-line block ×3, first 2 shown]
	v_cvt_f64_u32_e32 v[29:30], v15
	v_cvt_f64_u32_e32 v[31:32], v16
	v_add_nc_u32_e32 v15, 56, v47
	v_min_f64 v[25:26], v[25:26], v[2:3]
	s_delay_alu instid0(VALU_DEP_2)
	v_cvt_f64_u32_e32 v[33:34], v15
	v_mad_u64_u32 v[15:16], null, 0x104, v17, v[1:2]
	v_mad_u64_u32 v[16:17], null, 0x104, v18, v[1:2]
	;; [unrolled: 1-line block ×3, first 2 shown]
	v_min_f64 v[40:41], v[19:20], v[2:3]
	v_mad_u64_u32 v[18:19], null, 0x104, v53, v[1:2]
	v_add_nc_u32_e32 v19, 32, v58
	v_min_i32_e32 v53, s0, v61
	v_ashrrev_i32_e32 v20, 31, v63
	s_delay_alu instid0(VALU_DEP_3) | instskip(NEXT) | instid1(VALU_DEP_3)
	v_min_i32_e32 v61, s0, v19
	v_mul_lo_u32 v78, v53, s4
	s_delay_alu instid0(VALU_DEP_3) | instskip(NEXT) | instid1(VALU_DEP_3)
	v_lshrrev_b32_e32 v19, 30, v20
	v_ashrrev_i32_e32 v20, 31, v61
	v_mul_lo_u32 v81, v61, s4
	s_delay_alu instid0(VALU_DEP_3) | instskip(NEXT) | instid1(VALU_DEP_3)
	v_add_nc_u32_e32 v65, v63, v19
	v_lshrrev_b32_e32 v66, 30, v20
	v_cvt_i32_f64_e32 v27, v[27:28]
	v_cvt_i32_f64_e32 v24, v[23:24]
	v_lshlrev_b32_e32 v23, 2, v37
	v_min_f64 v[29:30], v[29:30], v[2:3]
	v_min_f64 v[31:32], v[31:32], v[2:3]
	v_cvt_i32_f64_e32 v25, v[25:26]
	v_min_f64 v[2:3], v[33:34], v[2:3]
	v_add_nc_u32_e32 v34, v61, v66
	v_mov_b32_e32 v66, 0
	s_delay_alu instid0(VALU_DEP_2) | instskip(SKIP_4) | instid1(VALU_DEP_1)
	v_and_b32_e32 v34, -4, v34
	v_cvt_i32_f64_e32 v40, v[40:41]
	v_lshlrev_b32_e32 v41, 5, v61
	v_cvt_i32_f64_e32 v61, v[21:22]
	v_lshl_add_u32 v22, v36, 3, v45
	v_and_b32_e32 v22, 63, v22
	v_mul_lo_u32 v93, s14, v27
	v_mul_lo_u32 v89, s14, v24
	v_and_b32_e32 v27, 0xfc, v37
	v_cvt_i32_f64_e32 v28, v[29:30]
	v_cvt_i32_f64_e32 v29, v[31:32]
	v_or_b32_e32 v30, s11, v22
	v_lshl_or_b32 v32, v22, 4, v49
	v_mul_lo_u32 v91, s14, v25
	v_mad_u64_u32 v[19:20], null, 0x104, v53, v[1:2]
	v_add_nc_u32_e32 v53, 0x60, v58
	v_lshlrev_b32_e32 v58, 5, v63
	v_cvt_i32_f64_e32 v2, v[2:3]
	v_and_b32_e32 v1, -4, v65
	v_lshlrev_b32_e32 v20, 2, v79
	v_min_i32_e32 v53, s0, v53
	v_mul_lo_u32 v85, s14, v40
	v_mov_b32_e32 v40, 0
	v_min_i32_e32 v30, s1, v30
	v_add3_u32 v1, v1, v20, 0xa200
	v_ashrrev_i32_e32 v63, 31, v53
	v_add3_u32 v34, v34, v20, 0xa200
	v_mul_lo_u32 v83, v53, s4
	v_lshlrev_b32_e32 v31, 5, v53
	v_mul_lo_u32 v87, s14, v61
	v_lshrrev_b32_e32 v21, 30, v63
	v_lshlrev_b32_e32 v63, 7, v36
	v_add_nc_u32_e32 v84, 0xb280, v32
	v_add_nc_u32_e32 v114, v1, v58
	;; [unrolled: 1-line block ×4, first 2 shown]
	v_dual_mov_b32 v32, 0 :: v_dual_add_nc_u32 v107, 0x8200, v63
	v_mov_b32_e32 v61, 0
	v_mov_b32_e32 v41, 0
	s_delay_alu instid0(VALU_DEP_4)
	v_dual_mov_b32 v34, 0 :: v_dual_and_b32 v21, -4, v21
	v_dual_mov_b32 v65, 0 :: v_dual_mov_b32 v58, 0
	v_mul_lo_u32 v95, s14, v28
	v_mul_lo_u32 v97, s14, v29
	v_mov_b32_e32 v29, 0
	v_min_i32_e32 v64, s0, v64
	v_add3_u32 v3, v21, v20, 0xa200
	v_and_b32_e32 v21, 28, v23
	v_mad_u64_u32 v[22:23], null, v30, s14, v[0:1]
	s_delay_alu instid0(VALU_DEP_4)
	v_ashrrev_i32_e32 v33, 31, v64
	v_mov_b32_e32 v28, 0
	v_mul_lo_u32 v82, v64, s4
	v_mul_lo_u32 v99, s14, v2
	v_add_nc_u32_e32 v2, 0x60, v37
	v_lshrrev_b32_e32 v33, 30, v33
	v_lshlrev_b32_e32 v26, 5, v64
	v_add_nc_u32_e32 v117, v3, v31
	s_delay_alu instid0(VALU_DEP_4) | instskip(NEXT) | instid1(VALU_DEP_4)
	v_dual_mov_b32 v31, 0 :: v_dual_and_b32 v2, 0x1fc, v2
	v_dual_mov_b32 v30, 0 :: v_dual_add_nc_u32 v33, v64, v33
	s_delay_alu instid0(VALU_DEP_1) | instskip(NEXT) | instid1(VALU_DEP_1)
	v_and_b32_e32 v33, -4, v33
	v_add3_u32 v33, v33, v20, 0xa200
	v_and_b32_e32 v20, 31, v37
	s_delay_alu instid0(VALU_DEP_2) | instskip(NEXT) | instid1(VALU_DEP_2)
	v_add_nc_u32_e32 v116, v33, v26
	v_lshlrev_b32_e32 v53, 2, v20
	v_add_co_u32 v20, s0, s2, v21
	s_delay_alu instid0(VALU_DEP_1) | instskip(NEXT) | instid1(VALU_DEP_3)
	v_add_co_ci_u32_e64 v21, null, s3, 0, s0
	v_lshl_or_b32 v23, v38, 7, v53
	v_mov_b32_e32 v38, 0
	v_lshl_or_b32 v0, v35, 7, v53
	v_lshl_or_b32 v24, v46, 7, v53
	v_or_b32_e32 v64, v63, v53
	v_add_nc_u32_e32 v90, 0x8200, v23
	v_lshl_or_b32 v23, v43, 7, v53
	v_add_nc_u32_e32 v88, 0x8200, v0
	v_lshl_or_b32 v0, v42, 7, v53
	v_dual_mov_b32 v43, 0 :: v_dual_add_nc_u32 v98, 0x8200, v24
	s_delay_alu instid0(VALU_DEP_4) | instskip(SKIP_1) | instid1(VALU_DEP_4)
	v_add_nc_u32_e32 v94, 0x8200, v23
	v_add_nc_u32_e32 v23, 64, v37
	;; [unrolled: 1-line block ×3, first 2 shown]
	v_lshl_or_b32 v0, v44, 7, v53
	v_add_nc_u32_e32 v24, 32, v37
	s_movk_i32 s0, 0x80
	v_and_b32_e32 v23, 0x1fc, v23
	v_add_nc_u32_e32 v86, 0x8200, v64
	v_add_nc_u32_e32 v96, 0x8200, v0
	v_lshl_or_b32 v0, v48, 7, v53
	v_and_b32_e32 v25, 0x1fc, v24
	v_lshrrev_b32_e32 v102, 3, v24
	v_mad_u32_u24 v113, 0x104, v37, s0
	v_mov_b32_e32 v64, 0
	v_add_nc_u32_e32 v100, 0x8200, v0
	v_dual_mov_b32 v53, 0 :: v_dual_lshlrev_b32 v0, 5, v37
	v_dual_mov_b32 v63, 0 :: v_dual_mov_b32 v48, 0
	v_mov_b32_e32 v42, 0
	s_delay_alu instid0(VALU_DEP_3) | instskip(SKIP_3) | instid1(VALU_DEP_4)
	v_add_nc_u32_e32 v2, v0, v2
	v_add_nc_u32_e32 v23, v0, v23
	;; [unrolled: 1-line block ×3, first 2 shown]
	v_dual_mov_b32 v35, 0 :: v_dual_add_nc_u32 v0, v0, v27
	v_add_nc_u32_e32 v103, 0xae00, v2
	s_delay_alu instid0(VALU_DEP_4) | instskip(NEXT) | instid1(VALU_DEP_4)
	v_add_nc_u32_e32 v104, 0xaa00, v23
	v_add_nc_u32_e32 v105, 0xa600, v25
	s_delay_alu instid0(VALU_DEP_4)
	v_add_nc_u32_e32 v106, 0xa200, v0
	v_add_nc_u32_e32 v109, 0xae10, v2
	v_add_nc_u32_e32 v110, 0xaa10, v23
	v_add_nc_u32_e32 v111, 0xa610, v25
	v_dual_mov_b32 v25, 0 :: v_dual_add_nc_u32 v112, 0xa210, v0
	v_dual_mov_b32 v27, 0 :: v_dual_mov_b32 v46, 0
	v_mov_b32_e32 v26, 0
	v_dual_mov_b32 v44, 0 :: v_dual_mov_b32 v33, 0
	s_branch .LBB124_6
.LBB124_5:                              ;   in Loop: Header=BB124_6 Depth=1
	s_add_i32 s5, s5, 8
	s_delay_alu instid0(SALU_CYCLE_1)
	s_cmp_ge_i32 s5, s4
	s_cbranch_scc1 .LBB124_12
.LBB124_6:                              ; =>This Loop Header: Depth=1
                                        ;     Child Loop BB124_7 Depth 2
                                        ;     Child Loop BB124_10 Depth 2
	s_mul_i32 s0, s5, 24
	s_mul_hi_u32 s1, s5, 24
	s_add_u32 s0, s7, s0
	s_addc_u32 s1, s13, s1
	s_delay_alu instid0(SALU_CYCLE_1) | instskip(NEXT) | instid1(VALU_DEP_1)
	v_mad_u64_u32 v[0:1], null, v45, 24, s[0:1]
	v_mad_i64_i32 v[122:123], null, v50, 24, v[0:1]
	v_mad_i64_i32 v[118:119], null, v52, 24, v[0:1]
	;; [unrolled: 1-line block ×4, first 2 shown]
	s_delay_alu instid0(VALU_DEP_4)
	v_add_co_u32 v124, vcc_lo, v122, v49
	v_add_co_ci_u32_e32 v125, vcc_lo, 0, v123, vcc_lo
	v_add_co_u32 v126, vcc_lo, v118, v49
	v_add_co_ci_u32_e32 v127, vcc_lo, 0, v119, vcc_lo
	;; [unrolled: 2-line block ×4, first 2 shown]
	s_clause 0x7
	global_load_b32 v2, v[2:3], off offset:8
	global_load_b32 v3, v[23:24], off offset:4
	global_load_b32 v23, v[126:127], off offset:8
	global_load_b32 v24, v[118:119], off offset:4
	global_load_b32 v119, v[128:129], off offset:8
	global_load_b32 v120, v[120:121], off offset:4
	global_load_b32 v121, v[124:125], off offset:8
	global_load_b32 v122, v[122:123], off offset:4
	v_mad_i64_i32 v[123:124], null, v56, 24, v[0:1]
	v_mad_i64_i32 v[125:126], null, v55, 24, v[0:1]
	;; [unrolled: 1-line block ×4, first 2 shown]
	s_delay_alu instid0(VALU_DEP_4)
	v_add_co_u32 v131, vcc_lo, v123, v49
	v_add_co_ci_u32_e32 v132, vcc_lo, 0, v124, vcc_lo
	v_add_co_u32 v133, vcc_lo, v125, v49
	v_add_co_ci_u32_e32 v134, vcc_lo, 0, v126, vcc_lo
	s_clause 0x5
	global_load_b32 v150, v[129:130], off offset:4
	global_load_b32 v151, v[127:128], off offset:4
	;; [unrolled: 1-line block ×6, first 2 shown]
	v_add_co_u32 v123, vcc_lo, v127, v49
	v_add_co_ci_u32_e32 v124, vcc_lo, 0, v128, vcc_lo
	v_add_co_u32 v125, vcc_lo, v129, v49
	v_add_co_ci_u32_e32 v126, vcc_lo, 0, v130, vcc_lo
	s_clause 0x1
	global_load_b32 v156, v[123:124], off offset:8
	global_load_b32 v157, v[125:126], off offset:8
	v_mad_i64_i32 v[126:127], null, v71, 24, v[0:1]
	v_mad_i64_i32 v[128:129], null, v68, 24, v[0:1]
	;; [unrolled: 1-line block ×4, first 2 shown]
	s_clause 0x3
	global_load_b32 v123, v[126:127], off offset:4
	global_load_b32 v158, v[128:129], off offset:4
	;; [unrolled: 1-line block ×4, first 2 shown]
	v_mad_i64_i32 v[140:141], null, v76, 24, v[0:1]
	v_add_co_u32 v130, vcc_lo, v130, v49
	v_add_co_ci_u32_e32 v131, vcc_lo, 0, v131, vcc_lo
	v_add_co_u32 v124, vcc_lo, v124, v49
	v_add_co_ci_u32_e32 v125, vcc_lo, 0, v125, vcc_lo
	global_load_b32 v161, v[130:131], off offset:8
	v_mad_i64_i32 v[142:143], null, v78, 24, v[0:1]
	global_load_b32 v162, v[124:125], off offset:8
	v_add_co_u32 v124, vcc_lo, v128, v49
	v_add_co_ci_u32_e32 v125, vcc_lo, 0, v129, vcc_lo
	v_add_nc_u32_e32 v128, s5, v74
	v_add_co_u32 v126, vcc_lo, v126, v49
	global_load_b32 v163, v[124:125], off offset:8
	v_add_co_ci_u32_e32 v127, vcc_lo, 0, v127, vcc_lo
	v_add_nc_u32_e32 v130, v128, v85
	v_add_nc_u32_e32 v132, v128, v87
	;; [unrolled: 1-line block ×8, first 2 shown]
	v_mad_i64_i32 v[128:129], null, v130, 36, v[20:21]
	v_mad_i64_i32 v[130:131], null, v132, 36, v[20:21]
	;; [unrolled: 1-line block ×6, first 2 shown]
	global_load_b32 v164, v[126:127], off offset:8
	v_add_nc_u32_e32 v118, s5, v22
	v_mad_u64_u32 v[124:125], null, v79, 24, s[0:1]
	v_add_co_u32 v0, vcc_lo, v136, v49
	v_add_co_ci_u32_e32 v1, vcc_lo, 0, v137, vcc_lo
	v_add_co_u32 v144, vcc_lo, v140, v49
	v_add_co_ci_u32_e32 v145, vcc_lo, 0, v141, vcc_lo
	;; [unrolled: 2-line block ×4, first 2 shown]
	s_clause 0x7
	global_load_b32 v169, v[146:147], off offset:8
	global_load_b32 v170, v[142:143], off offset:4
	;; [unrolled: 1-line block ×8, first 2 shown]
	v_mad_u64_u32 v[126:127], null, v118, 36, s[2:3]
	v_mad_i64_i32 v[0:1], null, v165, 36, v[20:21]
	v_mad_i64_i32 v[136:137], null, v166, 36, v[20:21]
	;; [unrolled: 1-line block ×8, first 2 shown]
	s_clause 0x8
	global_load_b32 v124, v[126:127], off
	global_load_b32 v125, v[128:129], off offset:4
	global_load_b32 v126, v[130:131], off offset:4
	;; [unrolled: 1-line block ×8, first 2 shown]
	s_clause 0x3
	global_load_b32 v131, v[142:143], off
	global_load_b32 v132, v[144:145], off
	;; [unrolled: 1-line block ×4, first 2 shown]
	s_mov_b32 s0, -4
	s_waitcnt vmcnt(44)
	v_and_b32_e32 v138, 0xf0f0f0f, v2
	s_waitcnt vmcnt(43)
	v_ashrrev_i32_e32 v3, v49, v3
	s_waitcnt vmcnt(42)
	v_and_b32_e32 v137, 0xf0f0f0f, v23
	s_waitcnt vmcnt(41)
	v_ashrrev_i32_e32 v24, v49, v24
	;; [unrolled: 4-line block ×4, first 2 shown]
	v_lshrrev_b32_e32 v121, 4, v121
	v_lshrrev_b32_e32 v119, 4, v119
	v_lshlrev_b32_e32 v165, 4, v120
	v_lshlrev_b32_e32 v166, 11, v120
	v_lshrrev_b32_e32 v177, 12, v120
	v_lshrrev_b32_e32 v178, 5, v120
	;; [unrolled: 1-line block ×3, first 2 shown]
	v_lshlrev_b32_e32 v180, 4, v24
	v_lshlrev_b32_e32 v181, 11, v24
	v_lshrrev_b32_e32 v184, 12, v24
	v_lshrrev_b32_e32 v185, 5, v24
	;; [unrolled: 1-line block ×3, first 2 shown]
	s_waitcnt vmcnt(35)
	v_ashrrev_i32_e32 v145, v49, v151
	s_waitcnt vmcnt(34)
	v_and_b32_e32 v143, 0xf0f0f0f, v152
	s_waitcnt vmcnt(33)
	v_ashrrev_i32_e32 v142, v49, v153
	v_lshrrev_b32_e32 v144, 4, v152
	s_waitcnt vmcnt(31)
	v_ashrrev_i32_e32 v139, v49, v155
	v_lshlrev_b32_e32 v151, 4, v122
	v_lshlrev_b32_e32 v152, 11, v122
	v_lshrrev_b32_e32 v155, 12, v122
	v_lshlrev_b32_e32 v187, 4, v3
	v_lshlrev_b32_e32 v188, 11, v3
	v_lshrrev_b32_e32 v191, 12, v3
	v_lshrrev_b32_e32 v192, 5, v3
	;; [unrolled: 1-line block ×3, first 2 shown]
	v_lshlrev_b32_e32 v194, 4, v139
	s_waitcnt vmcnt(30)
	v_and_b32_e32 v146, 0xf0f0f0f, v156
	v_lshrrev_b32_e32 v147, 4, v156
	v_lshrrev_b32_e32 v156, 5, v122
	v_lshlrev_b32_e32 v195, 11, v139
	v_lshrrev_b32_e32 v198, 12, v139
	v_lshrrev_b32_e32 v199, 5, v139
	v_and_b32_e32 v140, 0xf0f0f0f, v154
	v_ashrrev_i32_e32 v148, v49, v150
	s_waitcnt vmcnt(29)
	v_and_b32_e32 v149, 0xf0f0f0f, v157
	v_lshrrev_b32_e32 v150, 4, v157
	v_lshlrev_b32_e32 v153, 18, v122
	v_lshlrev_b32_e32 v154, 25, v122
	v_and_b32_e32 v121, 0xf0f0f0f, v121
	v_lshlrev_b32_e32 v157, 2, v122
	v_lshlrev_b32_e32 v122, 9, v122
	;; [unrolled: 1-line block ×4, first 2 shown]
	v_lshrrev_b32_e32 v205, 12, v142
	v_lshrrev_b32_e32 v206, 5, v142
	v_and_b32_e32 v151, 16, v151
	v_and_b32_e32 v152, 0x1000, v152
	v_and_b32_e32 v155, 16, v155
	v_and_b32_e32 v156, 0x1000, v156
	v_lshlrev_b32_e32 v167, 18, v120
	v_lshlrev_b32_e32 v168, 25, v120
	v_and_b32_e32 v119, 0xf0f0f0f, v119
	v_lshlrev_b32_e32 v179, 2, v120
	v_lshlrev_b32_e32 v120, 9, v120
	v_and_b32_e32 v165, 16, v165
	v_and_b32_e32 v166, 0x1000, v166
	v_and_b32_e32 v177, 16, v177
	v_and_b32_e32 v178, 0x1000, v178
	v_lshlrev_b32_e32 v182, 18, v24
	v_lshlrev_b32_e32 v183, 25, v24
	v_and_b32_e32 v23, 0xf0f0f0f, v23
	v_lshlrev_b32_e32 v186, 2, v24
	v_lshlrev_b32_e32 v24, 9, v24
	;; [unrolled: 9-line block ×5, first 2 shown]
	v_and_b32_e32 v153, 0x100000, v153
	v_and_b32_e32 v154, 0x10000000, v154
	;; [unrolled: 1-line block ×8, first 2 shown]
	v_or3_b32 v135, v151, v135, v152
	v_or3_b32 v121, v155, v121, v156
	v_and_b32_e32 v167, 0x100000, v167
	v_and_b32_e32 v168, 0x10000000, v168
	v_and_b32_e32 v179, 0x100000, v179
	v_and_b32_e32 v120, 0x10000000, v120
	v_or3_b32 v136, v165, v136, v166
	v_or3_b32 v119, v177, v119, v178
	v_and_b32_e32 v182, 0x100000, v182
	v_and_b32_e32 v183, 0x10000000, v183
	v_and_b32_e32 v186, 0x100000, v186
	v_and_b32_e32 v24, 0x10000000, v24
	v_or3_b32 v137, v180, v137, v181
	v_or3_b32 v23, v184, v23, v185
	v_and_b32_e32 v189, 0x100000, v189
	v_and_b32_e32 v190, 0x10000000, v190
	v_and_b32_e32 v193, 0x100000, v193
	v_and_b32_e32 v3, 0x10000000, v3
	v_or3_b32 v138, v187, v138, v188
	v_or3_b32 v2, v191, v2, v192
	v_and_b32_e32 v196, 0x100000, v196
	v_and_b32_e32 v197, 0x10000000, v197
	v_and_b32_e32 v200, 0x100000, v200
	v_and_b32_e32 v139, 0x10000000, v139
	v_or3_b32 v140, v194, v140, v195
	v_or3_b32 v141, v198, v141, v199
	v_lshrrev_b32_e32 v219, 12, v148
	v_lshrrev_b32_e32 v220, 5, v148
	v_and_b32_e32 v203, 0x100000, v203
	v_and_b32_e32 v204, 0x10000000, v204
	;; [unrolled: 1-line block ×4, first 2 shown]
	v_or3_b32 v143, v201, v143, v202
	v_or3_b32 v144, v205, v144, v206
	;; [unrolled: 1-line block ×14, first 2 shown]
	ds_store_2addr_b32 v4, v135, v121 offset1:1
	ds_store_2addr_b32 v5, v122, v119 offset1:1
	;; [unrolled: 1-line block ×6, first 2 shown]
	v_and_b32_e32 v2, 0xf0f0f0f, v150
	v_and_b32_e32 v3, 16, v219
	;; [unrolled: 1-line block ×3, first 2 shown]
	s_waitcnt vmcnt(25)
	v_ashrrev_i32_e32 v24, v49, v160
	v_lshlrev_b32_e32 v120, 2, v148
	v_lshlrev_b32_e32 v121, 9, v148
	s_waitcnt vmcnt(24)
	v_and_b32_e32 v122, 0xf0f0f0f, v161
	v_or3_b32 v2, v3, v2, v23
	v_lshlrev_b32_e32 v3, 4, v24
	v_lshlrev_b32_e32 v23, 11, v24
	v_and_b32_e32 v120, 0x100000, v120
	v_and_b32_e32 v121, 0x10000000, v121
	v_lshlrev_b32_e32 v208, 4, v145
	v_and_b32_e32 v3, 16, v3
	v_and_b32_e32 v23, 0x1000, v23
	v_lshlrev_b32_e32 v209, 11, v145
	v_lshrrev_b32_e32 v212, 12, v145
	v_lshrrev_b32_e32 v213, 5, v145
	v_lshlrev_b32_e32 v215, 4, v148
	v_lshlrev_b32_e32 v216, 11, v148
	v_or3_b32 v2, v2, v120, v121
	v_or3_b32 v3, v3, v122, v23
	v_lshrrev_b32_e32 v23, 4, v161
	v_lshrrev_b32_e32 v121, 12, v24
	;; [unrolled: 1-line block ×3, first 2 shown]
	v_lshlrev_b32_e32 v210, 18, v145
	v_lshlrev_b32_e32 v211, 25, v145
	v_and_b32_e32 v147, 0xf0f0f0f, v147
	v_lshlrev_b32_e32 v214, 2, v145
	v_lshlrev_b32_e32 v145, 9, v145
	;; [unrolled: 1-line block ×4, first 2 shown]
	v_and_b32_e32 v208, 16, v208
	v_and_b32_e32 v209, 0x1000, v209
	;; [unrolled: 1-line block ×9, first 2 shown]
	v_ashrrev_i32_e32 v136, v49, v159
	v_and_b32_e32 v210, 0x100000, v210
	v_and_b32_e32 v211, 0x10000000, v211
	;; [unrolled: 1-line block ×5, first 2 shown]
	v_or3_b32 v146, v208, v146, v209
	v_or3_b32 v147, v212, v147, v213
	;; [unrolled: 1-line block ×3, first 2 shown]
	v_and_b32_e32 v119, 0x10000000, v218
	v_lshlrev_b32_e32 v120, 18, v24
	v_lshlrev_b32_e32 v135, 25, v24
	;; [unrolled: 1-line block ×4, first 2 shown]
	v_or3_b32 v23, v121, v23, v122
	v_lshlrev_b32_e32 v121, 4, v136
	v_lshlrev_b32_e32 v122, 11, v136
	v_or3_b32 v139, v146, v210, v211
	v_or3_b32 v140, v147, v214, v145
	;; [unrolled: 1-line block ×3, first 2 shown]
	v_and_b32_e32 v120, 0x100000, v120
	v_and_b32_e32 v135, 0x10000000, v135
	v_and_b32_e32 v137, 0x100000, v137
	v_and_b32_e32 v24, 0x10000000, v24
	s_waitcnt vmcnt(23)
	v_and_b32_e32 v138, 0xf0f0f0f, v162
	v_and_b32_e32 v121, 16, v121
	;; [unrolled: 1-line block ×3, first 2 shown]
	ds_store_2addr_b32 v10, v139, v140 offset1:1
	ds_store_2addr_b32 v11, v119, v2 offset1:1
	v_or3_b32 v2, v3, v120, v135
	v_or3_b32 v3, v23, v137, v24
	;; [unrolled: 1-line block ×3, first 2 shown]
	v_lshrrev_b32_e32 v119, 4, v162
	v_lshrrev_b32_e32 v120, 12, v136
	;; [unrolled: 1-line block ×3, first 2 shown]
	v_ashrrev_i32_e32 v135, v49, v158
	v_lshlrev_b32_e32 v23, 18, v136
	v_and_b32_e32 v119, 0xf0f0f0f, v119
	v_and_b32_e32 v120, 16, v120
	;; [unrolled: 1-line block ×3, first 2 shown]
	v_lshlrev_b32_e32 v122, 25, v136
	v_lshlrev_b32_e32 v137, 2, v136
	;; [unrolled: 1-line block ×3, first 2 shown]
	v_and_b32_e32 v23, 0x100000, v23
	v_or3_b32 v119, v120, v119, v121
	v_lshlrev_b32_e32 v120, 4, v135
	v_lshlrev_b32_e32 v121, 11, v135
	v_and_b32_e32 v122, 0x10000000, v122
	v_and_b32_e32 v137, 0x100000, v137
	v_and_b32_e32 v136, 0x10000000, v136
	s_waitcnt vmcnt(22)
	v_and_b32_e32 v138, 0xf0f0f0f, v163
	v_and_b32_e32 v120, 16, v120
	;; [unrolled: 1-line block ×3, first 2 shown]
	ds_store_2addr_b32 v12, v2, v3 offset1:1
	v_or3_b32 v2, v24, v23, v122
	v_or3_b32 v3, v119, v137, v136
	v_lshrrev_b32_e32 v119, 4, v163
	v_or3_b32 v24, v120, v138, v121
	v_lshrrev_b32_e32 v120, 12, v135
	v_lshrrev_b32_e32 v121, 5, v135
	v_ashrrev_i32_e32 v123, v49, v123
	v_and_b32_e32 v119, 0xf0f0f0f, v119
	v_lshlrev_b32_e32 v23, 18, v135
	v_and_b32_e32 v120, 16, v120
	v_and_b32_e32 v121, 0x1000, v121
	v_lshlrev_b32_e32 v122, 25, v135
	v_lshlrev_b32_e32 v136, 2, v135
	;; [unrolled: 1-line block ×3, first 2 shown]
	v_and_b32_e32 v23, 0x100000, v23
	v_or3_b32 v119, v120, v119, v121
	v_lshlrev_b32_e32 v120, 4, v123
	v_lshlrev_b32_e32 v121, 11, v123
	v_and_b32_e32 v122, 0x10000000, v122
	v_and_b32_e32 v136, 0x100000, v136
	;; [unrolled: 1-line block ×3, first 2 shown]
	s_waitcnt vmcnt(21)
	v_and_b32_e32 v137, 0xf0f0f0f, v164
	v_and_b32_e32 v120, 16, v120
	;; [unrolled: 1-line block ×3, first 2 shown]
	ds_store_2addr_b32 v13, v2, v3 offset1:1
	v_or3_b32 v2, v24, v23, v122
	v_or3_b32 v3, v119, v136, v135
	v_lshrrev_b32_e32 v119, 4, v164
	v_or3_b32 v24, v120, v137, v121
	v_lshrrev_b32_e32 v120, 12, v123
	v_lshrrev_b32_e32 v121, 5, v123
	s_waitcnt vmcnt(13)
	v_ashrrev_i32_e32 v135, v49, v176
	v_and_b32_e32 v119, 0xf0f0f0f, v119
	v_lshlrev_b32_e32 v23, 18, v123
	v_and_b32_e32 v120, 16, v120
	v_and_b32_e32 v121, 0x1000, v121
	v_lshlrev_b32_e32 v122, 25, v123
	v_lshlrev_b32_e32 v136, 2, v123
	;; [unrolled: 1-line block ×3, first 2 shown]
	v_and_b32_e32 v23, 0x100000, v23
	v_or3_b32 v119, v120, v119, v121
	v_lshlrev_b32_e32 v120, 4, v135
	v_lshlrev_b32_e32 v121, 11, v135
	v_and_b32_e32 v122, 0x10000000, v122
	v_and_b32_e32 v136, 0x100000, v136
	;; [unrolled: 1-line block ×6, first 2 shown]
	ds_store_2addr_b32 v14, v2, v3 offset1:1
	v_or3_b32 v2, v24, v23, v122
	v_or3_b32 v3, v119, v136, v123
	v_lshrrev_b32_e32 v119, 4, v175
	v_or3_b32 v24, v120, v137, v121
	v_lshrrev_b32_e32 v120, 12, v135
	v_lshrrev_b32_e32 v121, 5, v135
	v_ashrrev_i32_e32 v123, v49, v174
	v_and_b32_e32 v119, 0xf0f0f0f, v119
	v_lshlrev_b32_e32 v23, 18, v135
	v_and_b32_e32 v120, 16, v120
	v_and_b32_e32 v121, 0x1000, v121
	v_lshlrev_b32_e32 v122, 25, v135
	v_lshlrev_b32_e32 v136, 2, v135
	;; [unrolled: 1-line block ×3, first 2 shown]
	v_and_b32_e32 v23, 0x100000, v23
	v_or3_b32 v119, v120, v119, v121
	v_lshlrev_b32_e32 v120, 4, v123
	v_lshlrev_b32_e32 v121, 11, v123
	v_and_b32_e32 v122, 0x10000000, v122
	v_and_b32_e32 v136, 0x100000, v136
	;; [unrolled: 1-line block ×6, first 2 shown]
	v_lshlrev_b32_e32 v138, 18, v123
	v_lshlrev_b32_e32 v139, 25, v123
	v_or3_b32 v23, v24, v23, v122
	v_or3_b32 v24, v119, v136, v135
	;; [unrolled: 1-line block ×3, first 2 shown]
	v_and_b32_e32 v120, 0x100000, v138
	v_and_b32_e32 v121, 0x10000000, v139
	v_lshrrev_b32_e32 v122, 4, v173
	v_lshrrev_b32_e32 v135, 12, v123
	;; [unrolled: 1-line block ×3, first 2 shown]
	v_ashrrev_i32_e32 v137, v49, v172
	v_or3_b32 v119, v119, v120, v121
	v_and_b32_e32 v120, 0xf0f0f0f, v122
	v_and_b32_e32 v121, 16, v135
	;; [unrolled: 1-line block ×3, first 2 shown]
	v_lshlrev_b32_e32 v135, 4, v137
	v_lshlrev_b32_e32 v136, 11, v137
	;; [unrolled: 1-line block ×4, first 2 shown]
	v_and_b32_e32 v139, 0xf0f0f0f, v171
	v_and_b32_e32 v135, 16, v135
	;; [unrolled: 1-line block ×3, first 2 shown]
	v_lshlrev_b32_e32 v140, 18, v137
	v_or3_b32 v120, v121, v120, v122
	v_and_b32_e32 v122, 0x10000000, v123
	v_and_b32_e32 v121, 0x100000, v138
	v_or3_b32 v123, v135, v139, v136
	v_and_b32_e32 v135, 0x100000, v140
	v_ashrrev_i32_e32 v140, v49, v170
	v_lshrrev_b32_e32 v136, 4, v171
	v_lshrrev_b32_e32 v138, 12, v137
	;; [unrolled: 1-line block ×3, first 2 shown]
	v_lshlrev_b32_e32 v144, 2, v137
	v_lshlrev_b32_e32 v142, 4, v140
	;; [unrolled: 1-line block ×3, first 2 shown]
	v_and_b32_e32 v136, 0xf0f0f0f, v136
	v_and_b32_e32 v138, 16, v138
	;; [unrolled: 1-line block ×6, first 2 shown]
	v_lshlrev_b32_e32 v141, 25, v137
	v_or3_b32 v136, v138, v136, v139
	v_and_b32_e32 v138, 0x100000, v144
	v_lshrrev_b32_e32 v144, 5, v140
	v_or3_b32 v139, v142, v145, v143
	v_lshrrev_b32_e32 v142, 4, v169
	v_lshrrev_b32_e32 v143, 12, v140
	v_lshlrev_b32_e32 v137, 9, v137
	v_lshlrev_b32_e32 v145, 18, v140
	;; [unrolled: 1-line block ×3, first 2 shown]
	v_and_b32_e32 v142, 0xf0f0f0f, v142
	v_and_b32_e32 v143, 16, v143
	;; [unrolled: 1-line block ×3, first 2 shown]
	v_lshlrev_b32_e32 v147, 2, v140
	v_lshlrev_b32_e32 v140, 9, v140
	v_and_b32_e32 v141, 0x10000000, v141
	v_and_b32_e32 v137, 0x10000000, v137
	;; [unrolled: 1-line block ×4, first 2 shown]
	v_or3_b32 v142, v143, v142, v144
	v_and_b32_e32 v143, 0x100000, v147
	v_and_b32_e32 v140, 0x10000000, v140
	v_or3_b32 v120, v120, v121, v122
	v_or3_b32 v121, v123, v135, v141
	;; [unrolled: 1-line block ×5, first 2 shown]
	ds_store_2addr_b32 v15, v2, v3 offset1:1
	ds_store_2addr_b32 v16, v23, v24 offset1:1
	;; [unrolled: 1-line block ×5, first 2 shown]
	s_waitcnt vmcnt(3)
	ds_store_b32 v114, v131
	s_waitcnt vmcnt(2)
	ds_store_b32 v115, v132
	;; [unrolled: 2-line block ×4, first 2 shown]
	ds_store_b32 v86, v125
	ds_store_b32 v88, v126
	;; [unrolled: 1-line block ×9, first 2 shown]
	v_mov_b32_e32 v124, v104
	v_dual_mov_b32 v119, v108 :: v_dual_mov_b32 v120, v101
	v_dual_mov_b32 v121, v107 :: v_dual_mov_b32 v122, v106
	v_mov_b32_e32 v123, v105
	v_mov_b32_e32 v125, v103
	s_waitcnt lgkmcnt(0)
	s_barrier
	buffer_gl0_inv
.LBB124_7:                              ;   Parent Loop BB124_6 Depth=1
                                        ; =>  This Inner Loop Header: Depth=2
	ds_load_2addr_b32 v[23:24], v120 offset1:1
	ds_load_b128 v[0:3], v121
	ds_load_b128 v[126:129], v121 offset:16
	v_add_nc_u32_e32 v131, 0x2080, v120
	v_add_nc_u32_e32 v132, 0x4100, v120
	v_add_nc_u32_e32 v133, 0x6180, v120
	ds_load_2addr_b32 v[158:159], v120 offset0:2 offset1:3
	ds_load_2addr_b32 v[172:173], v120 offset0:4 offset1:5
	;; [unrolled: 1-line block ×3, first 2 shown]
	ds_load_2addr_b32 v[160:161], v131 offset1:1
	ds_load_2addr_b32 v[162:163], v132 offset1:1
	;; [unrolled: 1-line block ×3, first 2 shown]
	s_add_i32 s0, s0, 4
	s_delay_alu instid0(SALU_CYCLE_1) | instskip(SKIP_3) | instid1(VALU_DEP_1)
	s_cmp_lt_u32 s0, 12
	s_waitcnt lgkmcnt(7)
	v_dot4_i32_iu8 v130, v23, v0, 0 neg_lo:[1,1,0]
	s_waitcnt lgkmcnt(6)
	v_dot4_i32_iu8 v130, v24, v126, v130 neg_lo:[1,1,0]
	;; [unrolled: 2-line block ×4, first 2 shown]
	v_dot4_i32_iu8 v130, v158, v1, v130 neg_lo:[1,1,0]
	s_waitcnt lgkmcnt(0)
	v_dot4_i32_iu8 v0, v164, v0, 0 neg_lo:[1,1,0]
	v_dot4_i32_iu8 v131, v161, v126, v131 neg_lo:[1,1,0]
	;; [unrolled: 1-line block ×3, first 2 shown]
	s_delay_alu instid0(VALU_DEP_3)
	v_dot4_i32_iu8 v0, v165, v126, v0 neg_lo:[1,1,0]
	v_dot4_i32_iu8 v126, v159, v127, v130 neg_lo:[1,1,0]
	v_add_nc_u32_e32 v130, 0x2088, v120
	ds_load_2addr_b32 v[166:167], v130 offset1:1
	s_waitcnt lgkmcnt(0)
	v_dot4_i32_iu8 v130, v166, v1, v131 neg_lo:[1,1,0]
	v_add_nc_u32_e32 v131, 0x4108, v120
	s_delay_alu instid0(VALU_DEP_2) | instskip(SKIP_4) | instid1(VALU_DEP_2)
	v_dot4_i32_iu8 v130, v167, v127, v130 neg_lo:[1,1,0]
	ds_load_2addr_b32 v[168:169], v131 offset1:1
	s_waitcnt lgkmcnt(0)
	v_dot4_i32_iu8 v131, v168, v1, v132 neg_lo:[1,1,0]
	v_add_nc_u32_e32 v132, 0x6188, v120
	v_dot4_i32_iu8 v131, v169, v127, v131 neg_lo:[1,1,0]
	ds_load_2addr_b32 v[170:171], v132 offset1:1
	v_add_nc_u32_e32 v132, 0x4110, v120
	ds_load_2addr_b32 v[174:175], v132 offset1:1
	v_add_nc_u32_e32 v132, 0x6190, v120
	ds_load_2addr_b32 v[176:177], v132 offset1:1
	s_waitcnt lgkmcnt(2)
	v_dot4_i32_iu8 v0, v170, v1, v0 neg_lo:[1,1,0]
	v_dot4_i32_iu8 v1, v172, v2, v126 neg_lo:[1,1,0]
	v_add_nc_u32_e32 v126, 0x2090, v120
	s_delay_alu instid0(VALU_DEP_3) | instskip(NEXT) | instid1(VALU_DEP_3)
	v_dot4_i32_iu8 v0, v171, v127, v0 neg_lo:[1,1,0]
	v_dot4_i32_iu8 v1, v173, v128, v1 neg_lo:[1,1,0]
	ds_load_2addr_b32 v[126:127], v126 offset1:1
	s_waitcnt lgkmcnt(2)
	v_dot4_i32_iu8 v131, v174, v2, v131 neg_lo:[1,1,0]
	v_dot4_i32_iu8 v186, v178, v3, v1 neg_lo:[1,1,0]
	s_waitcnt lgkmcnt(1)
	v_dot4_i32_iu8 v0, v176, v2, v0 neg_lo:[1,1,0]
	s_delay_alu instid0(VALU_DEP_1) | instskip(SKIP_3) | instid1(VALU_DEP_2)
	v_dot4_i32_iu8 v0, v177, v128, v0 neg_lo:[1,1,0]
	s_waitcnt lgkmcnt(0)
	v_dot4_i32_iu8 v130, v126, v2, v130 neg_lo:[1,1,0]
	v_dot4_i32_iu8 v2, v175, v128, v131 neg_lo:[1,1,0]
	;; [unrolled: 1-line block ×3, first 2 shown]
	v_add_nc_u32_e32 v128, 0x2098, v120
	ds_load_b128 v[130:133], v121 offset:1040
	ds_load_2addr_b32 v[180:181], v128 offset1:1
	s_waitcnt lgkmcnt(0)
	v_dot4_i32_iu8 v128, v180, v3, v1 neg_lo:[1,1,0]
	v_add_nc_u32_e32 v1, 0x4118, v120
	ds_load_2addr_b32 v[182:183], v1 offset1:1
	v_add_nc_u32_e32 v1, 0x6198, v120
	v_add_nc_u32_e32 v120, 32, v120
	ds_load_2addr_b32 v[184:185], v1 offset1:1
	s_waitcnt lgkmcnt(1)
	v_dot4_i32_iu8 v187, v182, v3, v2 neg_lo:[1,1,0]
	s_waitcnt lgkmcnt(0)
	v_dot4_i32_iu8 v188, v184, v3, v0 neg_lo:[1,1,0]
	ds_load_b128 v[0:3], v121 offset:1024
	s_waitcnt lgkmcnt(0)
	v_dot4_i32_iu8 v134, v0, v23, 0 neg_lo:[1,1,0]
	v_dot4_i32_iu8 v135, v0, v160, 0 neg_lo:[1,1,0]
	v_dot4_i32_iu8 v136, v0, v162, 0 neg_lo:[1,1,0]
	v_dot4_i32_iu8 v0, v0, v164, 0 neg_lo:[1,1,0]
	s_delay_alu instid0(VALU_DEP_4) | instskip(NEXT) | instid1(VALU_DEP_4)
	v_dot4_i32_iu8 v134, v130, v24, v134 neg_lo:[1,1,0]
	v_dot4_i32_iu8 v135, v130, v161, v135 neg_lo:[1,1,0]
	s_delay_alu instid0(VALU_DEP_4) | instskip(NEXT) | instid1(VALU_DEP_4)
	v_dot4_i32_iu8 v136, v130, v163, v136 neg_lo:[1,1,0]
	v_dot4_i32_iu8 v0, v130, v165, v0 neg_lo:[1,1,0]
	s_delay_alu instid0(VALU_DEP_4) | instskip(NEXT) | instid1(VALU_DEP_4)
	v_dot4_i32_iu8 v130, v1, v158, v134 neg_lo:[1,1,0]
	v_dot4_i32_iu8 v134, v1, v166, v135 neg_lo:[1,1,0]
	s_delay_alu instid0(VALU_DEP_4) | instskip(NEXT) | instid1(VALU_DEP_4)
	v_dot4_i32_iu8 v135, v1, v168, v136 neg_lo:[1,1,0]
	v_dot4_i32_iu8 v0, v1, v170, v0 neg_lo:[1,1,0]
	s_delay_alu instid0(VALU_DEP_4) | instskip(NEXT) | instid1(VALU_DEP_4)
	v_dot4_i32_iu8 v1, v131, v159, v130 neg_lo:[1,1,0]
	v_dot4_i32_iu8 v130, v131, v167, v134 neg_lo:[1,1,0]
	s_delay_alu instid0(VALU_DEP_4) | instskip(NEXT) | instid1(VALU_DEP_4)
	v_dot4_i32_iu8 v134, v131, v169, v135 neg_lo:[1,1,0]
	v_dot4_i32_iu8 v0, v131, v171, v0 neg_lo:[1,1,0]
	s_delay_alu instid0(VALU_DEP_4) | instskip(NEXT) | instid1(VALU_DEP_4)
	v_dot4_i32_iu8 v1, v2, v172, v1 neg_lo:[1,1,0]
	v_dot4_i32_iu8 v130, v2, v126, v130 neg_lo:[1,1,0]
	s_delay_alu instid0(VALU_DEP_4) | instskip(NEXT) | instid1(VALU_DEP_4)
	v_dot4_i32_iu8 v131, v2, v174, v134 neg_lo:[1,1,0]
	v_dot4_i32_iu8 v0, v2, v176, v0 neg_lo:[1,1,0]
	ds_load_b128 v[134:137], v121 offset:2064
	v_dot4_i32_iu8 v1, v132, v173, v1 neg_lo:[1,1,0]
	v_dot4_i32_iu8 v2, v132, v127, v130 neg_lo:[1,1,0]
	v_dot4_i32_iu8 v130, v132, v175, v131 neg_lo:[1,1,0]
	v_dot4_i32_iu8 v0, v132, v177, v0 neg_lo:[1,1,0]
	s_delay_alu instid0(VALU_DEP_4) | instskip(NEXT) | instid1(VALU_DEP_4)
	v_dot4_i32_iu8 v131, v3, v178, v1 neg_lo:[1,1,0]
	v_dot4_i32_iu8 v132, v3, v180, v2 neg_lo:[1,1,0]
	s_delay_alu instid0(VALU_DEP_4) | instskip(NEXT) | instid1(VALU_DEP_4)
	v_dot4_i32_iu8 v130, v3, v182, v130 neg_lo:[1,1,0]
	v_dot4_i32_iu8 v189, v3, v184, v0 neg_lo:[1,1,0]
	ds_load_b128 v[0:3], v121 offset:2048
	v_dot4_i32_iu8 v130, v133, v183, v130 neg_lo:[1,1,0]
	s_waitcnt lgkmcnt(0)
	v_dot4_i32_iu8 v138, v0, v23, 0 neg_lo:[1,1,0]
	v_dot4_i32_iu8 v139, v0, v160, 0 neg_lo:[1,1,0]
	v_dot4_i32_iu8 v140, v0, v162, 0 neg_lo:[1,1,0]
	v_dot4_i32_iu8 v0, v0, v164, 0 neg_lo:[1,1,0]
	s_delay_alu instid0(VALU_DEP_4) | instskip(NEXT) | instid1(VALU_DEP_4)
	v_dot4_i32_iu8 v138, v134, v24, v138 neg_lo:[1,1,0]
	v_dot4_i32_iu8 v139, v134, v161, v139 neg_lo:[1,1,0]
	s_delay_alu instid0(VALU_DEP_4) | instskip(NEXT) | instid1(VALU_DEP_4)
	v_dot4_i32_iu8 v140, v134, v163, v140 neg_lo:[1,1,0]
	v_dot4_i32_iu8 v0, v134, v165, v0 neg_lo:[1,1,0]
	s_delay_alu instid0(VALU_DEP_4) | instskip(NEXT) | instid1(VALU_DEP_4)
	v_dot4_i32_iu8 v134, v1, v158, v138 neg_lo:[1,1,0]
	v_dot4_i32_iu8 v138, v1, v166, v139 neg_lo:[1,1,0]
	s_delay_alu instid0(VALU_DEP_4) | instskip(NEXT) | instid1(VALU_DEP_4)
	v_dot4_i32_iu8 v139, v1, v168, v140 neg_lo:[1,1,0]
	v_dot4_i32_iu8 v0, v1, v170, v0 neg_lo:[1,1,0]
	s_delay_alu instid0(VALU_DEP_4) | instskip(NEXT) | instid1(VALU_DEP_4)
	v_dot4_i32_iu8 v1, v135, v159, v134 neg_lo:[1,1,0]
	v_dot4_i32_iu8 v134, v135, v167, v138 neg_lo:[1,1,0]
	s_delay_alu instid0(VALU_DEP_4) | instskip(NEXT) | instid1(VALU_DEP_4)
	v_dot4_i32_iu8 v138, v135, v169, v139 neg_lo:[1,1,0]
	v_dot4_i32_iu8 v0, v135, v171, v0 neg_lo:[1,1,0]
	s_delay_alu instid0(VALU_DEP_4) | instskip(NEXT) | instid1(VALU_DEP_4)
	v_dot4_i32_iu8 v1, v2, v172, v1 neg_lo:[1,1,0]
	v_dot4_i32_iu8 v134, v2, v126, v134 neg_lo:[1,1,0]
	s_delay_alu instid0(VALU_DEP_4) | instskip(NEXT) | instid1(VALU_DEP_4)
	v_dot4_i32_iu8 v135, v2, v174, v138 neg_lo:[1,1,0]
	v_dot4_i32_iu8 v0, v2, v176, v0 neg_lo:[1,1,0]
	ds_load_b128 v[138:141], v121 offset:3088
	v_dot4_i32_iu8 v1, v136, v173, v1 neg_lo:[1,1,0]
	v_dot4_i32_iu8 v2, v136, v127, v134 neg_lo:[1,1,0]
	v_dot4_i32_iu8 v134, v136, v175, v135 neg_lo:[1,1,0]
	v_dot4_i32_iu8 v0, v136, v177, v0 neg_lo:[1,1,0]
	s_delay_alu instid0(VALU_DEP_4) | instskip(NEXT) | instid1(VALU_DEP_4)
	v_dot4_i32_iu8 v135, v3, v178, v1 neg_lo:[1,1,0]
	v_dot4_i32_iu8 v136, v3, v180, v2 neg_lo:[1,1,0]
	s_delay_alu instid0(VALU_DEP_4) | instskip(NEXT) | instid1(VALU_DEP_4)
	v_dot4_i32_iu8 v134, v3, v182, v134 neg_lo:[1,1,0]
	v_dot4_i32_iu8 v190, v3, v184, v0 neg_lo:[1,1,0]
	ds_load_b128 v[0:3], v121 offset:3072
	v_dot4_i32_iu8 v134, v137, v183, v134 neg_lo:[1,1,0]
	;; [unrolled: 42-line block ×5, first 2 shown]
	s_waitcnt lgkmcnt(0)
	v_dot4_i32_iu8 v154, v0, v23, 0 neg_lo:[1,1,0]
	v_dot4_i32_iu8 v155, v0, v160, 0 neg_lo:[1,1,0]
	;; [unrolled: 1-line block ×4, first 2 shown]
	s_delay_alu instid0(VALU_DEP_4) | instskip(NEXT) | instid1(VALU_DEP_4)
	v_dot4_i32_iu8 v154, v150, v24, v154 neg_lo:[1,1,0]
	v_dot4_i32_iu8 v155, v150, v161, v155 neg_lo:[1,1,0]
	s_delay_alu instid0(VALU_DEP_4) | instskip(NEXT) | instid1(VALU_DEP_4)
	v_dot4_i32_iu8 v156, v150, v163, v156 neg_lo:[1,1,0]
	v_dot4_i32_iu8 v0, v150, v165, v0 neg_lo:[1,1,0]
	;; [unrolled: 3-line block ×8, first 2 shown]
	ds_load_b128 v[154:157], v121 offset:7184
	v_dot4_i32_iu8 v1, v152, v173, v1 neg_lo:[1,1,0]
	v_dot4_i32_iu8 v2, v152, v127, v150 neg_lo:[1,1,0]
	;; [unrolled: 1-line block ×4, first 2 shown]
	s_delay_alu instid0(VALU_DEP_4) | instskip(NEXT) | instid1(VALU_DEP_4)
	v_dot4_i32_iu8 v151, v3, v178, v1 neg_lo:[1,1,0]
	v_dot4_i32_iu8 v152, v3, v180, v2 neg_lo:[1,1,0]
	s_delay_alu instid0(VALU_DEP_4) | instskip(NEXT) | instid1(VALU_DEP_4)
	v_dot4_i32_iu8 v150, v3, v182, v150 neg_lo:[1,1,0]
	v_dot4_i32_iu8 v194, v3, v184, v0 neg_lo:[1,1,0]
	ds_load_b128 v[0:3], v121 offset:7168
	v_add_nc_u32_e32 v121, 32, v121
	v_dot4_i32_iu8 v150, v153, v183, v150 neg_lo:[1,1,0]
	s_waitcnt lgkmcnt(0)
	v_dot4_i32_iu8 v23, v0, v23, 0 neg_lo:[1,1,0]
	s_delay_alu instid0(VALU_DEP_1) | instskip(SKIP_3) | instid1(VALU_DEP_4)
	v_dot4_i32_iu8 v23, v154, v24, v23 neg_lo:[1,1,0]
	v_dot4_i32_iu8 v24, v0, v160, 0 neg_lo:[1,1,0]
	;; [unrolled: 1-line block ×5, first 2 shown]
	s_delay_alu instid0(VALU_DEP_4) | instskip(NEXT) | instid1(VALU_DEP_4)
	v_dot4_i32_iu8 v24, v154, v161, v24 neg_lo:[1,1,0]
	v_dot4_i32_iu8 v160, v154, v163, v160 neg_lo:[1,1,0]
	s_delay_alu instid0(VALU_DEP_4) | instskip(NEXT) | instid1(VALU_DEP_4)
	v_dot4_i32_iu8 v0, v154, v165, v0 neg_lo:[1,1,0]
	v_dot4_i32_iu8 v23, v155, v159, v23 neg_lo:[1,1,0]
	;; [unrolled: 3-line block ×7, first 2 shown]
	s_delay_alu instid0(VALU_DEP_4)
	v_dot4_i32_iu8 v0, v2, v176, v0 neg_lo:[1,1,0]
	v_dot4_i32_iu8 v126, v183, v129, v187 neg_lo:[1,1,0]
	v_dot4_i32_iu8 v1, v3, v178, v1 neg_lo:[1,1,0]
	v_dot4_i32_iu8 v23, v156, v127, v23 neg_lo:[1,1,0]
	v_dot4_i32_iu8 v24, v156, v175, v24 neg_lo:[1,1,0]
	v_dot4_i32_iu8 v0, v156, v177, v0 neg_lo:[1,1,0]
	v_dot4_i32_iu8 v127, v185, v129, v188 neg_lo:[1,1,0]
	s_delay_alu instid0(VALU_DEP_4) | instskip(NEXT) | instid1(VALU_DEP_4)
	v_dot4_i32_iu8 v2, v3, v180, v23 neg_lo:[1,1,0]
	v_dot4_i32_iu8 v23, v3, v182, v24 neg_lo:[1,1,0]
	s_delay_alu instid0(VALU_DEP_4)
	v_dot4_i32_iu8 v0, v3, v184, v0 neg_lo:[1,1,0]
	v_dot4_i32_iu8 v3, v179, v129, v186 neg_lo:[1,1,0]
	;; [unrolled: 1-line block ×25, first 2 shown]
	ds_load_b32 v154, v122
	ds_load_b32 v155, v123
	;; [unrolled: 1-line block ×4, first 2 shown]
	ds_load_2addr_b32 v[0:1], v119 offset1:32
	v_cvt_f32_i32_e32 v136, v136
	v_cvt_f32_i32_e32 v3, v3
	;; [unrolled: 1-line block ×10, first 2 shown]
	v_add_nc_u32_e32 v125, 4, v125
	v_add_nc_u32_e32 v124, 4, v124
	;; [unrolled: 1-line block ×4, first 2 shown]
	s_waitcnt lgkmcnt(0)
	v_pk_mul_f16 v158, v0, v154
	v_pk_mul_f16 v159, v0, v155
	;; [unrolled: 1-line block ×8, first 2 shown]
	ds_load_2addr_b32 v[0:1], v119 offset0:64 offset1:96
	v_fma_mix_f32 v3, v158, v3, v158 op_sel:[0,0,1] op_sel_hi:[1,0,1]
	v_fma_mix_f32 v128, v162, v128, v162 op_sel:[0,0,1] op_sel_hi:[1,0,1]
	s_delay_alu instid0(VALU_DEP_2)
	v_add_f32_e32 v39, v39, v3
	v_cvt_f32_i32_e32 v3, v24
	v_cvt_f32_i32_e32 v24, v126
	;; [unrolled: 1-line block ×9, first 2 shown]
	v_fma_mix_f32 v3, v159, v3, v159 op_sel:[0,0,1] op_sel_hi:[1,0,1]
	v_fma_mix_f32 v24, v160, v24, v160 op_sel:[0,0,1] op_sel_hi:[1,0,1]
	;; [unrolled: 1-line block ×4, first 2 shown]
	s_waitcnt lgkmcnt(0)
	v_pk_mul_f16 v166, v154, v0
	v_pk_mul_f16 v167, v155, v0
	;; [unrolled: 1-line block ×8, first 2 shown]
	ds_load_2addr_b32 v[0:1], v119 offset0:128 offset1:160
	v_fma_mix_f32 v136, v170, v136, v170 op_sel:[0,0,1] op_sel_hi:[1,0,1]
	v_fma_mix_f32 v132, v166, v132, v166 op_sel:[0,0,1] op_sel_hi:[1,0,1]
	;; [unrolled: 1-line block ×5, first 2 shown]
	s_delay_alu instid0(VALU_DEP_4) | instskip(SKIP_4) | instid1(VALU_DEP_4)
	v_dual_add_f32 v77, v77, v3 :: v_dual_add_f32 v64, v64, v132
	v_cvt_f32_i32_e32 v132, v135
	v_cvt_f32_i32_e32 v135, v139
	;; [unrolled: 1-line block ×3, first 2 shown]
	v_dual_add_f32 v70, v70, v126 :: v_dual_add_f32 v67, v67, v127
	v_fma_mix_f32 v132, v169, v132, v169 op_sel:[0,0,1] op_sel_hi:[1,0,1]
	s_delay_alu instid0(VALU_DEP_4) | instskip(SKIP_2) | instid1(VALU_DEP_4)
	v_fma_mix_f32 v135, v173, v135, v173 op_sel:[0,0,1] op_sel_hi:[1,0,1]
	v_add_f32_e32 v65, v65, v129
	v_dual_add_f32 v61, v61, v131 :: v_dual_add_f32 v46, v46, v134
	v_add_f32_e32 v58, v58, v132
	s_delay_alu instid0(VALU_DEP_4)
	v_add_f32_e32 v44, v44, v135
	s_waitcnt lgkmcnt(0)
	v_pk_mul_f16 v174, v154, v0
	v_pk_mul_f16 v175, v155, v0
	;; [unrolled: 1-line block ×8, first 2 shown]
	ds_load_2addr_b32 v[0:1], v119 offset0:192 offset1:224
	v_fma_mix_f32 v144, v178, v144, v178 op_sel:[0,0,1] op_sel_hi:[1,0,1]
	v_fma_mix_f32 v140, v174, v140, v174 op_sel:[0,0,1] op_sel_hi:[1,0,1]
	;; [unrolled: 1-line block ×4, first 2 shown]
	v_add_nc_u32_e32 v119, 4, v119
	s_delay_alu instid0(VALU_DEP_4) | instskip(SKIP_1) | instid1(VALU_DEP_4)
	v_add_f32_e32 v43, v43, v140
	v_cvt_f32_i32_e32 v140, v146
	v_dual_add_f32 v40, v40, v138 :: v_dual_add_f32 v35, v35, v139
	s_delay_alu instid0(VALU_DEP_2) | instskip(NEXT) | instid1(VALU_DEP_1)
	v_fma_mix_f32 v140, v180, v140, v180 op_sel:[0,0,1] op_sel_hi:[1,0,1]
	v_add_f32_e32 v34, v34, v140
	s_waitcnt lgkmcnt(0)
	v_pk_mul_f16 v184, v156, v0
	v_pk_mul_f16 v156, v156, v1
	;; [unrolled: 1-line block ×6, first 2 shown]
	v_fma_mix_f32 v23, v156, v23, v156 op_sel:[0,0,1] op_sel_hi:[1,0,1]
	v_add_f32_e32 v53, v53, v136
	v_cvt_f32_i32_e32 v136, v141
	v_cvt_f32_i32_e32 v141, v147
	v_pk_mul_f16 v155, v155, v1
	v_add_f32_e32 v26, v26, v23
	v_pk_mul_f16 v1, v157, v1
	v_fma_mix_f32 v143, v184, v143, v184 op_sel:[0,0,1] op_sel_hi:[1,0,1]
	v_fma_mix_f32 v141, v181, v141, v181 op_sel:[0,0,1] op_sel_hi:[1,0,1]
	v_add_f32_e32 v38, v38, v144
	v_cvt_f32_i32_e32 v144, v151
	s_delay_alu instid0(VALU_DEP_4)
	v_dual_add_f32 v69, v69, v128 :: v_dual_add_f32 v30, v30, v143
	v_cvt_f32_i32_e32 v128, v130
	v_cvt_f32_i32_e32 v130, v133
	;; [unrolled: 1-line block ×5, first 2 shown]
	v_fma_mix_f32 v0, v0, v144, v0 op_sel:[0,0,1] op_sel_hi:[1,0,1]
	v_cvt_f32_i32_e32 v144, v153
	v_fma_mix_f32 v148, v182, v148, v182 op_sel:[0,0,1] op_sel_hi:[1,0,1]
	v_fma_mix_f32 v152, v154, v152, v154 op_sel:[0,0,1] op_sel_hi:[1,0,1]
	;; [unrolled: 1-line block ×10, first 2 shown]
	v_add_f32_e32 v32, v32, v148
	v_add_f32_e32 v28, v28, v152
	;; [unrolled: 1-line block ×3, first 2 shown]
	v_dual_add_f32 v66, v66, v128 :: v_dual_add_f32 v63, v63, v130
	v_add_f32_e32 v48, v48, v133
	v_dual_add_f32 v42, v42, v136 :: v_dual_add_f32 v41, v41, v137
	v_add_f32_e32 v33, v33, v141
	v_add_f32_e32 v31, v31, v142
	v_add_f32_e32 v29, v29, v0
	v_add_f32_e32 v27, v27, v2
	v_add_f32_e32 v25, v25, v1
	s_cbranch_scc1 .LBB124_7
; %bb.8:                                ;   in Loop: Header=BB124_6 Depth=1
	s_or_b32 s0, s5, 4
	s_delay_alu instid0(SALU_CYCLE_1)
	s_cmp_ge_i32 s0, s4
	s_barrier
	buffer_gl0_inv
	s_cbranch_scc1 .LBB124_5
; %bb.9:                                ;   in Loop: Header=BB124_6 Depth=1
	v_add_nc_u32_e32 v125, s5, v102
	v_add_nc_u32_e32 v118, 4, v118
	s_mov_b32 s0, 12
	s_delay_alu instid0(VALU_DEP_2)
	v_add_nc_u32_e32 v2, v125, v85
	v_add_nc_u32_e32 v23, v125, v87
	;; [unrolled: 1-line block ×5, first 2 shown]
	v_mad_i64_i32 v[0:1], null, v2, 36, v[20:21]
	v_add_nc_u32_e32 v126, v125, v95
	v_mad_i64_i32 v[2:3], null, v23, 36, v[20:21]
	v_add_nc_u32_e32 v127, v125, v97
	v_mad_i64_i32 v[23:24], null, v119, 36, v[20:21]
	v_add_nc_u32_e32 v129, v125, v99
	v_mad_i64_i32 v[119:120], null, v121, 36, v[20:21]
	v_mad_i64_i32 v[121:122], null, v123, 36, v[20:21]
	;; [unrolled: 1-line block ×5, first 2 shown]
	v_mad_u64_u32 v[129:130], null, v118, 36, s[2:3]
	s_clause 0x8
	global_load_b32 v0, v[0:1], off offset:4
	global_load_b32 v1, v[2:3], off offset:4
	;; [unrolled: 1-line block ×8, first 2 shown]
	global_load_b32 v127, v[129:130], off
	v_mov_b32_e32 v121, v112
	v_dual_mov_b32 v118, v108 :: v_dual_mov_b32 v119, v107
	v_mov_b32_e32 v120, v113
	v_dual_mov_b32 v122, v111 :: v_dual_mov_b32 v123, v110
	v_mov_b32_e32 v124, v109
	s_waitcnt vmcnt(8)
	ds_store_b32 v86, v0
	s_waitcnt vmcnt(7)
	ds_store_b32 v88, v1
	;; [unrolled: 2-line block ×9, first 2 shown]
	s_waitcnt lgkmcnt(0)
	s_barrier
	buffer_gl0_inv
.LBB124_10:                             ;   Parent Loop BB124_6 Depth=1
                                        ; =>  This Inner Loop Header: Depth=2
	ds_load_2addr_b32 v[23:24], v120 offset1:1
	ds_load_b128 v[0:3], v119
	ds_load_b128 v[125:128], v119 offset:16
	ds_load_2addr_b32 v[157:158], v120 offset0:2 offset1:3
	v_add_nc_u32_e32 v130, 0x2080, v120
	v_add_nc_u32_e32 v131, 0x4100, v120
	;; [unrolled: 1-line block ×3, first 2 shown]
	ds_load_2addr_b32 v[171:172], v120 offset0:4 offset1:5
	ds_load_2addr_b32 v[177:178], v120 offset0:6 offset1:7
	ds_load_2addr_b32 v[159:160], v130 offset1:1
	ds_load_2addr_b32 v[161:162], v131 offset1:1
	ds_load_2addr_b32 v[163:164], v132 offset1:1
	s_add_i32 s0, s0, 4
	s_delay_alu instid0(SALU_CYCLE_1) | instskip(SKIP_3) | instid1(VALU_DEP_1)
	s_cmp_lt_u32 s0, 28
	s_waitcnt lgkmcnt(7)
	v_dot4_i32_iu8 v129, v23, v0, 0 neg_lo:[1,1,0]
	s_waitcnt lgkmcnt(6)
	v_dot4_i32_iu8 v129, v24, v125, v129 neg_lo:[1,1,0]
	;; [unrolled: 2-line block ×4, first 2 shown]
	v_dot4_i32_iu8 v129, v157, v1, v129 neg_lo:[1,1,0]
	s_waitcnt lgkmcnt(0)
	v_dot4_i32_iu8 v0, v163, v0, 0 neg_lo:[1,1,0]
	v_dot4_i32_iu8 v130, v160, v125, v130 neg_lo:[1,1,0]
	;; [unrolled: 1-line block ×3, first 2 shown]
	s_delay_alu instid0(VALU_DEP_3)
	v_dot4_i32_iu8 v0, v164, v125, v0 neg_lo:[1,1,0]
	v_dot4_i32_iu8 v125, v158, v126, v129 neg_lo:[1,1,0]
	v_add_nc_u32_e32 v129, 0x2088, v120
	ds_load_2addr_b32 v[165:166], v129 offset1:1
	s_waitcnt lgkmcnt(0)
	v_dot4_i32_iu8 v129, v165, v1, v130 neg_lo:[1,1,0]
	v_add_nc_u32_e32 v130, 0x4108, v120
	s_delay_alu instid0(VALU_DEP_2) | instskip(SKIP_4) | instid1(VALU_DEP_2)
	v_dot4_i32_iu8 v129, v166, v126, v129 neg_lo:[1,1,0]
	ds_load_2addr_b32 v[167:168], v130 offset1:1
	s_waitcnt lgkmcnt(0)
	v_dot4_i32_iu8 v130, v167, v1, v131 neg_lo:[1,1,0]
	v_add_nc_u32_e32 v131, 0x6188, v120
	v_dot4_i32_iu8 v130, v168, v126, v130 neg_lo:[1,1,0]
	ds_load_2addr_b32 v[169:170], v131 offset1:1
	v_add_nc_u32_e32 v131, 0x4110, v120
	ds_load_2addr_b32 v[173:174], v131 offset1:1
	v_add_nc_u32_e32 v131, 0x6190, v120
	ds_load_2addr_b32 v[175:176], v131 offset1:1
	s_waitcnt lgkmcnt(2)
	v_dot4_i32_iu8 v0, v169, v1, v0 neg_lo:[1,1,0]
	v_dot4_i32_iu8 v1, v171, v2, v125 neg_lo:[1,1,0]
	v_add_nc_u32_e32 v125, 0x2090, v120
	s_delay_alu instid0(VALU_DEP_3) | instskip(NEXT) | instid1(VALU_DEP_3)
	v_dot4_i32_iu8 v0, v170, v126, v0 neg_lo:[1,1,0]
	v_dot4_i32_iu8 v1, v172, v127, v1 neg_lo:[1,1,0]
	ds_load_2addr_b32 v[125:126], v125 offset1:1
	s_waitcnt lgkmcnt(2)
	v_dot4_i32_iu8 v130, v173, v2, v130 neg_lo:[1,1,0]
	v_dot4_i32_iu8 v185, v177, v3, v1 neg_lo:[1,1,0]
	s_waitcnt lgkmcnt(1)
	v_dot4_i32_iu8 v0, v175, v2, v0 neg_lo:[1,1,0]
	s_delay_alu instid0(VALU_DEP_1) | instskip(SKIP_3) | instid1(VALU_DEP_2)
	v_dot4_i32_iu8 v0, v176, v127, v0 neg_lo:[1,1,0]
	s_waitcnt lgkmcnt(0)
	v_dot4_i32_iu8 v129, v125, v2, v129 neg_lo:[1,1,0]
	v_dot4_i32_iu8 v2, v174, v127, v130 neg_lo:[1,1,0]
	;; [unrolled: 1-line block ×3, first 2 shown]
	v_add_nc_u32_e32 v127, 0x2098, v120
	ds_load_b128 v[129:132], v119 offset:1040
	ds_load_2addr_b32 v[179:180], v127 offset1:1
	s_waitcnt lgkmcnt(0)
	v_dot4_i32_iu8 v127, v179, v3, v1 neg_lo:[1,1,0]
	v_add_nc_u32_e32 v1, 0x4118, v120
	ds_load_2addr_b32 v[181:182], v1 offset1:1
	v_add_nc_u32_e32 v1, 0x6198, v120
	v_add_nc_u32_e32 v120, 32, v120
	ds_load_2addr_b32 v[183:184], v1 offset1:1
	s_waitcnt lgkmcnt(1)
	v_dot4_i32_iu8 v186, v181, v3, v2 neg_lo:[1,1,0]
	s_waitcnt lgkmcnt(0)
	v_dot4_i32_iu8 v187, v183, v3, v0 neg_lo:[1,1,0]
	ds_load_b128 v[0:3], v119 offset:1024
	s_waitcnt lgkmcnt(0)
	v_dot4_i32_iu8 v133, v0, v23, 0 neg_lo:[1,1,0]
	v_dot4_i32_iu8 v134, v0, v159, 0 neg_lo:[1,1,0]
	v_dot4_i32_iu8 v135, v0, v161, 0 neg_lo:[1,1,0]
	v_dot4_i32_iu8 v0, v0, v163, 0 neg_lo:[1,1,0]
	s_delay_alu instid0(VALU_DEP_4) | instskip(NEXT) | instid1(VALU_DEP_4)
	v_dot4_i32_iu8 v133, v129, v24, v133 neg_lo:[1,1,0]
	v_dot4_i32_iu8 v134, v129, v160, v134 neg_lo:[1,1,0]
	s_delay_alu instid0(VALU_DEP_4) | instskip(NEXT) | instid1(VALU_DEP_4)
	v_dot4_i32_iu8 v135, v129, v162, v135 neg_lo:[1,1,0]
	v_dot4_i32_iu8 v0, v129, v164, v0 neg_lo:[1,1,0]
	s_delay_alu instid0(VALU_DEP_4) | instskip(NEXT) | instid1(VALU_DEP_4)
	v_dot4_i32_iu8 v129, v1, v157, v133 neg_lo:[1,1,0]
	v_dot4_i32_iu8 v133, v1, v165, v134 neg_lo:[1,1,0]
	s_delay_alu instid0(VALU_DEP_4) | instskip(NEXT) | instid1(VALU_DEP_4)
	v_dot4_i32_iu8 v134, v1, v167, v135 neg_lo:[1,1,0]
	v_dot4_i32_iu8 v0, v1, v169, v0 neg_lo:[1,1,0]
	s_delay_alu instid0(VALU_DEP_4) | instskip(NEXT) | instid1(VALU_DEP_4)
	v_dot4_i32_iu8 v1, v130, v158, v129 neg_lo:[1,1,0]
	v_dot4_i32_iu8 v129, v130, v166, v133 neg_lo:[1,1,0]
	s_delay_alu instid0(VALU_DEP_4) | instskip(NEXT) | instid1(VALU_DEP_4)
	v_dot4_i32_iu8 v133, v130, v168, v134 neg_lo:[1,1,0]
	v_dot4_i32_iu8 v0, v130, v170, v0 neg_lo:[1,1,0]
	s_delay_alu instid0(VALU_DEP_4) | instskip(NEXT) | instid1(VALU_DEP_4)
	v_dot4_i32_iu8 v1, v2, v171, v1 neg_lo:[1,1,0]
	v_dot4_i32_iu8 v129, v2, v125, v129 neg_lo:[1,1,0]
	s_delay_alu instid0(VALU_DEP_4) | instskip(NEXT) | instid1(VALU_DEP_4)
	v_dot4_i32_iu8 v130, v2, v173, v133 neg_lo:[1,1,0]
	v_dot4_i32_iu8 v0, v2, v175, v0 neg_lo:[1,1,0]
	ds_load_b128 v[133:136], v119 offset:2064
	v_dot4_i32_iu8 v1, v131, v172, v1 neg_lo:[1,1,0]
	v_dot4_i32_iu8 v2, v131, v126, v129 neg_lo:[1,1,0]
	v_dot4_i32_iu8 v129, v131, v174, v130 neg_lo:[1,1,0]
	v_dot4_i32_iu8 v0, v131, v176, v0 neg_lo:[1,1,0]
	s_delay_alu instid0(VALU_DEP_4) | instskip(NEXT) | instid1(VALU_DEP_4)
	v_dot4_i32_iu8 v130, v3, v177, v1 neg_lo:[1,1,0]
	v_dot4_i32_iu8 v131, v3, v179, v2 neg_lo:[1,1,0]
	s_delay_alu instid0(VALU_DEP_4) | instskip(NEXT) | instid1(VALU_DEP_4)
	v_dot4_i32_iu8 v129, v3, v181, v129 neg_lo:[1,1,0]
	v_dot4_i32_iu8 v188, v3, v183, v0 neg_lo:[1,1,0]
	ds_load_b128 v[0:3], v119 offset:2048
	v_dot4_i32_iu8 v129, v132, v182, v129 neg_lo:[1,1,0]
	s_waitcnt lgkmcnt(0)
	v_dot4_i32_iu8 v137, v0, v23, 0 neg_lo:[1,1,0]
	v_dot4_i32_iu8 v138, v0, v159, 0 neg_lo:[1,1,0]
	v_dot4_i32_iu8 v139, v0, v161, 0 neg_lo:[1,1,0]
	v_dot4_i32_iu8 v0, v0, v163, 0 neg_lo:[1,1,0]
	s_delay_alu instid0(VALU_DEP_4) | instskip(NEXT) | instid1(VALU_DEP_4)
	v_dot4_i32_iu8 v137, v133, v24, v137 neg_lo:[1,1,0]
	v_dot4_i32_iu8 v138, v133, v160, v138 neg_lo:[1,1,0]
	s_delay_alu instid0(VALU_DEP_4) | instskip(NEXT) | instid1(VALU_DEP_4)
	v_dot4_i32_iu8 v139, v133, v162, v139 neg_lo:[1,1,0]
	v_dot4_i32_iu8 v0, v133, v164, v0 neg_lo:[1,1,0]
	s_delay_alu instid0(VALU_DEP_4) | instskip(NEXT) | instid1(VALU_DEP_4)
	v_dot4_i32_iu8 v133, v1, v157, v137 neg_lo:[1,1,0]
	v_dot4_i32_iu8 v137, v1, v165, v138 neg_lo:[1,1,0]
	s_delay_alu instid0(VALU_DEP_4) | instskip(NEXT) | instid1(VALU_DEP_4)
	v_dot4_i32_iu8 v138, v1, v167, v139 neg_lo:[1,1,0]
	v_dot4_i32_iu8 v0, v1, v169, v0 neg_lo:[1,1,0]
	s_delay_alu instid0(VALU_DEP_4) | instskip(NEXT) | instid1(VALU_DEP_4)
	v_dot4_i32_iu8 v1, v134, v158, v133 neg_lo:[1,1,0]
	v_dot4_i32_iu8 v133, v134, v166, v137 neg_lo:[1,1,0]
	s_delay_alu instid0(VALU_DEP_4) | instskip(NEXT) | instid1(VALU_DEP_4)
	v_dot4_i32_iu8 v137, v134, v168, v138 neg_lo:[1,1,0]
	v_dot4_i32_iu8 v0, v134, v170, v0 neg_lo:[1,1,0]
	s_delay_alu instid0(VALU_DEP_4) | instskip(NEXT) | instid1(VALU_DEP_4)
	v_dot4_i32_iu8 v1, v2, v171, v1 neg_lo:[1,1,0]
	v_dot4_i32_iu8 v133, v2, v125, v133 neg_lo:[1,1,0]
	s_delay_alu instid0(VALU_DEP_4) | instskip(NEXT) | instid1(VALU_DEP_4)
	v_dot4_i32_iu8 v134, v2, v173, v137 neg_lo:[1,1,0]
	v_dot4_i32_iu8 v0, v2, v175, v0 neg_lo:[1,1,0]
	ds_load_b128 v[137:140], v119 offset:3088
	v_dot4_i32_iu8 v1, v135, v172, v1 neg_lo:[1,1,0]
	v_dot4_i32_iu8 v2, v135, v126, v133 neg_lo:[1,1,0]
	v_dot4_i32_iu8 v133, v135, v174, v134 neg_lo:[1,1,0]
	v_dot4_i32_iu8 v0, v135, v176, v0 neg_lo:[1,1,0]
	s_delay_alu instid0(VALU_DEP_4) | instskip(NEXT) | instid1(VALU_DEP_4)
	v_dot4_i32_iu8 v134, v3, v177, v1 neg_lo:[1,1,0]
	v_dot4_i32_iu8 v135, v3, v179, v2 neg_lo:[1,1,0]
	s_delay_alu instid0(VALU_DEP_4) | instskip(NEXT) | instid1(VALU_DEP_4)
	v_dot4_i32_iu8 v133, v3, v181, v133 neg_lo:[1,1,0]
	v_dot4_i32_iu8 v189, v3, v183, v0 neg_lo:[1,1,0]
	ds_load_b128 v[0:3], v119 offset:3072
	v_dot4_i32_iu8 v133, v136, v182, v133 neg_lo:[1,1,0]
	;; [unrolled: 42-line block ×5, first 2 shown]
	s_waitcnt lgkmcnt(0)
	v_dot4_i32_iu8 v153, v0, v23, 0 neg_lo:[1,1,0]
	v_dot4_i32_iu8 v154, v0, v159, 0 neg_lo:[1,1,0]
	v_dot4_i32_iu8 v155, v0, v161, 0 neg_lo:[1,1,0]
	v_dot4_i32_iu8 v0, v0, v163, 0 neg_lo:[1,1,0]
	s_delay_alu instid0(VALU_DEP_4) | instskip(NEXT) | instid1(VALU_DEP_4)
	v_dot4_i32_iu8 v153, v149, v24, v153 neg_lo:[1,1,0]
	v_dot4_i32_iu8 v154, v149, v160, v154 neg_lo:[1,1,0]
	s_delay_alu instid0(VALU_DEP_4) | instskip(NEXT) | instid1(VALU_DEP_4)
	v_dot4_i32_iu8 v155, v149, v162, v155 neg_lo:[1,1,0]
	v_dot4_i32_iu8 v0, v149, v164, v0 neg_lo:[1,1,0]
	;; [unrolled: 3-line block ×8, first 2 shown]
	ds_load_b128 v[153:156], v119 offset:7184
	v_dot4_i32_iu8 v1, v151, v172, v1 neg_lo:[1,1,0]
	v_dot4_i32_iu8 v2, v151, v126, v149 neg_lo:[1,1,0]
	;; [unrolled: 1-line block ×4, first 2 shown]
	s_delay_alu instid0(VALU_DEP_4) | instskip(NEXT) | instid1(VALU_DEP_4)
	v_dot4_i32_iu8 v150, v3, v177, v1 neg_lo:[1,1,0]
	v_dot4_i32_iu8 v151, v3, v179, v2 neg_lo:[1,1,0]
	s_delay_alu instid0(VALU_DEP_4) | instskip(NEXT) | instid1(VALU_DEP_4)
	v_dot4_i32_iu8 v149, v3, v181, v149 neg_lo:[1,1,0]
	v_dot4_i32_iu8 v193, v3, v183, v0 neg_lo:[1,1,0]
	ds_load_b128 v[0:3], v119 offset:7168
	v_add_nc_u32_e32 v119, 32, v119
	v_dot4_i32_iu8 v149, v152, v182, v149 neg_lo:[1,1,0]
	s_waitcnt lgkmcnt(0)
	v_dot4_i32_iu8 v23, v0, v23, 0 neg_lo:[1,1,0]
	s_delay_alu instid0(VALU_DEP_1) | instskip(SKIP_3) | instid1(VALU_DEP_4)
	v_dot4_i32_iu8 v23, v153, v24, v23 neg_lo:[1,1,0]
	v_dot4_i32_iu8 v24, v0, v159, 0 neg_lo:[1,1,0]
	v_dot4_i32_iu8 v159, v0, v161, 0 neg_lo:[1,1,0]
	v_dot4_i32_iu8 v0, v0, v163, 0 neg_lo:[1,1,0]
	v_dot4_i32_iu8 v23, v1, v157, v23 neg_lo:[1,1,0]
	s_delay_alu instid0(VALU_DEP_4) | instskip(NEXT) | instid1(VALU_DEP_4)
	v_dot4_i32_iu8 v24, v153, v160, v24 neg_lo:[1,1,0]
	v_dot4_i32_iu8 v159, v153, v162, v159 neg_lo:[1,1,0]
	s_delay_alu instid0(VALU_DEP_4) | instskip(NEXT) | instid1(VALU_DEP_4)
	v_dot4_i32_iu8 v0, v153, v164, v0 neg_lo:[1,1,0]
	v_dot4_i32_iu8 v23, v154, v158, v23 neg_lo:[1,1,0]
	;; [unrolled: 3-line block ×7, first 2 shown]
	s_delay_alu instid0(VALU_DEP_4)
	v_dot4_i32_iu8 v0, v2, v175, v0 neg_lo:[1,1,0]
	v_dot4_i32_iu8 v125, v182, v128, v186 neg_lo:[1,1,0]
	;; [unrolled: 1-line block ×7, first 2 shown]
	s_delay_alu instid0(VALU_DEP_4) | instskip(NEXT) | instid1(VALU_DEP_4)
	v_dot4_i32_iu8 v2, v3, v179, v23 neg_lo:[1,1,0]
	v_dot4_i32_iu8 v23, v3, v181, v24 neg_lo:[1,1,0]
	s_delay_alu instid0(VALU_DEP_4)
	v_dot4_i32_iu8 v0, v3, v183, v0 neg_lo:[1,1,0]
	v_dot4_i32_iu8 v3, v178, v128, v185 neg_lo:[1,1,0]
	;; [unrolled: 1-line block ×25, first 2 shown]
	ds_load_b32 v153, v121
	ds_load_b32 v154, v122
	;; [unrolled: 1-line block ×4, first 2 shown]
	ds_load_2addr_b32 v[0:1], v118 offset1:32
	v_cvt_f32_i32_e32 v3, v3
	v_cvt_f32_i32_e32 v143, v143
	;; [unrolled: 1-line block ×10, first 2 shown]
	v_add_nc_u32_e32 v124, 4, v124
	v_add_nc_u32_e32 v123, 4, v123
	;; [unrolled: 1-line block ×4, first 2 shown]
	s_waitcnt lgkmcnt(0)
	v_pk_mul_f16 v157, v0, v153
	v_pk_mul_f16 v158, v0, v154
	;; [unrolled: 1-line block ×8, first 2 shown]
	ds_load_2addr_b32 v[0:1], v118 offset0:64 offset1:96
	v_fma_mix_f32 v3, v157, v3, v157 op_sel:[0,0,1] op_sel_hi:[1,0,1]
	v_fma_mix_f32 v127, v161, v127, v161 op_sel:[0,0,1] op_sel_hi:[1,0,1]
	s_delay_alu instid0(VALU_DEP_2)
	v_add_f32_e32 v39, v39, v3
	v_cvt_f32_i32_e32 v3, v24
	v_cvt_f32_i32_e32 v24, v125
	;; [unrolled: 1-line block ×3, first 2 shown]
	v_add_f32_e32 v69, v69, v127
	v_cvt_f32_i32_e32 v126, v128
	v_cvt_f32_i32_e32 v127, v129
	v_fma_mix_f32 v24, v159, v24, v159 op_sel:[0,0,1] op_sel_hi:[1,0,1]
	v_cvt_f32_i32_e32 v128, v130
	v_cvt_f32_i32_e32 v129, v132
	;; [unrolled: 1-line block ×6, first 2 shown]
	s_waitcnt lgkmcnt(0)
	v_pk_mul_f16 v165, v153, v0
	v_pk_mul_f16 v166, v154, v0
	;; [unrolled: 1-line block ×8, first 2 shown]
	ds_load_2addr_b32 v[0:1], v118 offset0:128 offset1:160
	v_fma_mix_f32 v131, v165, v131, v165 op_sel:[0,0,1] op_sel_hi:[1,0,1]
	v_fma_mix_f32 v135, v169, v135, v169 op_sel:[0,0,1] op_sel_hi:[1,0,1]
	v_cvt_f32_i32_e32 v137, v142
	v_cvt_f32_i32_e32 v141, v148
	;; [unrolled: 1-line block ×3, first 2 shown]
	v_add_f32_e32 v64, v64, v131
	v_cvt_f32_i32_e32 v131, v134
	v_add_f32_e32 v53, v53, v135
	v_cvt_f32_i32_e32 v134, v138
	v_cvt_f32_i32_e32 v135, v140
	v_cvt_f32_i32_e32 v138, v144
	v_cvt_f32_i32_e32 v140, v146
	v_fma_mix_f32 v3, v158, v3, v158 op_sel:[0,0,1] op_sel_hi:[1,0,1]
	v_fma_mix_f32 v125, v160, v125, v160 op_sel:[0,0,1] op_sel_hi:[1,0,1]
	;; [unrolled: 1-line block ×7, first 2 shown]
	s_waitcnt lgkmcnt(0)
	v_pk_mul_f16 v173, v153, v0
	v_pk_mul_f16 v174, v154, v0
	;; [unrolled: 1-line block ×8, first 2 shown]
	ds_load_2addr_b32 v[0:1], v118 offset0:192 offset1:224
	v_fma_mix_f32 v143, v177, v143, v177 op_sel:[0,0,1] op_sel_hi:[1,0,1]
	v_fma_mix_f32 v139, v173, v139, v173 op_sel:[0,0,1] op_sel_hi:[1,0,1]
	;; [unrolled: 1-line block ×5, first 2 shown]
	v_add_f32_e32 v38, v38, v143
	v_cvt_f32_i32_e32 v143, v150
	v_dual_add_f32 v43, v43, v139 :: v_dual_add_f32 v72, v72, v24
	v_cvt_f32_i32_e32 v139, v145
	v_fma_mix_f32 v134, v172, v134, v172 op_sel:[0,0,1] op_sel_hi:[1,0,1]
	v_fma_mix_f32 v135, v174, v135, v174 op_sel:[0,0,1] op_sel_hi:[1,0,1]
	;; [unrolled: 1-line block ×7, first 2 shown]
	v_dual_add_f32 v77, v77, v3 :: v_dual_add_f32 v48, v48, v132
	s_waitcnt lgkmcnt(0)
	v_pk_mul_f16 v181, v153, v0
	v_pk_mul_f16 v182, v154, v0
	v_pk_mul_f16 v183, v155, v0
	v_pk_mul_f16 v0, v156, v0
	v_pk_mul_f16 v153, v153, v1
	v_pk_mul_f16 v154, v154, v1
	v_pk_mul_f16 v155, v155, v1
	v_pk_mul_f16 v1, v156, v1
	v_fma_mix_f32 v0, v0, v143, v0 op_sel:[0,0,1] op_sel_hi:[1,0,1]
	v_cvt_f32_i32_e32 v143, v152
	v_fma_mix_f32 v147, v181, v147, v181 op_sel:[0,0,1] op_sel_hi:[1,0,1]
	v_fma_mix_f32 v151, v153, v151, v153 op_sel:[0,0,1] op_sel_hi:[1,0,1]
	;; [unrolled: 1-line block ×7, first 2 shown]
	v_add_f32_e32 v32, v32, v147
	v_add_f32_e32 v28, v28, v151
	v_dual_add_f32 v70, v70, v125 :: v_dual_add_f32 v67, v67, v126
	v_add_f32_e32 v42, v42, v135
	v_dual_add_f32 v66, v66, v127 :: v_dual_add_f32 v65, v65, v128
	;; [unrolled: 2-line block ×3, first 2 shown]
	v_dual_add_f32 v61, v61, v130 :: v_dual_add_f32 v26, v26, v23
	v_add_f32_e32 v58, v58, v131
	v_add_f32_e32 v46, v46, v133
	v_dual_add_f32 v44, v44, v134 :: v_dual_add_f32 v41, v41, v136
	v_add_f32_e32 v30, v30, v142
	v_add_f32_e32 v35, v35, v138
	;; [unrolled: 1-line block ×4, first 2 shown]
	v_dual_add_f32 v29, v29, v0 :: v_dual_add_nc_u32 v118, 4, v118
	v_add_f32_e32 v27, v27, v2
	v_add_f32_e32 v25, v25, v1
	s_cbranch_scc1 .LBB124_10
; %bb.11:                               ;   in Loop: Header=BB124_6 Depth=1
	s_barrier
	buffer_gl0_inv
	s_branch .LBB124_5
.LBB124_12:
	v_dual_mov_b32 v1, v36 :: v_dual_mov_b32 v0, v37
.LBB124_13:
	s_mov_b32 s0, exec_lo
	v_cmpx_gt_u32_e64 s6, v47
	s_cbranch_execz .LBB124_64
; %bb.14:
	s_delay_alu instid0(VALU_DEP_2) | instskip(SKIP_1) | instid1(VALU_DEP_2)
	v_add_nc_u32_e32 v0, s12, v0
	v_mul_lo_u32 v5, v47, s10
	v_cmp_gt_u32_e32 vcc_lo, s10, v0
	s_and_saveexec_b32 s1, vcc_lo
	s_cbranch_execz .LBB124_16
; %bb.15:
	s_delay_alu instid0(VALU_DEP_2) | instskip(NEXT) | instid1(VALU_DEP_1)
	v_dual_mov_b32 v3, 0 :: v_dual_add_nc_u32 v2, v0, v5
	v_lshlrev_b64 v[2:3], 2, v[2:3]
	s_waitcnt lgkmcnt(0)
	s_delay_alu instid0(VALU_DEP_1) | instskip(NEXT) | instid1(VALU_DEP_1)
	v_add_co_u32 v2, s0, s8, v2
	v_add_co_ci_u32_e64 v3, s0, s9, v3, s0
	global_store_b32 v[2:3], v39, off
.LBB124_16:
	s_or_b32 exec_lo, exec_lo, s1
	v_add_nc_u32_e32 v2, 32, v0
	s_delay_alu instid0(VALU_DEP_1) | instskip(NEXT) | instid1(VALU_DEP_1)
	v_cmp_gt_u32_e64 s0, s10, v2
	s_and_saveexec_b32 s2, s0
	s_cbranch_execz .LBB124_18
; %bb.17:
	v_dual_mov_b32 v4, 0 :: v_dual_add_nc_u32 v3, v2, v5
	s_delay_alu instid0(VALU_DEP_1) | instskip(SKIP_1) | instid1(VALU_DEP_1)
	v_lshlrev_b64 v[3:4], 2, v[3:4]
	s_waitcnt lgkmcnt(0)
	v_add_co_u32 v3, s1, s8, v3
	s_delay_alu instid0(VALU_DEP_1)
	v_add_co_ci_u32_e64 v4, s1, s9, v4, s1
	global_store_b32 v[3:4], v77, off
.LBB124_18:
	s_or_b32 exec_lo, exec_lo, s2
	v_add_nc_u32_e32 v3, 64, v0
	s_delay_alu instid0(VALU_DEP_1) | instskip(NEXT) | instid1(VALU_DEP_1)
	v_cmp_gt_u32_e64 s1, s10, v3
	s_and_saveexec_b32 s3, s1
	s_cbranch_execz .LBB124_20
; %bb.19:
	v_dual_mov_b32 v7, 0 :: v_dual_add_nc_u32 v6, v3, v5
	s_delay_alu instid0(VALU_DEP_1) | instskip(SKIP_1) | instid1(VALU_DEP_1)
	v_lshlrev_b64 v[6:7], 2, v[6:7]
	s_waitcnt lgkmcnt(0)
	v_add_co_u32 v6, s2, s8, v6
	s_delay_alu instid0(VALU_DEP_1)
	v_add_co_ci_u32_e64 v7, s2, s9, v7, s2
	global_store_b32 v[6:7], v72, off
.LBB124_20:
	;; [unrolled: 16-line block ×3, first 2 shown]
	s_or_b32 exec_lo, exec_lo, s4
	v_add3_u32 v5, v1, s11, 8
	s_delay_alu instid0(VALU_DEP_1) | instskip(NEXT) | instid1(VALU_DEP_1)
	v_cmp_gt_u32_e64 s3, s6, v5
	s_and_b32 exec_lo, exec_lo, s3
	s_cbranch_execz .LBB124_64
; %bb.23:
	v_mul_lo_u32 v5, v5, s10
	s_and_saveexec_b32 s4, vcc_lo
	s_cbranch_execnz .LBB124_65
; %bb.24:
	s_or_b32 exec_lo, exec_lo, s4
	s_and_saveexec_b32 s4, s0
	s_cbranch_execnz .LBB124_66
.LBB124_25:
	s_or_b32 exec_lo, exec_lo, s4
	s_and_saveexec_b32 s4, s1
	s_cbranch_execnz .LBB124_67
.LBB124_26:
	s_or_b32 exec_lo, exec_lo, s4
	s_and_saveexec_b32 s4, s2
	s_cbranch_execz .LBB124_28
.LBB124_27:
	v_dual_mov_b32 v6, 0 :: v_dual_add_nc_u32 v5, v5, v4
	s_delay_alu instid0(VALU_DEP_1) | instskip(SKIP_1) | instid1(VALU_DEP_1)
	v_lshlrev_b64 v[5:6], 2, v[5:6]
	s_waitcnt lgkmcnt(0)
	v_add_co_u32 v5, s3, s8, v5
	s_delay_alu instid0(VALU_DEP_1)
	v_add_co_ci_u32_e64 v6, s3, s9, v6, s3
	global_store_b32 v[5:6], v65, off
.LBB124_28:
	s_or_b32 exec_lo, exec_lo, s4
	v_add3_u32 v5, v1, s11, 16
	s_delay_alu instid0(VALU_DEP_1) | instskip(NEXT) | instid1(VALU_DEP_1)
	v_cmp_gt_u32_e64 s3, s6, v5
	s_and_b32 exec_lo, exec_lo, s3
	s_cbranch_execz .LBB124_64
; %bb.29:
	v_mul_lo_u32 v5, v5, s10
	s_and_saveexec_b32 s4, vcc_lo
	s_cbranch_execnz .LBB124_68
; %bb.30:
	s_or_b32 exec_lo, exec_lo, s4
	s_and_saveexec_b32 s4, s0
	s_cbranch_execnz .LBB124_69
.LBB124_31:
	s_or_b32 exec_lo, exec_lo, s4
	s_and_saveexec_b32 s4, s1
	s_cbranch_execnz .LBB124_70
.LBB124_32:
	s_or_b32 exec_lo, exec_lo, s4
	s_and_saveexec_b32 s4, s2
	s_cbranch_execz .LBB124_34
.LBB124_33:
	v_dual_mov_b32 v6, 0 :: v_dual_add_nc_u32 v5, v5, v4
	s_delay_alu instid0(VALU_DEP_1) | instskip(SKIP_1) | instid1(VALU_DEP_1)
	v_lshlrev_b64 v[5:6], 2, v[5:6]
	s_waitcnt lgkmcnt(0)
	v_add_co_u32 v5, s3, s8, v5
	s_delay_alu instid0(VALU_DEP_1)
	v_add_co_ci_u32_e64 v6, s3, s9, v6, s3
	global_store_b32 v[5:6], v58, off
.LBB124_34:
	s_or_b32 exec_lo, exec_lo, s4
	v_add3_u32 v5, v1, s11, 24
	s_delay_alu instid0(VALU_DEP_1) | instskip(NEXT) | instid1(VALU_DEP_1)
	v_cmp_gt_u32_e64 s3, s6, v5
	s_and_b32 exec_lo, exec_lo, s3
	s_cbranch_execz .LBB124_64
; %bb.35:
	v_mul_lo_u32 v5, v5, s10
	s_and_saveexec_b32 s4, vcc_lo
	s_cbranch_execnz .LBB124_71
; %bb.36:
	s_or_b32 exec_lo, exec_lo, s4
	s_and_saveexec_b32 s4, s0
	s_cbranch_execnz .LBB124_72
.LBB124_37:
	s_or_b32 exec_lo, exec_lo, s4
	s_and_saveexec_b32 s4, s1
	s_cbranch_execnz .LBB124_73
.LBB124_38:
	s_or_b32 exec_lo, exec_lo, s4
	s_and_saveexec_b32 s4, s2
	s_cbranch_execz .LBB124_40
.LBB124_39:
	v_dual_mov_b32 v6, 0 :: v_dual_add_nc_u32 v5, v5, v4
	s_delay_alu instid0(VALU_DEP_1) | instskip(SKIP_1) | instid1(VALU_DEP_1)
	v_lshlrev_b64 v[5:6], 2, v[5:6]
	s_waitcnt lgkmcnt(0)
	v_add_co_u32 v5, s3, s8, v5
	s_delay_alu instid0(VALU_DEP_1)
	v_add_co_ci_u32_e64 v6, s3, s9, v6, s3
	global_store_b32 v[5:6], v44, off
.LBB124_40:
	s_or_b32 exec_lo, exec_lo, s4
	v_add3_u32 v5, v1, s11, 32
	s_delay_alu instid0(VALU_DEP_1) | instskip(NEXT) | instid1(VALU_DEP_1)
	v_cmp_gt_u32_e64 s3, s6, v5
	s_and_b32 exec_lo, exec_lo, s3
	s_cbranch_execz .LBB124_64
; %bb.41:
	v_mul_lo_u32 v5, v5, s10
	s_and_saveexec_b32 s4, vcc_lo
	s_cbranch_execnz .LBB124_74
; %bb.42:
	s_or_b32 exec_lo, exec_lo, s4
	s_and_saveexec_b32 s4, s0
	s_cbranch_execnz .LBB124_75
.LBB124_43:
	s_or_b32 exec_lo, exec_lo, s4
	s_and_saveexec_b32 s4, s1
	s_cbranch_execnz .LBB124_76
.LBB124_44:
	s_or_b32 exec_lo, exec_lo, s4
	s_and_saveexec_b32 s4, s2
	s_cbranch_execz .LBB124_46
.LBB124_45:
	v_dual_mov_b32 v6, 0 :: v_dual_add_nc_u32 v5, v5, v4
	s_delay_alu instid0(VALU_DEP_1) | instskip(SKIP_1) | instid1(VALU_DEP_1)
	v_lshlrev_b64 v[5:6], 2, v[5:6]
	s_waitcnt lgkmcnt(0)
	v_add_co_u32 v5, s3, s8, v5
	s_delay_alu instid0(VALU_DEP_1)
	v_add_co_ci_u32_e64 v6, s3, s9, v6, s3
	global_store_b32 v[5:6], v40, off
.LBB124_46:
	s_or_b32 exec_lo, exec_lo, s4
	v_add3_u32 v5, v1, s11, 40
	s_delay_alu instid0(VALU_DEP_1) | instskip(NEXT) | instid1(VALU_DEP_1)
	v_cmp_gt_u32_e64 s3, s6, v5
	s_and_b32 exec_lo, exec_lo, s3
	s_cbranch_execz .LBB124_64
; %bb.47:
	v_mul_lo_u32 v5, v5, s10
	s_and_saveexec_b32 s4, vcc_lo
	s_cbranch_execnz .LBB124_77
; %bb.48:
	s_or_b32 exec_lo, exec_lo, s4
	s_and_saveexec_b32 s4, s0
	s_cbranch_execnz .LBB124_78
.LBB124_49:
	s_or_b32 exec_lo, exec_lo, s4
	s_and_saveexec_b32 s4, s1
	s_cbranch_execnz .LBB124_79
.LBB124_50:
	s_or_b32 exec_lo, exec_lo, s4
	s_and_saveexec_b32 s4, s2
	s_cbranch_execz .LBB124_52
.LBB124_51:
	v_dual_mov_b32 v6, 0 :: v_dual_add_nc_u32 v5, v5, v4
	s_delay_alu instid0(VALU_DEP_1) | instskip(SKIP_1) | instid1(VALU_DEP_1)
	v_lshlrev_b64 v[5:6], 2, v[5:6]
	s_waitcnt lgkmcnt(0)
	v_add_co_u32 v5, s3, s8, v5
	s_delay_alu instid0(VALU_DEP_1)
	v_add_co_ci_u32_e64 v6, s3, s9, v6, s3
	global_store_b32 v[5:6], v33, off
.LBB124_52:
	s_or_b32 exec_lo, exec_lo, s4
	v_add3_u32 v5, v1, s11, 48
	s_delay_alu instid0(VALU_DEP_1) | instskip(NEXT) | instid1(VALU_DEP_1)
	v_cmp_gt_u32_e64 s3, s6, v5
	s_and_b32 exec_lo, exec_lo, s3
	s_cbranch_execz .LBB124_64
; %bb.53:
	v_mul_lo_u32 v5, v5, s10
	s_and_saveexec_b32 s4, vcc_lo
	s_cbranch_execnz .LBB124_80
; %bb.54:
	s_or_b32 exec_lo, exec_lo, s4
	s_and_saveexec_b32 s4, s0
	s_cbranch_execnz .LBB124_81
.LBB124_55:
	s_or_b32 exec_lo, exec_lo, s4
	s_and_saveexec_b32 s4, s1
	s_cbranch_execnz .LBB124_82
.LBB124_56:
	s_or_b32 exec_lo, exec_lo, s4
	s_and_saveexec_b32 s4, s2
	s_cbranch_execz .LBB124_58
.LBB124_57:
	v_dual_mov_b32 v6, 0 :: v_dual_add_nc_u32 v5, v5, v4
	s_delay_alu instid0(VALU_DEP_1) | instskip(SKIP_1) | instid1(VALU_DEP_1)
	v_lshlrev_b64 v[5:6], 2, v[5:6]
	s_waitcnt lgkmcnt(0)
	v_add_co_u32 v5, s3, s8, v5
	s_delay_alu instid0(VALU_DEP_1)
	v_add_co_ci_u32_e64 v6, s3, s9, v6, s3
	global_store_b32 v[5:6], v29, off
.LBB124_58:
	s_or_b32 exec_lo, exec_lo, s4
	v_add3_u32 v1, v1, s11, 56
	s_delay_alu instid0(VALU_DEP_1) | instskip(NEXT) | instid1(VALU_DEP_1)
	v_cmp_gt_u32_e64 s3, s6, v1
	s_and_b32 exec_lo, exec_lo, s3
	s_cbranch_execz .LBB124_64
; %bb.59:
	v_mul_lo_u32 v1, v1, s10
	s_and_saveexec_b32 s3, vcc_lo
	s_cbranch_execnz .LBB124_83
; %bb.60:
	s_or_b32 exec_lo, exec_lo, s3
	s_and_saveexec_b32 s3, s0
	s_cbranch_execnz .LBB124_84
.LBB124_61:
	s_or_b32 exec_lo, exec_lo, s3
	s_and_saveexec_b32 s0, s1
	s_cbranch_execnz .LBB124_85
.LBB124_62:
	s_or_b32 exec_lo, exec_lo, s0
	s_delay_alu instid0(SALU_CYCLE_1)
	s_and_b32 exec_lo, exec_lo, s2
	s_cbranch_execz .LBB124_64
.LBB124_63:
	v_dual_mov_b32 v1, 0 :: v_dual_add_nc_u32 v0, v1, v4
	s_delay_alu instid0(VALU_DEP_1) | instskip(SKIP_1) | instid1(VALU_DEP_1)
	v_lshlrev_b64 v[0:1], 2, v[0:1]
	s_waitcnt lgkmcnt(0)
	v_add_co_u32 v0, vcc_lo, s8, v0
	s_delay_alu instid0(VALU_DEP_2)
	v_add_co_ci_u32_e32 v1, vcc_lo, s9, v1, vcc_lo
	global_store_b32 v[0:1], v25, off
.LBB124_64:
	s_nop 0
	s_sendmsg sendmsg(MSG_DEALLOC_VGPRS)
	s_endpgm
.LBB124_65:
	s_delay_alu instid0(VALU_DEP_1) | instskip(NEXT) | instid1(VALU_DEP_1)
	v_dual_mov_b32 v7, 0 :: v_dual_add_nc_u32 v6, v5, v0
	v_lshlrev_b64 v[6:7], 2, v[6:7]
	s_waitcnt lgkmcnt(0)
	s_delay_alu instid0(VALU_DEP_1) | instskip(NEXT) | instid1(VALU_DEP_1)
	v_add_co_u32 v6, s3, s8, v6
	v_add_co_ci_u32_e64 v7, s3, s9, v7, s3
	global_store_b32 v[6:7], v69, off
	s_or_b32 exec_lo, exec_lo, s4
	s_and_saveexec_b32 s4, s0
	s_cbranch_execz .LBB124_25
.LBB124_66:
	s_delay_alu instid0(VALU_DEP_1) | instskip(NEXT) | instid1(VALU_DEP_1)
	v_dual_mov_b32 v7, 0 :: v_dual_add_nc_u32 v6, v5, v2
	v_lshlrev_b64 v[6:7], 2, v[6:7]
	s_waitcnt lgkmcnt(0)
	s_delay_alu instid0(VALU_DEP_1) | instskip(NEXT) | instid1(VALU_DEP_1)
	v_add_co_u32 v6, s3, s8, v6
	v_add_co_ci_u32_e64 v7, s3, s9, v7, s3
	global_store_b32 v[6:7], v67, off
	s_or_b32 exec_lo, exec_lo, s4
	s_and_saveexec_b32 s4, s1
	s_cbranch_execz .LBB124_26
.LBB124_67:
	v_dual_mov_b32 v7, 0 :: v_dual_add_nc_u32 v6, v5, v3
	s_delay_alu instid0(VALU_DEP_1) | instskip(SKIP_1) | instid1(VALU_DEP_1)
	v_lshlrev_b64 v[6:7], 2, v[6:7]
	s_waitcnt lgkmcnt(0)
	v_add_co_u32 v6, s3, s8, v6
	s_delay_alu instid0(VALU_DEP_1)
	v_add_co_ci_u32_e64 v7, s3, s9, v7, s3
	global_store_b32 v[6:7], v66, off
	s_or_b32 exec_lo, exec_lo, s4
	s_and_saveexec_b32 s4, s2
	s_cbranch_execnz .LBB124_27
	s_branch .LBB124_28
.LBB124_68:
	s_delay_alu instid0(VALU_DEP_1) | instskip(NEXT) | instid1(VALU_DEP_1)
	v_dual_mov_b32 v7, 0 :: v_dual_add_nc_u32 v6, v5, v0
	v_lshlrev_b64 v[6:7], 2, v[6:7]
	s_waitcnt lgkmcnt(0)
	s_delay_alu instid0(VALU_DEP_1) | instskip(NEXT) | instid1(VALU_DEP_1)
	v_add_co_u32 v6, s3, s8, v6
	v_add_co_ci_u32_e64 v7, s3, s9, v7, s3
	global_store_b32 v[6:7], v64, off
	s_or_b32 exec_lo, exec_lo, s4
	s_and_saveexec_b32 s4, s0
	s_cbranch_execz .LBB124_31
.LBB124_69:
	s_delay_alu instid0(VALU_DEP_1) | instskip(NEXT) | instid1(VALU_DEP_1)
	v_dual_mov_b32 v7, 0 :: v_dual_add_nc_u32 v6, v5, v2
	v_lshlrev_b64 v[6:7], 2, v[6:7]
	s_waitcnt lgkmcnt(0)
	s_delay_alu instid0(VALU_DEP_1) | instskip(NEXT) | instid1(VALU_DEP_1)
	v_add_co_u32 v6, s3, s8, v6
	v_add_co_ci_u32_e64 v7, s3, s9, v7, s3
	global_store_b32 v[6:7], v63, off
	s_or_b32 exec_lo, exec_lo, s4
	s_and_saveexec_b32 s4, s1
	s_cbranch_execz .LBB124_32
.LBB124_70:
	v_dual_mov_b32 v7, 0 :: v_dual_add_nc_u32 v6, v5, v3
	s_delay_alu instid0(VALU_DEP_1) | instskip(SKIP_1) | instid1(VALU_DEP_1)
	v_lshlrev_b64 v[6:7], 2, v[6:7]
	s_waitcnt lgkmcnt(0)
	v_add_co_u32 v6, s3, s8, v6
	s_delay_alu instid0(VALU_DEP_1)
	v_add_co_ci_u32_e64 v7, s3, s9, v7, s3
	global_store_b32 v[6:7], v61, off
	s_or_b32 exec_lo, exec_lo, s4
	s_and_saveexec_b32 s4, s2
	s_cbranch_execnz .LBB124_33
	s_branch .LBB124_34
.LBB124_71:
	s_delay_alu instid0(VALU_DEP_1) | instskip(NEXT) | instid1(VALU_DEP_1)
	v_dual_mov_b32 v7, 0 :: v_dual_add_nc_u32 v6, v5, v0
	v_lshlrev_b64 v[6:7], 2, v[6:7]
	s_waitcnt lgkmcnt(0)
	s_delay_alu instid0(VALU_DEP_1) | instskip(NEXT) | instid1(VALU_DEP_1)
	v_add_co_u32 v6, s3, s8, v6
	v_add_co_ci_u32_e64 v7, s3, s9, v7, s3
	global_store_b32 v[6:7], v53, off
	s_or_b32 exec_lo, exec_lo, s4
	s_and_saveexec_b32 s4, s0
	s_cbranch_execz .LBB124_37
.LBB124_72:
	s_delay_alu instid0(VALU_DEP_1) | instskip(NEXT) | instid1(VALU_DEP_1)
	v_dual_mov_b32 v7, 0 :: v_dual_add_nc_u32 v6, v5, v2
	v_lshlrev_b64 v[6:7], 2, v[6:7]
	s_waitcnt lgkmcnt(0)
	s_delay_alu instid0(VALU_DEP_1) | instskip(NEXT) | instid1(VALU_DEP_1)
	v_add_co_u32 v6, s3, s8, v6
	v_add_co_ci_u32_e64 v7, s3, s9, v7, s3
	global_store_b32 v[6:7], v48, off
	s_or_b32 exec_lo, exec_lo, s4
	s_and_saveexec_b32 s4, s1
	s_cbranch_execz .LBB124_38
.LBB124_73:
	v_dual_mov_b32 v7, 0 :: v_dual_add_nc_u32 v6, v5, v3
	s_delay_alu instid0(VALU_DEP_1) | instskip(SKIP_1) | instid1(VALU_DEP_1)
	v_lshlrev_b64 v[6:7], 2, v[6:7]
	s_waitcnt lgkmcnt(0)
	v_add_co_u32 v6, s3, s8, v6
	s_delay_alu instid0(VALU_DEP_1)
	v_add_co_ci_u32_e64 v7, s3, s9, v7, s3
	global_store_b32 v[6:7], v46, off
	s_or_b32 exec_lo, exec_lo, s4
	s_and_saveexec_b32 s4, s2
	s_cbranch_execnz .LBB124_39
	s_branch .LBB124_40
.LBB124_74:
	s_delay_alu instid0(VALU_DEP_1) | instskip(NEXT) | instid1(VALU_DEP_1)
	v_dual_mov_b32 v7, 0 :: v_dual_add_nc_u32 v6, v5, v0
	v_lshlrev_b64 v[6:7], 2, v[6:7]
	s_waitcnt lgkmcnt(0)
	s_delay_alu instid0(VALU_DEP_1) | instskip(NEXT) | instid1(VALU_DEP_1)
	v_add_co_u32 v6, s3, s8, v6
	v_add_co_ci_u32_e64 v7, s3, s9, v7, s3
	global_store_b32 v[6:7], v43, off
	s_or_b32 exec_lo, exec_lo, s4
	s_and_saveexec_b32 s4, s0
	s_cbranch_execz .LBB124_43
.LBB124_75:
	s_delay_alu instid0(VALU_DEP_1) | instskip(NEXT) | instid1(VALU_DEP_1)
	v_dual_mov_b32 v7, 0 :: v_dual_add_nc_u32 v6, v5, v2
	v_lshlrev_b64 v[6:7], 2, v[6:7]
	s_waitcnt lgkmcnt(0)
	s_delay_alu instid0(VALU_DEP_1) | instskip(NEXT) | instid1(VALU_DEP_1)
	v_add_co_u32 v6, s3, s8, v6
	v_add_co_ci_u32_e64 v7, s3, s9, v7, s3
	global_store_b32 v[6:7], v42, off
	s_or_b32 exec_lo, exec_lo, s4
	s_and_saveexec_b32 s4, s1
	s_cbranch_execz .LBB124_44
.LBB124_76:
	v_dual_mov_b32 v7, 0 :: v_dual_add_nc_u32 v6, v5, v3
	s_delay_alu instid0(VALU_DEP_1) | instskip(SKIP_1) | instid1(VALU_DEP_1)
	v_lshlrev_b64 v[6:7], 2, v[6:7]
	s_waitcnt lgkmcnt(0)
	v_add_co_u32 v6, s3, s8, v6
	s_delay_alu instid0(VALU_DEP_1)
	v_add_co_ci_u32_e64 v7, s3, s9, v7, s3
	global_store_b32 v[6:7], v41, off
	s_or_b32 exec_lo, exec_lo, s4
	s_and_saveexec_b32 s4, s2
	s_cbranch_execnz .LBB124_45
	s_branch .LBB124_46
.LBB124_77:
	s_delay_alu instid0(VALU_DEP_1) | instskip(NEXT) | instid1(VALU_DEP_1)
	v_dual_mov_b32 v7, 0 :: v_dual_add_nc_u32 v6, v5, v0
	v_lshlrev_b64 v[6:7], 2, v[6:7]
	s_waitcnt lgkmcnt(0)
	s_delay_alu instid0(VALU_DEP_1) | instskip(NEXT) | instid1(VALU_DEP_1)
	v_add_co_u32 v6, s3, s8, v6
	v_add_co_ci_u32_e64 v7, s3, s9, v7, s3
	global_store_b32 v[6:7], v38, off
	s_or_b32 exec_lo, exec_lo, s4
	s_and_saveexec_b32 s4, s0
	s_cbranch_execz .LBB124_49
.LBB124_78:
	s_delay_alu instid0(VALU_DEP_1) | instskip(NEXT) | instid1(VALU_DEP_1)
	v_dual_mov_b32 v7, 0 :: v_dual_add_nc_u32 v6, v5, v2
	v_lshlrev_b64 v[6:7], 2, v[6:7]
	s_waitcnt lgkmcnt(0)
	s_delay_alu instid0(VALU_DEP_1) | instskip(NEXT) | instid1(VALU_DEP_1)
	v_add_co_u32 v6, s3, s8, v6
	v_add_co_ci_u32_e64 v7, s3, s9, v7, s3
	global_store_b32 v[6:7], v35, off
	s_or_b32 exec_lo, exec_lo, s4
	s_and_saveexec_b32 s4, s1
	s_cbranch_execz .LBB124_50
.LBB124_79:
	v_dual_mov_b32 v7, 0 :: v_dual_add_nc_u32 v6, v5, v3
	s_delay_alu instid0(VALU_DEP_1) | instskip(SKIP_1) | instid1(VALU_DEP_1)
	v_lshlrev_b64 v[6:7], 2, v[6:7]
	s_waitcnt lgkmcnt(0)
	v_add_co_u32 v6, s3, s8, v6
	s_delay_alu instid0(VALU_DEP_1)
	v_add_co_ci_u32_e64 v7, s3, s9, v7, s3
	global_store_b32 v[6:7], v34, off
	s_or_b32 exec_lo, exec_lo, s4
	s_and_saveexec_b32 s4, s2
	s_cbranch_execnz .LBB124_51
	s_branch .LBB124_52
.LBB124_80:
	s_delay_alu instid0(VALU_DEP_1) | instskip(NEXT) | instid1(VALU_DEP_1)
	v_dual_mov_b32 v7, 0 :: v_dual_add_nc_u32 v6, v5, v0
	v_lshlrev_b64 v[6:7], 2, v[6:7]
	s_waitcnt lgkmcnt(0)
	s_delay_alu instid0(VALU_DEP_1) | instskip(NEXT) | instid1(VALU_DEP_1)
	v_add_co_u32 v6, s3, s8, v6
	v_add_co_ci_u32_e64 v7, s3, s9, v7, s3
	global_store_b32 v[6:7], v32, off
	s_or_b32 exec_lo, exec_lo, s4
	s_and_saveexec_b32 s4, s0
	s_cbranch_execz .LBB124_55
.LBB124_81:
	s_delay_alu instid0(VALU_DEP_1) | instskip(NEXT) | instid1(VALU_DEP_1)
	v_dual_mov_b32 v7, 0 :: v_dual_add_nc_u32 v6, v5, v2
	v_lshlrev_b64 v[6:7], 2, v[6:7]
	s_waitcnt lgkmcnt(0)
	s_delay_alu instid0(VALU_DEP_1) | instskip(NEXT) | instid1(VALU_DEP_1)
	v_add_co_u32 v6, s3, s8, v6
	v_add_co_ci_u32_e64 v7, s3, s9, v7, s3
	global_store_b32 v[6:7], v31, off
	s_or_b32 exec_lo, exec_lo, s4
	s_and_saveexec_b32 s4, s1
	s_cbranch_execz .LBB124_56
.LBB124_82:
	v_dual_mov_b32 v7, 0 :: v_dual_add_nc_u32 v6, v5, v3
	s_delay_alu instid0(VALU_DEP_1) | instskip(SKIP_1) | instid1(VALU_DEP_1)
	v_lshlrev_b64 v[6:7], 2, v[6:7]
	s_waitcnt lgkmcnt(0)
	v_add_co_u32 v6, s3, s8, v6
	s_delay_alu instid0(VALU_DEP_1)
	v_add_co_ci_u32_e64 v7, s3, s9, v7, s3
	global_store_b32 v[6:7], v30, off
	s_or_b32 exec_lo, exec_lo, s4
	s_and_saveexec_b32 s4, s2
	s_cbranch_execnz .LBB124_57
	s_branch .LBB124_58
.LBB124_83:
	s_delay_alu instid0(VALU_DEP_1) | instskip(NEXT) | instid1(VALU_DEP_1)
	v_dual_mov_b32 v6, 0 :: v_dual_add_nc_u32 v5, v1, v0
	v_lshlrev_b64 v[5:6], 2, v[5:6]
	s_waitcnt lgkmcnt(0)
	s_delay_alu instid0(VALU_DEP_1) | instskip(NEXT) | instid1(VALU_DEP_2)
	v_add_co_u32 v5, vcc_lo, s8, v5
	v_add_co_ci_u32_e32 v6, vcc_lo, s9, v6, vcc_lo
	global_store_b32 v[5:6], v28, off
	s_or_b32 exec_lo, exec_lo, s3
	s_and_saveexec_b32 s3, s0
	s_cbranch_execz .LBB124_61
.LBB124_84:
	s_delay_alu instid0(VALU_DEP_1) | instskip(NEXT) | instid1(VALU_DEP_1)
	v_dual_mov_b32 v6, 0 :: v_dual_add_nc_u32 v5, v1, v2
	v_lshlrev_b64 v[5:6], 2, v[5:6]
	s_waitcnt lgkmcnt(0)
	s_delay_alu instid0(VALU_DEP_1) | instskip(NEXT) | instid1(VALU_DEP_2)
	v_add_co_u32 v5, vcc_lo, s8, v5
	v_add_co_ci_u32_e32 v6, vcc_lo, s9, v6, vcc_lo
	global_store_b32 v[5:6], v27, off
	s_or_b32 exec_lo, exec_lo, s3
	s_and_saveexec_b32 s0, s1
	s_cbranch_execz .LBB124_62
.LBB124_85:
	v_dual_mov_b32 v3, 0 :: v_dual_add_nc_u32 v2, v1, v3
	s_delay_alu instid0(VALU_DEP_1) | instskip(SKIP_1) | instid1(VALU_DEP_1)
	v_lshlrev_b64 v[2:3], 2, v[2:3]
	s_waitcnt lgkmcnt(0)
	v_add_co_u32 v2, vcc_lo, s8, v2
	s_delay_alu instid0(VALU_DEP_2) | instskip(SKIP_2) | instid1(SALU_CYCLE_1)
	v_add_co_ci_u32_e32 v3, vcc_lo, s9, v3, vcc_lo
	global_store_b32 v[2:3], v26, off
	s_or_b32 exec_lo, exec_lo, s0
	s_and_b32 exec_lo, exec_lo, s2
	s_cbranch_execnz .LBB124_63
	s_branch .LBB124_64
	.section	.rodata,"a",@progbits
	.p2align	6, 0x0
	.amdhsa_kernel _ZL12mul_mat_q5_1IfLb1EEvPKvS1_PT_iiiii
		.amdhsa_group_segment_fixed_size 46720
		.amdhsa_private_segment_fixed_size 0
		.amdhsa_kernarg_size 44
		.amdhsa_user_sgpr_count 14
		.amdhsa_user_sgpr_dispatch_ptr 0
		.amdhsa_user_sgpr_queue_ptr 0
		.amdhsa_user_sgpr_kernarg_segment_ptr 1
		.amdhsa_user_sgpr_dispatch_id 0
		.amdhsa_user_sgpr_private_segment_size 0
		.amdhsa_wavefront_size32 1
		.amdhsa_uses_dynamic_stack 0
		.amdhsa_enable_private_segment 0
		.amdhsa_system_sgpr_workgroup_id_x 1
		.amdhsa_system_sgpr_workgroup_id_y 1
		.amdhsa_system_sgpr_workgroup_id_z 0
		.amdhsa_system_sgpr_workgroup_info 0
		.amdhsa_system_vgpr_workitem_id 1
		.amdhsa_next_free_vgpr 221
		.amdhsa_next_free_sgpr 16
		.amdhsa_reserve_vcc 1
		.amdhsa_float_round_mode_32 0
		.amdhsa_float_round_mode_16_64 0
		.amdhsa_float_denorm_mode_32 3
		.amdhsa_float_denorm_mode_16_64 3
		.amdhsa_dx10_clamp 1
		.amdhsa_ieee_mode 1
		.amdhsa_fp16_overflow 0
		.amdhsa_workgroup_processor_mode 1
		.amdhsa_memory_ordered 1
		.amdhsa_forward_progress 0
		.amdhsa_shared_vgpr_count 0
		.amdhsa_exception_fp_ieee_invalid_op 0
		.amdhsa_exception_fp_denorm_src 0
		.amdhsa_exception_fp_ieee_div_zero 0
		.amdhsa_exception_fp_ieee_overflow 0
		.amdhsa_exception_fp_ieee_underflow 0
		.amdhsa_exception_fp_ieee_inexact 0
		.amdhsa_exception_int_div_zero 0
	.end_amdhsa_kernel
	.section	.text._ZL12mul_mat_q5_1IfLb1EEvPKvS1_PT_iiiii,"axG",@progbits,_ZL12mul_mat_q5_1IfLb1EEvPKvS1_PT_iiiii,comdat
.Lfunc_end124:
	.size	_ZL12mul_mat_q5_1IfLb1EEvPKvS1_PT_iiiii, .Lfunc_end124-_ZL12mul_mat_q5_1IfLb1EEvPKvS1_PT_iiiii
                                        ; -- End function
	.section	.AMDGPU.csdata,"",@progbits
; Kernel info:
; codeLenInByte = 15888
; NumSgprs: 18
; NumVgprs: 221
; ScratchSize: 0
; MemoryBound: 0
; FloatMode: 240
; IeeeMode: 1
; LDSByteSize: 46720 bytes/workgroup (compile time only)
; SGPRBlocks: 2
; VGPRBlocks: 27
; NumSGPRsForWavesPerEU: 18
; NumVGPRsForWavesPerEU: 221
; Occupancy: 4
; WaveLimiterHint : 0
; COMPUTE_PGM_RSRC2:SCRATCH_EN: 0
; COMPUTE_PGM_RSRC2:USER_SGPR: 14
; COMPUTE_PGM_RSRC2:TRAP_HANDLER: 0
; COMPUTE_PGM_RSRC2:TGID_X_EN: 1
; COMPUTE_PGM_RSRC2:TGID_Y_EN: 1
; COMPUTE_PGM_RSRC2:TGID_Z_EN: 0
; COMPUTE_PGM_RSRC2:TIDIG_COMP_CNT: 1
	.section	.text._ZL12mul_mat_q8_0IfLb0EEvPKvS1_PT_iiiii,"axG",@progbits,_ZL12mul_mat_q8_0IfLb0EEvPKvS1_PT_iiiii,comdat
	.globl	_ZL12mul_mat_q8_0IfLb0EEvPKvS1_PT_iiiii ; -- Begin function _ZL12mul_mat_q8_0IfLb0EEvPKvS1_PT_iiiii
	.p2align	8
	.type	_ZL12mul_mat_q8_0IfLb0EEvPKvS1_PT_iiiii,@function
_ZL12mul_mat_q8_0IfLb0EEvPKvS1_PT_iiiii: ; @_ZL12mul_mat_q8_0IfLb0EEvPKvS1_PT_iiiii
; %bb.0:
	s_clause 0x1
	s_load_b32 s11, s[0:1], 0x18
	s_load_b128 s[4:7], s[0:1], 0x20
	v_bfe_u32 v53, v0, 10, 10
	v_and_b32_e32 v54, 0x3ff, v0
	s_waitcnt lgkmcnt(0)
	s_lshl_b32 s7, s15, 6
	s_cmp_gt_i32 s11, 31
	s_cbranch_scc1 .LBB125_2
; %bb.1:
	v_bfe_u32 v1, v0, 10, 10
	v_and_b32_e32 v0, 0x3ff, v0
	s_mov_b32 s2, 0
	s_mov_b32 s3, 0
	s_delay_alu instid0(VALU_DEP_2)
	v_add_nc_u32_e32 v58, s7, v1
	s_branch .LBB125_3
.LBB125_2:
	s_mov_b32 s2, -1
                                        ; implicit-def: $sgpr3
                                        ; implicit-def: $vgpr1
                                        ; implicit-def: $vgpr0
                                        ; implicit-def: $vgpr58
.LBB125_3:
	s_load_b64 s[8:9], s[0:1], 0x10
	v_dual_mov_b32 v36, s3 :: v_dual_mov_b32 v59, s3
	v_dual_mov_b32 v40, s3 :: v_dual_mov_b32 v63, s3
	;; [unrolled: 1-line block ×16, first 2 shown]
	s_and_not1_b32 vcc_lo, exec_lo, s2
	s_lshl_b32 s10, s14, 7
	s_cbranch_vccnz .LBB125_9
; %bb.4:
	s_load_b128 s[0:3], s[0:1], 0x0
	s_ashr_i32 s12, s11, 31
	v_dual_mov_b32 v67, 0 :: v_dual_add_nc_u32 v58, s7, v53
	s_ashr_i32 s13, s5, 31
	s_lshr_b32 s12, s12, 27
	s_lshr_b32 s13, s13, 27
	s_add_i32 s11, s11, s12
	v_dual_mov_b32 v57, 0 :: v_dual_add_nc_u32 v0, 8, v58
	s_add_i32 s12, s5, s13
	s_ashr_i32 s5, s11, 5
	v_dual_mov_b32 v64, 0 :: v_dual_add_nc_u32 v5, 16, v58
	s_mul_i32 s11, s5, s10
	v_dual_mov_b32 v62, 0 :: v_dual_add_nc_u32 v9, 24, v58
	v_dual_mov_b32 v70, 0 :: v_dual_add_nc_u32 v11, 32, v58
	s_mul_hi_i32 s13, s11, 34
	s_mul_i32 s11, s11, 34
	v_cvt_f64_u32_e32 v[3:4], v0
	v_dual_mov_b32 v51, 0 :: v_dual_add_nc_u32 v0, 40, v58
	v_dual_mov_b32 v66, 0 :: v_dual_add_nc_u32 v15, 48, v58
	;; [unrolled: 1-line block ×3, first 2 shown]
	s_ashr_i32 s12, s12, 5
	s_waitcnt lgkmcnt(0)
	s_add_u32 s0, s0, s11
	s_addc_u32 s1, s1, s13
	s_add_i32 s11, s4, -1
	v_cvt_f64_u32_e32 v[1:2], v58
	v_cvt_f64_u32_e32 v[5:6], v5
	v_cvt_f64_i32_e32 v[7:8], s11
	v_cvt_f64_u32_e32 v[9:10], v9
	v_cvt_f64_u32_e32 v[11:12], v11
	;; [unrolled: 1-line block ×5, first 2 shown]
	v_mul_lo_u32 v72, s5, v53
	s_lshl_b32 s13, s5, 3
	v_dual_mov_b32 v42, 0 :: v_dual_mov_b32 v55, 0
	v_mov_b32_e32 v52, 0
	v_dual_mov_b32 v48, 0 :: v_dual_mov_b32 v37, 0
	v_dual_mov_b32 v50, 0 :: v_dual_lshlrev_b32 v19, 2, v54
	v_add_nc_u32_e32 v73, s13, v72
	v_dual_mov_b32 v43, 0 :: v_dual_lshlrev_b32 v20, 3, v53
	v_lshrrev_b32_e32 v21, 2, v54
	v_dual_mov_b32 v38, 0 :: v_dual_add_nc_u32 v25, 64, v54
	s_delay_alu instid0(VALU_DEP_4) | instskip(SKIP_2) | instid1(VALU_DEP_3)
	v_add_nc_u32_e32 v76, s13, v73
	v_dual_mov_b32 v69, 0 :: v_dual_add_nc_u32 v26, 0x60, v54
	v_dual_mov_b32 v65, 0 :: v_dual_and_b32 v74, 28, v19
	v_add_nc_u32_e32 v77, s13, v76
	v_mad_u32_u24 v75, 0x84, v53, v19
	v_dual_mov_b32 v60, 0 :: v_dual_add_nc_u32 v19, v21, v20
	v_add_nc_u16 v20, v21, v20
	s_delay_alu instid0(VALU_DEP_4) | instskip(SKIP_1) | instid1(VALU_DEP_4)
	v_add_nc_u32_e32 v79, s13, v77
	v_dual_mov_b32 v47, 0 :: v_dual_and_b32 v0, 3, v54
	v_mul_lo_u32 v97, s5, v19
	s_delay_alu instid0(VALU_DEP_4) | instskip(NEXT) | instid1(VALU_DEP_4)
	v_lshrrev_b16 v20, 1, v20
	v_add_nc_u32_e32 v84, s13, v79
	s_delay_alu instid0(VALU_DEP_4)
	v_dual_mov_b32 v68, 0 :: v_dual_lshlrev_b32 v21, 2, v0
	v_min_f64 v[1:2], v[1:2], v[7:8]
	v_min_f64 v[3:4], v[3:4], v[7:8]
	;; [unrolled: 1-line block ×8, first 2 shown]
	v_add_nc_u32_e32 v89, s13, v84
	v_lshrrev_b32_e32 v17, 1, v26
	v_lshrrev_b32_e32 v18, 1, v25
	v_lshlrev_b32_e32 v25, 4, v19
	v_add_nc_u32_e32 v26, 64, v19
	v_add_nc_u32_e32 v94, s13, v89
	v_and_b32_e32 v19, 63, v19
	v_dual_mov_b32 v61, 0 :: v_dual_add_nc_u32 v24, 32, v54
	v_lshrrev_b32_e32 v71, 3, v54
	s_delay_alu instid0(VALU_DEP_4) | instskip(SKIP_2) | instid1(VALU_DEP_3)
	v_add_nc_u32_e32 v98, s13, v94
	v_dual_mov_b32 v39, 0 :: v_dual_and_b32 v22, 31, v54
	v_dual_mov_b32 v46, 0 :: v_dual_lshlrev_b32 v23, 7, v53
	v_add_nc_u32_e32 v100, s13, v98
	v_lshrrev_b32_e32 v24, 1, v24
	v_dual_mov_b32 v49, 0 :: v_dual_add_nc_u32 v78, 0x420, v75
	s_delay_alu instid0(VALU_DEP_4) | instskip(NEXT) | instid1(VALU_DEP_4)
	v_lshl_or_b32 v22, v22, 2, v23
	v_add_nc_u32_e32 v104, s13, v100
	v_dual_mov_b32 v45, 0 :: v_dual_add_nc_u32 v80, 0x840, v75
	v_dual_mov_b32 v44, 0 :: v_dual_add_nc_u32 v81, 0xc60, v75
	s_delay_alu instid0(VALU_DEP_3)
	v_add_nc_u32_e32 v109, s13, v104
	v_dual_mov_b32 v41, 0 :: v_dual_add_nc_u32 v82, 0x1080, v75
	v_dual_mov_b32 v40, 0 :: v_dual_add_nc_u32 v83, 0x14a0, v75
	v_cvt_i32_f64_e32 v27, v[1:2]
	v_cvt_i32_f64_e32 v28, v[3:4]
	;; [unrolled: 1-line block ×8, first 2 shown]
	v_and_b32_e32 v1, 0x7fc, v20
	v_or_b32_e32 v3, s7, v19
	v_lshrrev_b32_e32 v2, 1, v26
	v_add_nc_u32_e32 v110, s13, v109
	v_lshl_or_b32 v4, v19, 4, v21
	v_add3_u32 v12, v1, v21, 0x6200
	v_add_co_u32 v1, s14, s2, v74
	v_min_i32_e32 v14, s11, v3
	v_and_b32_e32 v13, 0xffc, v2
	v_add_nc_u32_e32 v112, s13, v110
	v_add_nc_u32_e32 v114, 0x6a40, v4
	v_lshlrev_b32_e32 v8, 4, v26
	v_mad_u64_u32 v[3:4], null, v14, s12, v[0:1]
	s_delay_alu instid0(VALU_DEP_4)
	v_add_nc_u32_e32 v113, s13, v112
	v_add3_u32 v13, v13, v21, 0x6200
	v_lshlrev_b32_e32 v4, 4, v54
	v_dual_mov_b32 v36, 0 :: v_dual_add_nc_u32 v85, 0x18c0, v75
	v_dual_mov_b32 v63, 0 :: v_dual_add_nc_u32 v86, 0x1ce0, v75
	v_add_nc_u32_e32 v87, 0x2100, v75
	v_dual_mov_b32 v59, 0 :: v_dual_add_nc_u32 v88, 0x2520, v75
	v_add_nc_u32_e32 v90, 0x2940, v75
	v_add_nc_u32_e32 v91, 0x2d60, v75
	;; [unrolled: 1-line block ×5, first 2 shown]
	v_mul_lo_u32 v116, s12, v27
	v_mul_lo_u32 v117, s12, v28
	;; [unrolled: 1-line block ×5, first 2 shown]
	v_and_b32_e32 v5, 0xfc, v17
	v_and_b32_e32 v6, 0xfc, v18
	v_mul_lo_u32 v123, s12, v7
	v_and_b32_e32 v7, 0xfc, v24
	v_lshlrev_b32_e32 v9, 2, v71
	v_mul_lo_u32 v121, s12, v10
	v_mul_lo_u32 v122, s12, v11
	v_add_nc_u32_e32 v96, 0x3de0, v75
	v_add_nc_u32_e32 v99, 0x4200, v22
	;; [unrolled: 1-line block ×9, first 2 shown]
	v_lshl_add_u32 v111, s5, 6, v97
	v_add_co_ci_u32_e64 v2, null, s3, 0, s14
	v_add_nc_u32_e32 v115, s13, v113
	v_mul_u32_u24_e32 v124, 0x84, v54
	v_add_nc_u32_e32 v125, 0x4200, v23
	v_add3_u32 v126, v4, v5, 0x6800
	v_add3_u32 v127, v4, v6, 0x6600
	;; [unrolled: 1-line block ×4, first 2 shown]
	v_lshl_add_u32 v130, v53, 4, 0x6a40
	v_add_nc_u32_e32 v131, v12, v25
	v_add_nc_u32_e32 v132, v13, v8
	s_mov_b32 s11, 0
.LBB125_5:                              ; =>This Loop Header: Depth=1
                                        ;     Child Loop BB125_6 Depth 2
	s_delay_alu instid0(SALU_CYCLE_1)
	s_mul_i32 s12, s11, 34
	s_mul_hi_u32 s13, s11, 34
	s_add_u32 s12, s0, s12
	s_addc_u32 s13, s1, s13
	v_mov_b32_e32 v135, v128
	v_mad_u64_u32 v[4:5], null, v71, 34, s[12:13]
	v_dual_mov_b32 v139, v124 :: v_dual_mov_b32 v134, v129
	v_mov_b32_e32 v133, v130
	v_dual_mov_b32 v137, v126 :: v_dual_mov_b32 v136, v127
	v_mov_b32_e32 v138, v125
	v_add_co_u32 v4, vcc_lo, v4, v74
	v_add_co_ci_u32_e32 v5, vcc_lo, 0, v5, vcc_lo
	s_delay_alu instid0(VALU_DEP_2) | instskip(NEXT) | instid1(VALU_DEP_2)
	v_add_co_u32 v4, vcc_lo, v4, 2
	v_add_co_ci_u32_e32 v5, vcc_lo, 0, v5, vcc_lo
	s_delay_alu instid0(VALU_DEP_1)
	v_mad_u64_u32 v[6:7], null, v72, 34, v[4:5]
	v_mad_u64_u32 v[8:9], null, v73, 34, v[4:5]
	;; [unrolled: 1-line block ×8, first 2 shown]
	s_clause 0x7
	global_load_b32 v26, v[6:7], off
	global_load_b32 v27, v[8:9], off
	;; [unrolled: 1-line block ×8, first 2 shown]
	v_mad_u64_u32 v[16:17], null, v0, 34, s[12:13]
	v_mad_u64_u32 v[6:7], null, v98, 34, v[4:5]
	;; [unrolled: 1-line block ×11, first 2 shown]
	v_add_nc_u32_e32 v17, s11, v3
	v_add_nc_u32_e32 v16, s11, v71
	s_clause 0x9
	global_load_b32 v34, v[6:7], off
	global_load_b32 v35, v[8:9], off
	;; [unrolled: 1-line block ×8, first 2 shown]
	global_load_u16 v22, v[4:5], off
	global_load_u16 v23, v[24:25], off
	v_mad_u64_u32 v[6:7], null, v17, 36, s[2:3]
	v_add_nc_u32_e32 v8, v16, v117
	v_add_nc_u32_e32 v9, v16, v118
	;; [unrolled: 1-line block ×5, first 2 shown]
	v_mad_i64_i32 v[4:5], null, v8, 36, v[1:2]
	v_add_nc_u32_e32 v17, v16, v122
	global_load_b32 v25, v[6:7], off
	v_mad_i64_i32 v[6:7], null, v9, 36, v[1:2]
	v_add_nc_u32_e32 v18, v16, v123
	v_add_nc_u32_e32 v24, v16, v116
	v_mad_i64_i32 v[8:9], null, v10, 36, v[1:2]
	v_mad_i64_i32 v[10:11], null, v12, 36, v[1:2]
	;; [unrolled: 1-line block ×6, first 2 shown]
	s_clause 0x7
	global_load_b32 v4, v[4:5], off offset:4
	global_load_b32 v5, v[6:7], off offset:4
	;; [unrolled: 1-line block ×8, first 2 shown]
	s_mov_b32 s12, -8
	s_waitcnt vmcnt(10)
	v_cvt_f32_f16_e32 v12, v22
	s_waitcnt vmcnt(9)
	v_cvt_f32_f16_e32 v13, v23
	;; [unrolled: 2-line block ×3, first 2 shown]
	ds_store_b32 v131, v12
	ds_store_b32 v132, v13
	;; [unrolled: 1-line block ×18, first 2 shown]
	s_waitcnt vmcnt(7)
	ds_store_b32 v101, v4
	s_waitcnt vmcnt(6)
	ds_store_b32 v102, v5
	;; [unrolled: 2-line block ×8, first 2 shown]
	ds_store_b32 v114, v14
	s_waitcnt lgkmcnt(0)
	s_barrier
	buffer_gl0_inv
.LBB125_6:                              ;   Parent Loop BB125_5 Depth=1
                                        ; =>  This Inner Loop Header: Depth=2
	ds_load_2addr_b32 v[151:152], v133 offset1:32
	ds_load_b128 v[30:33], v138
	ds_load_b128 v[144:147], v138 offset:16
	ds_load_b32 v140, v134
	ds_load_2addr_b32 v[4:5], v139 offset1:1
	s_add_i32 s12, s12, 8
	v_add_nc_u32_e32 v19, 0x1098, v139
	s_cmp_lt_u32 s12, 24
	s_waitcnt lgkmcnt(1)
	v_dual_mul_f32 v13, v151, v140 :: v_dual_add_nc_u32 v134, 4, v134
	s_waitcnt lgkmcnt(0)
	v_dot4_i32_iu8 v6, v4, v30, 0 neg_lo:[1,1,0]
	v_mul_f32_e32 v154, v140, v152
	s_delay_alu instid0(VALU_DEP_2) | instskip(SKIP_3) | instid1(VALU_DEP_1)
	v_dot4_i32_iu8 v8, v5, v31, v6 neg_lo:[1,1,0]
	ds_load_2addr_b32 v[6:7], v139 offset0:2 offset1:3
	s_waitcnt lgkmcnt(0)
	v_dot4_i32_iu8 v8, v6, v32, v8 neg_lo:[1,1,0]
	v_dot4_i32_iu8 v10, v7, v33, v8 neg_lo:[1,1,0]
	ds_load_2addr_b32 v[8:9], v139 offset0:4 offset1:5
	s_waitcnt lgkmcnt(0)
	v_dot4_i32_iu8 v10, v8, v144, v10 neg_lo:[1,1,0]
	s_delay_alu instid0(VALU_DEP_1) | instskip(SKIP_3) | instid1(VALU_DEP_1)
	v_dot4_i32_iu8 v12, v9, v145, v10 neg_lo:[1,1,0]
	ds_load_2addr_b32 v[10:11], v139 offset0:6 offset1:7
	s_waitcnt lgkmcnt(0)
	v_dot4_i32_iu8 v12, v10, v146, v12 neg_lo:[1,1,0]
	v_dot4_i32_iu8 v12, v11, v147, v12 neg_lo:[1,1,0]
	s_delay_alu instid0(VALU_DEP_1) | instskip(NEXT) | instid1(VALU_DEP_1)
	v_cvt_f32_i32_e32 v12, v12
	v_fmac_f32_e32 v64, v13, v12
	v_add_nc_u32_e32 v12, 0x1080, v139
	ds_load_b32 v141, v135
	ds_load_2addr_b32 v[12:13], v12 offset1:1
	ds_load_2addr_b32 v[20:21], v19 offset1:1
	v_add_nc_u32_e32 v135, 4, v135
	s_waitcnt lgkmcnt(2)
	v_mul_f32_e32 v19, v151, v141
	s_waitcnt lgkmcnt(1)
	v_dot4_i32_iu8 v14, v12, v30, 0 neg_lo:[1,1,0]
	s_delay_alu instid0(VALU_DEP_1) | instskip(SKIP_4) | instid1(VALU_DEP_1)
	v_dot4_i32_iu8 v16, v13, v31, v14 neg_lo:[1,1,0]
	v_add_nc_u32_e32 v14, 0x1088, v139
	ds_load_2addr_b32 v[14:15], v14 offset1:1
	s_waitcnt lgkmcnt(0)
	v_dot4_i32_iu8 v16, v14, v32, v16 neg_lo:[1,1,0]
	v_dot4_i32_iu8 v18, v15, v33, v16 neg_lo:[1,1,0]
	v_add_nc_u32_e32 v16, 0x1090, v139
	ds_load_2addr_b32 v[16:17], v16 offset1:1
	s_waitcnt lgkmcnt(0)
	v_dot4_i32_iu8 v18, v16, v144, v18 neg_lo:[1,1,0]
	s_delay_alu instid0(VALU_DEP_1) | instskip(NEXT) | instid1(VALU_DEP_1)
	v_dot4_i32_iu8 v18, v17, v145, v18 neg_lo:[1,1,0]
	v_dot4_i32_iu8 v18, v20, v146, v18 neg_lo:[1,1,0]
	s_delay_alu instid0(VALU_DEP_1) | instskip(NEXT) | instid1(VALU_DEP_1)
	v_dot4_i32_iu8 v18, v21, v147, v18 neg_lo:[1,1,0]
	v_cvt_f32_i32_e32 v18, v18
	s_delay_alu instid0(VALU_DEP_1)
	v_fmac_f32_e32 v70, v19, v18
	v_add_nc_u32_e32 v18, 0x2100, v139
	ds_load_b32 v142, v136
	ds_load_2addr_b32 v[18:19], v18 offset1:1
	s_waitcnt lgkmcnt(1)
	v_dual_mul_f32 v29, v151, v142 :: v_dual_add_nc_u32 v136, 4, v136
	s_waitcnt lgkmcnt(0)
	v_dot4_i32_iu8 v22, v18, v30, 0 neg_lo:[1,1,0]
	s_delay_alu instid0(VALU_DEP_1) | instskip(SKIP_4) | instid1(VALU_DEP_1)
	v_dot4_i32_iu8 v24, v19, v31, v22 neg_lo:[1,1,0]
	v_add_nc_u32_e32 v22, 0x2108, v139
	ds_load_2addr_b32 v[22:23], v22 offset1:1
	s_waitcnt lgkmcnt(0)
	v_dot4_i32_iu8 v24, v22, v32, v24 neg_lo:[1,1,0]
	v_dot4_i32_iu8 v26, v23, v33, v24 neg_lo:[1,1,0]
	v_add_nc_u32_e32 v24, 0x2110, v139
	ds_load_2addr_b32 v[24:25], v24 offset1:1
	s_waitcnt lgkmcnt(0)
	v_dot4_i32_iu8 v26, v24, v144, v26 neg_lo:[1,1,0]
	s_delay_alu instid0(VALU_DEP_1) | instskip(SKIP_4) | instid1(VALU_DEP_1)
	v_dot4_i32_iu8 v28, v25, v145, v26 neg_lo:[1,1,0]
	v_add_nc_u32_e32 v26, 0x2118, v139
	ds_load_2addr_b32 v[26:27], v26 offset1:1
	s_waitcnt lgkmcnt(0)
	v_dot4_i32_iu8 v28, v26, v146, v28 neg_lo:[1,1,0]
	v_dot4_i32_iu8 v28, v27, v147, v28 neg_lo:[1,1,0]
	s_delay_alu instid0(VALU_DEP_1) | instskip(NEXT) | instid1(VALU_DEP_1)
	v_cvt_f32_i32_e32 v28, v28
	v_dual_fmac_f32 v69, v29, v28 :: v_dual_add_nc_u32 v28, 0x3180, v139
	ds_load_b32 v143, v137
	ds_load_2addr_b32 v[28:29], v28 offset1:1
	v_add_nc_u32_e32 v137, 4, v137
	s_waitcnt lgkmcnt(0)
	v_dot4_i32_iu8 v30, v28, v30, 0 neg_lo:[1,1,0]
	s_delay_alu instid0(VALU_DEP_1) | instskip(SKIP_4) | instid1(VALU_DEP_1)
	v_dot4_i32_iu8 v34, v29, v31, v30 neg_lo:[1,1,0]
	v_add_nc_u32_e32 v30, 0x3188, v139
	ds_load_2addr_b32 v[30:31], v30 offset1:1
	s_waitcnt lgkmcnt(0)
	v_dot4_i32_iu8 v32, v30, v32, v34 neg_lo:[1,1,0]
	v_dot4_i32_iu8 v34, v31, v33, v32 neg_lo:[1,1,0]
	v_add_nc_u32_e32 v32, 0x3190, v139
	ds_load_2addr_b32 v[32:33], v32 offset1:1
	s_waitcnt lgkmcnt(0)
	v_dot4_i32_iu8 v34, v32, v144, v34 neg_lo:[1,1,0]
	s_delay_alu instid0(VALU_DEP_1)
	v_dot4_i32_iu8 v144, v33, v145, v34 neg_lo:[1,1,0]
	v_add_nc_u32_e32 v34, 0x3198, v139
	v_mul_f32_e32 v145, v151, v143
	v_add_nc_u32_e32 v139, 32, v139
	ds_load_2addr_b32 v[34:35], v34 offset1:1
	s_waitcnt lgkmcnt(0)
	v_dot4_i32_iu8 v144, v34, v146, v144 neg_lo:[1,1,0]
	s_delay_alu instid0(VALU_DEP_1) | instskip(NEXT) | instid1(VALU_DEP_1)
	v_dot4_i32_iu8 v144, v35, v147, v144 neg_lo:[1,1,0]
	v_cvt_f32_i32_e32 v144, v144
	s_delay_alu instid0(VALU_DEP_1) | instskip(SKIP_4) | instid1(VALU_DEP_1)
	v_fmac_f32_e32 v68, v145, v144
	ds_load_b128 v[144:147], v138 offset:1024
	ds_load_b128 v[148:151], v138 offset:1040
	s_waitcnt lgkmcnt(1)
	v_dot4_i32_iu8 v153, v144, v4, 0 neg_lo:[1,1,0]
	v_dot4_i32_iu8 v153, v145, v5, v153 neg_lo:[1,1,0]
	s_delay_alu instid0(VALU_DEP_1) | instskip(NEXT) | instid1(VALU_DEP_1)
	v_dot4_i32_iu8 v153, v146, v6, v153 neg_lo:[1,1,0]
	v_dot4_i32_iu8 v153, v147, v7, v153 neg_lo:[1,1,0]
	s_waitcnt lgkmcnt(0)
	s_delay_alu instid0(VALU_DEP_1) | instskip(NEXT) | instid1(VALU_DEP_1)
	v_dot4_i32_iu8 v153, v148, v8, v153 neg_lo:[1,1,0]
	v_dot4_i32_iu8 v153, v149, v9, v153 neg_lo:[1,1,0]
	s_delay_alu instid0(VALU_DEP_1) | instskip(NEXT) | instid1(VALU_DEP_1)
	v_dot4_i32_iu8 v153, v150, v10, v153 neg_lo:[1,1,0]
	v_dot4_i32_iu8 v153, v151, v11, v153 neg_lo:[1,1,0]
	s_delay_alu instid0(VALU_DEP_1) | instskip(NEXT) | instid1(VALU_DEP_1)
	v_cvt_f32_i32_e32 v153, v153
	v_fmac_f32_e32 v67, v154, v153
	v_dot4_i32_iu8 v153, v144, v12, 0 neg_lo:[1,1,0]
	v_mul_f32_e32 v154, v141, v152
	s_delay_alu instid0(VALU_DEP_2) | instskip(NEXT) | instid1(VALU_DEP_1)
	v_dot4_i32_iu8 v153, v145, v13, v153 neg_lo:[1,1,0]
	v_dot4_i32_iu8 v153, v146, v14, v153 neg_lo:[1,1,0]
	s_delay_alu instid0(VALU_DEP_1) | instskip(NEXT) | instid1(VALU_DEP_1)
	v_dot4_i32_iu8 v153, v147, v15, v153 neg_lo:[1,1,0]
	v_dot4_i32_iu8 v153, v148, v16, v153 neg_lo:[1,1,0]
	s_delay_alu instid0(VALU_DEP_1) | instskip(NEXT) | instid1(VALU_DEP_1)
	;; [unrolled: 3-line block ×3, first 2 shown]
	v_dot4_i32_iu8 v153, v151, v21, v153 neg_lo:[1,1,0]
	v_cvt_f32_i32_e32 v153, v153
	s_delay_alu instid0(VALU_DEP_1) | instskip(SKIP_3) | instid1(VALU_DEP_3)
	v_fmac_f32_e32 v66, v154, v153
	v_dot4_i32_iu8 v153, v144, v18, 0 neg_lo:[1,1,0]
	v_dot4_i32_iu8 v144, v144, v28, 0 neg_lo:[1,1,0]
	v_mul_f32_e32 v154, v142, v152
	v_dot4_i32_iu8 v153, v145, v19, v153 neg_lo:[1,1,0]
	s_delay_alu instid0(VALU_DEP_3) | instskip(SKIP_1) | instid1(VALU_DEP_3)
	v_dot4_i32_iu8 v144, v145, v29, v144 neg_lo:[1,1,0]
	v_mul_f32_e32 v145, v143, v152
	v_dot4_i32_iu8 v153, v146, v22, v153 neg_lo:[1,1,0]
	s_delay_alu instid0(VALU_DEP_3) | instskip(NEXT) | instid1(VALU_DEP_2)
	v_dot4_i32_iu8 v144, v146, v30, v144 neg_lo:[1,1,0]
	v_dot4_i32_iu8 v153, v147, v23, v153 neg_lo:[1,1,0]
	s_delay_alu instid0(VALU_DEP_2) | instskip(NEXT) | instid1(VALU_DEP_2)
	v_dot4_i32_iu8 v144, v147, v31, v144 neg_lo:[1,1,0]
	v_dot4_i32_iu8 v153, v148, v24, v153 neg_lo:[1,1,0]
	s_delay_alu instid0(VALU_DEP_2) | instskip(NEXT) | instid1(VALU_DEP_2)
	;; [unrolled: 3-line block ×5, first 2 shown]
	v_dot4_i32_iu8 v144, v151, v35, v144 neg_lo:[1,1,0]
	v_cvt_f32_i32_e32 v153, v153
	s_delay_alu instid0(VALU_DEP_2) | instskip(NEXT) | instid1(VALU_DEP_2)
	v_cvt_f32_i32_e32 v144, v144
	v_fmac_f32_e32 v65, v154, v153
	s_delay_alu instid0(VALU_DEP_2)
	v_fmac_f32_e32 v63, v145, v144
	ds_load_2addr_b32 v[152:153], v133 offset0:64 offset1:96
	ds_load_b128 v[144:147], v138 offset:2048
	ds_load_b128 v[148:151], v138 offset:2064
	s_waitcnt lgkmcnt(2)
	v_mul_f32_e32 v155, v140, v152
	s_waitcnt lgkmcnt(1)
	v_dot4_i32_iu8 v154, v144, v4, 0 neg_lo:[1,1,0]
	s_delay_alu instid0(VALU_DEP_1) | instskip(NEXT) | instid1(VALU_DEP_1)
	v_dot4_i32_iu8 v154, v145, v5, v154 neg_lo:[1,1,0]
	v_dot4_i32_iu8 v154, v146, v6, v154 neg_lo:[1,1,0]
	s_delay_alu instid0(VALU_DEP_1) | instskip(SKIP_1) | instid1(VALU_DEP_1)
	v_dot4_i32_iu8 v154, v147, v7, v154 neg_lo:[1,1,0]
	s_waitcnt lgkmcnt(0)
	v_dot4_i32_iu8 v154, v148, v8, v154 neg_lo:[1,1,0]
	s_delay_alu instid0(VALU_DEP_1) | instskip(NEXT) | instid1(VALU_DEP_1)
	v_dot4_i32_iu8 v154, v149, v9, v154 neg_lo:[1,1,0]
	v_dot4_i32_iu8 v154, v150, v10, v154 neg_lo:[1,1,0]
	s_delay_alu instid0(VALU_DEP_1) | instskip(NEXT) | instid1(VALU_DEP_1)
	v_dot4_i32_iu8 v154, v151, v11, v154 neg_lo:[1,1,0]
	v_cvt_f32_i32_e32 v154, v154
	s_delay_alu instid0(VALU_DEP_1) | instskip(SKIP_2) | instid1(VALU_DEP_2)
	v_fmac_f32_e32 v62, v155, v154
	v_dot4_i32_iu8 v154, v144, v12, 0 neg_lo:[1,1,0]
	v_mul_f32_e32 v155, v141, v152
	v_dot4_i32_iu8 v154, v145, v13, v154 neg_lo:[1,1,0]
	s_delay_alu instid0(VALU_DEP_1) | instskip(NEXT) | instid1(VALU_DEP_1)
	v_dot4_i32_iu8 v154, v146, v14, v154 neg_lo:[1,1,0]
	v_dot4_i32_iu8 v154, v147, v15, v154 neg_lo:[1,1,0]
	s_delay_alu instid0(VALU_DEP_1) | instskip(NEXT) | instid1(VALU_DEP_1)
	v_dot4_i32_iu8 v154, v148, v16, v154 neg_lo:[1,1,0]
	;; [unrolled: 3-line block ×3, first 2 shown]
	v_dot4_i32_iu8 v154, v151, v21, v154 neg_lo:[1,1,0]
	s_delay_alu instid0(VALU_DEP_1) | instskip(NEXT) | instid1(VALU_DEP_1)
	v_cvt_f32_i32_e32 v154, v154
	v_fmac_f32_e32 v61, v155, v154
	v_dot4_i32_iu8 v154, v144, v18, 0 neg_lo:[1,1,0]
	v_dot4_i32_iu8 v144, v144, v28, 0 neg_lo:[1,1,0]
	v_mul_f32_e32 v155, v142, v152
	s_delay_alu instid0(VALU_DEP_3) | instskip(NEXT) | instid1(VALU_DEP_3)
	v_dot4_i32_iu8 v154, v145, v19, v154 neg_lo:[1,1,0]
	v_dot4_i32_iu8 v144, v145, v29, v144 neg_lo:[1,1,0]
	v_mul_f32_e32 v145, v143, v152
	s_delay_alu instid0(VALU_DEP_3) | instskip(NEXT) | instid1(VALU_DEP_3)
	v_dot4_i32_iu8 v154, v146, v22, v154 neg_lo:[1,1,0]
	v_dot4_i32_iu8 v144, v146, v30, v144 neg_lo:[1,1,0]
	s_delay_alu instid0(VALU_DEP_2) | instskip(NEXT) | instid1(VALU_DEP_2)
	v_dot4_i32_iu8 v154, v147, v23, v154 neg_lo:[1,1,0]
	v_dot4_i32_iu8 v144, v147, v31, v144 neg_lo:[1,1,0]
	s_delay_alu instid0(VALU_DEP_2) | instskip(NEXT) | instid1(VALU_DEP_2)
	;; [unrolled: 3-line block ×6, first 2 shown]
	v_cvt_f32_i32_e32 v154, v154
	v_cvt_f32_i32_e32 v144, v144
	s_delay_alu instid0(VALU_DEP_1) | instskip(SKIP_4) | instid1(VALU_DEP_1)
	v_fmac_f32_e32 v59, v145, v144
	ds_load_b128 v[144:147], v138 offset:3072
	ds_load_b128 v[148:151], v138 offset:3088
	s_waitcnt lgkmcnt(1)
	v_dot4_i32_iu8 v152, v144, v4, 0 neg_lo:[1,1,0]
	v_dot4_i32_iu8 v152, v145, v5, v152 neg_lo:[1,1,0]
	s_delay_alu instid0(VALU_DEP_1) | instskip(NEXT) | instid1(VALU_DEP_1)
	v_dot4_i32_iu8 v152, v146, v6, v152 neg_lo:[1,1,0]
	v_dot4_i32_iu8 v152, v147, v7, v152 neg_lo:[1,1,0]
	s_waitcnt lgkmcnt(0)
	s_delay_alu instid0(VALU_DEP_1) | instskip(NEXT) | instid1(VALU_DEP_1)
	v_dot4_i32_iu8 v152, v148, v8, v152 neg_lo:[1,1,0]
	v_dot4_i32_iu8 v152, v149, v9, v152 neg_lo:[1,1,0]
	s_delay_alu instid0(VALU_DEP_1) | instskip(NEXT) | instid1(VALU_DEP_1)
	v_dot4_i32_iu8 v152, v150, v10, v152 neg_lo:[1,1,0]
	v_dot4_i32_iu8 v152, v151, v11, v152 neg_lo:[1,1,0]
	s_delay_alu instid0(VALU_DEP_1) | instskip(SKIP_2) | instid1(VALU_DEP_1)
	v_cvt_f32_i32_e32 v152, v152
	v_fmac_f32_e32 v60, v155, v154
	v_mul_f32_e32 v154, v140, v153
	v_fmac_f32_e32 v57, v154, v152
	v_dot4_i32_iu8 v152, v144, v12, 0 neg_lo:[1,1,0]
	v_mul_f32_e32 v154, v141, v153
	s_delay_alu instid0(VALU_DEP_2) | instskip(NEXT) | instid1(VALU_DEP_1)
	v_dot4_i32_iu8 v152, v145, v13, v152 neg_lo:[1,1,0]
	v_dot4_i32_iu8 v152, v146, v14, v152 neg_lo:[1,1,0]
	s_delay_alu instid0(VALU_DEP_1) | instskip(NEXT) | instid1(VALU_DEP_1)
	v_dot4_i32_iu8 v152, v147, v15, v152 neg_lo:[1,1,0]
	v_dot4_i32_iu8 v152, v148, v16, v152 neg_lo:[1,1,0]
	s_delay_alu instid0(VALU_DEP_1) | instskip(NEXT) | instid1(VALU_DEP_1)
	;; [unrolled: 3-line block ×3, first 2 shown]
	v_dot4_i32_iu8 v152, v151, v21, v152 neg_lo:[1,1,0]
	v_cvt_f32_i32_e32 v152, v152
	s_delay_alu instid0(VALU_DEP_1) | instskip(SKIP_3) | instid1(VALU_DEP_3)
	v_fmac_f32_e32 v56, v154, v152
	v_dot4_i32_iu8 v152, v144, v18, 0 neg_lo:[1,1,0]
	v_dot4_i32_iu8 v144, v144, v28, 0 neg_lo:[1,1,0]
	v_mul_f32_e32 v154, v142, v153
	v_dot4_i32_iu8 v152, v145, v19, v152 neg_lo:[1,1,0]
	s_delay_alu instid0(VALU_DEP_3) | instskip(SKIP_1) | instid1(VALU_DEP_3)
	v_dot4_i32_iu8 v144, v145, v29, v144 neg_lo:[1,1,0]
	v_mul_f32_e32 v145, v143, v153
	v_dot4_i32_iu8 v152, v146, v22, v152 neg_lo:[1,1,0]
	s_delay_alu instid0(VALU_DEP_3) | instskip(NEXT) | instid1(VALU_DEP_2)
	v_dot4_i32_iu8 v144, v146, v30, v144 neg_lo:[1,1,0]
	v_dot4_i32_iu8 v152, v147, v23, v152 neg_lo:[1,1,0]
	s_delay_alu instid0(VALU_DEP_2) | instskip(NEXT) | instid1(VALU_DEP_2)
	v_dot4_i32_iu8 v144, v147, v31, v144 neg_lo:[1,1,0]
	v_dot4_i32_iu8 v152, v148, v24, v152 neg_lo:[1,1,0]
	s_delay_alu instid0(VALU_DEP_2) | instskip(NEXT) | instid1(VALU_DEP_2)
	;; [unrolled: 3-line block ×5, first 2 shown]
	v_dot4_i32_iu8 v144, v151, v35, v144 neg_lo:[1,1,0]
	v_cvt_f32_i32_e32 v152, v152
	s_delay_alu instid0(VALU_DEP_2) | instskip(NEXT) | instid1(VALU_DEP_2)
	v_cvt_f32_i32_e32 v144, v144
	v_fmac_f32_e32 v55, v154, v152
	s_delay_alu instid0(VALU_DEP_2)
	v_fmac_f32_e32 v52, v145, v144
	ds_load_2addr_b32 v[152:153], v133 offset0:128 offset1:160
	ds_load_b128 v[144:147], v138 offset:4096
	ds_load_b128 v[148:151], v138 offset:4112
	s_waitcnt lgkmcnt(2)
	v_mul_f32_e32 v155, v140, v152
	s_waitcnt lgkmcnt(1)
	v_dot4_i32_iu8 v154, v144, v4, 0 neg_lo:[1,1,0]
	s_delay_alu instid0(VALU_DEP_1) | instskip(NEXT) | instid1(VALU_DEP_1)
	v_dot4_i32_iu8 v154, v145, v5, v154 neg_lo:[1,1,0]
	v_dot4_i32_iu8 v154, v146, v6, v154 neg_lo:[1,1,0]
	s_delay_alu instid0(VALU_DEP_1) | instskip(SKIP_1) | instid1(VALU_DEP_1)
	v_dot4_i32_iu8 v154, v147, v7, v154 neg_lo:[1,1,0]
	s_waitcnt lgkmcnt(0)
	v_dot4_i32_iu8 v154, v148, v8, v154 neg_lo:[1,1,0]
	s_delay_alu instid0(VALU_DEP_1) | instskip(NEXT) | instid1(VALU_DEP_1)
	v_dot4_i32_iu8 v154, v149, v9, v154 neg_lo:[1,1,0]
	v_dot4_i32_iu8 v154, v150, v10, v154 neg_lo:[1,1,0]
	s_delay_alu instid0(VALU_DEP_1) | instskip(NEXT) | instid1(VALU_DEP_1)
	v_dot4_i32_iu8 v154, v151, v11, v154 neg_lo:[1,1,0]
	v_cvt_f32_i32_e32 v154, v154
	s_delay_alu instid0(VALU_DEP_1) | instskip(SKIP_2) | instid1(VALU_DEP_2)
	v_fmac_f32_e32 v51, v155, v154
	v_dot4_i32_iu8 v154, v144, v12, 0 neg_lo:[1,1,0]
	v_mul_f32_e32 v155, v141, v152
	v_dot4_i32_iu8 v154, v145, v13, v154 neg_lo:[1,1,0]
	s_delay_alu instid0(VALU_DEP_1) | instskip(NEXT) | instid1(VALU_DEP_1)
	v_dot4_i32_iu8 v154, v146, v14, v154 neg_lo:[1,1,0]
	v_dot4_i32_iu8 v154, v147, v15, v154 neg_lo:[1,1,0]
	s_delay_alu instid0(VALU_DEP_1) | instskip(NEXT) | instid1(VALU_DEP_1)
	v_dot4_i32_iu8 v154, v148, v16, v154 neg_lo:[1,1,0]
	;; [unrolled: 3-line block ×3, first 2 shown]
	v_dot4_i32_iu8 v154, v151, v21, v154 neg_lo:[1,1,0]
	s_delay_alu instid0(VALU_DEP_1) | instskip(NEXT) | instid1(VALU_DEP_1)
	v_cvt_f32_i32_e32 v154, v154
	v_fmac_f32_e32 v50, v155, v154
	v_dot4_i32_iu8 v154, v144, v18, 0 neg_lo:[1,1,0]
	v_dot4_i32_iu8 v144, v144, v28, 0 neg_lo:[1,1,0]
	v_mul_f32_e32 v155, v142, v152
	s_delay_alu instid0(VALU_DEP_3) | instskip(NEXT) | instid1(VALU_DEP_3)
	v_dot4_i32_iu8 v154, v145, v19, v154 neg_lo:[1,1,0]
	v_dot4_i32_iu8 v144, v145, v29, v144 neg_lo:[1,1,0]
	v_mul_f32_e32 v145, v143, v152
	s_delay_alu instid0(VALU_DEP_3) | instskip(NEXT) | instid1(VALU_DEP_3)
	v_dot4_i32_iu8 v154, v146, v22, v154 neg_lo:[1,1,0]
	v_dot4_i32_iu8 v144, v146, v30, v144 neg_lo:[1,1,0]
	s_delay_alu instid0(VALU_DEP_2) | instskip(NEXT) | instid1(VALU_DEP_2)
	v_dot4_i32_iu8 v154, v147, v23, v154 neg_lo:[1,1,0]
	v_dot4_i32_iu8 v144, v147, v31, v144 neg_lo:[1,1,0]
	s_delay_alu instid0(VALU_DEP_2) | instskip(NEXT) | instid1(VALU_DEP_2)
	;; [unrolled: 3-line block ×6, first 2 shown]
	v_cvt_f32_i32_e32 v154, v154
	v_cvt_f32_i32_e32 v144, v144
	s_delay_alu instid0(VALU_DEP_2) | instskip(NEXT) | instid1(VALU_DEP_2)
	v_dual_fmac_f32 v49, v155, v154 :: v_dual_mul_f32 v154, v140, v153
	v_fmac_f32_e32 v48, v145, v144
	ds_load_b128 v[144:147], v138 offset:5120
	ds_load_b128 v[148:151], v138 offset:5136
	s_waitcnt lgkmcnt(1)
	v_dot4_i32_iu8 v152, v144, v4, 0 neg_lo:[1,1,0]
	s_delay_alu instid0(VALU_DEP_1) | instskip(NEXT) | instid1(VALU_DEP_1)
	v_dot4_i32_iu8 v152, v145, v5, v152 neg_lo:[1,1,0]
	v_dot4_i32_iu8 v152, v146, v6, v152 neg_lo:[1,1,0]
	s_delay_alu instid0(VALU_DEP_1) | instskip(SKIP_1) | instid1(VALU_DEP_1)
	v_dot4_i32_iu8 v152, v147, v7, v152 neg_lo:[1,1,0]
	s_waitcnt lgkmcnt(0)
	v_dot4_i32_iu8 v152, v148, v8, v152 neg_lo:[1,1,0]
	s_delay_alu instid0(VALU_DEP_1) | instskip(NEXT) | instid1(VALU_DEP_1)
	v_dot4_i32_iu8 v152, v149, v9, v152 neg_lo:[1,1,0]
	v_dot4_i32_iu8 v152, v150, v10, v152 neg_lo:[1,1,0]
	s_delay_alu instid0(VALU_DEP_1) | instskip(NEXT) | instid1(VALU_DEP_1)
	v_dot4_i32_iu8 v152, v151, v11, v152 neg_lo:[1,1,0]
	v_cvt_f32_i32_e32 v152, v152
	s_delay_alu instid0(VALU_DEP_1) | instskip(SKIP_1) | instid1(VALU_DEP_1)
	v_dual_fmac_f32 v47, v154, v152 :: v_dual_mul_f32 v154, v141, v153
	v_dot4_i32_iu8 v152, v144, v12, 0 neg_lo:[1,1,0]
	v_dot4_i32_iu8 v152, v145, v13, v152 neg_lo:[1,1,0]
	s_delay_alu instid0(VALU_DEP_1) | instskip(NEXT) | instid1(VALU_DEP_1)
	v_dot4_i32_iu8 v152, v146, v14, v152 neg_lo:[1,1,0]
	v_dot4_i32_iu8 v152, v147, v15, v152 neg_lo:[1,1,0]
	s_delay_alu instid0(VALU_DEP_1) | instskip(NEXT) | instid1(VALU_DEP_1)
	;; [unrolled: 3-line block ×4, first 2 shown]
	v_cvt_f32_i32_e32 v152, v152
	v_fmac_f32_e32 v46, v154, v152
	v_dot4_i32_iu8 v152, v144, v18, 0 neg_lo:[1,1,0]
	v_dot4_i32_iu8 v144, v144, v28, 0 neg_lo:[1,1,0]
	v_mul_f32_e32 v154, v142, v153
	s_delay_alu instid0(VALU_DEP_3) | instskip(NEXT) | instid1(VALU_DEP_3)
	v_dot4_i32_iu8 v152, v145, v19, v152 neg_lo:[1,1,0]
	v_dot4_i32_iu8 v144, v145, v29, v144 neg_lo:[1,1,0]
	v_mul_f32_e32 v145, v143, v153
	s_delay_alu instid0(VALU_DEP_3) | instskip(NEXT) | instid1(VALU_DEP_3)
	v_dot4_i32_iu8 v152, v146, v22, v152 neg_lo:[1,1,0]
	v_dot4_i32_iu8 v144, v146, v30, v144 neg_lo:[1,1,0]
	s_delay_alu instid0(VALU_DEP_2) | instskip(NEXT) | instid1(VALU_DEP_2)
	v_dot4_i32_iu8 v152, v147, v23, v152 neg_lo:[1,1,0]
	v_dot4_i32_iu8 v144, v147, v31, v144 neg_lo:[1,1,0]
	s_delay_alu instid0(VALU_DEP_2) | instskip(NEXT) | instid1(VALU_DEP_2)
	v_dot4_i32_iu8 v152, v148, v24, v152 neg_lo:[1,1,0]
	v_dot4_i32_iu8 v144, v148, v32, v144 neg_lo:[1,1,0]
	s_delay_alu instid0(VALU_DEP_2) | instskip(NEXT) | instid1(VALU_DEP_2)
	v_dot4_i32_iu8 v152, v149, v25, v152 neg_lo:[1,1,0]
	v_dot4_i32_iu8 v144, v149, v33, v144 neg_lo:[1,1,0]
	s_delay_alu instid0(VALU_DEP_2) | instskip(NEXT) | instid1(VALU_DEP_2)
	v_dot4_i32_iu8 v152, v150, v26, v152 neg_lo:[1,1,0]
	v_dot4_i32_iu8 v144, v150, v34, v144 neg_lo:[1,1,0]
	s_delay_alu instid0(VALU_DEP_2) | instskip(NEXT) | instid1(VALU_DEP_2)
	v_dot4_i32_iu8 v152, v151, v27, v152 neg_lo:[1,1,0]
	v_dot4_i32_iu8 v144, v151, v35, v144 neg_lo:[1,1,0]
	s_delay_alu instid0(VALU_DEP_2) | instskip(NEXT) | instid1(VALU_DEP_2)
	v_cvt_f32_i32_e32 v152, v152
	v_cvt_f32_i32_e32 v144, v144
	s_delay_alu instid0(VALU_DEP_2) | instskip(NEXT) | instid1(VALU_DEP_2)
	v_fmac_f32_e32 v45, v154, v152
	v_fmac_f32_e32 v44, v145, v144
	ds_load_2addr_b32 v[152:153], v133 offset0:192 offset1:224
	ds_load_b128 v[144:147], v138 offset:6144
	ds_load_b128 v[148:151], v138 offset:6160
	v_add_nc_u32_e32 v133, 4, v133
	s_waitcnt lgkmcnt(2)
	v_mul_f32_e32 v155, v140, v152
	s_waitcnt lgkmcnt(1)
	v_dot4_i32_iu8 v154, v144, v4, 0 neg_lo:[1,1,0]
	s_delay_alu instid0(VALU_DEP_1) | instskip(NEXT) | instid1(VALU_DEP_1)
	v_dot4_i32_iu8 v154, v145, v5, v154 neg_lo:[1,1,0]
	v_dot4_i32_iu8 v154, v146, v6, v154 neg_lo:[1,1,0]
	s_delay_alu instid0(VALU_DEP_1) | instskip(SKIP_1) | instid1(VALU_DEP_1)
	v_dot4_i32_iu8 v154, v147, v7, v154 neg_lo:[1,1,0]
	s_waitcnt lgkmcnt(0)
	v_dot4_i32_iu8 v154, v148, v8, v154 neg_lo:[1,1,0]
	s_delay_alu instid0(VALU_DEP_1) | instskip(NEXT) | instid1(VALU_DEP_1)
	v_dot4_i32_iu8 v154, v149, v9, v154 neg_lo:[1,1,0]
	v_dot4_i32_iu8 v154, v150, v10, v154 neg_lo:[1,1,0]
	s_delay_alu instid0(VALU_DEP_1) | instskip(NEXT) | instid1(VALU_DEP_1)
	v_dot4_i32_iu8 v154, v151, v11, v154 neg_lo:[1,1,0]
	v_cvt_f32_i32_e32 v154, v154
	s_delay_alu instid0(VALU_DEP_1) | instskip(SKIP_2) | instid1(VALU_DEP_2)
	v_fmac_f32_e32 v43, v155, v154
	v_dot4_i32_iu8 v154, v144, v12, 0 neg_lo:[1,1,0]
	v_mul_f32_e32 v155, v141, v152
	v_dot4_i32_iu8 v154, v145, v13, v154 neg_lo:[1,1,0]
	s_delay_alu instid0(VALU_DEP_1) | instskip(NEXT) | instid1(VALU_DEP_1)
	v_dot4_i32_iu8 v154, v146, v14, v154 neg_lo:[1,1,0]
	v_dot4_i32_iu8 v154, v147, v15, v154 neg_lo:[1,1,0]
	s_delay_alu instid0(VALU_DEP_1) | instskip(NEXT) | instid1(VALU_DEP_1)
	v_dot4_i32_iu8 v154, v148, v16, v154 neg_lo:[1,1,0]
	v_dot4_i32_iu8 v154, v149, v17, v154 neg_lo:[1,1,0]
	s_delay_alu instid0(VALU_DEP_1) | instskip(NEXT) | instid1(VALU_DEP_1)
	v_dot4_i32_iu8 v154, v150, v20, v154 neg_lo:[1,1,0]
	v_dot4_i32_iu8 v154, v151, v21, v154 neg_lo:[1,1,0]
	s_delay_alu instid0(VALU_DEP_1) | instskip(NEXT) | instid1(VALU_DEP_1)
	v_cvt_f32_i32_e32 v154, v154
	v_fmac_f32_e32 v42, v155, v154
	v_dot4_i32_iu8 v154, v144, v18, 0 neg_lo:[1,1,0]
	v_dot4_i32_iu8 v144, v144, v28, 0 neg_lo:[1,1,0]
	v_mul_f32_e32 v155, v142, v152
	s_delay_alu instid0(VALU_DEP_3) | instskip(NEXT) | instid1(VALU_DEP_3)
	v_dot4_i32_iu8 v154, v145, v19, v154 neg_lo:[1,1,0]
	v_dot4_i32_iu8 v144, v145, v29, v144 neg_lo:[1,1,0]
	v_mul_f32_e32 v145, v143, v152
	s_delay_alu instid0(VALU_DEP_3) | instskip(NEXT) | instid1(VALU_DEP_3)
	v_dot4_i32_iu8 v154, v146, v22, v154 neg_lo:[1,1,0]
	v_dot4_i32_iu8 v144, v146, v30, v144 neg_lo:[1,1,0]
	s_delay_alu instid0(VALU_DEP_2) | instskip(NEXT) | instid1(VALU_DEP_2)
	v_dot4_i32_iu8 v154, v147, v23, v154 neg_lo:[1,1,0]
	v_dot4_i32_iu8 v144, v147, v31, v144 neg_lo:[1,1,0]
	s_delay_alu instid0(VALU_DEP_2) | instskip(NEXT) | instid1(VALU_DEP_2)
	;; [unrolled: 3-line block ×6, first 2 shown]
	v_cvt_f32_i32_e32 v154, v154
	v_cvt_f32_i32_e32 v144, v144
	s_delay_alu instid0(VALU_DEP_1)
	v_dual_fmac_f32 v41, v155, v154 :: v_dual_fmac_f32 v40, v145, v144
	ds_load_b128 v[144:147], v138 offset:7168
	ds_load_b128 v[148:151], v138 offset:7184
	v_add_nc_u32_e32 v138, 32, v138
	s_waitcnt lgkmcnt(1)
	v_dot4_i32_iu8 v4, v144, v4, 0 neg_lo:[1,1,0]
	s_delay_alu instid0(VALU_DEP_1) | instskip(SKIP_1) | instid1(VALU_DEP_2)
	v_dot4_i32_iu8 v4, v145, v5, v4 neg_lo:[1,1,0]
	v_mul_f32_e32 v5, v140, v153
	v_dot4_i32_iu8 v4, v146, v6, v4 neg_lo:[1,1,0]
	s_delay_alu instid0(VALU_DEP_1) | instskip(SKIP_1) | instid1(VALU_DEP_1)
	v_dot4_i32_iu8 v4, v147, v7, v4 neg_lo:[1,1,0]
	s_waitcnt lgkmcnt(0)
	v_dot4_i32_iu8 v4, v148, v8, v4 neg_lo:[1,1,0]
	s_delay_alu instid0(VALU_DEP_1) | instskip(NEXT) | instid1(VALU_DEP_1)
	v_dot4_i32_iu8 v4, v149, v9, v4 neg_lo:[1,1,0]
	v_dot4_i32_iu8 v4, v150, v10, v4 neg_lo:[1,1,0]
	s_delay_alu instid0(VALU_DEP_1) | instskip(NEXT) | instid1(VALU_DEP_1)
	v_dot4_i32_iu8 v4, v151, v11, v4 neg_lo:[1,1,0]
	v_cvt_f32_i32_e32 v4, v4
	s_delay_alu instid0(VALU_DEP_1) | instskip(SKIP_2) | instid1(VALU_DEP_2)
	v_fmac_f32_e32 v39, v5, v4
	v_dot4_i32_iu8 v4, v144, v12, 0 neg_lo:[1,1,0]
	v_mul_f32_e32 v5, v141, v153
	v_dot4_i32_iu8 v4, v145, v13, v4 neg_lo:[1,1,0]
	s_delay_alu instid0(VALU_DEP_1) | instskip(NEXT) | instid1(VALU_DEP_1)
	v_dot4_i32_iu8 v4, v146, v14, v4 neg_lo:[1,1,0]
	v_dot4_i32_iu8 v4, v147, v15, v4 neg_lo:[1,1,0]
	s_delay_alu instid0(VALU_DEP_1) | instskip(NEXT) | instid1(VALU_DEP_1)
	v_dot4_i32_iu8 v4, v148, v16, v4 neg_lo:[1,1,0]
	;; [unrolled: 3-line block ×3, first 2 shown]
	v_dot4_i32_iu8 v4, v151, v21, v4 neg_lo:[1,1,0]
	s_delay_alu instid0(VALU_DEP_1) | instskip(NEXT) | instid1(VALU_DEP_1)
	v_cvt_f32_i32_e32 v4, v4
	v_fmac_f32_e32 v38, v5, v4
	v_dot4_i32_iu8 v4, v144, v18, 0 neg_lo:[1,1,0]
	v_mul_f32_e32 v5, v142, v153
	s_delay_alu instid0(VALU_DEP_2) | instskip(NEXT) | instid1(VALU_DEP_1)
	v_dot4_i32_iu8 v4, v145, v19, v4 neg_lo:[1,1,0]
	v_dot4_i32_iu8 v4, v146, v22, v4 neg_lo:[1,1,0]
	s_delay_alu instid0(VALU_DEP_1) | instskip(NEXT) | instid1(VALU_DEP_1)
	v_dot4_i32_iu8 v4, v147, v23, v4 neg_lo:[1,1,0]
	v_dot4_i32_iu8 v4, v148, v24, v4 neg_lo:[1,1,0]
	s_delay_alu instid0(VALU_DEP_1) | instskip(NEXT) | instid1(VALU_DEP_1)
	;; [unrolled: 3-line block ×3, first 2 shown]
	v_dot4_i32_iu8 v4, v151, v27, v4 neg_lo:[1,1,0]
	v_cvt_f32_i32_e32 v4, v4
	s_delay_alu instid0(VALU_DEP_1) | instskip(SKIP_2) | instid1(VALU_DEP_2)
	v_fmac_f32_e32 v37, v5, v4
	v_dot4_i32_iu8 v4, v144, v28, 0 neg_lo:[1,1,0]
	v_mul_f32_e32 v5, v143, v153
	v_dot4_i32_iu8 v4, v145, v29, v4 neg_lo:[1,1,0]
	s_delay_alu instid0(VALU_DEP_1) | instskip(NEXT) | instid1(VALU_DEP_1)
	v_dot4_i32_iu8 v4, v146, v30, v4 neg_lo:[1,1,0]
	v_dot4_i32_iu8 v4, v147, v31, v4 neg_lo:[1,1,0]
	s_delay_alu instid0(VALU_DEP_1) | instskip(NEXT) | instid1(VALU_DEP_1)
	v_dot4_i32_iu8 v4, v148, v32, v4 neg_lo:[1,1,0]
	;; [unrolled: 3-line block ×3, first 2 shown]
	v_dot4_i32_iu8 v4, v151, v35, v4 neg_lo:[1,1,0]
	s_delay_alu instid0(VALU_DEP_1) | instskip(NEXT) | instid1(VALU_DEP_1)
	v_cvt_f32_i32_e32 v4, v4
	v_fmac_f32_e32 v36, v5, v4
	s_cbranch_scc1 .LBB125_6
; %bb.7:                                ;   in Loop: Header=BB125_5 Depth=1
	s_add_i32 s11, s11, 4
	s_delay_alu instid0(SALU_CYCLE_1)
	s_cmp_ge_i32 s11, s5
	s_barrier
	buffer_gl0_inv
	s_cbranch_scc0 .LBB125_5
; %bb.8:
	v_dual_mov_b32 v1, v53 :: v_dual_mov_b32 v0, v54
.LBB125_9:
	s_mov_b32 s0, exec_lo
	v_cmpx_gt_u32_e64 s4, v58
	s_cbranch_execz .LBB125_60
; %bb.10:
	s_delay_alu instid0(VALU_DEP_2) | instskip(SKIP_1) | instid1(VALU_DEP_2)
	v_add_nc_u32_e32 v0, s10, v0
	v_mul_lo_u32 v5, v58, s6
	v_cmp_gt_u32_e32 vcc_lo, s6, v0
	s_and_saveexec_b32 s1, vcc_lo
	s_cbranch_execz .LBB125_12
; %bb.11:
	s_delay_alu instid0(VALU_DEP_2) | instskip(NEXT) | instid1(VALU_DEP_1)
	v_dual_mov_b32 v3, 0 :: v_dual_add_nc_u32 v2, v0, v5
	v_lshlrev_b64 v[2:3], 2, v[2:3]
	s_waitcnt lgkmcnt(0)
	s_delay_alu instid0(VALU_DEP_1) | instskip(NEXT) | instid1(VALU_DEP_1)
	v_add_co_u32 v2, s0, s8, v2
	v_add_co_ci_u32_e64 v3, s0, s9, v3, s0
	global_store_b32 v[2:3], v64, off
.LBB125_12:
	s_or_b32 exec_lo, exec_lo, s1
	v_add_nc_u32_e32 v2, 32, v0
	s_delay_alu instid0(VALU_DEP_1) | instskip(NEXT) | instid1(VALU_DEP_1)
	v_cmp_gt_u32_e64 s0, s6, v2
	s_and_saveexec_b32 s2, s0
	s_cbranch_execz .LBB125_14
; %bb.13:
	v_dual_mov_b32 v4, 0 :: v_dual_add_nc_u32 v3, v2, v5
	s_delay_alu instid0(VALU_DEP_1) | instskip(SKIP_1) | instid1(VALU_DEP_1)
	v_lshlrev_b64 v[3:4], 2, v[3:4]
	s_waitcnt lgkmcnt(0)
	v_add_co_u32 v3, s1, s8, v3
	s_delay_alu instid0(VALU_DEP_1)
	v_add_co_ci_u32_e64 v4, s1, s9, v4, s1
	global_store_b32 v[3:4], v70, off
.LBB125_14:
	s_or_b32 exec_lo, exec_lo, s2
	v_add_nc_u32_e32 v3, 64, v0
	s_delay_alu instid0(VALU_DEP_1) | instskip(NEXT) | instid1(VALU_DEP_1)
	v_cmp_gt_u32_e64 s1, s6, v3
	s_and_saveexec_b32 s3, s1
	s_cbranch_execz .LBB125_16
; %bb.15:
	v_dual_mov_b32 v7, 0 :: v_dual_add_nc_u32 v6, v3, v5
	s_delay_alu instid0(VALU_DEP_1) | instskip(SKIP_1) | instid1(VALU_DEP_1)
	v_lshlrev_b64 v[6:7], 2, v[6:7]
	s_waitcnt lgkmcnt(0)
	v_add_co_u32 v6, s2, s8, v6
	s_delay_alu instid0(VALU_DEP_1)
	v_add_co_ci_u32_e64 v7, s2, s9, v7, s2
	global_store_b32 v[6:7], v69, off
.LBB125_16:
	;; [unrolled: 16-line block ×3, first 2 shown]
	s_or_b32 exec_lo, exec_lo, s5
	v_add3_u32 v5, v1, s7, 8
	s_delay_alu instid0(VALU_DEP_1) | instskip(NEXT) | instid1(VALU_DEP_1)
	v_cmp_gt_u32_e64 s3, s4, v5
	s_and_b32 exec_lo, exec_lo, s3
	s_cbranch_execz .LBB125_60
; %bb.19:
	v_mul_lo_u32 v5, v5, s6
	s_and_saveexec_b32 s5, vcc_lo
	s_cbranch_execnz .LBB125_61
; %bb.20:
	s_or_b32 exec_lo, exec_lo, s5
	s_and_saveexec_b32 s5, s0
	s_cbranch_execnz .LBB125_62
.LBB125_21:
	s_or_b32 exec_lo, exec_lo, s5
	s_and_saveexec_b32 s5, s1
	s_cbranch_execnz .LBB125_63
.LBB125_22:
	s_or_b32 exec_lo, exec_lo, s5
	s_and_saveexec_b32 s5, s2
	s_cbranch_execz .LBB125_24
.LBB125_23:
	v_dual_mov_b32 v6, 0 :: v_dual_add_nc_u32 v5, v5, v4
	s_delay_alu instid0(VALU_DEP_1) | instskip(SKIP_1) | instid1(VALU_DEP_1)
	v_lshlrev_b64 v[5:6], 2, v[5:6]
	s_waitcnt lgkmcnt(0)
	v_add_co_u32 v5, s3, s8, v5
	s_delay_alu instid0(VALU_DEP_1)
	v_add_co_ci_u32_e64 v6, s3, s9, v6, s3
	global_store_b32 v[5:6], v63, off
.LBB125_24:
	s_or_b32 exec_lo, exec_lo, s5
	v_add3_u32 v5, v1, s7, 16
	s_delay_alu instid0(VALU_DEP_1) | instskip(NEXT) | instid1(VALU_DEP_1)
	v_cmp_gt_u32_e64 s3, s4, v5
	s_and_b32 exec_lo, exec_lo, s3
	s_cbranch_execz .LBB125_60
; %bb.25:
	v_mul_lo_u32 v5, v5, s6
	s_and_saveexec_b32 s5, vcc_lo
	s_cbranch_execnz .LBB125_64
; %bb.26:
	s_or_b32 exec_lo, exec_lo, s5
	s_and_saveexec_b32 s5, s0
	s_cbranch_execnz .LBB125_65
.LBB125_27:
	s_or_b32 exec_lo, exec_lo, s5
	s_and_saveexec_b32 s5, s1
	s_cbranch_execnz .LBB125_66
.LBB125_28:
	s_or_b32 exec_lo, exec_lo, s5
	s_and_saveexec_b32 s5, s2
	s_cbranch_execz .LBB125_30
.LBB125_29:
	v_dual_mov_b32 v6, 0 :: v_dual_add_nc_u32 v5, v5, v4
	s_delay_alu instid0(VALU_DEP_1) | instskip(SKIP_1) | instid1(VALU_DEP_1)
	v_lshlrev_b64 v[5:6], 2, v[5:6]
	s_waitcnt lgkmcnt(0)
	v_add_co_u32 v5, s3, s8, v5
	s_delay_alu instid0(VALU_DEP_1)
	v_add_co_ci_u32_e64 v6, s3, s9, v6, s3
	global_store_b32 v[5:6], v59, off
.LBB125_30:
	s_or_b32 exec_lo, exec_lo, s5
	v_add3_u32 v5, v1, s7, 24
	s_delay_alu instid0(VALU_DEP_1) | instskip(NEXT) | instid1(VALU_DEP_1)
	v_cmp_gt_u32_e64 s3, s4, v5
	s_and_b32 exec_lo, exec_lo, s3
	s_cbranch_execz .LBB125_60
; %bb.31:
	v_mul_lo_u32 v5, v5, s6
	s_and_saveexec_b32 s5, vcc_lo
	s_cbranch_execnz .LBB125_67
; %bb.32:
	s_or_b32 exec_lo, exec_lo, s5
	s_and_saveexec_b32 s5, s0
	s_cbranch_execnz .LBB125_68
.LBB125_33:
	s_or_b32 exec_lo, exec_lo, s5
	s_and_saveexec_b32 s5, s1
	s_cbranch_execnz .LBB125_69
.LBB125_34:
	s_or_b32 exec_lo, exec_lo, s5
	s_and_saveexec_b32 s5, s2
	s_cbranch_execz .LBB125_36
.LBB125_35:
	v_dual_mov_b32 v6, 0 :: v_dual_add_nc_u32 v5, v5, v4
	s_delay_alu instid0(VALU_DEP_1) | instskip(SKIP_1) | instid1(VALU_DEP_1)
	v_lshlrev_b64 v[5:6], 2, v[5:6]
	s_waitcnt lgkmcnt(0)
	v_add_co_u32 v5, s3, s8, v5
	s_delay_alu instid0(VALU_DEP_1)
	v_add_co_ci_u32_e64 v6, s3, s9, v6, s3
	global_store_b32 v[5:6], v52, off
.LBB125_36:
	s_or_b32 exec_lo, exec_lo, s5
	v_add3_u32 v5, v1, s7, 32
	s_delay_alu instid0(VALU_DEP_1) | instskip(NEXT) | instid1(VALU_DEP_1)
	v_cmp_gt_u32_e64 s3, s4, v5
	s_and_b32 exec_lo, exec_lo, s3
	s_cbranch_execz .LBB125_60
; %bb.37:
	v_mul_lo_u32 v5, v5, s6
	s_and_saveexec_b32 s5, vcc_lo
	s_cbranch_execnz .LBB125_70
; %bb.38:
	s_or_b32 exec_lo, exec_lo, s5
	s_and_saveexec_b32 s5, s0
	s_cbranch_execnz .LBB125_71
.LBB125_39:
	s_or_b32 exec_lo, exec_lo, s5
	s_and_saveexec_b32 s5, s1
	s_cbranch_execnz .LBB125_72
.LBB125_40:
	s_or_b32 exec_lo, exec_lo, s5
	s_and_saveexec_b32 s5, s2
	s_cbranch_execz .LBB125_42
.LBB125_41:
	v_dual_mov_b32 v6, 0 :: v_dual_add_nc_u32 v5, v5, v4
	s_delay_alu instid0(VALU_DEP_1) | instskip(SKIP_1) | instid1(VALU_DEP_1)
	v_lshlrev_b64 v[5:6], 2, v[5:6]
	s_waitcnt lgkmcnt(0)
	v_add_co_u32 v5, s3, s8, v5
	s_delay_alu instid0(VALU_DEP_1)
	v_add_co_ci_u32_e64 v6, s3, s9, v6, s3
	global_store_b32 v[5:6], v48, off
.LBB125_42:
	s_or_b32 exec_lo, exec_lo, s5
	v_add3_u32 v5, v1, s7, 40
	s_delay_alu instid0(VALU_DEP_1) | instskip(NEXT) | instid1(VALU_DEP_1)
	v_cmp_gt_u32_e64 s3, s4, v5
	s_and_b32 exec_lo, exec_lo, s3
	s_cbranch_execz .LBB125_60
; %bb.43:
	v_mul_lo_u32 v5, v5, s6
	s_and_saveexec_b32 s5, vcc_lo
	s_cbranch_execnz .LBB125_73
; %bb.44:
	s_or_b32 exec_lo, exec_lo, s5
	s_and_saveexec_b32 s5, s0
	s_cbranch_execnz .LBB125_74
.LBB125_45:
	s_or_b32 exec_lo, exec_lo, s5
	s_and_saveexec_b32 s5, s1
	s_cbranch_execnz .LBB125_75
.LBB125_46:
	s_or_b32 exec_lo, exec_lo, s5
	s_and_saveexec_b32 s5, s2
	s_cbranch_execz .LBB125_48
.LBB125_47:
	v_dual_mov_b32 v6, 0 :: v_dual_add_nc_u32 v5, v5, v4
	s_delay_alu instid0(VALU_DEP_1) | instskip(SKIP_1) | instid1(VALU_DEP_1)
	v_lshlrev_b64 v[5:6], 2, v[5:6]
	s_waitcnt lgkmcnt(0)
	v_add_co_u32 v5, s3, s8, v5
	s_delay_alu instid0(VALU_DEP_1)
	v_add_co_ci_u32_e64 v6, s3, s9, v6, s3
	global_store_b32 v[5:6], v44, off
.LBB125_48:
	s_or_b32 exec_lo, exec_lo, s5
	v_add3_u32 v5, v1, s7, 48
	s_delay_alu instid0(VALU_DEP_1) | instskip(NEXT) | instid1(VALU_DEP_1)
	v_cmp_gt_u32_e64 s3, s4, v5
	s_and_b32 exec_lo, exec_lo, s3
	s_cbranch_execz .LBB125_60
; %bb.49:
	v_mul_lo_u32 v5, v5, s6
	s_and_saveexec_b32 s5, vcc_lo
	s_cbranch_execnz .LBB125_76
; %bb.50:
	s_or_b32 exec_lo, exec_lo, s5
	s_and_saveexec_b32 s5, s0
	s_cbranch_execnz .LBB125_77
.LBB125_51:
	s_or_b32 exec_lo, exec_lo, s5
	s_and_saveexec_b32 s5, s1
	s_cbranch_execnz .LBB125_78
.LBB125_52:
	s_or_b32 exec_lo, exec_lo, s5
	s_and_saveexec_b32 s5, s2
	s_cbranch_execz .LBB125_54
.LBB125_53:
	v_dual_mov_b32 v6, 0 :: v_dual_add_nc_u32 v5, v5, v4
	s_delay_alu instid0(VALU_DEP_1) | instskip(SKIP_1) | instid1(VALU_DEP_1)
	v_lshlrev_b64 v[5:6], 2, v[5:6]
	s_waitcnt lgkmcnt(0)
	v_add_co_u32 v5, s3, s8, v5
	s_delay_alu instid0(VALU_DEP_1)
	v_add_co_ci_u32_e64 v6, s3, s9, v6, s3
	global_store_b32 v[5:6], v40, off
.LBB125_54:
	s_or_b32 exec_lo, exec_lo, s5
	v_add3_u32 v1, v1, s7, 56
	s_delay_alu instid0(VALU_DEP_1) | instskip(NEXT) | instid1(VALU_DEP_1)
	v_cmp_gt_u32_e64 s3, s4, v1
	s_and_b32 exec_lo, exec_lo, s3
	s_cbranch_execz .LBB125_60
; %bb.55:
	v_mul_lo_u32 v1, v1, s6
	s_and_saveexec_b32 s3, vcc_lo
	s_cbranch_execnz .LBB125_79
; %bb.56:
	s_or_b32 exec_lo, exec_lo, s3
	s_and_saveexec_b32 s3, s0
	s_cbranch_execnz .LBB125_80
.LBB125_57:
	s_or_b32 exec_lo, exec_lo, s3
	s_and_saveexec_b32 s0, s1
	s_cbranch_execnz .LBB125_81
.LBB125_58:
	s_or_b32 exec_lo, exec_lo, s0
	s_delay_alu instid0(SALU_CYCLE_1)
	s_and_b32 exec_lo, exec_lo, s2
	s_cbranch_execz .LBB125_60
.LBB125_59:
	v_dual_mov_b32 v1, 0 :: v_dual_add_nc_u32 v0, v1, v4
	s_delay_alu instid0(VALU_DEP_1) | instskip(SKIP_1) | instid1(VALU_DEP_1)
	v_lshlrev_b64 v[0:1], 2, v[0:1]
	s_waitcnt lgkmcnt(0)
	v_add_co_u32 v0, vcc_lo, s8, v0
	s_delay_alu instid0(VALU_DEP_2)
	v_add_co_ci_u32_e32 v1, vcc_lo, s9, v1, vcc_lo
	global_store_b32 v[0:1], v36, off
.LBB125_60:
	s_nop 0
	s_sendmsg sendmsg(MSG_DEALLOC_VGPRS)
	s_endpgm
.LBB125_61:
	s_delay_alu instid0(VALU_DEP_1) | instskip(NEXT) | instid1(VALU_DEP_1)
	v_dual_mov_b32 v7, 0 :: v_dual_add_nc_u32 v6, v5, v0
	v_lshlrev_b64 v[6:7], 2, v[6:7]
	s_waitcnt lgkmcnt(0)
	s_delay_alu instid0(VALU_DEP_1) | instskip(NEXT) | instid1(VALU_DEP_1)
	v_add_co_u32 v6, s3, s8, v6
	v_add_co_ci_u32_e64 v7, s3, s9, v7, s3
	global_store_b32 v[6:7], v67, off
	s_or_b32 exec_lo, exec_lo, s5
	s_and_saveexec_b32 s5, s0
	s_cbranch_execz .LBB125_21
.LBB125_62:
	s_delay_alu instid0(VALU_DEP_1) | instskip(NEXT) | instid1(VALU_DEP_1)
	v_dual_mov_b32 v7, 0 :: v_dual_add_nc_u32 v6, v5, v2
	v_lshlrev_b64 v[6:7], 2, v[6:7]
	s_waitcnt lgkmcnt(0)
	s_delay_alu instid0(VALU_DEP_1) | instskip(NEXT) | instid1(VALU_DEP_1)
	v_add_co_u32 v6, s3, s8, v6
	v_add_co_ci_u32_e64 v7, s3, s9, v7, s3
	global_store_b32 v[6:7], v66, off
	s_or_b32 exec_lo, exec_lo, s5
	s_and_saveexec_b32 s5, s1
	s_cbranch_execz .LBB125_22
.LBB125_63:
	v_dual_mov_b32 v7, 0 :: v_dual_add_nc_u32 v6, v5, v3
	s_delay_alu instid0(VALU_DEP_1) | instskip(SKIP_1) | instid1(VALU_DEP_1)
	v_lshlrev_b64 v[6:7], 2, v[6:7]
	s_waitcnt lgkmcnt(0)
	v_add_co_u32 v6, s3, s8, v6
	s_delay_alu instid0(VALU_DEP_1)
	v_add_co_ci_u32_e64 v7, s3, s9, v7, s3
	global_store_b32 v[6:7], v65, off
	s_or_b32 exec_lo, exec_lo, s5
	s_and_saveexec_b32 s5, s2
	s_cbranch_execnz .LBB125_23
	s_branch .LBB125_24
.LBB125_64:
	s_delay_alu instid0(VALU_DEP_1) | instskip(NEXT) | instid1(VALU_DEP_1)
	v_dual_mov_b32 v7, 0 :: v_dual_add_nc_u32 v6, v5, v0
	v_lshlrev_b64 v[6:7], 2, v[6:7]
	s_waitcnt lgkmcnt(0)
	s_delay_alu instid0(VALU_DEP_1) | instskip(NEXT) | instid1(VALU_DEP_1)
	v_add_co_u32 v6, s3, s8, v6
	v_add_co_ci_u32_e64 v7, s3, s9, v7, s3
	global_store_b32 v[6:7], v62, off
	s_or_b32 exec_lo, exec_lo, s5
	s_and_saveexec_b32 s5, s0
	s_cbranch_execz .LBB125_27
.LBB125_65:
	s_delay_alu instid0(VALU_DEP_1) | instskip(NEXT) | instid1(VALU_DEP_1)
	v_dual_mov_b32 v7, 0 :: v_dual_add_nc_u32 v6, v5, v2
	v_lshlrev_b64 v[6:7], 2, v[6:7]
	s_waitcnt lgkmcnt(0)
	s_delay_alu instid0(VALU_DEP_1) | instskip(NEXT) | instid1(VALU_DEP_1)
	v_add_co_u32 v6, s3, s8, v6
	v_add_co_ci_u32_e64 v7, s3, s9, v7, s3
	global_store_b32 v[6:7], v61, off
	s_or_b32 exec_lo, exec_lo, s5
	s_and_saveexec_b32 s5, s1
	s_cbranch_execz .LBB125_28
.LBB125_66:
	v_dual_mov_b32 v7, 0 :: v_dual_add_nc_u32 v6, v5, v3
	s_delay_alu instid0(VALU_DEP_1) | instskip(SKIP_1) | instid1(VALU_DEP_1)
	v_lshlrev_b64 v[6:7], 2, v[6:7]
	s_waitcnt lgkmcnt(0)
	v_add_co_u32 v6, s3, s8, v6
	s_delay_alu instid0(VALU_DEP_1)
	v_add_co_ci_u32_e64 v7, s3, s9, v7, s3
	global_store_b32 v[6:7], v60, off
	s_or_b32 exec_lo, exec_lo, s5
	s_and_saveexec_b32 s5, s2
	s_cbranch_execnz .LBB125_29
	s_branch .LBB125_30
.LBB125_67:
	s_delay_alu instid0(VALU_DEP_1) | instskip(NEXT) | instid1(VALU_DEP_1)
	v_dual_mov_b32 v7, 0 :: v_dual_add_nc_u32 v6, v5, v0
	v_lshlrev_b64 v[6:7], 2, v[6:7]
	s_waitcnt lgkmcnt(0)
	s_delay_alu instid0(VALU_DEP_1) | instskip(NEXT) | instid1(VALU_DEP_1)
	v_add_co_u32 v6, s3, s8, v6
	v_add_co_ci_u32_e64 v7, s3, s9, v7, s3
	global_store_b32 v[6:7], v57, off
	s_or_b32 exec_lo, exec_lo, s5
	s_and_saveexec_b32 s5, s0
	s_cbranch_execz .LBB125_33
.LBB125_68:
	s_delay_alu instid0(VALU_DEP_1) | instskip(NEXT) | instid1(VALU_DEP_1)
	v_dual_mov_b32 v7, 0 :: v_dual_add_nc_u32 v6, v5, v2
	v_lshlrev_b64 v[6:7], 2, v[6:7]
	s_waitcnt lgkmcnt(0)
	s_delay_alu instid0(VALU_DEP_1) | instskip(NEXT) | instid1(VALU_DEP_1)
	v_add_co_u32 v6, s3, s8, v6
	v_add_co_ci_u32_e64 v7, s3, s9, v7, s3
	global_store_b32 v[6:7], v56, off
	s_or_b32 exec_lo, exec_lo, s5
	s_and_saveexec_b32 s5, s1
	s_cbranch_execz .LBB125_34
.LBB125_69:
	v_dual_mov_b32 v7, 0 :: v_dual_add_nc_u32 v6, v5, v3
	s_delay_alu instid0(VALU_DEP_1) | instskip(SKIP_1) | instid1(VALU_DEP_1)
	v_lshlrev_b64 v[6:7], 2, v[6:7]
	s_waitcnt lgkmcnt(0)
	v_add_co_u32 v6, s3, s8, v6
	s_delay_alu instid0(VALU_DEP_1)
	v_add_co_ci_u32_e64 v7, s3, s9, v7, s3
	global_store_b32 v[6:7], v55, off
	s_or_b32 exec_lo, exec_lo, s5
	s_and_saveexec_b32 s5, s2
	s_cbranch_execnz .LBB125_35
	s_branch .LBB125_36
.LBB125_70:
	s_delay_alu instid0(VALU_DEP_1) | instskip(NEXT) | instid1(VALU_DEP_1)
	v_dual_mov_b32 v7, 0 :: v_dual_add_nc_u32 v6, v5, v0
	v_lshlrev_b64 v[6:7], 2, v[6:7]
	s_waitcnt lgkmcnt(0)
	s_delay_alu instid0(VALU_DEP_1) | instskip(NEXT) | instid1(VALU_DEP_1)
	v_add_co_u32 v6, s3, s8, v6
	v_add_co_ci_u32_e64 v7, s3, s9, v7, s3
	global_store_b32 v[6:7], v51, off
	s_or_b32 exec_lo, exec_lo, s5
	s_and_saveexec_b32 s5, s0
	s_cbranch_execz .LBB125_39
.LBB125_71:
	s_delay_alu instid0(VALU_DEP_1) | instskip(NEXT) | instid1(VALU_DEP_1)
	v_dual_mov_b32 v7, 0 :: v_dual_add_nc_u32 v6, v5, v2
	v_lshlrev_b64 v[6:7], 2, v[6:7]
	s_waitcnt lgkmcnt(0)
	s_delay_alu instid0(VALU_DEP_1) | instskip(NEXT) | instid1(VALU_DEP_1)
	v_add_co_u32 v6, s3, s8, v6
	v_add_co_ci_u32_e64 v7, s3, s9, v7, s3
	global_store_b32 v[6:7], v50, off
	s_or_b32 exec_lo, exec_lo, s5
	s_and_saveexec_b32 s5, s1
	s_cbranch_execz .LBB125_40
.LBB125_72:
	v_dual_mov_b32 v7, 0 :: v_dual_add_nc_u32 v6, v5, v3
	s_delay_alu instid0(VALU_DEP_1) | instskip(SKIP_1) | instid1(VALU_DEP_1)
	v_lshlrev_b64 v[6:7], 2, v[6:7]
	s_waitcnt lgkmcnt(0)
	v_add_co_u32 v6, s3, s8, v6
	s_delay_alu instid0(VALU_DEP_1)
	v_add_co_ci_u32_e64 v7, s3, s9, v7, s3
	global_store_b32 v[6:7], v49, off
	s_or_b32 exec_lo, exec_lo, s5
	s_and_saveexec_b32 s5, s2
	s_cbranch_execnz .LBB125_41
	s_branch .LBB125_42
.LBB125_73:
	s_delay_alu instid0(VALU_DEP_1) | instskip(NEXT) | instid1(VALU_DEP_1)
	v_dual_mov_b32 v7, 0 :: v_dual_add_nc_u32 v6, v5, v0
	v_lshlrev_b64 v[6:7], 2, v[6:7]
	s_waitcnt lgkmcnt(0)
	s_delay_alu instid0(VALU_DEP_1) | instskip(NEXT) | instid1(VALU_DEP_1)
	v_add_co_u32 v6, s3, s8, v6
	v_add_co_ci_u32_e64 v7, s3, s9, v7, s3
	global_store_b32 v[6:7], v47, off
	s_or_b32 exec_lo, exec_lo, s5
	s_and_saveexec_b32 s5, s0
	s_cbranch_execz .LBB125_45
.LBB125_74:
	s_delay_alu instid0(VALU_DEP_1) | instskip(NEXT) | instid1(VALU_DEP_1)
	v_dual_mov_b32 v7, 0 :: v_dual_add_nc_u32 v6, v5, v2
	v_lshlrev_b64 v[6:7], 2, v[6:7]
	s_waitcnt lgkmcnt(0)
	s_delay_alu instid0(VALU_DEP_1) | instskip(NEXT) | instid1(VALU_DEP_1)
	v_add_co_u32 v6, s3, s8, v6
	v_add_co_ci_u32_e64 v7, s3, s9, v7, s3
	global_store_b32 v[6:7], v46, off
	s_or_b32 exec_lo, exec_lo, s5
	s_and_saveexec_b32 s5, s1
	s_cbranch_execz .LBB125_46
.LBB125_75:
	v_dual_mov_b32 v7, 0 :: v_dual_add_nc_u32 v6, v5, v3
	s_delay_alu instid0(VALU_DEP_1) | instskip(SKIP_1) | instid1(VALU_DEP_1)
	v_lshlrev_b64 v[6:7], 2, v[6:7]
	s_waitcnt lgkmcnt(0)
	v_add_co_u32 v6, s3, s8, v6
	s_delay_alu instid0(VALU_DEP_1)
	v_add_co_ci_u32_e64 v7, s3, s9, v7, s3
	global_store_b32 v[6:7], v45, off
	s_or_b32 exec_lo, exec_lo, s5
	s_and_saveexec_b32 s5, s2
	s_cbranch_execnz .LBB125_47
	s_branch .LBB125_48
.LBB125_76:
	s_delay_alu instid0(VALU_DEP_1) | instskip(NEXT) | instid1(VALU_DEP_1)
	v_dual_mov_b32 v7, 0 :: v_dual_add_nc_u32 v6, v5, v0
	v_lshlrev_b64 v[6:7], 2, v[6:7]
	s_waitcnt lgkmcnt(0)
	s_delay_alu instid0(VALU_DEP_1) | instskip(NEXT) | instid1(VALU_DEP_1)
	v_add_co_u32 v6, s3, s8, v6
	v_add_co_ci_u32_e64 v7, s3, s9, v7, s3
	global_store_b32 v[6:7], v43, off
	s_or_b32 exec_lo, exec_lo, s5
	s_and_saveexec_b32 s5, s0
	s_cbranch_execz .LBB125_51
.LBB125_77:
	s_delay_alu instid0(VALU_DEP_1) | instskip(NEXT) | instid1(VALU_DEP_1)
	v_dual_mov_b32 v7, 0 :: v_dual_add_nc_u32 v6, v5, v2
	v_lshlrev_b64 v[6:7], 2, v[6:7]
	s_waitcnt lgkmcnt(0)
	s_delay_alu instid0(VALU_DEP_1) | instskip(NEXT) | instid1(VALU_DEP_1)
	v_add_co_u32 v6, s3, s8, v6
	v_add_co_ci_u32_e64 v7, s3, s9, v7, s3
	global_store_b32 v[6:7], v42, off
	s_or_b32 exec_lo, exec_lo, s5
	s_and_saveexec_b32 s5, s1
	s_cbranch_execz .LBB125_52
.LBB125_78:
	v_dual_mov_b32 v7, 0 :: v_dual_add_nc_u32 v6, v5, v3
	s_delay_alu instid0(VALU_DEP_1) | instskip(SKIP_1) | instid1(VALU_DEP_1)
	v_lshlrev_b64 v[6:7], 2, v[6:7]
	s_waitcnt lgkmcnt(0)
	v_add_co_u32 v6, s3, s8, v6
	s_delay_alu instid0(VALU_DEP_1)
	v_add_co_ci_u32_e64 v7, s3, s9, v7, s3
	global_store_b32 v[6:7], v41, off
	s_or_b32 exec_lo, exec_lo, s5
	s_and_saveexec_b32 s5, s2
	s_cbranch_execnz .LBB125_53
	s_branch .LBB125_54
.LBB125_79:
	s_delay_alu instid0(VALU_DEP_1) | instskip(NEXT) | instid1(VALU_DEP_1)
	v_dual_mov_b32 v6, 0 :: v_dual_add_nc_u32 v5, v1, v0
	v_lshlrev_b64 v[5:6], 2, v[5:6]
	s_waitcnt lgkmcnt(0)
	s_delay_alu instid0(VALU_DEP_1) | instskip(NEXT) | instid1(VALU_DEP_2)
	v_add_co_u32 v5, vcc_lo, s8, v5
	v_add_co_ci_u32_e32 v6, vcc_lo, s9, v6, vcc_lo
	global_store_b32 v[5:6], v39, off
	s_or_b32 exec_lo, exec_lo, s3
	s_and_saveexec_b32 s3, s0
	s_cbranch_execz .LBB125_57
.LBB125_80:
	s_delay_alu instid0(VALU_DEP_1) | instskip(NEXT) | instid1(VALU_DEP_1)
	v_dual_mov_b32 v6, 0 :: v_dual_add_nc_u32 v5, v1, v2
	v_lshlrev_b64 v[5:6], 2, v[5:6]
	s_waitcnt lgkmcnt(0)
	s_delay_alu instid0(VALU_DEP_1) | instskip(NEXT) | instid1(VALU_DEP_2)
	v_add_co_u32 v5, vcc_lo, s8, v5
	v_add_co_ci_u32_e32 v6, vcc_lo, s9, v6, vcc_lo
	global_store_b32 v[5:6], v38, off
	s_or_b32 exec_lo, exec_lo, s3
	s_and_saveexec_b32 s0, s1
	s_cbranch_execz .LBB125_58
.LBB125_81:
	v_dual_mov_b32 v3, 0 :: v_dual_add_nc_u32 v2, v1, v3
	s_delay_alu instid0(VALU_DEP_1) | instskip(SKIP_1) | instid1(VALU_DEP_1)
	v_lshlrev_b64 v[2:3], 2, v[2:3]
	s_waitcnt lgkmcnt(0)
	v_add_co_u32 v2, vcc_lo, s8, v2
	s_delay_alu instid0(VALU_DEP_2) | instskip(SKIP_2) | instid1(SALU_CYCLE_1)
	v_add_co_ci_u32_e32 v3, vcc_lo, s9, v3, vcc_lo
	global_store_b32 v[2:3], v37, off
	s_or_b32 exec_lo, exec_lo, s0
	s_and_b32 exec_lo, exec_lo, s2
	s_cbranch_execnz .LBB125_59
	s_branch .LBB125_60
	.section	.rodata,"a",@progbits
	.p2align	6, 0x0
	.amdhsa_kernel _ZL12mul_mat_q8_0IfLb0EEvPKvS1_PT_iiiii
		.amdhsa_group_segment_fixed_size 28224
		.amdhsa_private_segment_fixed_size 0
		.amdhsa_kernarg_size 44
		.amdhsa_user_sgpr_count 14
		.amdhsa_user_sgpr_dispatch_ptr 0
		.amdhsa_user_sgpr_queue_ptr 0
		.amdhsa_user_sgpr_kernarg_segment_ptr 1
		.amdhsa_user_sgpr_dispatch_id 0
		.amdhsa_user_sgpr_private_segment_size 0
		.amdhsa_wavefront_size32 1
		.amdhsa_uses_dynamic_stack 0
		.amdhsa_enable_private_segment 0
		.amdhsa_system_sgpr_workgroup_id_x 1
		.amdhsa_system_sgpr_workgroup_id_y 1
		.amdhsa_system_sgpr_workgroup_id_z 0
		.amdhsa_system_sgpr_workgroup_info 0
		.amdhsa_system_vgpr_workitem_id 1
		.amdhsa_next_free_vgpr 156
		.amdhsa_next_free_sgpr 16
		.amdhsa_reserve_vcc 1
		.amdhsa_float_round_mode_32 0
		.amdhsa_float_round_mode_16_64 0
		.amdhsa_float_denorm_mode_32 3
		.amdhsa_float_denorm_mode_16_64 3
		.amdhsa_dx10_clamp 1
		.amdhsa_ieee_mode 1
		.amdhsa_fp16_overflow 0
		.amdhsa_workgroup_processor_mode 1
		.amdhsa_memory_ordered 1
		.amdhsa_forward_progress 0
		.amdhsa_shared_vgpr_count 0
		.amdhsa_exception_fp_ieee_invalid_op 0
		.amdhsa_exception_fp_denorm_src 0
		.amdhsa_exception_fp_ieee_div_zero 0
		.amdhsa_exception_fp_ieee_overflow 0
		.amdhsa_exception_fp_ieee_underflow 0
		.amdhsa_exception_fp_ieee_inexact 0
		.amdhsa_exception_int_div_zero 0
	.end_amdhsa_kernel
	.section	.text._ZL12mul_mat_q8_0IfLb0EEvPKvS1_PT_iiiii,"axG",@progbits,_ZL12mul_mat_q8_0IfLb0EEvPKvS1_PT_iiiii,comdat
.Lfunc_end125:
	.size	_ZL12mul_mat_q8_0IfLb0EEvPKvS1_PT_iiiii, .Lfunc_end125-_ZL12mul_mat_q8_0IfLb0EEvPKvS1_PT_iiiii
                                        ; -- End function
	.section	.AMDGPU.csdata,"",@progbits
; Kernel info:
; codeLenInByte = 8460
; NumSgprs: 18
; NumVgprs: 156
; ScratchSize: 0
; MemoryBound: 0
; FloatMode: 240
; IeeeMode: 1
; LDSByteSize: 28224 bytes/workgroup (compile time only)
; SGPRBlocks: 2
; VGPRBlocks: 19
; NumSGPRsForWavesPerEU: 18
; NumVGPRsForWavesPerEU: 156
; Occupancy: 8
; WaveLimiterHint : 0
; COMPUTE_PGM_RSRC2:SCRATCH_EN: 0
; COMPUTE_PGM_RSRC2:USER_SGPR: 14
; COMPUTE_PGM_RSRC2:TRAP_HANDLER: 0
; COMPUTE_PGM_RSRC2:TGID_X_EN: 1
; COMPUTE_PGM_RSRC2:TGID_Y_EN: 1
; COMPUTE_PGM_RSRC2:TGID_Z_EN: 0
; COMPUTE_PGM_RSRC2:TIDIG_COMP_CNT: 1
	.section	.text._ZL12mul_mat_q8_0IfLb1EEvPKvS1_PT_iiiii,"axG",@progbits,_ZL12mul_mat_q8_0IfLb1EEvPKvS1_PT_iiiii,comdat
	.globl	_ZL12mul_mat_q8_0IfLb1EEvPKvS1_PT_iiiii ; -- Begin function _ZL12mul_mat_q8_0IfLb1EEvPKvS1_PT_iiiii
	.p2align	8
	.type	_ZL12mul_mat_q8_0IfLb1EEvPKvS1_PT_iiiii,@function
_ZL12mul_mat_q8_0IfLb1EEvPKvS1_PT_iiiii: ; @_ZL12mul_mat_q8_0IfLb1EEvPKvS1_PT_iiiii
; %bb.0:
	s_clause 0x1
	s_load_b128 s[4:7], s[0:1], 0x18
	s_load_b32 s10, s[0:1], 0x28
	v_bfe_u32 v65, v0, 10, 10
	v_and_b32_e32 v66, 0x3ff, v0
	s_lshl_b32 s11, s15, 6
	s_waitcnt lgkmcnt(0)
	s_cmp_gt_i32 s4, 31
	s_cbranch_scc1 .LBB126_2
; %bb.1:
	v_bfe_u32 v1, v0, 10, 10
	v_and_b32_e32 v0, 0x3ff, v0
	s_mov_b32 s2, 0
	s_mov_b32 s3, 0
	s_delay_alu instid0(VALU_DEP_2)
	v_add_nc_u32_e32 v74, s11, v1
	s_branch .LBB126_3
.LBB126_2:
	s_mov_b32 s2, -1
                                        ; implicit-def: $sgpr3
                                        ; implicit-def: $vgpr1
                                        ; implicit-def: $vgpr0
                                        ; implicit-def: $vgpr74
.LBB126_3:
	s_load_b64 s[8:9], s[0:1], 0x10
	v_dual_mov_b32 v52, s3 :: v_dual_mov_b32 v71, s3
	v_dual_mov_b32 v56, s3 :: v_dual_mov_b32 v77, s3
	;; [unrolled: 1-line block ×16, first 2 shown]
	s_and_not1_b32 vcc_lo, exec_lo, s2
	s_lshl_b32 s12, s14, 7
	s_cbranch_vccnz .LBB126_9
; %bb.4:
	s_load_b128 s[0:3], s[0:1], 0x0
	s_ashr_i32 s13, s4, 31
	s_ashr_i32 s14, s7, 31
	s_lshr_b32 s13, s13, 27
	v_dual_mov_b32 v68, 0 :: v_dual_add_nc_u32 v33, 8, v65
	s_add_i32 s4, s4, s13
	s_lshr_b32 s13, s14, 27
	s_ashr_i32 s4, s4, 5
	s_add_i32 s7, s7, s13
	s_mul_i32 s13, s4, s12
	s_ashr_i32 s7, s7, 5
	s_mul_i32 s14, s13, 34
	s_mul_hi_i32 s13, s13, 34
	v_dual_mov_b32 v63, 0 :: v_dual_add_nc_u32 v34, 16, v65
	v_dual_mov_b32 v92, 0 :: v_dual_add_nc_u32 v35, 24, v65
	;; [unrolled: 1-line block ×3, first 2 shown]
	s_waitcnt lgkmcnt(0)
	s_add_u32 s0, s0, s14
	s_addc_u32 s1, s1, s13
	s_not_b32 s13, s12
	v_dual_mov_b32 v87, 0 :: v_dual_lshlrev_b32 v18, 2, v66
	s_add_i32 s5, s13, s5
	v_dual_mov_b32 v76, 0 :: v_dual_add_nc_u32 v37, 40, v65
	v_min_i32_e32 v2, s5, v65
	v_min_i32_e32 v3, s5, v33
	;; [unrolled: 1-line block ×5, first 2 shown]
	v_mad_u64_u32 v[0:1], null, 0x84, v2, v[18:19]
	v_min_i32_e32 v7, s5, v37
	v_mul_lo_u32 v79, v2, s4
	v_mad_u64_u32 v[1:2], null, 0x84, v3, v[18:19]
	v_dual_mov_b32 v97, 0 :: v_dual_add_nc_u32 v38, 48, v65
	v_dual_mov_b32 v91, 0 :: v_dual_add_nc_u32 v74, s11, v65
	v_mul_lo_u32 v80, v3, s4
	v_mad_u64_u32 v[2:3], null, 0x84, v4, v[18:19]
	v_mul_lo_u32 v81, v4, s4
	v_mad_u64_u32 v[3:4], null, 0x84, v5, v[18:19]
	;; [unrolled: 2-line block ×4, first 2 shown]
	v_min_i32_e32 v8, s5, v38
	v_dual_mov_b32 v73, 0 :: v_dual_add_nc_u32 v6, 8, v74
	v_dual_mov_b32 v84, 0 :: v_dual_add_nc_u32 v9, 16, v74
	v_mul_lo_u32 v86, v7, s4
	s_delay_alu instid0(VALU_DEP_3) | instskip(SKIP_1) | instid1(VALU_DEP_4)
	v_cvt_f64_u32_e32 v[16:17], v6
	v_mad_u64_u32 v[6:7], null, 0x84, v8, v[18:19]
	v_cvt_f64_u32_e32 v[19:20], v9
	s_add_i32 s13, s6, -1
	v_dual_mov_b32 v69, 0 :: v_dual_add_nc_u32 v10, 24, v74
	v_cvt_f64_i32_e32 v[14:15], s13
	v_dual_mov_b32 v62, 0 :: v_dual_add_nc_u32 v7, 32, v74
	s_delay_alu instid0(VALU_DEP_3)
	v_cvt_f64_u32_e32 v[21:22], v10
	v_dual_mov_b32 v67, 0 :: v_dual_add_nc_u32 v10, 40, v74
	v_dual_mov_b32 v58, 0 :: v_dual_add_nc_u32 v11, 48, v74
	;; [unrolled: 1-line block ×3, first 2 shown]
	v_mul_lo_u32 v90, v8, s4
	v_dual_mov_b32 v89, 0 :: v_dual_add_nc_u32 v8, 64, v65
	v_cvt_f64_u32_e32 v[23:24], v7
	v_cvt_f64_u32_e32 v[25:26], v10
	;; [unrolled: 1-line block ×3, first 2 shown]
	v_dual_mov_b32 v61, 0 :: v_dual_add_nc_u32 v10, 0x48, v65
	v_dual_mov_b32 v54, 0 :: v_dual_add_nc_u32 v11, 56, v74
	v_dual_mov_b32 v57, 0 :: v_dual_add_nc_u32 v32, 0x50, v65
	v_min_i32_e32 v9, s5, v39
	v_min_i32_e32 v31, s5, v8
	s_delay_alu instid0(VALU_DEP_4)
	v_cvt_f64_u32_e32 v[29:30], v11
	v_min_i32_e32 v11, s5, v10
	v_min_i32_e32 v32, s5, v32
	v_cvt_f64_u32_e32 v[12:13], v74
	v_mul_lo_u32 v95, v9, s4
	v_mul_lo_u32 v96, v31, s4
	;; [unrolled: 1-line block ×3, first 2 shown]
	v_lshrrev_b32_e32 v42, 2, v66
	v_mov_b32_e32 v94, 0
	v_mul_lo_u32 v99, v32, s4
	v_mad_u64_u32 v[7:8], null, 0x84, v9, v[18:19]
	v_mad_u64_u32 v[8:9], null, 0x84, v31, v[18:19]
	;; [unrolled: 1-line block ×4, first 2 shown]
	v_min_f64 v[19:20], v[19:20], v[14:15]
	v_min_f64 v[21:22], v[21:22], v[14:15]
	v_add_nc_u32_e32 v31, 0x58, v65
	v_min_f64 v[16:17], v[16:17], v[14:15]
	v_dual_mov_b32 v82, 0 :: v_dual_add_nc_u32 v41, 0x60, v65
	v_mov_b32_e32 v72, 0
	s_delay_alu instid0(VALU_DEP_4) | instskip(SKIP_3) | instid1(VALU_DEP_4)
	v_min_i32_e32 v40, s5, v31
	v_dual_mov_b32 v88, 0 :: v_dual_add_nc_u32 v43, 0x70, v65
	v_min_f64 v[23:24], v[23:24], v[14:15]
	v_min_f64 v[25:26], v[25:26], v[14:15]
	v_mul_lo_u32 v100, v40, s4
	v_min_i32_e32 v41, s5, v41
	v_min_f64 v[27:28], v[27:28], v[14:15]
	v_mov_b32_e32 v64, 0
	v_min_i32_e32 v43, s5, v43
	v_dual_mov_b32 v59, 0 :: v_dual_and_b32 v78, 28, v18
	v_mul_lo_u32 v101, v41, s4
	v_min_f64 v[29:30], v[29:30], v[14:15]
	s_delay_alu instid0(VALU_DEP_4)
	v_mul_lo_u32 v103, v43, s4
	v_lshrrev_b32_e32 v75, 3, v66
	v_min_f64 v[31:32], v[12:13], v[14:15]
	v_add_nc_u32_e32 v13, 0x68, v65
	v_mov_b32_e32 v53, 0
	v_mul_u32_u24_e32 v124, 0x84, v66
	v_lshl_add_u32 v130, v65, 4, 0x6a40
	v_mov_b32_e32 v60, 0
	v_dual_mov_b32 v56, 0 :: v_dual_mov_b32 v77, 0
	v_dual_mov_b32 v52, 0 :: v_dual_mov_b32 v71, 0
	v_mov_b32_e32 v93, 0
	v_mad_u64_u32 v[11:12], null, 0x84, v40, v[18:19]
	v_lshl_add_u32 v40, v65, 3, v42
	v_min_i32_e32 v42, s5, v13
	v_mad_u64_u32 v[12:13], null, 0x84, v41, v[18:19]
	v_cvt_i32_f64_e32 v21, v[21:22]
	s_delay_alu instid0(VALU_DEP_4)
	v_min_i32_e32 v44, s5, v40
	v_add_nc_u32_e32 v41, 64, v40
	v_mul_lo_u32 v102, v42, s4
	v_cvt_i32_f64_e32 v22, v[23:24]
	v_cvt_i32_f64_e32 v24, v[25:26]
	v_ashrrev_i32_e32 v13, 31, v44
	v_min_i32_e32 v41, s5, v41
	v_cvt_i32_f64_e32 v25, v[27:28]
	v_cvt_i32_f64_e32 v47, v[19:20]
	v_lshlrev_b32_e32 v26, 4, v44
	v_lshrrev_b32_e32 v15, 29, v13
	v_ashrrev_i32_e32 v46, 31, v41
	v_mad_u64_u32 v[13:14], null, 0x84, v42, v[18:19]
	v_add_nc_u32_e32 v42, 0x78, v65
	s_delay_alu instid0(VALU_DEP_4) | instskip(SKIP_2) | instid1(VALU_DEP_4)
	v_add_nc_u32_e32 v45, v44, v15
	v_mad_u64_u32 v[14:15], null, 0x84, v43, v[18:19]
	v_cvt_i32_f64_e32 v31, v[31:32]
	v_min_i32_e32 v42, s5, v42
	s_delay_alu instid0(VALU_DEP_4)
	v_ashrrev_i32_e32 v43, 3, v45
	v_lshrrev_b32_e32 v45, 29, v46
	v_and_b32_e32 v15, 3, v66
	v_cvt_i32_f64_e32 v28, v[29:30]
	v_mul_lo_u32 v106, v41, s4
	v_lshlrev_b32_e32 v32, 2, v43
	v_add_nc_u32_e32 v45, v41, v45
	v_cvt_i32_f64_e32 v43, v[16:17]
	v_mad_u64_u32 v[16:17], null, 0x84, v42, v[18:19]
	v_and_b32_e32 v18, 63, v40
	s_delay_alu instid0(VALU_DEP_4)
	v_ashrrev_i32_e32 v17, 3, v45
	v_lshlrev_b32_e32 v46, 2, v15
	v_lshlrev_b32_e32 v29, 4, v41
	;; [unrolled: 1-line block ×3, first 2 shown]
	v_or_b32_e32 v19, s11, v18
	v_lshlrev_b32_e32 v17, 2, v17
	v_mul_lo_u32 v114, s7, v21
	v_mul_lo_u32 v104, v42, s4
	v_add3_u32 v23, v32, v46, 0x6200
	v_min_i32_e32 v30, s13, v19
	v_add3_u32 v27, v17, v46, 0x6200
	v_and_b32_e32 v17, 31, v66
	v_mul_lo_u32 v116, s7, v22
	v_mul_lo_u32 v118, s7, v24
	v_mad_u64_u32 v[19:20], null, v30, s7, v[15:16]
	s_delay_alu instid0(VALU_DEP_4)
	v_lshlrev_b32_e32 v40, 2, v17
	v_add_nc_u32_e32 v24, 32, v66
	v_lshl_or_b32 v32, v18, 4, v46
	v_mul_lo_u32 v120, s7, v25
	v_lshlrev_b32_e32 v25, 2, v75
	v_lshl_or_b32 v20, v33, 7, v40
	v_lshl_or_b32 v21, v36, 7, v40
	v_lshl_or_b32 v22, v38, 7, v40
	v_or_b32_e32 v42, v41, v40
	v_lshl_or_b32 v30, v34, 7, v40
	v_add_nc_u32_e32 v111, 0x4200, v20
	v_lshl_or_b32 v20, v35, 7, v40
	v_add_nc_u32_e32 v117, 0x4200, v21
	v_add_nc_u32_e32 v121, 0x4200, v22
	;; [unrolled: 1-line block ×5, first 2 shown]
	v_lshl_or_b32 v20, v37, 7, v40
	v_mul_lo_u32 v105, v44, s4
	v_mul_lo_u32 v108, s7, v31
	;; [unrolled: 1-line block ×4, first 2 shown]
	v_add_nc_u32_e32 v119, 0x4200, v20
	v_lshl_or_b32 v20, v39, 7, v40
	v_mul_lo_u32 v122, s7, v28
	v_add_co_u32 v17, s5, s2, v78
	s_delay_alu instid0(VALU_DEP_1) | instskip(NEXT) | instid1(VALU_DEP_4)
	v_add_co_ci_u32_e64 v18, null, s3, 0, s5
	v_add_nc_u32_e32 v123, 0x4200, v20
	v_lshrrev_b32_e32 v20, 1, v21
	v_lshrrev_b32_e32 v21, 1, v22
	;; [unrolled: 1-line block ×3, first 2 shown]
	v_lshlrev_b32_e32 v24, 4, v66
	v_add_nc_u32_e32 v107, 0x6a40, v32
	v_and_b32_e32 v20, 0xfc, v20
	v_and_b32_e32 v21, 0xfc, v21
	;; [unrolled: 1-line block ×3, first 2 shown]
	v_add_nc_u32_e32 v109, 0x4200, v42
	v_add_nc_u32_e32 v113, 0x4200, v30
	;; [unrolled: 1-line block ×3, first 2 shown]
	v_add3_u32 v126, v24, v20, 0x6800
	v_add3_u32 v127, v24, v21, 0x6600
	;; [unrolled: 1-line block ×4, first 2 shown]
	v_add_nc_u32_e32 v131, v23, v26
	v_add_nc_u32_e32 v132, v27, v29
	s_mov_b32 s5, 0
.LBB126_5:                              ; =>This Loop Header: Depth=1
                                        ;     Child Loop BB126_6 Depth 2
	s_delay_alu instid0(SALU_CYCLE_1)
	s_mul_i32 s7, s5, 34
	s_mul_hi_u32 s13, s5, 34
	s_add_u32 s14, s0, s7
	s_addc_u32 s15, s1, s13
	v_dual_mov_b32 v133, v130 :: v_dual_add_nc_u32 v50, s5, v19
	v_mad_u64_u32 v[20:21], null, v75, 34, s[14:15]
	v_dual_mov_b32 v134, v129 :: v_dual_add_nc_u32 v51, s5, v75
	v_mov_b32_e32 v136, v127
	v_mov_b32_e32 v138, v125
	s_mov_b32 s7, -8
	v_mov_b32_e32 v135, v128
	v_add_co_u32 v20, vcc_lo, v20, v78
	v_add_co_ci_u32_e32 v21, vcc_lo, 0, v21, vcc_lo
	v_mov_b32_e32 v139, v124
	s_delay_alu instid0(VALU_DEP_3) | instskip(NEXT) | instid1(VALU_DEP_3)
	v_add_co_u32 v20, vcc_lo, v20, 2
	v_add_co_ci_u32_e32 v21, vcc_lo, 0, v21, vcc_lo
	v_mov_b32_e32 v137, v126
	s_delay_alu instid0(VALU_DEP_2)
	v_mad_i64_i32 v[22:23], null, v79, 34, v[20:21]
	v_mad_i64_i32 v[24:25], null, v80, 34, v[20:21]
	;; [unrolled: 1-line block ×8, first 2 shown]
	s_clause 0x7
	global_load_b32 v42, v[22:23], off
	global_load_b32 v43, v[24:25], off
	;; [unrolled: 1-line block ×8, first 2 shown]
	v_mad_u64_u32 v[32:33], null, v15, 34, s[14:15]
	v_mad_i64_i32 v[22:23], null, v96, 34, v[20:21]
	v_mad_i64_i32 v[24:25], null, v98, 34, v[20:21]
	v_mad_i64_i32 v[26:27], null, v99, 34, v[20:21]
	v_mad_i64_i32 v[28:29], null, v100, 34, v[20:21]
	v_mad_i64_i32 v[30:31], null, v101, 34, v[20:21]
	v_mad_i64_i32 v[34:35], null, v102, 34, v[20:21]
	v_mad_i64_i32 v[36:37], null, v103, 34, v[20:21]
	v_mad_i64_i32 v[38:39], null, v104, 34, v[20:21]
	v_mad_i64_i32 v[20:21], null, v105, 34, v[32:33]
	v_mad_i64_i32 v[40:41], null, v106, 34, v[32:33]
	v_mad_u64_u32 v[32:33], null, v50, 36, s[2:3]
	s_clause 0x9
	global_load_b32 v50, v[22:23], off
	global_load_b32 v140, v[24:25], off
	;; [unrolled: 1-line block ×8, first 2 shown]
	global_load_u16 v38, v[20:21], off
	global_load_u16 v39, v[40:41], off
	v_add_nc_u32_e32 v22, v51, v110
	v_add_nc_u32_e32 v24, v51, v112
	;; [unrolled: 1-line block ×5, first 2 shown]
	global_load_b32 v41, v[32:33], off
	v_mad_i64_i32 v[20:21], null, v22, 36, v[17:18]
	v_add_nc_u32_e32 v32, v51, v120
	v_mad_i64_i32 v[22:23], null, v24, 36, v[17:18]
	v_add_nc_u32_e32 v34, v51, v122
	v_add_nc_u32_e32 v40, v51, v108
	v_mad_i64_i32 v[24:25], null, v26, 36, v[17:18]
	v_mad_i64_i32 v[26:27], null, v28, 36, v[17:18]
	;; [unrolled: 1-line block ×6, first 2 shown]
	s_clause 0x7
	global_load_b32 v20, v[20:21], off offset:4
	global_load_b32 v21, v[22:23], off offset:4
	;; [unrolled: 1-line block ×8, first 2 shown]
	s_waitcnt vmcnt(10)
	v_cvt_f32_f16_e32 v29, v38
	s_waitcnt vmcnt(9)
	v_cvt_f32_f16_e32 v30, v39
	;; [unrolled: 2-line block ×3, first 2 shown]
	ds_store_b32 v0, v42
	ds_store_b32 v1, v43
	;; [unrolled: 1-line block ×18, first 2 shown]
	s_waitcnt vmcnt(7)
	ds_store_b32 v111, v20
	s_waitcnt vmcnt(6)
	ds_store_b32 v113, v21
	;; [unrolled: 2-line block ×8, first 2 shown]
	ds_store_b32 v107, v28
	s_waitcnt lgkmcnt(0)
	s_barrier
	buffer_gl0_inv
.LBB126_6:                              ;   Parent Loop BB126_5 Depth=1
                                        ; =>  This Inner Loop Header: Depth=2
	ds_load_2addr_b32 v[151:152], v133 offset1:32
	ds_load_b128 v[46:49], v138
	ds_load_b128 v[144:147], v138 offset:16
	ds_load_b32 v140, v134
	ds_load_2addr_b32 v[20:21], v139 offset1:1
	s_add_i32 s7, s7, 8
	v_add_nc_u32_e32 v35, 0x1098, v139
	s_cmp_lt_u32 s7, 24
	s_waitcnt lgkmcnt(1)
	v_dual_mul_f32 v29, v151, v140 :: v_dual_add_nc_u32 v134, 4, v134
	s_waitcnt lgkmcnt(0)
	v_dot4_i32_iu8 v22, v20, v46, 0 neg_lo:[1,1,0]
	s_delay_alu instid0(VALU_DEP_1) | instskip(SKIP_3) | instid1(VALU_DEP_1)
	v_dot4_i32_iu8 v24, v21, v47, v22 neg_lo:[1,1,0]
	ds_load_2addr_b32 v[22:23], v139 offset0:2 offset1:3
	s_waitcnt lgkmcnt(0)
	v_dot4_i32_iu8 v24, v22, v48, v24 neg_lo:[1,1,0]
	v_dot4_i32_iu8 v26, v23, v49, v24 neg_lo:[1,1,0]
	ds_load_2addr_b32 v[24:25], v139 offset0:4 offset1:5
	s_waitcnt lgkmcnt(0)
	v_dot4_i32_iu8 v26, v24, v144, v26 neg_lo:[1,1,0]
	s_delay_alu instid0(VALU_DEP_1) | instskip(SKIP_3) | instid1(VALU_DEP_1)
	v_dot4_i32_iu8 v28, v25, v145, v26 neg_lo:[1,1,0]
	ds_load_2addr_b32 v[26:27], v139 offset0:6 offset1:7
	s_waitcnt lgkmcnt(0)
	v_dot4_i32_iu8 v28, v26, v146, v28 neg_lo:[1,1,0]
	v_dot4_i32_iu8 v28, v27, v147, v28 neg_lo:[1,1,0]
	s_delay_alu instid0(VALU_DEP_1) | instskip(NEXT) | instid1(VALU_DEP_1)
	v_cvt_f32_i32_e32 v28, v28
	v_fmac_f32_e32 v68, v29, v28
	v_add_nc_u32_e32 v28, 0x1080, v139
	ds_load_b32 v141, v135
	ds_load_2addr_b32 v[28:29], v28 offset1:1
	ds_load_2addr_b32 v[36:37], v35 offset1:1
	v_add_nc_u32_e32 v135, 4, v135
	s_waitcnt lgkmcnt(2)
	v_mul_f32_e32 v35, v151, v141
	s_waitcnt lgkmcnt(1)
	v_dot4_i32_iu8 v30, v28, v46, 0 neg_lo:[1,1,0]
	s_delay_alu instid0(VALU_DEP_1) | instskip(SKIP_4) | instid1(VALU_DEP_1)
	v_dot4_i32_iu8 v32, v29, v47, v30 neg_lo:[1,1,0]
	v_add_nc_u32_e32 v30, 0x1088, v139
	ds_load_2addr_b32 v[30:31], v30 offset1:1
	s_waitcnt lgkmcnt(0)
	v_dot4_i32_iu8 v32, v30, v48, v32 neg_lo:[1,1,0]
	v_dot4_i32_iu8 v34, v31, v49, v32 neg_lo:[1,1,0]
	v_add_nc_u32_e32 v32, 0x1090, v139
	ds_load_2addr_b32 v[32:33], v32 offset1:1
	s_waitcnt lgkmcnt(0)
	v_dot4_i32_iu8 v34, v32, v144, v34 neg_lo:[1,1,0]
	s_delay_alu instid0(VALU_DEP_1) | instskip(NEXT) | instid1(VALU_DEP_1)
	v_dot4_i32_iu8 v34, v33, v145, v34 neg_lo:[1,1,0]
	v_dot4_i32_iu8 v34, v36, v146, v34 neg_lo:[1,1,0]
	s_delay_alu instid0(VALU_DEP_1) | instskip(NEXT) | instid1(VALU_DEP_1)
	v_dot4_i32_iu8 v34, v37, v147, v34 neg_lo:[1,1,0]
	v_cvt_f32_i32_e32 v34, v34
	s_delay_alu instid0(VALU_DEP_1)
	v_dual_fmac_f32 v97, v35, v34 :: v_dual_add_nc_u32 v34, 0x2100, v139
	ds_load_b32 v142, v136
	ds_load_2addr_b32 v[34:35], v34 offset1:1
	s_waitcnt lgkmcnt(1)
	v_dual_mul_f32 v45, v151, v142 :: v_dual_add_nc_u32 v136, 4, v136
	s_waitcnt lgkmcnt(0)
	v_dot4_i32_iu8 v38, v34, v46, 0 neg_lo:[1,1,0]
	s_delay_alu instid0(VALU_DEP_1) | instskip(SKIP_4) | instid1(VALU_DEP_1)
	v_dot4_i32_iu8 v40, v35, v47, v38 neg_lo:[1,1,0]
	v_add_nc_u32_e32 v38, 0x2108, v139
	ds_load_2addr_b32 v[38:39], v38 offset1:1
	s_waitcnt lgkmcnt(0)
	v_dot4_i32_iu8 v40, v38, v48, v40 neg_lo:[1,1,0]
	v_dot4_i32_iu8 v42, v39, v49, v40 neg_lo:[1,1,0]
	v_add_nc_u32_e32 v40, 0x2110, v139
	ds_load_2addr_b32 v[40:41], v40 offset1:1
	s_waitcnt lgkmcnt(0)
	v_dot4_i32_iu8 v42, v40, v144, v42 neg_lo:[1,1,0]
	s_delay_alu instid0(VALU_DEP_1) | instskip(SKIP_4) | instid1(VALU_DEP_1)
	v_dot4_i32_iu8 v44, v41, v145, v42 neg_lo:[1,1,0]
	v_add_nc_u32_e32 v42, 0x2118, v139
	ds_load_2addr_b32 v[42:43], v42 offset1:1
	s_waitcnt lgkmcnt(0)
	v_dot4_i32_iu8 v44, v42, v146, v44 neg_lo:[1,1,0]
	v_dot4_i32_iu8 v44, v43, v147, v44 neg_lo:[1,1,0]
	s_delay_alu instid0(VALU_DEP_1) | instskip(NEXT) | instid1(VALU_DEP_1)
	v_cvt_f32_i32_e32 v44, v44
	v_fmac_f32_e32 v94, v45, v44
	v_add_nc_u32_e32 v44, 0x3180, v139
	ds_load_b32 v143, v137
	ds_load_2addr_b32 v[44:45], v44 offset1:1
	v_dual_mul_f32 v154, v140, v152 :: v_dual_add_nc_u32 v137, 4, v137
	s_waitcnt lgkmcnt(0)
	v_dot4_i32_iu8 v46, v44, v46, 0 neg_lo:[1,1,0]
	s_delay_alu instid0(VALU_DEP_1) | instskip(SKIP_4) | instid1(VALU_DEP_1)
	v_dot4_i32_iu8 v50, v45, v47, v46 neg_lo:[1,1,0]
	v_add_nc_u32_e32 v46, 0x3188, v139
	ds_load_2addr_b32 v[46:47], v46 offset1:1
	s_waitcnt lgkmcnt(0)
	v_dot4_i32_iu8 v48, v46, v48, v50 neg_lo:[1,1,0]
	v_dot4_i32_iu8 v50, v47, v49, v48 neg_lo:[1,1,0]
	v_add_nc_u32_e32 v48, 0x3190, v139
	ds_load_2addr_b32 v[48:49], v48 offset1:1
	s_waitcnt lgkmcnt(0)
	v_dot4_i32_iu8 v50, v48, v144, v50 neg_lo:[1,1,0]
	s_delay_alu instid0(VALU_DEP_1)
	v_dot4_i32_iu8 v144, v49, v145, v50 neg_lo:[1,1,0]
	v_add_nc_u32_e32 v50, 0x3198, v139
	v_mul_f32_e32 v145, v151, v143
	v_add_nc_u32_e32 v139, 32, v139
	ds_load_2addr_b32 v[50:51], v50 offset1:1
	s_waitcnt lgkmcnt(0)
	v_dot4_i32_iu8 v144, v50, v146, v144 neg_lo:[1,1,0]
	s_delay_alu instid0(VALU_DEP_1) | instskip(NEXT) | instid1(VALU_DEP_1)
	v_dot4_i32_iu8 v144, v51, v147, v144 neg_lo:[1,1,0]
	v_cvt_f32_i32_e32 v144, v144
	s_delay_alu instid0(VALU_DEP_1) | instskip(SKIP_4) | instid1(VALU_DEP_1)
	v_fmac_f32_e32 v93, v145, v144
	ds_load_b128 v[144:147], v138 offset:1024
	ds_load_b128 v[148:151], v138 offset:1040
	s_waitcnt lgkmcnt(1)
	v_dot4_i32_iu8 v153, v144, v20, 0 neg_lo:[1,1,0]
	v_dot4_i32_iu8 v153, v145, v21, v153 neg_lo:[1,1,0]
	s_delay_alu instid0(VALU_DEP_1) | instskip(NEXT) | instid1(VALU_DEP_1)
	v_dot4_i32_iu8 v153, v146, v22, v153 neg_lo:[1,1,0]
	v_dot4_i32_iu8 v153, v147, v23, v153 neg_lo:[1,1,0]
	s_waitcnt lgkmcnt(0)
	s_delay_alu instid0(VALU_DEP_1) | instskip(NEXT) | instid1(VALU_DEP_1)
	v_dot4_i32_iu8 v153, v148, v24, v153 neg_lo:[1,1,0]
	v_dot4_i32_iu8 v153, v149, v25, v153 neg_lo:[1,1,0]
	s_delay_alu instid0(VALU_DEP_1) | instskip(NEXT) | instid1(VALU_DEP_1)
	v_dot4_i32_iu8 v153, v150, v26, v153 neg_lo:[1,1,0]
	v_dot4_i32_iu8 v153, v151, v27, v153 neg_lo:[1,1,0]
	s_delay_alu instid0(VALU_DEP_1) | instskip(NEXT) | instid1(VALU_DEP_1)
	v_cvt_f32_i32_e32 v153, v153
	v_fmac_f32_e32 v92, v154, v153
	v_dot4_i32_iu8 v153, v144, v28, 0 neg_lo:[1,1,0]
	v_mul_f32_e32 v154, v141, v152
	s_delay_alu instid0(VALU_DEP_2) | instskip(NEXT) | instid1(VALU_DEP_1)
	v_dot4_i32_iu8 v153, v145, v29, v153 neg_lo:[1,1,0]
	v_dot4_i32_iu8 v153, v146, v30, v153 neg_lo:[1,1,0]
	s_delay_alu instid0(VALU_DEP_1) | instskip(NEXT) | instid1(VALU_DEP_1)
	v_dot4_i32_iu8 v153, v147, v31, v153 neg_lo:[1,1,0]
	v_dot4_i32_iu8 v153, v148, v32, v153 neg_lo:[1,1,0]
	s_delay_alu instid0(VALU_DEP_1) | instskip(NEXT) | instid1(VALU_DEP_1)
	;; [unrolled: 3-line block ×3, first 2 shown]
	v_dot4_i32_iu8 v153, v151, v37, v153 neg_lo:[1,1,0]
	v_cvt_f32_i32_e32 v153, v153
	s_delay_alu instid0(VALU_DEP_1) | instskip(SKIP_3) | instid1(VALU_DEP_3)
	v_fmac_f32_e32 v91, v154, v153
	v_dot4_i32_iu8 v153, v144, v34, 0 neg_lo:[1,1,0]
	v_dot4_i32_iu8 v144, v144, v44, 0 neg_lo:[1,1,0]
	v_mul_f32_e32 v154, v142, v152
	v_dot4_i32_iu8 v153, v145, v35, v153 neg_lo:[1,1,0]
	s_delay_alu instid0(VALU_DEP_3) | instskip(SKIP_1) | instid1(VALU_DEP_3)
	v_dot4_i32_iu8 v144, v145, v45, v144 neg_lo:[1,1,0]
	v_mul_f32_e32 v145, v143, v152
	v_dot4_i32_iu8 v153, v146, v38, v153 neg_lo:[1,1,0]
	s_delay_alu instid0(VALU_DEP_3) | instskip(NEXT) | instid1(VALU_DEP_2)
	v_dot4_i32_iu8 v144, v146, v46, v144 neg_lo:[1,1,0]
	v_dot4_i32_iu8 v153, v147, v39, v153 neg_lo:[1,1,0]
	s_delay_alu instid0(VALU_DEP_2) | instskip(NEXT) | instid1(VALU_DEP_2)
	v_dot4_i32_iu8 v144, v147, v47, v144 neg_lo:[1,1,0]
	v_dot4_i32_iu8 v153, v148, v40, v153 neg_lo:[1,1,0]
	s_delay_alu instid0(VALU_DEP_2) | instskip(NEXT) | instid1(VALU_DEP_2)
	;; [unrolled: 3-line block ×5, first 2 shown]
	v_dot4_i32_iu8 v144, v151, v51, v144 neg_lo:[1,1,0]
	v_cvt_f32_i32_e32 v153, v153
	s_delay_alu instid0(VALU_DEP_2) | instskip(NEXT) | instid1(VALU_DEP_1)
	v_cvt_f32_i32_e32 v144, v144
	v_dual_fmac_f32 v89, v154, v153 :: v_dual_fmac_f32 v88, v145, v144
	ds_load_2addr_b32 v[152:153], v133 offset0:64 offset1:96
	ds_load_b128 v[144:147], v138 offset:2048
	ds_load_b128 v[148:151], v138 offset:2064
	s_waitcnt lgkmcnt(2)
	v_mul_f32_e32 v155, v140, v152
	s_waitcnt lgkmcnt(1)
	v_dot4_i32_iu8 v154, v144, v20, 0 neg_lo:[1,1,0]
	s_delay_alu instid0(VALU_DEP_1) | instskip(NEXT) | instid1(VALU_DEP_1)
	v_dot4_i32_iu8 v154, v145, v21, v154 neg_lo:[1,1,0]
	v_dot4_i32_iu8 v154, v146, v22, v154 neg_lo:[1,1,0]
	s_delay_alu instid0(VALU_DEP_1) | instskip(SKIP_1) | instid1(VALU_DEP_1)
	v_dot4_i32_iu8 v154, v147, v23, v154 neg_lo:[1,1,0]
	s_waitcnt lgkmcnt(0)
	v_dot4_i32_iu8 v154, v148, v24, v154 neg_lo:[1,1,0]
	s_delay_alu instid0(VALU_DEP_1) | instskip(NEXT) | instid1(VALU_DEP_1)
	v_dot4_i32_iu8 v154, v149, v25, v154 neg_lo:[1,1,0]
	v_dot4_i32_iu8 v154, v150, v26, v154 neg_lo:[1,1,0]
	s_delay_alu instid0(VALU_DEP_1) | instskip(NEXT) | instid1(VALU_DEP_1)
	v_dot4_i32_iu8 v154, v151, v27, v154 neg_lo:[1,1,0]
	v_cvt_f32_i32_e32 v154, v154
	s_delay_alu instid0(VALU_DEP_1) | instskip(SKIP_2) | instid1(VALU_DEP_2)
	v_fmac_f32_e32 v87, v155, v154
	v_dot4_i32_iu8 v154, v144, v28, 0 neg_lo:[1,1,0]
	v_mul_f32_e32 v155, v141, v152
	v_dot4_i32_iu8 v154, v145, v29, v154 neg_lo:[1,1,0]
	s_delay_alu instid0(VALU_DEP_1) | instskip(NEXT) | instid1(VALU_DEP_1)
	v_dot4_i32_iu8 v154, v146, v30, v154 neg_lo:[1,1,0]
	v_dot4_i32_iu8 v154, v147, v31, v154 neg_lo:[1,1,0]
	s_delay_alu instid0(VALU_DEP_1) | instskip(NEXT) | instid1(VALU_DEP_1)
	v_dot4_i32_iu8 v154, v148, v32, v154 neg_lo:[1,1,0]
	;; [unrolled: 3-line block ×3, first 2 shown]
	v_dot4_i32_iu8 v154, v151, v37, v154 neg_lo:[1,1,0]
	s_delay_alu instid0(VALU_DEP_1) | instskip(NEXT) | instid1(VALU_DEP_1)
	v_cvt_f32_i32_e32 v154, v154
	v_dual_fmac_f32 v84, v155, v154 :: v_dual_mul_f32 v155, v142, v152
	v_dot4_i32_iu8 v154, v144, v34, 0 neg_lo:[1,1,0]
	v_dot4_i32_iu8 v144, v144, v44, 0 neg_lo:[1,1,0]
	s_delay_alu instid0(VALU_DEP_2) | instskip(NEXT) | instid1(VALU_DEP_2)
	v_dot4_i32_iu8 v154, v145, v35, v154 neg_lo:[1,1,0]
	v_dot4_i32_iu8 v144, v145, v45, v144 neg_lo:[1,1,0]
	v_mul_f32_e32 v145, v143, v152
	s_delay_alu instid0(VALU_DEP_3) | instskip(NEXT) | instid1(VALU_DEP_3)
	v_dot4_i32_iu8 v154, v146, v38, v154 neg_lo:[1,1,0]
	v_dot4_i32_iu8 v144, v146, v46, v144 neg_lo:[1,1,0]
	s_delay_alu instid0(VALU_DEP_2) | instskip(NEXT) | instid1(VALU_DEP_2)
	v_dot4_i32_iu8 v154, v147, v39, v154 neg_lo:[1,1,0]
	v_dot4_i32_iu8 v144, v147, v47, v144 neg_lo:[1,1,0]
	s_delay_alu instid0(VALU_DEP_2) | instskip(NEXT) | instid1(VALU_DEP_2)
	;; [unrolled: 3-line block ×6, first 2 shown]
	v_cvt_f32_i32_e32 v154, v154
	v_cvt_f32_i32_e32 v144, v144
	s_delay_alu instid0(VALU_DEP_1)
	v_dual_fmac_f32 v82, v155, v154 :: v_dual_fmac_f32 v77, v145, v144
	ds_load_b128 v[144:147], v138 offset:3072
	ds_load_b128 v[148:151], v138 offset:3088
	v_mul_f32_e32 v154, v140, v153
	s_waitcnt lgkmcnt(1)
	v_dot4_i32_iu8 v152, v144, v20, 0 neg_lo:[1,1,0]
	s_delay_alu instid0(VALU_DEP_1) | instskip(NEXT) | instid1(VALU_DEP_1)
	v_dot4_i32_iu8 v152, v145, v21, v152 neg_lo:[1,1,0]
	v_dot4_i32_iu8 v152, v146, v22, v152 neg_lo:[1,1,0]
	s_delay_alu instid0(VALU_DEP_1) | instskip(SKIP_1) | instid1(VALU_DEP_1)
	v_dot4_i32_iu8 v152, v147, v23, v152 neg_lo:[1,1,0]
	s_waitcnt lgkmcnt(0)
	v_dot4_i32_iu8 v152, v148, v24, v152 neg_lo:[1,1,0]
	s_delay_alu instid0(VALU_DEP_1) | instskip(NEXT) | instid1(VALU_DEP_1)
	v_dot4_i32_iu8 v152, v149, v25, v152 neg_lo:[1,1,0]
	v_dot4_i32_iu8 v152, v150, v26, v152 neg_lo:[1,1,0]
	s_delay_alu instid0(VALU_DEP_1) | instskip(NEXT) | instid1(VALU_DEP_1)
	v_dot4_i32_iu8 v152, v151, v27, v152 neg_lo:[1,1,0]
	v_cvt_f32_i32_e32 v152, v152
	s_delay_alu instid0(VALU_DEP_1) | instskip(SKIP_2) | instid1(VALU_DEP_2)
	v_fmac_f32_e32 v76, v154, v152
	v_dot4_i32_iu8 v152, v144, v28, 0 neg_lo:[1,1,0]
	v_mul_f32_e32 v154, v141, v153
	v_dot4_i32_iu8 v152, v145, v29, v152 neg_lo:[1,1,0]
	s_delay_alu instid0(VALU_DEP_1) | instskip(NEXT) | instid1(VALU_DEP_1)
	v_dot4_i32_iu8 v152, v146, v30, v152 neg_lo:[1,1,0]
	v_dot4_i32_iu8 v152, v147, v31, v152 neg_lo:[1,1,0]
	s_delay_alu instid0(VALU_DEP_1) | instskip(NEXT) | instid1(VALU_DEP_1)
	v_dot4_i32_iu8 v152, v148, v32, v152 neg_lo:[1,1,0]
	;; [unrolled: 3-line block ×3, first 2 shown]
	v_dot4_i32_iu8 v152, v151, v37, v152 neg_lo:[1,1,0]
	s_delay_alu instid0(VALU_DEP_1) | instskip(NEXT) | instid1(VALU_DEP_1)
	v_cvt_f32_i32_e32 v152, v152
	v_fmac_f32_e32 v73, v154, v152
	v_dot4_i32_iu8 v152, v144, v34, 0 neg_lo:[1,1,0]
	v_dot4_i32_iu8 v144, v144, v44, 0 neg_lo:[1,1,0]
	v_mul_f32_e32 v154, v142, v153
	s_delay_alu instid0(VALU_DEP_3) | instskip(NEXT) | instid1(VALU_DEP_3)
	v_dot4_i32_iu8 v152, v145, v35, v152 neg_lo:[1,1,0]
	v_dot4_i32_iu8 v144, v145, v45, v144 neg_lo:[1,1,0]
	v_mul_f32_e32 v145, v143, v153
	s_delay_alu instid0(VALU_DEP_3) | instskip(NEXT) | instid1(VALU_DEP_3)
	v_dot4_i32_iu8 v152, v146, v38, v152 neg_lo:[1,1,0]
	v_dot4_i32_iu8 v144, v146, v46, v144 neg_lo:[1,1,0]
	s_delay_alu instid0(VALU_DEP_2) | instskip(NEXT) | instid1(VALU_DEP_2)
	v_dot4_i32_iu8 v152, v147, v39, v152 neg_lo:[1,1,0]
	v_dot4_i32_iu8 v144, v147, v47, v144 neg_lo:[1,1,0]
	s_delay_alu instid0(VALU_DEP_2) | instskip(NEXT) | instid1(VALU_DEP_2)
	;; [unrolled: 3-line block ×6, first 2 shown]
	v_cvt_f32_i32_e32 v152, v152
	v_cvt_f32_i32_e32 v144, v144
	s_delay_alu instid0(VALU_DEP_2) | instskip(NEXT) | instid1(VALU_DEP_2)
	v_fmac_f32_e32 v72, v154, v152
	v_fmac_f32_e32 v71, v145, v144
	ds_load_2addr_b32 v[152:153], v133 offset0:128 offset1:160
	ds_load_b128 v[144:147], v138 offset:4096
	ds_load_b128 v[148:151], v138 offset:4112
	s_waitcnt lgkmcnt(2)
	v_mul_f32_e32 v155, v140, v152
	s_waitcnt lgkmcnt(1)
	v_dot4_i32_iu8 v154, v144, v20, 0 neg_lo:[1,1,0]
	s_delay_alu instid0(VALU_DEP_1) | instskip(NEXT) | instid1(VALU_DEP_1)
	v_dot4_i32_iu8 v154, v145, v21, v154 neg_lo:[1,1,0]
	v_dot4_i32_iu8 v154, v146, v22, v154 neg_lo:[1,1,0]
	s_delay_alu instid0(VALU_DEP_1) | instskip(SKIP_1) | instid1(VALU_DEP_1)
	v_dot4_i32_iu8 v154, v147, v23, v154 neg_lo:[1,1,0]
	s_waitcnt lgkmcnt(0)
	v_dot4_i32_iu8 v154, v148, v24, v154 neg_lo:[1,1,0]
	s_delay_alu instid0(VALU_DEP_1) | instskip(NEXT) | instid1(VALU_DEP_1)
	v_dot4_i32_iu8 v154, v149, v25, v154 neg_lo:[1,1,0]
	v_dot4_i32_iu8 v154, v150, v26, v154 neg_lo:[1,1,0]
	s_delay_alu instid0(VALU_DEP_1) | instskip(NEXT) | instid1(VALU_DEP_1)
	v_dot4_i32_iu8 v154, v151, v27, v154 neg_lo:[1,1,0]
	v_cvt_f32_i32_e32 v154, v154
	s_delay_alu instid0(VALU_DEP_1) | instskip(SKIP_2) | instid1(VALU_DEP_2)
	v_fmac_f32_e32 v70, v155, v154
	v_dot4_i32_iu8 v154, v144, v28, 0 neg_lo:[1,1,0]
	v_mul_f32_e32 v155, v141, v152
	v_dot4_i32_iu8 v154, v145, v29, v154 neg_lo:[1,1,0]
	s_delay_alu instid0(VALU_DEP_1) | instskip(NEXT) | instid1(VALU_DEP_1)
	v_dot4_i32_iu8 v154, v146, v30, v154 neg_lo:[1,1,0]
	v_dot4_i32_iu8 v154, v147, v31, v154 neg_lo:[1,1,0]
	s_delay_alu instid0(VALU_DEP_1) | instskip(NEXT) | instid1(VALU_DEP_1)
	v_dot4_i32_iu8 v154, v148, v32, v154 neg_lo:[1,1,0]
	;; [unrolled: 3-line block ×3, first 2 shown]
	v_dot4_i32_iu8 v154, v151, v37, v154 neg_lo:[1,1,0]
	s_delay_alu instid0(VALU_DEP_1) | instskip(NEXT) | instid1(VALU_DEP_1)
	v_cvt_f32_i32_e32 v154, v154
	v_fmac_f32_e32 v69, v155, v154
	v_dot4_i32_iu8 v154, v144, v34, 0 neg_lo:[1,1,0]
	v_dot4_i32_iu8 v144, v144, v44, 0 neg_lo:[1,1,0]
	v_mul_f32_e32 v155, v142, v152
	s_delay_alu instid0(VALU_DEP_3) | instskip(NEXT) | instid1(VALU_DEP_3)
	v_dot4_i32_iu8 v154, v145, v35, v154 neg_lo:[1,1,0]
	v_dot4_i32_iu8 v144, v145, v45, v144 neg_lo:[1,1,0]
	v_mul_f32_e32 v145, v143, v152
	s_delay_alu instid0(VALU_DEP_3) | instskip(NEXT) | instid1(VALU_DEP_3)
	v_dot4_i32_iu8 v154, v146, v38, v154 neg_lo:[1,1,0]
	v_dot4_i32_iu8 v144, v146, v46, v144 neg_lo:[1,1,0]
	s_delay_alu instid0(VALU_DEP_2) | instskip(NEXT) | instid1(VALU_DEP_2)
	v_dot4_i32_iu8 v154, v147, v39, v154 neg_lo:[1,1,0]
	v_dot4_i32_iu8 v144, v147, v47, v144 neg_lo:[1,1,0]
	s_delay_alu instid0(VALU_DEP_2) | instskip(NEXT) | instid1(VALU_DEP_2)
	;; [unrolled: 3-line block ×6, first 2 shown]
	v_cvt_f32_i32_e32 v154, v154
	v_cvt_f32_i32_e32 v144, v144
	s_delay_alu instid0(VALU_DEP_1)
	v_dual_fmac_f32 v67, v155, v154 :: v_dual_fmac_f32 v64, v145, v144
	ds_load_b128 v[144:147], v138 offset:5120
	ds_load_b128 v[148:151], v138 offset:5136
	v_mul_f32_e32 v154, v140, v153
	s_waitcnt lgkmcnt(1)
	v_dot4_i32_iu8 v152, v144, v20, 0 neg_lo:[1,1,0]
	s_delay_alu instid0(VALU_DEP_1) | instskip(NEXT) | instid1(VALU_DEP_1)
	v_dot4_i32_iu8 v152, v145, v21, v152 neg_lo:[1,1,0]
	v_dot4_i32_iu8 v152, v146, v22, v152 neg_lo:[1,1,0]
	s_delay_alu instid0(VALU_DEP_1) | instskip(SKIP_1) | instid1(VALU_DEP_1)
	v_dot4_i32_iu8 v152, v147, v23, v152 neg_lo:[1,1,0]
	s_waitcnt lgkmcnt(0)
	v_dot4_i32_iu8 v152, v148, v24, v152 neg_lo:[1,1,0]
	s_delay_alu instid0(VALU_DEP_1) | instskip(NEXT) | instid1(VALU_DEP_1)
	v_dot4_i32_iu8 v152, v149, v25, v152 neg_lo:[1,1,0]
	v_dot4_i32_iu8 v152, v150, v26, v152 neg_lo:[1,1,0]
	s_delay_alu instid0(VALU_DEP_1) | instskip(NEXT) | instid1(VALU_DEP_1)
	v_dot4_i32_iu8 v152, v151, v27, v152 neg_lo:[1,1,0]
	v_cvt_f32_i32_e32 v152, v152
	s_delay_alu instid0(VALU_DEP_1) | instskip(SKIP_2) | instid1(VALU_DEP_2)
	v_fmac_f32_e32 v63, v154, v152
	v_dot4_i32_iu8 v152, v144, v28, 0 neg_lo:[1,1,0]
	v_mul_f32_e32 v154, v141, v153
	v_dot4_i32_iu8 v152, v145, v29, v152 neg_lo:[1,1,0]
	s_delay_alu instid0(VALU_DEP_1) | instskip(NEXT) | instid1(VALU_DEP_1)
	v_dot4_i32_iu8 v152, v146, v30, v152 neg_lo:[1,1,0]
	v_dot4_i32_iu8 v152, v147, v31, v152 neg_lo:[1,1,0]
	s_delay_alu instid0(VALU_DEP_1) | instskip(NEXT) | instid1(VALU_DEP_1)
	v_dot4_i32_iu8 v152, v148, v32, v152 neg_lo:[1,1,0]
	;; [unrolled: 3-line block ×3, first 2 shown]
	v_dot4_i32_iu8 v152, v151, v37, v152 neg_lo:[1,1,0]
	s_delay_alu instid0(VALU_DEP_1) | instskip(NEXT) | instid1(VALU_DEP_1)
	v_cvt_f32_i32_e32 v152, v152
	v_fmac_f32_e32 v62, v154, v152
	v_dot4_i32_iu8 v152, v144, v34, 0 neg_lo:[1,1,0]
	v_dot4_i32_iu8 v144, v144, v44, 0 neg_lo:[1,1,0]
	v_mul_f32_e32 v154, v142, v153
	s_delay_alu instid0(VALU_DEP_3) | instskip(NEXT) | instid1(VALU_DEP_3)
	v_dot4_i32_iu8 v152, v145, v35, v152 neg_lo:[1,1,0]
	v_dot4_i32_iu8 v144, v145, v45, v144 neg_lo:[1,1,0]
	v_mul_f32_e32 v145, v143, v153
	s_delay_alu instid0(VALU_DEP_3) | instskip(NEXT) | instid1(VALU_DEP_3)
	v_dot4_i32_iu8 v152, v146, v38, v152 neg_lo:[1,1,0]
	v_dot4_i32_iu8 v144, v146, v46, v144 neg_lo:[1,1,0]
	s_delay_alu instid0(VALU_DEP_2) | instskip(NEXT) | instid1(VALU_DEP_2)
	v_dot4_i32_iu8 v152, v147, v39, v152 neg_lo:[1,1,0]
	v_dot4_i32_iu8 v144, v147, v47, v144 neg_lo:[1,1,0]
	s_delay_alu instid0(VALU_DEP_2) | instskip(NEXT) | instid1(VALU_DEP_2)
	;; [unrolled: 3-line block ×6, first 2 shown]
	v_cvt_f32_i32_e32 v152, v152
	v_cvt_f32_i32_e32 v144, v144
	s_delay_alu instid0(VALU_DEP_2) | instskip(NEXT) | instid1(VALU_DEP_2)
	v_fmac_f32_e32 v61, v154, v152
	v_fmac_f32_e32 v60, v145, v144
	ds_load_2addr_b32 v[152:153], v133 offset0:192 offset1:224
	ds_load_b128 v[144:147], v138 offset:6144
	ds_load_b128 v[148:151], v138 offset:6160
	v_add_nc_u32_e32 v133, 4, v133
	s_waitcnt lgkmcnt(2)
	v_mul_f32_e32 v155, v140, v152
	s_waitcnt lgkmcnt(1)
	v_dot4_i32_iu8 v154, v144, v20, 0 neg_lo:[1,1,0]
	s_delay_alu instid0(VALU_DEP_1) | instskip(NEXT) | instid1(VALU_DEP_1)
	v_dot4_i32_iu8 v154, v145, v21, v154 neg_lo:[1,1,0]
	v_dot4_i32_iu8 v154, v146, v22, v154 neg_lo:[1,1,0]
	s_delay_alu instid0(VALU_DEP_1) | instskip(SKIP_1) | instid1(VALU_DEP_1)
	v_dot4_i32_iu8 v154, v147, v23, v154 neg_lo:[1,1,0]
	s_waitcnt lgkmcnt(0)
	v_dot4_i32_iu8 v154, v148, v24, v154 neg_lo:[1,1,0]
	s_delay_alu instid0(VALU_DEP_1) | instskip(NEXT) | instid1(VALU_DEP_1)
	v_dot4_i32_iu8 v154, v149, v25, v154 neg_lo:[1,1,0]
	v_dot4_i32_iu8 v154, v150, v26, v154 neg_lo:[1,1,0]
	s_delay_alu instid0(VALU_DEP_1) | instskip(NEXT) | instid1(VALU_DEP_1)
	v_dot4_i32_iu8 v154, v151, v27, v154 neg_lo:[1,1,0]
	v_cvt_f32_i32_e32 v154, v154
	s_delay_alu instid0(VALU_DEP_1) | instskip(SKIP_2) | instid1(VALU_DEP_2)
	v_fmac_f32_e32 v59, v155, v154
	v_dot4_i32_iu8 v154, v144, v28, 0 neg_lo:[1,1,0]
	v_mul_f32_e32 v155, v141, v152
	v_dot4_i32_iu8 v154, v145, v29, v154 neg_lo:[1,1,0]
	s_delay_alu instid0(VALU_DEP_1) | instskip(NEXT) | instid1(VALU_DEP_1)
	v_dot4_i32_iu8 v154, v146, v30, v154 neg_lo:[1,1,0]
	v_dot4_i32_iu8 v154, v147, v31, v154 neg_lo:[1,1,0]
	s_delay_alu instid0(VALU_DEP_1) | instskip(NEXT) | instid1(VALU_DEP_1)
	v_dot4_i32_iu8 v154, v148, v32, v154 neg_lo:[1,1,0]
	v_dot4_i32_iu8 v154, v149, v33, v154 neg_lo:[1,1,0]
	s_delay_alu instid0(VALU_DEP_1) | instskip(NEXT) | instid1(VALU_DEP_1)
	v_dot4_i32_iu8 v154, v150, v36, v154 neg_lo:[1,1,0]
	v_dot4_i32_iu8 v154, v151, v37, v154 neg_lo:[1,1,0]
	s_delay_alu instid0(VALU_DEP_1) | instskip(NEXT) | instid1(VALU_DEP_1)
	v_cvt_f32_i32_e32 v154, v154
	v_fmac_f32_e32 v58, v155, v154
	v_dot4_i32_iu8 v154, v144, v34, 0 neg_lo:[1,1,0]
	v_dot4_i32_iu8 v144, v144, v44, 0 neg_lo:[1,1,0]
	v_mul_f32_e32 v155, v142, v152
	s_delay_alu instid0(VALU_DEP_3) | instskip(NEXT) | instid1(VALU_DEP_3)
	v_dot4_i32_iu8 v154, v145, v35, v154 neg_lo:[1,1,0]
	v_dot4_i32_iu8 v144, v145, v45, v144 neg_lo:[1,1,0]
	v_mul_f32_e32 v145, v143, v152
	s_delay_alu instid0(VALU_DEP_3) | instskip(NEXT) | instid1(VALU_DEP_3)
	v_dot4_i32_iu8 v154, v146, v38, v154 neg_lo:[1,1,0]
	v_dot4_i32_iu8 v144, v146, v46, v144 neg_lo:[1,1,0]
	s_delay_alu instid0(VALU_DEP_2) | instskip(NEXT) | instid1(VALU_DEP_2)
	v_dot4_i32_iu8 v154, v147, v39, v154 neg_lo:[1,1,0]
	v_dot4_i32_iu8 v144, v147, v47, v144 neg_lo:[1,1,0]
	s_delay_alu instid0(VALU_DEP_2) | instskip(NEXT) | instid1(VALU_DEP_2)
	;; [unrolled: 3-line block ×6, first 2 shown]
	v_cvt_f32_i32_e32 v154, v154
	v_cvt_f32_i32_e32 v144, v144
	s_delay_alu instid0(VALU_DEP_1)
	v_dual_fmac_f32 v57, v155, v154 :: v_dual_fmac_f32 v56, v145, v144
	ds_load_b128 v[144:147], v138 offset:7168
	ds_load_b128 v[148:151], v138 offset:7184
	v_add_nc_u32_e32 v138, 32, v138
	s_waitcnt lgkmcnt(1)
	v_dot4_i32_iu8 v20, v144, v20, 0 neg_lo:[1,1,0]
	s_delay_alu instid0(VALU_DEP_1) | instskip(SKIP_1) | instid1(VALU_DEP_2)
	v_dot4_i32_iu8 v20, v145, v21, v20 neg_lo:[1,1,0]
	v_mul_f32_e32 v21, v140, v153
	v_dot4_i32_iu8 v20, v146, v22, v20 neg_lo:[1,1,0]
	s_delay_alu instid0(VALU_DEP_1) | instskip(SKIP_1) | instid1(VALU_DEP_1)
	v_dot4_i32_iu8 v20, v147, v23, v20 neg_lo:[1,1,0]
	s_waitcnt lgkmcnt(0)
	v_dot4_i32_iu8 v20, v148, v24, v20 neg_lo:[1,1,0]
	s_delay_alu instid0(VALU_DEP_1) | instskip(NEXT) | instid1(VALU_DEP_1)
	v_dot4_i32_iu8 v20, v149, v25, v20 neg_lo:[1,1,0]
	v_dot4_i32_iu8 v20, v150, v26, v20 neg_lo:[1,1,0]
	s_delay_alu instid0(VALU_DEP_1) | instskip(NEXT) | instid1(VALU_DEP_1)
	v_dot4_i32_iu8 v20, v151, v27, v20 neg_lo:[1,1,0]
	v_cvt_f32_i32_e32 v20, v20
	s_delay_alu instid0(VALU_DEP_1) | instskip(SKIP_2) | instid1(VALU_DEP_2)
	v_fmac_f32_e32 v55, v21, v20
	v_dot4_i32_iu8 v20, v144, v28, 0 neg_lo:[1,1,0]
	v_mul_f32_e32 v21, v141, v153
	v_dot4_i32_iu8 v20, v145, v29, v20 neg_lo:[1,1,0]
	s_delay_alu instid0(VALU_DEP_1) | instskip(NEXT) | instid1(VALU_DEP_1)
	v_dot4_i32_iu8 v20, v146, v30, v20 neg_lo:[1,1,0]
	v_dot4_i32_iu8 v20, v147, v31, v20 neg_lo:[1,1,0]
	s_delay_alu instid0(VALU_DEP_1) | instskip(NEXT) | instid1(VALU_DEP_1)
	v_dot4_i32_iu8 v20, v148, v32, v20 neg_lo:[1,1,0]
	;; [unrolled: 3-line block ×3, first 2 shown]
	v_dot4_i32_iu8 v20, v151, v37, v20 neg_lo:[1,1,0]
	s_delay_alu instid0(VALU_DEP_1) | instskip(NEXT) | instid1(VALU_DEP_1)
	v_cvt_f32_i32_e32 v20, v20
	v_fmac_f32_e32 v54, v21, v20
	v_dot4_i32_iu8 v20, v144, v34, 0 neg_lo:[1,1,0]
	v_mul_f32_e32 v21, v142, v153
	s_delay_alu instid0(VALU_DEP_2) | instskip(NEXT) | instid1(VALU_DEP_1)
	v_dot4_i32_iu8 v20, v145, v35, v20 neg_lo:[1,1,0]
	v_dot4_i32_iu8 v20, v146, v38, v20 neg_lo:[1,1,0]
	s_delay_alu instid0(VALU_DEP_1) | instskip(NEXT) | instid1(VALU_DEP_1)
	v_dot4_i32_iu8 v20, v147, v39, v20 neg_lo:[1,1,0]
	v_dot4_i32_iu8 v20, v148, v40, v20 neg_lo:[1,1,0]
	s_delay_alu instid0(VALU_DEP_1) | instskip(NEXT) | instid1(VALU_DEP_1)
	;; [unrolled: 3-line block ×3, first 2 shown]
	v_dot4_i32_iu8 v20, v151, v43, v20 neg_lo:[1,1,0]
	v_cvt_f32_i32_e32 v20, v20
	s_delay_alu instid0(VALU_DEP_1) | instskip(SKIP_2) | instid1(VALU_DEP_2)
	v_fmac_f32_e32 v53, v21, v20
	v_dot4_i32_iu8 v20, v144, v44, 0 neg_lo:[1,1,0]
	v_mul_f32_e32 v21, v143, v153
	v_dot4_i32_iu8 v20, v145, v45, v20 neg_lo:[1,1,0]
	s_delay_alu instid0(VALU_DEP_1) | instskip(NEXT) | instid1(VALU_DEP_1)
	v_dot4_i32_iu8 v20, v146, v46, v20 neg_lo:[1,1,0]
	v_dot4_i32_iu8 v20, v147, v47, v20 neg_lo:[1,1,0]
	s_delay_alu instid0(VALU_DEP_1) | instskip(NEXT) | instid1(VALU_DEP_1)
	v_dot4_i32_iu8 v20, v148, v48, v20 neg_lo:[1,1,0]
	;; [unrolled: 3-line block ×3, first 2 shown]
	v_dot4_i32_iu8 v20, v151, v51, v20 neg_lo:[1,1,0]
	s_delay_alu instid0(VALU_DEP_1) | instskip(NEXT) | instid1(VALU_DEP_1)
	v_cvt_f32_i32_e32 v20, v20
	v_fmac_f32_e32 v52, v21, v20
	s_cbranch_scc1 .LBB126_6
; %bb.7:                                ;   in Loop: Header=BB126_5 Depth=1
	s_add_i32 s5, s5, 4
	s_delay_alu instid0(SALU_CYCLE_1)
	s_cmp_ge_i32 s5, s4
	s_barrier
	buffer_gl0_inv
	s_cbranch_scc0 .LBB126_5
; %bb.8:
	v_dual_mov_b32 v1, v65 :: v_dual_mov_b32 v0, v66
.LBB126_9:
	s_mov_b32 s0, exec_lo
	v_cmpx_gt_u32_e64 s6, v74
	s_cbranch_execz .LBB126_60
; %bb.10:
	s_delay_alu instid0(VALU_DEP_2) | instskip(SKIP_1) | instid1(VALU_DEP_2)
	v_add_nc_u32_e32 v0, s12, v0
	v_mul_lo_u32 v5, v74, s10
	v_cmp_gt_u32_e32 vcc_lo, s10, v0
	s_and_saveexec_b32 s1, vcc_lo
	s_cbranch_execz .LBB126_12
; %bb.11:
	s_delay_alu instid0(VALU_DEP_2) | instskip(NEXT) | instid1(VALU_DEP_1)
	v_dual_mov_b32 v3, 0 :: v_dual_add_nc_u32 v2, v0, v5
	v_lshlrev_b64 v[2:3], 2, v[2:3]
	s_waitcnt lgkmcnt(0)
	s_delay_alu instid0(VALU_DEP_1) | instskip(NEXT) | instid1(VALU_DEP_1)
	v_add_co_u32 v2, s0, s8, v2
	v_add_co_ci_u32_e64 v3, s0, s9, v3, s0
	global_store_b32 v[2:3], v68, off
.LBB126_12:
	s_or_b32 exec_lo, exec_lo, s1
	v_add_nc_u32_e32 v2, 32, v0
	s_delay_alu instid0(VALU_DEP_1) | instskip(NEXT) | instid1(VALU_DEP_1)
	v_cmp_gt_u32_e64 s0, s10, v2
	s_and_saveexec_b32 s2, s0
	s_cbranch_execz .LBB126_14
; %bb.13:
	v_dual_mov_b32 v4, 0 :: v_dual_add_nc_u32 v3, v2, v5
	s_delay_alu instid0(VALU_DEP_1) | instskip(SKIP_1) | instid1(VALU_DEP_1)
	v_lshlrev_b64 v[3:4], 2, v[3:4]
	s_waitcnt lgkmcnt(0)
	v_add_co_u32 v3, s1, s8, v3
	s_delay_alu instid0(VALU_DEP_1)
	v_add_co_ci_u32_e64 v4, s1, s9, v4, s1
	global_store_b32 v[3:4], v97, off
.LBB126_14:
	s_or_b32 exec_lo, exec_lo, s2
	v_add_nc_u32_e32 v3, 64, v0
	s_delay_alu instid0(VALU_DEP_1) | instskip(NEXT) | instid1(VALU_DEP_1)
	v_cmp_gt_u32_e64 s1, s10, v3
	s_and_saveexec_b32 s3, s1
	s_cbranch_execz .LBB126_16
; %bb.15:
	v_dual_mov_b32 v7, 0 :: v_dual_add_nc_u32 v6, v3, v5
	s_delay_alu instid0(VALU_DEP_1) | instskip(SKIP_1) | instid1(VALU_DEP_1)
	v_lshlrev_b64 v[6:7], 2, v[6:7]
	s_waitcnt lgkmcnt(0)
	v_add_co_u32 v6, s2, s8, v6
	s_delay_alu instid0(VALU_DEP_1)
	v_add_co_ci_u32_e64 v7, s2, s9, v7, s2
	global_store_b32 v[6:7], v94, off
.LBB126_16:
	;; [unrolled: 16-line block ×3, first 2 shown]
	s_or_b32 exec_lo, exec_lo, s4
	v_add3_u32 v5, v1, s11, 8
	s_delay_alu instid0(VALU_DEP_1) | instskip(NEXT) | instid1(VALU_DEP_1)
	v_cmp_gt_u32_e64 s3, s6, v5
	s_and_b32 exec_lo, exec_lo, s3
	s_cbranch_execz .LBB126_60
; %bb.19:
	v_mul_lo_u32 v5, v5, s10
	s_and_saveexec_b32 s4, vcc_lo
	s_cbranch_execnz .LBB126_61
; %bb.20:
	s_or_b32 exec_lo, exec_lo, s4
	s_and_saveexec_b32 s4, s0
	s_cbranch_execnz .LBB126_62
.LBB126_21:
	s_or_b32 exec_lo, exec_lo, s4
	s_and_saveexec_b32 s4, s1
	s_cbranch_execnz .LBB126_63
.LBB126_22:
	s_or_b32 exec_lo, exec_lo, s4
	s_and_saveexec_b32 s4, s2
	s_cbranch_execz .LBB126_24
.LBB126_23:
	v_dual_mov_b32 v6, 0 :: v_dual_add_nc_u32 v5, v5, v4
	s_delay_alu instid0(VALU_DEP_1) | instskip(SKIP_1) | instid1(VALU_DEP_1)
	v_lshlrev_b64 v[5:6], 2, v[5:6]
	s_waitcnt lgkmcnt(0)
	v_add_co_u32 v5, s3, s8, v5
	s_delay_alu instid0(VALU_DEP_1)
	v_add_co_ci_u32_e64 v6, s3, s9, v6, s3
	global_store_b32 v[5:6], v88, off
.LBB126_24:
	s_or_b32 exec_lo, exec_lo, s4
	v_add3_u32 v5, v1, s11, 16
	s_delay_alu instid0(VALU_DEP_1) | instskip(NEXT) | instid1(VALU_DEP_1)
	v_cmp_gt_u32_e64 s3, s6, v5
	s_and_b32 exec_lo, exec_lo, s3
	s_cbranch_execz .LBB126_60
; %bb.25:
	v_mul_lo_u32 v5, v5, s10
	s_and_saveexec_b32 s4, vcc_lo
	s_cbranch_execnz .LBB126_64
; %bb.26:
	s_or_b32 exec_lo, exec_lo, s4
	s_and_saveexec_b32 s4, s0
	s_cbranch_execnz .LBB126_65
.LBB126_27:
	s_or_b32 exec_lo, exec_lo, s4
	s_and_saveexec_b32 s4, s1
	s_cbranch_execnz .LBB126_66
.LBB126_28:
	s_or_b32 exec_lo, exec_lo, s4
	s_and_saveexec_b32 s4, s2
	s_cbranch_execz .LBB126_30
.LBB126_29:
	v_dual_mov_b32 v6, 0 :: v_dual_add_nc_u32 v5, v5, v4
	s_delay_alu instid0(VALU_DEP_1) | instskip(SKIP_1) | instid1(VALU_DEP_1)
	v_lshlrev_b64 v[5:6], 2, v[5:6]
	s_waitcnt lgkmcnt(0)
	v_add_co_u32 v5, s3, s8, v5
	s_delay_alu instid0(VALU_DEP_1)
	v_add_co_ci_u32_e64 v6, s3, s9, v6, s3
	global_store_b32 v[5:6], v77, off
.LBB126_30:
	s_or_b32 exec_lo, exec_lo, s4
	v_add3_u32 v5, v1, s11, 24
	s_delay_alu instid0(VALU_DEP_1) | instskip(NEXT) | instid1(VALU_DEP_1)
	v_cmp_gt_u32_e64 s3, s6, v5
	s_and_b32 exec_lo, exec_lo, s3
	s_cbranch_execz .LBB126_60
; %bb.31:
	v_mul_lo_u32 v5, v5, s10
	s_and_saveexec_b32 s4, vcc_lo
	s_cbranch_execnz .LBB126_67
; %bb.32:
	s_or_b32 exec_lo, exec_lo, s4
	s_and_saveexec_b32 s4, s0
	s_cbranch_execnz .LBB126_68
.LBB126_33:
	s_or_b32 exec_lo, exec_lo, s4
	s_and_saveexec_b32 s4, s1
	s_cbranch_execnz .LBB126_69
.LBB126_34:
	s_or_b32 exec_lo, exec_lo, s4
	s_and_saveexec_b32 s4, s2
	s_cbranch_execz .LBB126_36
.LBB126_35:
	v_dual_mov_b32 v6, 0 :: v_dual_add_nc_u32 v5, v5, v4
	s_delay_alu instid0(VALU_DEP_1) | instskip(SKIP_1) | instid1(VALU_DEP_1)
	v_lshlrev_b64 v[5:6], 2, v[5:6]
	s_waitcnt lgkmcnt(0)
	v_add_co_u32 v5, s3, s8, v5
	s_delay_alu instid0(VALU_DEP_1)
	v_add_co_ci_u32_e64 v6, s3, s9, v6, s3
	global_store_b32 v[5:6], v71, off
.LBB126_36:
	s_or_b32 exec_lo, exec_lo, s4
	v_add3_u32 v5, v1, s11, 32
	s_delay_alu instid0(VALU_DEP_1) | instskip(NEXT) | instid1(VALU_DEP_1)
	v_cmp_gt_u32_e64 s3, s6, v5
	s_and_b32 exec_lo, exec_lo, s3
	s_cbranch_execz .LBB126_60
; %bb.37:
	v_mul_lo_u32 v5, v5, s10
	s_and_saveexec_b32 s4, vcc_lo
	s_cbranch_execnz .LBB126_70
; %bb.38:
	s_or_b32 exec_lo, exec_lo, s4
	s_and_saveexec_b32 s4, s0
	s_cbranch_execnz .LBB126_71
.LBB126_39:
	s_or_b32 exec_lo, exec_lo, s4
	s_and_saveexec_b32 s4, s1
	s_cbranch_execnz .LBB126_72
.LBB126_40:
	s_or_b32 exec_lo, exec_lo, s4
	s_and_saveexec_b32 s4, s2
	s_cbranch_execz .LBB126_42
.LBB126_41:
	v_dual_mov_b32 v6, 0 :: v_dual_add_nc_u32 v5, v5, v4
	s_delay_alu instid0(VALU_DEP_1) | instskip(SKIP_1) | instid1(VALU_DEP_1)
	v_lshlrev_b64 v[5:6], 2, v[5:6]
	s_waitcnt lgkmcnt(0)
	v_add_co_u32 v5, s3, s8, v5
	s_delay_alu instid0(VALU_DEP_1)
	v_add_co_ci_u32_e64 v6, s3, s9, v6, s3
	global_store_b32 v[5:6], v64, off
.LBB126_42:
	s_or_b32 exec_lo, exec_lo, s4
	v_add3_u32 v5, v1, s11, 40
	s_delay_alu instid0(VALU_DEP_1) | instskip(NEXT) | instid1(VALU_DEP_1)
	v_cmp_gt_u32_e64 s3, s6, v5
	s_and_b32 exec_lo, exec_lo, s3
	s_cbranch_execz .LBB126_60
; %bb.43:
	v_mul_lo_u32 v5, v5, s10
	s_and_saveexec_b32 s4, vcc_lo
	s_cbranch_execnz .LBB126_73
; %bb.44:
	s_or_b32 exec_lo, exec_lo, s4
	s_and_saveexec_b32 s4, s0
	s_cbranch_execnz .LBB126_74
.LBB126_45:
	s_or_b32 exec_lo, exec_lo, s4
	s_and_saveexec_b32 s4, s1
	s_cbranch_execnz .LBB126_75
.LBB126_46:
	s_or_b32 exec_lo, exec_lo, s4
	s_and_saveexec_b32 s4, s2
	s_cbranch_execz .LBB126_48
.LBB126_47:
	v_dual_mov_b32 v6, 0 :: v_dual_add_nc_u32 v5, v5, v4
	s_delay_alu instid0(VALU_DEP_1) | instskip(SKIP_1) | instid1(VALU_DEP_1)
	v_lshlrev_b64 v[5:6], 2, v[5:6]
	s_waitcnt lgkmcnt(0)
	v_add_co_u32 v5, s3, s8, v5
	s_delay_alu instid0(VALU_DEP_1)
	v_add_co_ci_u32_e64 v6, s3, s9, v6, s3
	global_store_b32 v[5:6], v60, off
.LBB126_48:
	s_or_b32 exec_lo, exec_lo, s4
	v_add3_u32 v5, v1, s11, 48
	s_delay_alu instid0(VALU_DEP_1) | instskip(NEXT) | instid1(VALU_DEP_1)
	v_cmp_gt_u32_e64 s3, s6, v5
	s_and_b32 exec_lo, exec_lo, s3
	s_cbranch_execz .LBB126_60
; %bb.49:
	v_mul_lo_u32 v5, v5, s10
	s_and_saveexec_b32 s4, vcc_lo
	s_cbranch_execnz .LBB126_76
; %bb.50:
	s_or_b32 exec_lo, exec_lo, s4
	s_and_saveexec_b32 s4, s0
	s_cbranch_execnz .LBB126_77
.LBB126_51:
	s_or_b32 exec_lo, exec_lo, s4
	s_and_saveexec_b32 s4, s1
	s_cbranch_execnz .LBB126_78
.LBB126_52:
	s_or_b32 exec_lo, exec_lo, s4
	s_and_saveexec_b32 s4, s2
	s_cbranch_execz .LBB126_54
.LBB126_53:
	v_dual_mov_b32 v6, 0 :: v_dual_add_nc_u32 v5, v5, v4
	s_delay_alu instid0(VALU_DEP_1) | instskip(SKIP_1) | instid1(VALU_DEP_1)
	v_lshlrev_b64 v[5:6], 2, v[5:6]
	s_waitcnt lgkmcnt(0)
	v_add_co_u32 v5, s3, s8, v5
	s_delay_alu instid0(VALU_DEP_1)
	v_add_co_ci_u32_e64 v6, s3, s9, v6, s3
	global_store_b32 v[5:6], v56, off
.LBB126_54:
	s_or_b32 exec_lo, exec_lo, s4
	v_add3_u32 v1, v1, s11, 56
	s_delay_alu instid0(VALU_DEP_1) | instskip(NEXT) | instid1(VALU_DEP_1)
	v_cmp_gt_u32_e64 s3, s6, v1
	s_and_b32 exec_lo, exec_lo, s3
	s_cbranch_execz .LBB126_60
; %bb.55:
	v_mul_lo_u32 v1, v1, s10
	s_and_saveexec_b32 s3, vcc_lo
	s_cbranch_execnz .LBB126_79
; %bb.56:
	s_or_b32 exec_lo, exec_lo, s3
	s_and_saveexec_b32 s3, s0
	s_cbranch_execnz .LBB126_80
.LBB126_57:
	s_or_b32 exec_lo, exec_lo, s3
	s_and_saveexec_b32 s0, s1
	s_cbranch_execnz .LBB126_81
.LBB126_58:
	s_or_b32 exec_lo, exec_lo, s0
	s_delay_alu instid0(SALU_CYCLE_1)
	s_and_b32 exec_lo, exec_lo, s2
	s_cbranch_execz .LBB126_60
.LBB126_59:
	v_dual_mov_b32 v1, 0 :: v_dual_add_nc_u32 v0, v1, v4
	s_delay_alu instid0(VALU_DEP_1) | instskip(SKIP_1) | instid1(VALU_DEP_1)
	v_lshlrev_b64 v[0:1], 2, v[0:1]
	s_waitcnt lgkmcnt(0)
	v_add_co_u32 v0, vcc_lo, s8, v0
	s_delay_alu instid0(VALU_DEP_2)
	v_add_co_ci_u32_e32 v1, vcc_lo, s9, v1, vcc_lo
	global_store_b32 v[0:1], v52, off
.LBB126_60:
	s_nop 0
	s_sendmsg sendmsg(MSG_DEALLOC_VGPRS)
	s_endpgm
.LBB126_61:
	s_delay_alu instid0(VALU_DEP_1) | instskip(NEXT) | instid1(VALU_DEP_1)
	v_dual_mov_b32 v7, 0 :: v_dual_add_nc_u32 v6, v5, v0
	v_lshlrev_b64 v[6:7], 2, v[6:7]
	s_waitcnt lgkmcnt(0)
	s_delay_alu instid0(VALU_DEP_1) | instskip(NEXT) | instid1(VALU_DEP_1)
	v_add_co_u32 v6, s3, s8, v6
	v_add_co_ci_u32_e64 v7, s3, s9, v7, s3
	global_store_b32 v[6:7], v92, off
	s_or_b32 exec_lo, exec_lo, s4
	s_and_saveexec_b32 s4, s0
	s_cbranch_execz .LBB126_21
.LBB126_62:
	s_delay_alu instid0(VALU_DEP_1) | instskip(NEXT) | instid1(VALU_DEP_1)
	v_dual_mov_b32 v7, 0 :: v_dual_add_nc_u32 v6, v5, v2
	v_lshlrev_b64 v[6:7], 2, v[6:7]
	s_waitcnt lgkmcnt(0)
	s_delay_alu instid0(VALU_DEP_1) | instskip(NEXT) | instid1(VALU_DEP_1)
	v_add_co_u32 v6, s3, s8, v6
	v_add_co_ci_u32_e64 v7, s3, s9, v7, s3
	global_store_b32 v[6:7], v91, off
	s_or_b32 exec_lo, exec_lo, s4
	s_and_saveexec_b32 s4, s1
	s_cbranch_execz .LBB126_22
.LBB126_63:
	v_dual_mov_b32 v7, 0 :: v_dual_add_nc_u32 v6, v5, v3
	s_delay_alu instid0(VALU_DEP_1) | instskip(SKIP_1) | instid1(VALU_DEP_1)
	v_lshlrev_b64 v[6:7], 2, v[6:7]
	s_waitcnt lgkmcnt(0)
	v_add_co_u32 v6, s3, s8, v6
	s_delay_alu instid0(VALU_DEP_1)
	v_add_co_ci_u32_e64 v7, s3, s9, v7, s3
	global_store_b32 v[6:7], v89, off
	s_or_b32 exec_lo, exec_lo, s4
	s_and_saveexec_b32 s4, s2
	s_cbranch_execnz .LBB126_23
	s_branch .LBB126_24
.LBB126_64:
	s_delay_alu instid0(VALU_DEP_1) | instskip(NEXT) | instid1(VALU_DEP_1)
	v_dual_mov_b32 v7, 0 :: v_dual_add_nc_u32 v6, v5, v0
	v_lshlrev_b64 v[6:7], 2, v[6:7]
	s_waitcnt lgkmcnt(0)
	s_delay_alu instid0(VALU_DEP_1) | instskip(NEXT) | instid1(VALU_DEP_1)
	v_add_co_u32 v6, s3, s8, v6
	v_add_co_ci_u32_e64 v7, s3, s9, v7, s3
	global_store_b32 v[6:7], v87, off
	s_or_b32 exec_lo, exec_lo, s4
	s_and_saveexec_b32 s4, s0
	s_cbranch_execz .LBB126_27
.LBB126_65:
	s_delay_alu instid0(VALU_DEP_1) | instskip(NEXT) | instid1(VALU_DEP_1)
	v_dual_mov_b32 v7, 0 :: v_dual_add_nc_u32 v6, v5, v2
	v_lshlrev_b64 v[6:7], 2, v[6:7]
	s_waitcnt lgkmcnt(0)
	s_delay_alu instid0(VALU_DEP_1) | instskip(NEXT) | instid1(VALU_DEP_1)
	v_add_co_u32 v6, s3, s8, v6
	v_add_co_ci_u32_e64 v7, s3, s9, v7, s3
	global_store_b32 v[6:7], v84, off
	s_or_b32 exec_lo, exec_lo, s4
	s_and_saveexec_b32 s4, s1
	s_cbranch_execz .LBB126_28
.LBB126_66:
	v_dual_mov_b32 v7, 0 :: v_dual_add_nc_u32 v6, v5, v3
	s_delay_alu instid0(VALU_DEP_1) | instskip(SKIP_1) | instid1(VALU_DEP_1)
	v_lshlrev_b64 v[6:7], 2, v[6:7]
	s_waitcnt lgkmcnt(0)
	v_add_co_u32 v6, s3, s8, v6
	s_delay_alu instid0(VALU_DEP_1)
	v_add_co_ci_u32_e64 v7, s3, s9, v7, s3
	global_store_b32 v[6:7], v82, off
	s_or_b32 exec_lo, exec_lo, s4
	s_and_saveexec_b32 s4, s2
	s_cbranch_execnz .LBB126_29
	s_branch .LBB126_30
.LBB126_67:
	s_delay_alu instid0(VALU_DEP_1) | instskip(NEXT) | instid1(VALU_DEP_1)
	v_dual_mov_b32 v7, 0 :: v_dual_add_nc_u32 v6, v5, v0
	v_lshlrev_b64 v[6:7], 2, v[6:7]
	s_waitcnt lgkmcnt(0)
	s_delay_alu instid0(VALU_DEP_1) | instskip(NEXT) | instid1(VALU_DEP_1)
	v_add_co_u32 v6, s3, s8, v6
	v_add_co_ci_u32_e64 v7, s3, s9, v7, s3
	global_store_b32 v[6:7], v76, off
	s_or_b32 exec_lo, exec_lo, s4
	s_and_saveexec_b32 s4, s0
	s_cbranch_execz .LBB126_33
.LBB126_68:
	s_delay_alu instid0(VALU_DEP_1) | instskip(NEXT) | instid1(VALU_DEP_1)
	v_dual_mov_b32 v7, 0 :: v_dual_add_nc_u32 v6, v5, v2
	v_lshlrev_b64 v[6:7], 2, v[6:7]
	s_waitcnt lgkmcnt(0)
	s_delay_alu instid0(VALU_DEP_1) | instskip(NEXT) | instid1(VALU_DEP_1)
	v_add_co_u32 v6, s3, s8, v6
	v_add_co_ci_u32_e64 v7, s3, s9, v7, s3
	global_store_b32 v[6:7], v73, off
	s_or_b32 exec_lo, exec_lo, s4
	s_and_saveexec_b32 s4, s1
	s_cbranch_execz .LBB126_34
.LBB126_69:
	v_dual_mov_b32 v7, 0 :: v_dual_add_nc_u32 v6, v5, v3
	s_delay_alu instid0(VALU_DEP_1) | instskip(SKIP_1) | instid1(VALU_DEP_1)
	v_lshlrev_b64 v[6:7], 2, v[6:7]
	s_waitcnt lgkmcnt(0)
	v_add_co_u32 v6, s3, s8, v6
	s_delay_alu instid0(VALU_DEP_1)
	v_add_co_ci_u32_e64 v7, s3, s9, v7, s3
	global_store_b32 v[6:7], v72, off
	s_or_b32 exec_lo, exec_lo, s4
	s_and_saveexec_b32 s4, s2
	s_cbranch_execnz .LBB126_35
	s_branch .LBB126_36
.LBB126_70:
	s_delay_alu instid0(VALU_DEP_1) | instskip(NEXT) | instid1(VALU_DEP_1)
	v_dual_mov_b32 v7, 0 :: v_dual_add_nc_u32 v6, v5, v0
	v_lshlrev_b64 v[6:7], 2, v[6:7]
	s_waitcnt lgkmcnt(0)
	s_delay_alu instid0(VALU_DEP_1) | instskip(NEXT) | instid1(VALU_DEP_1)
	v_add_co_u32 v6, s3, s8, v6
	v_add_co_ci_u32_e64 v7, s3, s9, v7, s3
	global_store_b32 v[6:7], v70, off
	s_or_b32 exec_lo, exec_lo, s4
	s_and_saveexec_b32 s4, s0
	s_cbranch_execz .LBB126_39
.LBB126_71:
	s_delay_alu instid0(VALU_DEP_1) | instskip(NEXT) | instid1(VALU_DEP_1)
	v_dual_mov_b32 v7, 0 :: v_dual_add_nc_u32 v6, v5, v2
	v_lshlrev_b64 v[6:7], 2, v[6:7]
	s_waitcnt lgkmcnt(0)
	s_delay_alu instid0(VALU_DEP_1) | instskip(NEXT) | instid1(VALU_DEP_1)
	v_add_co_u32 v6, s3, s8, v6
	v_add_co_ci_u32_e64 v7, s3, s9, v7, s3
	global_store_b32 v[6:7], v69, off
	s_or_b32 exec_lo, exec_lo, s4
	s_and_saveexec_b32 s4, s1
	s_cbranch_execz .LBB126_40
.LBB126_72:
	v_dual_mov_b32 v7, 0 :: v_dual_add_nc_u32 v6, v5, v3
	s_delay_alu instid0(VALU_DEP_1) | instskip(SKIP_1) | instid1(VALU_DEP_1)
	v_lshlrev_b64 v[6:7], 2, v[6:7]
	s_waitcnt lgkmcnt(0)
	v_add_co_u32 v6, s3, s8, v6
	s_delay_alu instid0(VALU_DEP_1)
	v_add_co_ci_u32_e64 v7, s3, s9, v7, s3
	global_store_b32 v[6:7], v67, off
	s_or_b32 exec_lo, exec_lo, s4
	s_and_saveexec_b32 s4, s2
	s_cbranch_execnz .LBB126_41
	s_branch .LBB126_42
.LBB126_73:
	s_delay_alu instid0(VALU_DEP_1) | instskip(NEXT) | instid1(VALU_DEP_1)
	v_dual_mov_b32 v7, 0 :: v_dual_add_nc_u32 v6, v5, v0
	v_lshlrev_b64 v[6:7], 2, v[6:7]
	s_waitcnt lgkmcnt(0)
	s_delay_alu instid0(VALU_DEP_1) | instskip(NEXT) | instid1(VALU_DEP_1)
	v_add_co_u32 v6, s3, s8, v6
	v_add_co_ci_u32_e64 v7, s3, s9, v7, s3
	global_store_b32 v[6:7], v63, off
	s_or_b32 exec_lo, exec_lo, s4
	s_and_saveexec_b32 s4, s0
	s_cbranch_execz .LBB126_45
.LBB126_74:
	s_delay_alu instid0(VALU_DEP_1) | instskip(NEXT) | instid1(VALU_DEP_1)
	v_dual_mov_b32 v7, 0 :: v_dual_add_nc_u32 v6, v5, v2
	v_lshlrev_b64 v[6:7], 2, v[6:7]
	s_waitcnt lgkmcnt(0)
	s_delay_alu instid0(VALU_DEP_1) | instskip(NEXT) | instid1(VALU_DEP_1)
	v_add_co_u32 v6, s3, s8, v6
	v_add_co_ci_u32_e64 v7, s3, s9, v7, s3
	global_store_b32 v[6:7], v62, off
	s_or_b32 exec_lo, exec_lo, s4
	s_and_saveexec_b32 s4, s1
	s_cbranch_execz .LBB126_46
.LBB126_75:
	v_dual_mov_b32 v7, 0 :: v_dual_add_nc_u32 v6, v5, v3
	s_delay_alu instid0(VALU_DEP_1) | instskip(SKIP_1) | instid1(VALU_DEP_1)
	v_lshlrev_b64 v[6:7], 2, v[6:7]
	s_waitcnt lgkmcnt(0)
	v_add_co_u32 v6, s3, s8, v6
	s_delay_alu instid0(VALU_DEP_1)
	v_add_co_ci_u32_e64 v7, s3, s9, v7, s3
	global_store_b32 v[6:7], v61, off
	s_or_b32 exec_lo, exec_lo, s4
	s_and_saveexec_b32 s4, s2
	s_cbranch_execnz .LBB126_47
	s_branch .LBB126_48
.LBB126_76:
	s_delay_alu instid0(VALU_DEP_1) | instskip(NEXT) | instid1(VALU_DEP_1)
	v_dual_mov_b32 v7, 0 :: v_dual_add_nc_u32 v6, v5, v0
	v_lshlrev_b64 v[6:7], 2, v[6:7]
	s_waitcnt lgkmcnt(0)
	s_delay_alu instid0(VALU_DEP_1) | instskip(NEXT) | instid1(VALU_DEP_1)
	v_add_co_u32 v6, s3, s8, v6
	v_add_co_ci_u32_e64 v7, s3, s9, v7, s3
	global_store_b32 v[6:7], v59, off
	s_or_b32 exec_lo, exec_lo, s4
	s_and_saveexec_b32 s4, s0
	s_cbranch_execz .LBB126_51
.LBB126_77:
	s_delay_alu instid0(VALU_DEP_1) | instskip(NEXT) | instid1(VALU_DEP_1)
	v_dual_mov_b32 v7, 0 :: v_dual_add_nc_u32 v6, v5, v2
	v_lshlrev_b64 v[6:7], 2, v[6:7]
	s_waitcnt lgkmcnt(0)
	s_delay_alu instid0(VALU_DEP_1) | instskip(NEXT) | instid1(VALU_DEP_1)
	v_add_co_u32 v6, s3, s8, v6
	v_add_co_ci_u32_e64 v7, s3, s9, v7, s3
	global_store_b32 v[6:7], v58, off
	s_or_b32 exec_lo, exec_lo, s4
	s_and_saveexec_b32 s4, s1
	s_cbranch_execz .LBB126_52
.LBB126_78:
	v_dual_mov_b32 v7, 0 :: v_dual_add_nc_u32 v6, v5, v3
	s_delay_alu instid0(VALU_DEP_1) | instskip(SKIP_1) | instid1(VALU_DEP_1)
	v_lshlrev_b64 v[6:7], 2, v[6:7]
	s_waitcnt lgkmcnt(0)
	v_add_co_u32 v6, s3, s8, v6
	s_delay_alu instid0(VALU_DEP_1)
	v_add_co_ci_u32_e64 v7, s3, s9, v7, s3
	global_store_b32 v[6:7], v57, off
	s_or_b32 exec_lo, exec_lo, s4
	s_and_saveexec_b32 s4, s2
	s_cbranch_execnz .LBB126_53
	s_branch .LBB126_54
.LBB126_79:
	s_delay_alu instid0(VALU_DEP_1) | instskip(NEXT) | instid1(VALU_DEP_1)
	v_dual_mov_b32 v6, 0 :: v_dual_add_nc_u32 v5, v1, v0
	v_lshlrev_b64 v[5:6], 2, v[5:6]
	s_waitcnt lgkmcnt(0)
	s_delay_alu instid0(VALU_DEP_1) | instskip(NEXT) | instid1(VALU_DEP_2)
	v_add_co_u32 v5, vcc_lo, s8, v5
	v_add_co_ci_u32_e32 v6, vcc_lo, s9, v6, vcc_lo
	global_store_b32 v[5:6], v55, off
	s_or_b32 exec_lo, exec_lo, s3
	s_and_saveexec_b32 s3, s0
	s_cbranch_execz .LBB126_57
.LBB126_80:
	s_delay_alu instid0(VALU_DEP_1) | instskip(NEXT) | instid1(VALU_DEP_1)
	v_dual_mov_b32 v6, 0 :: v_dual_add_nc_u32 v5, v1, v2
	v_lshlrev_b64 v[5:6], 2, v[5:6]
	s_waitcnt lgkmcnt(0)
	s_delay_alu instid0(VALU_DEP_1) | instskip(NEXT) | instid1(VALU_DEP_2)
	v_add_co_u32 v5, vcc_lo, s8, v5
	v_add_co_ci_u32_e32 v6, vcc_lo, s9, v6, vcc_lo
	global_store_b32 v[5:6], v54, off
	s_or_b32 exec_lo, exec_lo, s3
	s_and_saveexec_b32 s0, s1
	s_cbranch_execz .LBB126_58
.LBB126_81:
	v_dual_mov_b32 v3, 0 :: v_dual_add_nc_u32 v2, v1, v3
	s_delay_alu instid0(VALU_DEP_1) | instskip(SKIP_1) | instid1(VALU_DEP_1)
	v_lshlrev_b64 v[2:3], 2, v[2:3]
	s_waitcnt lgkmcnt(0)
	v_add_co_u32 v2, vcc_lo, s8, v2
	s_delay_alu instid0(VALU_DEP_2) | instskip(SKIP_2) | instid1(SALU_CYCLE_1)
	v_add_co_ci_u32_e32 v3, vcc_lo, s9, v3, vcc_lo
	global_store_b32 v[2:3], v53, off
	s_or_b32 exec_lo, exec_lo, s0
	s_and_b32 exec_lo, exec_lo, s2
	s_cbranch_execnz .LBB126_59
	s_branch .LBB126_60
	.section	.rodata,"a",@progbits
	.p2align	6, 0x0
	.amdhsa_kernel _ZL12mul_mat_q8_0IfLb1EEvPKvS1_PT_iiiii
		.amdhsa_group_segment_fixed_size 28224
		.amdhsa_private_segment_fixed_size 0
		.amdhsa_kernarg_size 44
		.amdhsa_user_sgpr_count 14
		.amdhsa_user_sgpr_dispatch_ptr 0
		.amdhsa_user_sgpr_queue_ptr 0
		.amdhsa_user_sgpr_kernarg_segment_ptr 1
		.amdhsa_user_sgpr_dispatch_id 0
		.amdhsa_user_sgpr_private_segment_size 0
		.amdhsa_wavefront_size32 1
		.amdhsa_uses_dynamic_stack 0
		.amdhsa_enable_private_segment 0
		.amdhsa_system_sgpr_workgroup_id_x 1
		.amdhsa_system_sgpr_workgroup_id_y 1
		.amdhsa_system_sgpr_workgroup_id_z 0
		.amdhsa_system_sgpr_workgroup_info 0
		.amdhsa_system_vgpr_workitem_id 1
		.amdhsa_next_free_vgpr 156
		.amdhsa_next_free_sgpr 16
		.amdhsa_reserve_vcc 1
		.amdhsa_float_round_mode_32 0
		.amdhsa_float_round_mode_16_64 0
		.amdhsa_float_denorm_mode_32 3
		.amdhsa_float_denorm_mode_16_64 3
		.amdhsa_dx10_clamp 1
		.amdhsa_ieee_mode 1
		.amdhsa_fp16_overflow 0
		.amdhsa_workgroup_processor_mode 1
		.amdhsa_memory_ordered 1
		.amdhsa_forward_progress 0
		.amdhsa_shared_vgpr_count 0
		.amdhsa_exception_fp_ieee_invalid_op 0
		.amdhsa_exception_fp_denorm_src 0
		.amdhsa_exception_fp_ieee_div_zero 0
		.amdhsa_exception_fp_ieee_overflow 0
		.amdhsa_exception_fp_ieee_underflow 0
		.amdhsa_exception_fp_ieee_inexact 0
		.amdhsa_exception_int_div_zero 0
	.end_amdhsa_kernel
	.section	.text._ZL12mul_mat_q8_0IfLb1EEvPKvS1_PT_iiiii,"axG",@progbits,_ZL12mul_mat_q8_0IfLb1EEvPKvS1_PT_iiiii,comdat
.Lfunc_end126:
	.size	_ZL12mul_mat_q8_0IfLb1EEvPKvS1_PT_iiiii, .Lfunc_end126-_ZL12mul_mat_q8_0IfLb1EEvPKvS1_PT_iiiii
                                        ; -- End function
	.section	.AMDGPU.csdata,"",@progbits
; Kernel info:
; codeLenInByte = 8812
; NumSgprs: 18
; NumVgprs: 156
; ScratchSize: 0
; MemoryBound: 0
; FloatMode: 240
; IeeeMode: 1
; LDSByteSize: 28224 bytes/workgroup (compile time only)
; SGPRBlocks: 2
; VGPRBlocks: 19
; NumSGPRsForWavesPerEU: 18
; NumVGPRsForWavesPerEU: 156
; Occupancy: 8
; WaveLimiterHint : 0
; COMPUTE_PGM_RSRC2:SCRATCH_EN: 0
; COMPUTE_PGM_RSRC2:USER_SGPR: 14
; COMPUTE_PGM_RSRC2:TRAP_HANDLER: 0
; COMPUTE_PGM_RSRC2:TGID_X_EN: 1
; COMPUTE_PGM_RSRC2:TGID_Y_EN: 1
; COMPUTE_PGM_RSRC2:TGID_Z_EN: 0
; COMPUTE_PGM_RSRC2:TIDIG_COMP_CNT: 1
	.section	.text._ZL12mul_mat_q2_KIfLb0EEvPKvS1_PT_iiiii,"axG",@progbits,_ZL12mul_mat_q2_KIfLb0EEvPKvS1_PT_iiiii,comdat
	.globl	_ZL12mul_mat_q2_KIfLb0EEvPKvS1_PT_iiiii ; -- Begin function _ZL12mul_mat_q2_KIfLb0EEvPKvS1_PT_iiiii
	.p2align	8
	.type	_ZL12mul_mat_q2_KIfLb0EEvPKvS1_PT_iiiii,@function
_ZL12mul_mat_q2_KIfLb0EEvPKvS1_PT_iiiii: ; @_ZL12mul_mat_q2_KIfLb0EEvPKvS1_PT_iiiii
; %bb.0:
	s_clause 0x1
	s_load_b32 s11, s[0:1], 0x18
	s_load_b128 s[4:7], s[0:1], 0x20
	v_bfe_u32 v1, v0, 10, 10
	s_waitcnt lgkmcnt(0)
	s_lshl_b32 s7, s15, 6
	scratch_store_b32 off, v1, off offset:416 ; 4-byte Folded Spill
	v_and_b32_e32 v1, 0x3ff, v0
	scratch_store_b32 off, v1, off offset:132 ; 4-byte Folded Spill
	s_cmpk_gt_i32 s11, 0xff
	s_cbranch_scc1 .LBB127_2
; %bb.1:
	v_bfe_u32 v1, v0, 10, 10
	v_and_b32_e32 v0, 0x3ff, v0
	s_mov_b32 s2, 0
	s_mov_b32 s3, 0
	s_delay_alu instid0(VALU_DEP_2)
	v_add_nc_u32_e32 v2, s7, v1
	s_branch .LBB127_3
.LBB127_2:
	s_mov_b32 s2, -1
                                        ; implicit-def: $sgpr3
                                        ; implicit-def: $vgpr1
                                        ; implicit-def: $vgpr0
                                        ; implicit-def: $vgpr2
.LBB127_3:
	s_load_b64 s[8:9], s[0:1], 0x10
	v_dual_mov_b32 v177, s3 :: v_dual_mov_b32 v214, s3
	v_dual_mov_b32 v105, s3 :: v_dual_mov_b32 v36, s3
	;; [unrolled: 1-line block ×15, first 2 shown]
	v_mov_b32_e32 v42, s3
	v_mov_b32_e32 v194, s3
	s_and_not1_b32 vcc_lo, exec_lo, s2
	s_lshl_b32 s10, s14, 7
	s_cbranch_vccnz .LBB127_15
; %bb.4:
	s_clause 0x1
	scratch_load_b32 v27, off, off offset:132
	scratch_load_b32 v26, off, off offset:416
	s_load_b128 s[0:3], s[0:1], 0x0
	s_ashr_i32 s15, s11, 31
	s_ashr_i32 s16, s5, 31
	s_lshr_b32 s15, s15, 24
	v_mov_b32_e32 v194, 0
	s_add_i32 s11, s11, s15
	s_lshr_b32 s15, s16, 27
	s_ashr_i32 s11, s11, 8
	s_add_i32 s5, s5, s15
	s_mul_i32 s15, s11, s10
	s_ashr_i32 s5, s5, 5
	s_mul_i32 s16, s15, 0x54
	s_mul_hi_i32 s15, s15, 0x54
	s_movk_i32 s12, 0x1080
	s_movk_i32 s13, 0x2100
	;; [unrolled: 1-line block ×3, first 2 shown]
	v_mov_b32_e32 v33, 0
	v_dual_mov_b32 v203, 0 :: v_dual_mov_b32 v42, 0
	v_mov_b32_e32 v39, 0
	s_waitcnt lgkmcnt(0)
	s_add_u32 s0, s0, s16
	s_addc_u32 s1, s1, s15
	s_lshl_b32 s15, s11, 3
	s_add_i32 s16, s4, -1
	v_mov_b32_e32 v215, 0
	v_mov_b32_e32 v37, 0
	;; [unrolled: 1-line block ×3, first 2 shown]
	v_dual_mov_b32 v127, 0 :: v_dual_mov_b32 v78, 0
	v_dual_mov_b32 v223, 0 :: v_dual_mov_b32 v82, 0
	v_mov_b32_e32 v238, 0
	v_dual_mov_b32 v234, 0 :: v_dual_mov_b32 v31, 0
	v_dual_mov_b32 v191, 0 :: v_dual_mov_b32 v32, 0
	v_mov_b32_e32 v181, 0
	v_mov_b32_e32 v105, 0
	v_dual_mov_b32 v177, 0 :: v_dual_mov_b32 v36, 0
	v_mov_b32_e32 v214, 0
	s_waitcnt vmcnt(1)
	v_lshlrev_b32_e32 v18, 2, v27
	s_waitcnt vmcnt(0)
	v_mad_i32_i24 v2, s11, v26, s15
	v_add_nc_u32_e32 v13, s7, v26
	v_and_b32_e32 v24, 1, v27
	v_mul_i32_i24_e32 v30, s11, v26
	v_and_b32_e32 v29, 60, v18
	v_add_nc_u32_e32 v5, s15, v2
	scratch_store_b32 off, v2, off offset:228 ; 4-byte Folded Spill
	v_cvt_f64_u32_e32 v[0:1], v13
	v_cvt_f64_i32_e32 v[2:3], s16
	s_clause 0x1
	scratch_store_b32 off, v13, off offset:420
	scratch_store_b32 off, v30, off offset:264
	v_add_nc_u32_e32 v11, s15, v5
	s_clause 0x1
	scratch_store_b32 off, v5, off offset:232
	scratch_store_b32 off, v24, off offset:224
	v_add_nc_u32_e32 v4, 8, v13
	v_add_nc_u32_e32 v6, 16, v13
	;; [unrolled: 1-line block ×3, first 2 shown]
	scratch_store_b32 off, v11, off offset:236 ; 4-byte Folded Spill
	v_add_nc_u32_e32 v8, 24, v13
	v_add_nc_u32_e32 v10, 32, v13
	;; [unrolled: 1-line block ×4, first 2 shown]
	scratch_store_b32 off, v15, off offset:240 ; 4-byte Folded Spill
	v_add_nc_u32_e32 v14, 48, v13
	v_add_nc_u32_e32 v16, 56, v13
	v_cvt_f64_u32_e32 v[4:5], v4
	v_add_nc_u32_e32 v25, s15, v23
	s_clause 0x1
	scratch_store_b32 off, v23, off offset:244
	scratch_store_b32 off, v29, off offset:252
	v_mad_u32_u24 v29, 0x84, v26, v18
	v_cvt_f64_u32_e32 v[6:7], v6
	scratch_store_b32 off, v25, off offset:248 ; 4-byte Folded Spill
	v_add_nc_u32_e32 v25, s15, v25
	v_cvt_f64_u32_e32 v[8:9], v8
	v_add_nc_u32_e32 v30, 0x420, v29
	s_clause 0x1
	scratch_store_b32 off, v30, off offset:268
	scratch_store_b32 off, v25, off offset:260
	v_add_nc_u32_e32 v30, 0x840, v29
	v_cvt_f64_u32_e32 v[10:11], v10
	v_cvt_f64_u32_e32 v[12:13], v12
	;; [unrolled: 1-line block ×4, first 2 shown]
	scratch_store_b32 off, v30, off offset:276 ; 4-byte Folded Spill
	v_add_nc_u32_e32 v30, 0xc60, v29
	v_add_nc_u32_e32 v25, s15, v25
	v_min_f64 v[0:1], v[0:1], v[2:3]
	v_lshlrev_b32_e32 v19, 4, v26
	v_lshrrev_b32_e32 v21, 1, v27
	scratch_store_b32 off, v30, off offset:280 ; 4-byte Folded Spill
	v_add_nc_u32_e32 v30, 0x1080, v29
	v_lshlrev_b32_e32 v24, 2, v24
	v_lshrrev_b32_e32 v22, 3, v27
	v_add_nc_u32_e32 v21, v21, v19
	v_and_b32_e32 v23, 7, v27
	scratch_store_b32 off, v30, off offset:284 ; 4-byte Folded Spill
	v_add_nc_u32_e32 v30, 0x14a0, v29
	s_clause 0x1
	scratch_store_b32 off, v30, off offset:288
	scratch_store_b32 off, v25, off offset:272
	v_add_nc_u32_e32 v30, 0x18c0, v29
	v_add_nc_u32_e32 v25, s15, v25
	v_min_f64 v[4:5], v[4:5], v[2:3]
	v_lshl_add_u32 v22, v26, 2, v22
	v_min_f64 v[6:7], v[6:7], v[2:3]
	scratch_store_b32 off, v30, off offset:296 ; 4-byte Folded Spill
	v_add_nc_u32_e32 v30, 0x1ce0, v29
	v_min_f64 v[8:9], v[8:9], v[2:3]
	v_cmp_lt_u32_e32 vcc_lo, 3, v23
	v_lshrrev_b32_e32 v28, 4, v27
	v_mul_u32_u24_e32 v66, 0x84, v27
	scratch_store_b32 off, v30, off offset:300 ; 4-byte Folded Spill
	v_add_nc_u32_e32 v30, 0x2100, v29
	v_lshlrev_b32_e32 v67, 5, v27
	v_mad_u32_u24 v135, 0x84, v27, s12
	v_min_f64 v[10:11], v[10:11], v[2:3]
	v_min_f64 v[12:13], v[12:13], v[2:3]
	scratch_store_b32 off, v30, off offset:304 ; 4-byte Folded Spill
	v_add_nc_u32_e32 v30, 0x2520, v29
	s_clause 0x1
	scratch_store_b32 off, v30, off offset:308
	scratch_store_b32 off, v25, off offset:292
	v_add_nc_u32_e32 v30, 0x2940, v29
	v_add_nc_u32_e32 v25, s15, v25
	v_min_f64 v[14:15], v[14:15], v[2:3]
	v_min_f64 v[2:3], v[16:17], v[2:3]
	v_add_nc_u32_e32 v16, 0x35a0, v29
	scratch_store_b32 off, v30, off offset:316 ; 4-byte Folded Spill
	v_add_nc_u32_e32 v30, 0x2d60, v29
	scratch_store_b32 off, v25, off offset:312 ; 4-byte Folded Spill
	;; [unrolled: 2-line block ×3, first 2 shown]
	v_cvt_i32_f64_e32 v1, v[0:1]
	scratch_store_b32 off, v30, off offset:320 ; 4-byte Folded Spill
	v_add_nc_u32_e32 v30, 0x3180, v29
	scratch_store_b32 off, v25, off offset:324 ; 4-byte Folded Spill
	v_add_nc_u32_e32 v0, 64, v22
	v_mad_u32_u24 v140, 0x84, v27, s13
	v_cvt_i32_f64_e32 v4, v[4:5]
	scratch_store_b32 off, v30, off offset:328 ; 4-byte Folded Spill
	v_add_nc_u32_e32 v30, s15, v25
	v_and_b32_e32 v25, 0x7f, v21
	v_lshrrev_b32_e32 v21, 2, v21
	v_cvt_i32_f64_e32 v5, v[6:7]
	v_cvt_i32_f64_e32 v7, v[8:9]
	scratch_store_b32 off, v30, off offset:332 ; 4-byte Folded Spill
	v_add_nc_u32_e32 v30, s15, v30
	v_lshl_or_b32 v16, v25, 3, v24
	v_add_nc_u32_e32 v24, 0x39c0, v29
	v_and_b32_e32 v17, 28, v21
	v_lshrrev_b32_e32 v8, 2, v27
	s_clause 0x2
	scratch_store_b32 off, v30, off offset:336
	scratch_store_b32 off, v24, off offset:348
	;; [unrolled: 1-line block ×3, first 2 shown]
	v_add_nc_u32_e32 v24, 0x3de0, v29
	v_add_nc_u32_e32 v21, s15, v30
	v_add3_u32 v16, v16, v17, 0x7280
	v_lshlrev_b32_e32 v17, 2, v23
	v_cndmask_b32_e64 v23, 0, 1, vcc_lo
	scratch_store_b32 off, v24, off offset:352 ; 4-byte Folded Spill
	v_mul_i32_i24_e32 v24, s11, v25
	v_cvt_i32_f64_e32 v9, v[10:11]
	v_and_b32_e32 v10, 0xffc, v0
	v_add_nc_u32_e32 v6, 0x60, v22
	v_lshl_add_u32 v8, v26, 3, v8
	s_clause 0x2
	scratch_store_b32 off, v24, off offset:356
	scratch_store_b32 off, v16, off offset:360
	;; [unrolled: 1-line block ×3, first 2 shown]
	v_add_nc_u32_e32 v16, s15, v21
	s_lshl_b32 s15, s11, 5
	v_add_nc_u32_e32 v21, 32, v22
	v_mad_i32_i24 v25, s11, v22, s15
	s_clause 0x1
	scratch_store_b32 off, v23, off offset:368
	scratch_store_b32 off, v16, off offset:364
	v_and_b32_e32 v23, 12, v18
	v_cvt_i32_f64_e32 v2, v[2:3]
	scratch_store_b32 off, v25, off offset:380 ; 4-byte Folded Spill
	v_add_nc_u32_e32 v25, s15, v25
	v_add3_u32 v3, v10, v17, 0x6200
	scratch_store_b32 off, v23, off offset:372 ; 4-byte Folded Spill
	v_mul_i32_i24_e32 v23, s11, v22
	v_lshlrev_b32_e32 v10, 5, v0
	scratch_store_b32 off, v25, off offset:384 ; 4-byte Folded Spill
	v_add_nc_u32_e32 v0, s15, v25
	v_and_b32_e32 v16, 0x7fc, v22
	scratch_store_b32 off, v23, off offset:376 ; 4-byte Folded Spill
	v_and_b32_e32 v23, 0xffc, v21
	v_cvt_i32_f64_e32 v11, v[12:13]
	scratch_store_b32 off, v0, off offset:388 ; 4-byte Folded Spill
	v_and_b32_e32 v12, 0xffc, v6
	v_and_b32_e32 v8, 63, v8
	;; [unrolled: 1-line block ×3, first 2 shown]
	v_add3_u32 v16, v16, v17, 0x6200
	v_add3_u32 v23, v23, v17, 0x6200
	v_cvt_i32_f64_e32 v13, v[14:15]
	v_add3_u32 v12, v12, v17, 0x6200
	v_and_b32_e32 v15, 28, v18
	v_or_b32_e32 v17, s7, v8
	v_lshlrev_b32_e32 v18, 2, v0
	v_lshlrev_b32_e32 v24, 5, v22
	;; [unrolled: 1-line block ×3, first 2 shown]
	v_add_co_u32 v25, s15, s2, v15
	v_min_i32_e32 v15, s16, v17
	v_lshl_or_b32 v8, v8, 4, v18
	v_add_co_ci_u32_e64 v26, null, s3, 0, s15
	v_and_b32_e32 v14, 31, v27
	s_delay_alu instid0(VALU_DEP_4) | instskip(NEXT) | instid1(VALU_DEP_4)
	v_mad_u64_u32 v[17:18], null, v15, s5, v[0:1]
	v_add_nc_u32_e32 v0, 0x76a0, v8
	scratch_store_b64 off, v[25:26], off offset:136 ; 8-byte Folded Spill
	v_lshl_or_b32 v14, v14, 2, v22
	v_lshlrev_b32_e32 v21, 5, v21
	v_lshlrev_b32_e32 v6, 5, v6
	scratch_store_b32 off, v0, off offset:144 ; 4-byte Folded Spill
	v_mul_lo_u32 v0, s5, v1
	scratch_store_b64 off, v[17:18], off offset:392 ; 8-byte Folded Spill
	v_add_nc_u32_e32 v1, 64, v27
	v_mad_u32_u24 v150, 0x84, v27, s14
	v_and_b32_e32 v20, 0xfc, v27
	v_dual_mov_b32 v30, 0 :: v_dual_mov_b32 v15, 0
	s_delay_alu instid0(VALU_DEP_4)
	v_and_b32_e32 v71, 0x1fc, v1
	scratch_store_b32 off, v0, off offset:148 ; 4-byte Folded Spill
	v_add_nc_u32_e32 v0, 0x4200, v14
	v_mov_b32_e32 v26, 0
	scratch_store_b32 off, v0, off offset:152 ; 4-byte Folded Spill
	v_mul_lo_u32 v0, s5, v4
	v_lshlrev_b32_e32 v4, 3, v27
	scratch_store_b32 off, v0, off offset:156 ; 4-byte Folded Spill
	v_add_nc_u32_e32 v0, 0x4600, v14
	scratch_store_b32 off, v0, off offset:160 ; 4-byte Folded Spill
	v_mul_lo_u32 v0, s5, v5
	v_add_nc_u32_e32 v5, 0x60, v27
	s_delay_alu instid0(VALU_DEP_1)
	v_and_b32_e32 v70, 0x1fc, v5
	scratch_store_b32 off, v0, off offset:164 ; 4-byte Folded Spill
	v_add_nc_u32_e32 v0, 0x4a00, v14
	scratch_store_b32 off, v0, off offset:168 ; 4-byte Folded Spill
	v_mul_lo_u32 v0, s5, v7
	scratch_store_b32 off, v0, off offset:172 ; 4-byte Folded Spill
	v_add_nc_u32_e32 v0, 0x4e00, v14
	scratch_store_b32 off, v0, off offset:176 ; 4-byte Folded Spill
	v_mul_lo_u32 v0, s5, v9
	v_lshlrev_b32_e32 v9, 3, v1
	scratch_store_b32 off, v0, off offset:180 ; 4-byte Folded Spill
	v_add_nc_u32_e32 v0, 0x5200, v14
	scratch_store_b32 off, v0, off offset:184 ; 4-byte Folded Spill
	v_mul_lo_u32 v0, s5, v11
	v_lshlrev_b32_e32 v11, 3, v5
	scratch_store_b32 off, v0, off offset:188 ; 4-byte Folded Spill
	v_add_nc_u32_e32 v0, 0x5600, v14
	scratch_store_b32 off, v0, off offset:192 ; 4-byte Folded Spill
	v_mul_lo_u32 v0, s5, v13
	v_add_nc_u32_e32 v13, 0x6a08, v71
	scratch_store_b32 off, v0, off offset:196 ; 4-byte Folded Spill
	v_add_nc_u32_e32 v0, 0x5a00, v14
	scratch_store_b32 off, v0, off offset:200 ; 4-byte Folded Spill
	v_mul_lo_u32 v0, s5, v2
	v_lshlrev_b32_e32 v2, 2, v28
	s_mov_b32 s5, 0
	s_delay_alu instid0(VALU_DEP_1) | instskip(SKIP_2) | instid1(VALU_DEP_2)
	v_add3_u32 v69, v2, v4, 0x7280
	v_lshrrev_b32_e32 v2, 2, v1
	v_lshrrev_b32_e32 v4, 2, v5
	v_and_b32_e32 v2, 0x7c, v2
	s_delay_alu instid0(VALU_DEP_2) | instskip(NEXT) | instid1(VALU_DEP_2)
	v_and_b32_e32 v4, 0x7c, v4
	v_add3_u32 v141, v9, v2, 0x7280
	v_add_nc_u32_e32 v2, 0x76a0, v19
	scratch_store_b32 off, v0, off offset:204 ; 4-byte Folded Spill
	v_add_nc_u32_e32 v0, 0x5e00, v14
	v_add3_u32 v153, v11, v4, 0x7280
	v_dual_mov_b32 v11, 0 :: v_dual_mov_b32 v14, 0
	v_add_nc_u32_e32 v9, 0x6e08, v70
	scratch_store_b32 off, v0, off offset:208 ; 4-byte Folded Spill
	v_add_nc_u32_e32 v0, 32, v27
	s_delay_alu instid0(VALU_DEP_1)
	v_lshrrev_b32_e32 v7, 2, v0
	v_lshlrev_b32_e32 v8, 3, v0
	v_and_b32_e32 v19, 0x1fc, v0
	v_add_nc_u32_e32 v0, 0x4200, v22
	scratch_store_b32 off, v2, off offset:212 ; 4-byte Folded Spill
	v_dual_mov_b32 v22, 0 :: v_dual_and_b32 v7, 0x7c, v7
	scratch_store_b32 off, v0, off offset:216 ; 4-byte Folded Spill
	v_add_nc_u32_e32 v0, v16, v24
	scratch_store_b32 off, v28, off offset:220 ; 4-byte Folded Spill
	v_add3_u32 v136, v8, v7, 0x7280
	v_mov_b32_e32 v16, 0
	v_mov_b32_e32 v28, 0
	scratch_store_b32 off, v0, off offset:400 ; 4-byte Folded Spill
	v_add_nc_u32_e32 v0, v23, v21
	v_add_nc_u32_e32 v7, 0x6608, v19
	;; [unrolled: 1-line block ×3, first 2 shown]
	scratch_store_b32 off, v0, off offset:404 ; 4-byte Folded Spill
	v_add_nc_u32_e32 v0, v3, v10
	scratch_store_b32 off, v0, off offset:408 ; 4-byte Folded Spill
	v_add_nc_u32_e32 v0, v12, v6
	v_mov_b32_e32 v12, 0
	v_mov_b32_e32 v6, 0
	s_clause 0x11
	scratch_store_b32 off, v0, off offset:412
	scratch_store_b32 off, v66, off offset:44
	;; [unrolled: 1-line block ×18, first 2 shown]
	s_branch .LBB127_6
.LBB127_5:                              ;   in Loop: Header=BB127_6 Depth=1
	s_add_i32 s5, s5, 2
	s_delay_alu instid0(SALU_CYCLE_1)
	s_cmp_ge_i32 s5, s11
	s_cbranch_scc1 .LBB127_14
.LBB127_6:                              ; =>This Loop Header: Depth=1
                                        ;     Child Loop BB127_8 Depth 2
                                        ;       Child Loop BB127_10 Depth 3
                                        ;       Child Loop BB127_12 Depth 3
	s_clause 0x1
	scratch_load_b32 v2, off, off offset:220
	scratch_load_b32 v4, off, off offset:264
	s_mul_i32 s12, s5, 0x54
	s_mul_hi_u32 s13, s5, 0x54
	s_add_u32 s12, s0, s12
	s_addc_u32 s13, s1, s13
	s_mov_b32 s14, 0
	s_waitcnt vmcnt(1)
	v_mad_u64_u32 v[0:1], null, 0x54, v2, s[12:13]
	scratch_load_b32 v2, off, off offset:252 ; 4-byte Folded Reload
	s_waitcnt vmcnt(0)
	v_add_co_u32 v0, vcc_lo, v0, v2
	v_add_co_ci_u32_e32 v1, vcc_lo, 0, v1, vcc_lo
	s_delay_alu instid0(VALU_DEP_2) | instskip(NEXT) | instid1(VALU_DEP_2)
	v_add_co_u32 v0, vcc_lo, v0, 16
	v_add_co_ci_u32_e32 v1, vcc_lo, 0, v1, vcc_lo
	s_delay_alu instid0(VALU_DEP_1)
	v_mad_u64_u32 v[2:3], null, 0x54, v4, v[0:1]
	scratch_load_b32 v4, off, off offset:228 ; 4-byte Folded Reload
	s_waitcnt vmcnt(0)
	v_mad_u64_u32 v[17:18], null, 0x54, v4, v[0:1]
	scratch_load_b32 v4, off, off offset:232 ; 4-byte Folded Reload
	s_waitcnt vmcnt(0)
	v_mad_u64_u32 v[34:35], null, 0x54, v4, v[0:1]
	scratch_load_b32 v4, off, off offset:236 ; 4-byte Folded Reload
	s_waitcnt vmcnt(0)
	v_mad_u64_u32 v[40:41], null, 0x54, v4, v[0:1]
	scratch_load_b32 v4, off, off offset:240 ; 4-byte Folded Reload
	s_waitcnt vmcnt(0)
	v_mad_u64_u32 v[43:44], null, 0x54, v4, v[0:1]
	scratch_load_b32 v4, off, off offset:244 ; 4-byte Folded Reload
	s_waitcnt vmcnt(0)
	v_mad_u64_u32 v[45:46], null, 0x54, v4, v[0:1]
	scratch_load_b32 v4, off, off offset:248 ; 4-byte Folded Reload
	s_waitcnt vmcnt(0)
	v_mad_u64_u32 v[47:48], null, 0x54, v4, v[0:1]
	scratch_load_b32 v4, off, off offset:260 ; 4-byte Folded Reload
	s_waitcnt vmcnt(0)
	v_mad_u64_u32 v[49:50], null, 0x54, v4, v[0:1]
	s_clause 0x7
	global_load_b32 v4, v[2:3], off
	global_load_b32 v24, v[17:18], off
	;; [unrolled: 1-line block ×8, first 2 shown]
	scratch_load_b32 v5, off, off offset:272 ; 4-byte Folded Reload
	s_waitcnt vmcnt(0)
	v_mad_u64_u32 v[2:3], null, 0x54, v5, v[0:1]
	scratch_load_b32 v5, off, off offset:292 ; 4-byte Folded Reload
	s_waitcnt vmcnt(0)
	v_mad_u64_u32 v[17:18], null, 0x54, v5, v[0:1]
	;; [unrolled: 3-line block ×9, first 2 shown]
	scratch_load_b32 v5, off, off offset:372 ; 4-byte Folded Reload
	s_lshl_b32 s12, s5, 3
	s_mov_b32 s13, 0
	s_waitcnt vmcnt(0)
	v_add_co_u32 v45, vcc_lo, v45, v5
	scratch_load_b32 v5, off, off offset:364 ; 4-byte Folded Reload
	v_add_co_ci_u32_e32 v46, vcc_lo, 0, v46, vcc_lo
	s_waitcnt vmcnt(0)
	v_mad_u64_u32 v[53:54], null, 0x54, v5, v[0:1]
	scratch_load_b32 v5, off, off offset:224 ; 4-byte Folded Reload
	s_waitcnt vmcnt(0)
	v_mad_u64_u32 v[0:1], null, 0x54, v5, v[51:52]
	scratch_load_b32 v5, off, off offset:376 ; 4-byte Folded Reload
	;; [unrolled: 3-line block ×5, first 2 shown]
	s_waitcnt vmcnt(0)
	v_mad_u64_u32 v[60:61], null, 0x54, v5, v[45:46]
	s_clause 0xc
	global_load_b32 v2, v[2:3], off
	global_load_b32 v3, v[17:18], off
	global_load_b32 v17, v[34:35], off
	global_load_b32 v18, v[40:41], off
	global_load_b32 v34, v[43:44], off
	global_load_b32 v35, v[47:48], off
	global_load_b32 v40, v[49:50], off
	global_load_b32 v41, v[53:54], off
	global_load_b32 v0, v[0:1], off offset:80
	global_load_b32 v1, v[51:52], off
	global_load_b32 v43, v[55:56], off
	;; [unrolled: 1-line block ×4, first 2 shown]
	scratch_load_b64 v[46:47], off, off offset:392 ; 8-byte Folded Reload
	s_waitcnt vmcnt(0)
	v_add_nc_u32_e32 v5, s12, v46
	scratch_store_b32 off, v5, off offset:128 ; 4-byte Folded Spill
	scratch_load_b32 v5, off, off offset:256 ; 4-byte Folded Reload
	s_waitcnt vmcnt(0)
	ds_store_b32 v5, v4
	scratch_load_b32 v4, off, off offset:268 ; 4-byte Folded Reload
	s_waitcnt vmcnt(0)
	ds_store_b32 v4, v24
	;; [unrolled: 3-line block ×21, first 2 shown]
	s_branch .LBB127_8
.LBB127_7:                              ;   in Loop: Header=BB127_8 Depth=2
                                        ; implicit-def: $sgpr14
                                        ; implicit-def: $sgpr13
	s_cbranch_execnz .LBB127_5
.LBB127_8:                              ;   Parent Loop BB127_6 Depth=1
                                        ; =>  This Loop Header: Depth=2
                                        ;       Child Loop BB127_10 Depth 3
                                        ;       Child Loop BB127_12 Depth 3
	s_lshr_b32 s15, s14, 1
	s_delay_alu instid0(SALU_CYCLE_1) | instskip(NEXT) | instid1(SALU_CYCLE_1)
	s_or_b32 s15, s15, s5
	s_cmp_lt_i32 s15, s11
	s_cbranch_scc0 .LBB127_7
; %bb.9:                                ;   in Loop: Header=BB127_8 Depth=2
	s_clause 0x1
	scratch_load_b32 v0, off, off offset:132
	scratch_load_b32 v5, off, off offset:204
	s_or_b32 s16, s14, 1
	s_lshl_b32 s17, s14, 3
	s_mov_b32 s18, 0
	s_lshl_b32 s15, s16, 3
	scratch_load_b64 v[51:52], off, off offset:136 ; 8-byte Folded Reload
	s_waitcnt vmcnt(2)
	v_lshl_add_u32 v0, s14, 5, v0
	s_delay_alu instid0(VALU_DEP_1) | instskip(NEXT) | instid1(VALU_DEP_1)
	v_lshrrev_b32_e32 v0, 3, v0
	v_add_nc_u32_e32 v4, s12, v0
	scratch_load_b32 v0, off, off offset:128 ; 4-byte Folded Reload
	s_waitcnt vmcnt(0)
	v_lshl_add_u32 v24, s14, 2, v0
	scratch_load_b32 v0, off, off offset:148 ; 4-byte Folded Reload
	s_waitcnt vmcnt(0)
	v_add_nc_u32_e32 v2, v4, v0
	scratch_load_b32 v0, off, off offset:156 ; 4-byte Folded Reload
	s_waitcnt vmcnt(0)
	v_add_nc_u32_e32 v17, v4, v0
	;; [unrolled: 3-line block ×4, first 2 shown]
	scratch_load_b32 v0, off, off offset:180 ; 4-byte Folded Reload
	v_mad_i64_i32 v[34:35], null, v38, 36, v[51:52]
	s_waitcnt vmcnt(0)
	v_add_nc_u32_e32 v43, v4, v0
	scratch_load_b32 v0, off, off offset:188 ; 4-byte Folded Reload
	v_mad_i64_i32 v[40:41], null, v43, 36, v[51:52]
	v_mad_u64_u32 v[43:44], null, v24, 36, s[2:3]
	s_waitcnt vmcnt(0)
	v_add_nc_u32_e32 v47, v4, v0
	scratch_load_b32 v0, off, off offset:196 ; 4-byte Folded Reload
	v_mad_i64_i32 v[45:46], null, v47, 36, v[51:52]
	s_waitcnt vmcnt(0)
	v_add_nc_u32_e32 v49, v4, v0
	v_mad_i64_i32 v[0:1], null, v2, 36, v[51:52]
	v_mad_i64_i32 v[2:3], null, v17, 36, v[51:52]
	;; [unrolled: 1-line block ×3, first 2 shown]
	v_add_nc_u32_e32 v4, v4, v5
	v_mad_i64_i32 v[47:48], null, v49, 36, v[51:52]
	s_delay_alu instid0(VALU_DEP_2)
	v_mad_i64_i32 v[49:50], null, v4, 36, v[51:52]
	s_clause 0x8
	global_load_b32 v4, v[43:44], off
	global_load_b32 v2, v[2:3], off offset:4
	global_load_b32 v3, v[17:18], off offset:4
	;; [unrolled: 1-line block ×8, first 2 shown]
	s_clause 0x1
	scratch_load_b32 v124, off, off offset:216
	scratch_load_b32 v125, off, off offset:212
	s_waitcnt vmcnt(10)
	v_cvt_f32_f16_e32 v1, v4
	scratch_load_b32 v4, off, off offset:160 ; 4-byte Folded Reload
	s_waitcnt vmcnt(0)
	ds_store_b32 v4, v2
	scratch_load_b32 v2, off, off offset:168 ; 4-byte Folded Reload
	s_waitcnt vmcnt(0)
	ds_store_b32 v2, v3
	scratch_load_b32 v2, off, off offset:176 ; 4-byte Folded Reload
	s_waitcnt vmcnt(0)
	ds_store_b32 v2, v17
	scratch_load_b32 v2, off, off offset:184 ; 4-byte Folded Reload
	s_waitcnt vmcnt(0)
	ds_store_b32 v2, v18
	scratch_load_b32 v2, off, off offset:192 ; 4-byte Folded Reload
	s_waitcnt vmcnt(0)
	ds_store_b32 v2, v24
	scratch_load_b32 v2, off, off offset:200 ; 4-byte Folded Reload
	s_waitcnt vmcnt(0)
	ds_store_b32 v2, v27
	scratch_load_b32 v2, off, off offset:208 ; 4-byte Folded Reload
	s_waitcnt vmcnt(0)
	ds_store_b32 v2, v34
	scratch_load_b32 v2, off, off offset:152 ; 4-byte Folded Reload
	s_waitcnt vmcnt(0)
	ds_store_b32 v2, v0
	scratch_load_b32 v0, off, off offset:144 ; 4-byte Folded Reload
	s_waitcnt vmcnt(0)
	ds_store_b32 v0, v1
	s_waitcnt lgkmcnt(0)
	s_waitcnt_vscnt null, 0x0
	s_barrier
	buffer_gl0_inv
.LBB127_10:                             ;   Parent Loop BB127_6 Depth=1
                                        ;     Parent Loop BB127_8 Depth=2
                                        ; =>    This Inner Loop Header: Depth=3
	s_clause 0x4
	scratch_store_b32 off, v127, off offset:16
	scratch_store_b32 off, v105, off offset:12
	;; [unrolled: 1-line block ×4, first 2 shown]
	scratch_store_b32 off, v6, off
	ds_load_2addr_b32 v[3:4], v125 offset1:32
	ds_load_b128 v[43:46], v124
	ds_load_b128 v[47:50], v124 offset:16
	scratch_load_b32 v5, off, off offset:108 ; 4-byte Folded Reload
	s_add_i32 s21, s13, s18
	v_add_nc_u32_e32 v126, s18, v67
	s_and_b32 s20, s21, 0x3ffffff8
	s_lshr_b32 s21, s21, 2
	s_lshl_b32 s20, s20, 2
	s_and_b32 s21, s21, 0x3ffffffc
	s_and_b32 s19, s17, -16
	v_add_nc_u32_e32 v27, s21, v69
	s_add_i32 s17, s17, 2
	s_waitcnt lgkmcnt(1)
	v_ashrrev_i32_e32 v88, 24, v43
	v_ashrrev_i32_e32 v92, 24, v44
	v_bfe_i32 v87, v43, 16, 8
	v_bfe_i32 v91, v44, 16, 8
	v_ashrrev_i32_e32 v96, 24, v45
	v_ashrrev_i32_e32 v100, 24, v46
	v_add_nc_u32_e32 v17, v92, v88
	v_bfe_i32 v86, v43, 8, 8
	v_bfe_i32 v90, v44, 8, 8
	v_bfe_i32 v95, v45, 16, 8
	v_bfe_i32 v99, v46, 16, 8
	v_add3_u32 v127, v17, v96, v100
	v_add_nc_u32_e32 v17, v91, v87
	v_bfe_i32 v85, v43, 0, 8
	v_bfe_i32 v89, v44, 0, 8
	;; [unrolled: 1-line block ×4, first 2 shown]
	v_add3_u32 v128, v17, v95, v99
	v_add_nc_u32_e32 v17, v90, v86
	v_bfe_i32 v93, v45, 0, 8
	v_bfe_i32 v97, v46, 0, 8
	s_waitcnt lgkmcnt(0)
	v_bfe_i32 v0, v48, 0, 8
	v_bfe_i32 v109, v48, 8, 8
	v_add3_u32 v105, v17, v94, v98
	v_add_nc_u32_e32 v17, v89, v85
	v_bfe_i32 v110, v48, 16, 8
	v_ashrrev_i32_e32 v111, 24, v48
	v_bfe_i32 v112, v49, 0, 8
	v_bfe_i32 v113, v49, 8, 8
	v_add3_u32 v106, v17, v93, v97
	v_add_nc_u32_e32 v17, s20, v66
	v_bfe_i32 v114, v49, 16, 8
	v_ashrrev_i32_e32 v115, 24, v49
	v_bfe_i32 v116, v50, 0, 8
	v_bfe_i32 v117, v50, 8, 8
	ds_load_2addr_b32 v[34:35], v17 offset1:1
	v_bfe_i32 v118, v50, 16, 8
	v_ashrrev_i32_e32 v123, 24, v50
	v_bfe_i32 v101, v47, 0, 8
	v_bfe_i32 v102, v47, 8, 8
	;; [unrolled: 1-line block ×3, first 2 shown]
	v_ashrrev_i32_e32 v104, 24, v47
	s_delay_alu instid0(VALU_DEP_1) | instskip(NEXT) | instid1(VALU_DEP_1)
	v_add_nc_u32_e32 v1, v111, v104
	v_add3_u32 v2, v1, v115, v123
	s_delay_alu instid0(VALU_DEP_4)
	v_add_nc_u32_e32 v1, v110, v103
	s_waitcnt lgkmcnt(0)
	v_ashrrev_i32_e32 v24, s18, v34
	v_ashrrev_i32_e32 v38, s18, v35
	ds_load_2addr_b32 v[34:35], v17 offset0:2 offset1:3
	v_add3_u32 v18, v1, v114, v118
	v_add_nc_u32_e32 v1, v109, v102
	v_and_b32_e32 v44, 3, v24
	v_and_b32_e32 v50, 3, v38
	v_bfe_u32 v47, v24, 16, 2
	v_bfe_u32 v54, v24, 24, 2
	;; [unrolled: 1-line block ×3, first 2 shown]
	v_mul_i32_i24_e32 v52, v44, v85
	v_bfe_u32 v55, v38, 16, 2
	v_mul_i32_i24_e32 v67, v47, v87
	v_bfe_u32 v58, v38, 24, 2
	v_mul_i32_i24_e32 v69, v53, v90
	v_mad_i32_i24 v52, v50, v89, v52
	v_mul_i32_i24_e32 v70, v55, v91
	v_add3_u32 v46, v1, v113, v117
	v_mul_i32_i24_e32 v38, v58, v92
	v_add_nc_u32_e32 v1, v0, v101
	s_waitcnt lgkmcnt(0)
	v_ashrrev_i32_e32 v40, s18, v34
	v_ashrrev_i32_e32 v43, s18, v35
	ds_load_2addr_b32 v[34:35], v17 offset0:4 offset1:5
	v_add3_u32 v1, v1, v112, v116
	v_and_b32_e32 v56, 3, v40
	v_and_b32_e32 v61, 3, v43
	v_bfe_u32 v59, v40, 8, 2
	v_bfe_u32 v60, v40, 16, 2
	;; [unrolled: 1-line block ×3, first 2 shown]
	v_mul_i32_i24_e32 v71, v56, v93
	v_mul_i32_i24_e32 v74, v61, v97
	;; [unrolled: 1-line block ×4, first 2 shown]
	v_bfe_u32 v63, v43, 8, 2
	v_mul_i32_i24_e32 v40, v62, v96
	v_bfe_u32 v64, v43, 16, 2
	v_bfe_u32 v65, v43, 24, 2
	s_delay_alu instid0(VALU_DEP_4) | instskip(NEXT) | instid1(VALU_DEP_3)
	v_mul_i32_i24_e32 v75, v63, v98
	v_mul_i32_i24_e32 v76, v64, v99
	s_waitcnt lgkmcnt(0)
	v_ashrrev_i32_e32 v45, s18, v34
	v_ashrrev_i32_e32 v48, s18, v35
	ds_load_2addr_b32 v[34:35], v17 offset0:6 offset1:7
	v_mul_i32_i24_e32 v43, v65, v100
	s_waitcnt lgkmcnt(0)
	v_ashrrev_i32_e32 v49, s18, v34
	v_ashrrev_i32_e32 v51, s18, v35
	s_delay_alu instid0(VALU_DEP_2) | instskip(NEXT) | instid1(VALU_DEP_2)
	v_bfe_u32 v77, v49, 8, 2
	v_and_b32_e32 v82, 3, v51
	v_bfe_u32 v78, v49, 16, 2
	v_bfe_u32 v119, v49, 24, 2
	;; [unrolled: 1-line block ×3, first 2 shown]
	v_mul_i32_i24_e32 v130, v77, v113
	v_mul_i32_i24_e32 v132, v82, v116
	;; [unrolled: 1-line block ×3, first 2 shown]
	v_bfe_u32 v121, v51, 16, 2
	v_mul_i32_i24_e32 v133, v120, v117
	v_bfe_u32 v122, v51, 24, 2
	s_delay_alu instid0(VALU_DEP_3) | instskip(NEXT) | instid1(VALU_DEP_2)
	v_mul_i32_i24_e32 v134, v121, v118
	v_mul_i32_i24_e32 v51, v122, v123
	s_waitcnt vmcnt(0)
	v_add3_u32 v17, v5, s19, v126
	ds_load_b32 v183, v27
	ds_load_u16 v17, v17 offset:25088
	scratch_load_b32 v5, off, off offset:104 ; 4-byte Folded Reload
	s_waitcnt lgkmcnt(0)
	v_bfe_u32 v192, v17, 4, 4
	v_lshrrev_b16 v35, 8, v17
	s_delay_alu instid0(VALU_DEP_2) | instskip(NEXT) | instid1(VALU_DEP_1)
	v_mul_lo_u32 v41, 0x1010101, v192
	v_bfe_i32 v27, v41, 8, 8
	v_bfe_i32 v34, v41, 16, 8
	v_lshrrev_b32_e32 v196, 24, v41
	v_bfe_u32 v41, v24, 8, 2
	v_mul_i32_i24_e32 v24, v54, v88
	s_delay_alu instid0(VALU_DEP_2) | instskip(NEXT) | instid1(VALU_DEP_1)
	v_mul_i32_i24_e32 v66, v41, v86
	v_add3_u32 v52, v52, v71, v66
	v_and_b32_e32 v71, 3, v48
	v_and_b32_e32 v66, 15, v17
	s_delay_alu instid0(VALU_DEP_3) | instskip(SKIP_1) | instid1(VALU_DEP_2)
	v_add3_u32 v24, v52, v67, v24
	v_bfe_u32 v67, v45, 8, 2
	v_add3_u32 v24, v24, v74, v69
	v_and_b32_e32 v69, 3, v45
	s_delay_alu instid0(VALU_DEP_3) | instskip(SKIP_1) | instid1(VALU_DEP_4)
	v_mul_i32_i24_e32 v80, v67, v102
	v_bfe_u32 v74, v48, 16, 2
	v_add3_u32 v24, v24, v70, v38
	s_delay_alu instid0(VALU_DEP_4) | instskip(SKIP_1) | instid1(VALU_DEP_4)
	v_mul_i32_i24_e32 v52, v69, v101
	v_bfe_u32 v70, v45, 16, 2
	v_mul_i32_i24_e32 v84, v74, v110
	s_delay_alu instid0(VALU_DEP_4)
	v_add3_u32 v24, v24, v72, v73
	v_bfe_u32 v73, v45, 24, 2
	v_mad_i32_i24 v52, v71, v0, v52
	v_mul_i32_i24_e32 v81, v70, v103
	v_bfe_u32 v72, v48, 8, 2
	v_add3_u32 v24, v24, v40, v75
	v_and_b32_e32 v75, 3, v49
	v_mul_i32_i24_e32 v45, v73, v104
	v_mul_i32_i24_e32 v49, v119, v115
	;; [unrolled: 1-line block ×3, first 2 shown]
	v_add3_u32 v24, v24, v76, v43
	v_mul_i32_i24_e32 v129, v75, v112
	v_bfe_u32 v76, v48, 24, 2
	s_delay_alu instid0(VALU_DEP_3) | instskip(NEXT) | instid1(VALU_DEP_3)
	v_mul_lo_u32 v17, v24, v66
	v_add3_u32 v52, v52, v129, v80
	v_and_b32_e32 v24, 0xffff, v35
	s_delay_alu instid0(VALU_DEP_4) | instskip(SKIP_1) | instid1(VALU_DEP_4)
	v_mul_i32_i24_e32 v48, v76, v111
	v_mul_i32_i24_e32 v80, v128, v34
	v_add3_u32 v45, v52, v81, v45
	s_delay_alu instid0(VALU_DEP_4)
	v_lshrrev_b32_e32 v35, 4, v24
	v_mul_i32_i24_e32 v52, v127, v196
	v_mul_i32_i24_e32 v81, v105, v27
	v_and_b32_e32 v217, 15, v24
	v_add3_u32 v45, v45, v132, v83
	v_mul_lo_u32 v43, 0x1010101, v35
	v_mul_i32_i24_e32 v83, v192, v106
	s_delay_alu instid0(VALU_DEP_3) | instskip(NEXT) | instid1(VALU_DEP_2)
	v_add3_u32 v45, v45, v84, v48
	v_mad_i32_i24 v83, v35, v1, v83
	s_delay_alu instid0(VALU_DEP_4)
	v_bfe_i32 v38, v43, 8, 8
	v_bfe_i32 v40, v43, 16, 8
	v_lshrrev_b32_e32 v43, 24, v43
	v_add3_u32 v45, v45, v130, v131
	v_add3_u32 v52, v83, v52, v80
	v_add_nc_u32_e32 v83, s21, v136
	s_delay_alu instid0(VALU_DEP_4) | instskip(NEXT) | instid1(VALU_DEP_4)
	v_mul_i32_i24_e32 v48, v2, v43
	v_add3_u32 v45, v45, v49, v133
	v_mul_i32_i24_e32 v49, v18, v40
	s_delay_alu instid0(VALU_DEP_3) | instskip(NEXT) | instid1(VALU_DEP_3)
	v_add3_u32 v48, v52, v81, v48
	v_add3_u32 v45, v45, v134, v51
	v_mul_i32_i24_e32 v51, v46, v38
	s_delay_alu instid0(VALU_DEP_1) | instskip(NEXT) | instid1(VALU_DEP_3)
	v_add3_u32 v51, v48, v49, v51
	v_mad_u64_u32 v[48:49], null, v45, v217, v[17:18]
	v_lshrrev_b32_e32 v17, 16, v183
	s_delay_alu instid0(VALU_DEP_3) | instskip(NEXT) | instid1(VALU_DEP_2)
	v_cvt_f32_i32_e32 v24, v51
	v_cvt_f32_f16_e64 v218, v17
	s_delay_alu instid0(VALU_DEP_4) | instskip(NEXT) | instid1(VALU_DEP_2)
	v_cvt_f32_i32_e32 v17, v48
	v_mul_f32_e32 v24, v218, v24
	s_delay_alu instid0(VALU_DEP_1) | instskip(NEXT) | instid1(VALU_DEP_1)
	v_fma_mix_f32 v17, v183, v17, -v24 op_sel_hi:[1,0,0]
	v_dual_fmac_f32 v194, v3, v17 :: v_dual_add_nc_u32 v17, s20, v135
	ds_load_2addr_b32 v[48:49], v17 offset1:1
	s_waitcnt lgkmcnt(0)
	v_ashrrev_i32_e32 v24, s18, v48
	v_ashrrev_i32_e32 v45, s18, v49
	ds_load_2addr_b32 v[48:49], v17 offset0:2 offset1:3
	v_and_b32_e32 v224, 3, v24
	v_bfe_u32 v57, v24, 8, 2
	v_and_b32_e32 v226, 3, v45
	v_bfe_u32 v68, v24, 16, 2
	v_bfe_u32 v227, v24, 24, 2
	;; [unrolled: 1-line block ×3, first 2 shown]
	v_mul_i32_i24_e32 v129, v57, v86
	v_bfe_u32 v228, v45, 16, 2
	v_mul_i32_i24_e32 v130, v68, v87
	v_mul_i32_i24_e32 v24, v227, v88
	;; [unrolled: 1-line block ×3, first 2 shown]
	v_bfe_u32 v230, v45, 24, 2
	v_mul_i32_i24_e32 v132, v228, v91
	s_delay_alu instid0(VALU_DEP_2)
	v_mul_i32_i24_e32 v45, v230, v92
	s_waitcnt lgkmcnt(0)
	v_ashrrev_i32_e32 v51, s18, v48
	v_ashrrev_i32_e32 v52, s18, v49
	ds_load_2addr_b32 v[48:49], v17 offset0:4 offset1:5
	v_and_b32_e32 v229, 3, v51
	v_and_b32_e32 v233, 3, v52
	v_bfe_u32 v231, v51, 8, 2
	v_bfe_u32 v232, v51, 16, 2
	;; [unrolled: 1-line block ×3, first 2 shown]
	v_mul_i32_i24_e32 v133, v229, v93
	v_mul_i32_i24_e32 v136, v233, v97
	v_mul_i32_i24_e32 v134, v231, v94
	v_mul_i32_i24_e32 v135, v232, v95
	v_bfe_u32 v79, v52, 8, 2
	v_mul_i32_i24_e32 v51, v235, v96
	v_bfe_u32 v236, v52, 16, 2
	v_bfe_u32 v237, v52, 24, 2
	s_delay_alu instid0(VALU_DEP_4) | instskip(NEXT) | instid1(VALU_DEP_3)
	v_mul_i32_i24_e32 v137, v79, v98
	v_mul_i32_i24_e32 v138, v236, v99
	s_waitcnt lgkmcnt(0)
	v_ashrrev_i32_e32 v80, s18, v48
	v_ashrrev_i32_e32 v81, s18, v49
	ds_load_2addr_b32 v[48:49], v17 offset0:6 offset1:7
	v_mul_i32_i24_e32 v52, v237, v100
	v_and_b32_e32 v241, 3, v80
	v_bfe_u32 v240, v80, 8, 2
	v_and_b32_e32 v243, 3, v81
	v_bfe_u32 v242, v80, 16, 2
	v_bfe_u32 v245, v80, 24, 2
	;; [unrolled: 1-line block ×5, first 2 shown]
	s_delay_alu instid0(VALU_DEP_4) | instskip(NEXT) | instid1(VALU_DEP_2)
	v_mul_i32_i24_e32 v80, v245, v104
	v_mul_i32_i24_e32 v81, v248, v111
	s_waitcnt lgkmcnt(0)
	v_ashrrev_i32_e32 v48, s18, v48
	v_ashrrev_i32_e32 v49, s18, v49
	s_delay_alu instid0(VALU_DEP_2) | instskip(NEXT) | instid1(VALU_DEP_2)
	v_and_b32_e32 v247, 3, v48
	v_and_b32_e32 v251, 3, v49
	v_bfe_u32 v249, v48, 8, 2
	v_bfe_u32 v250, v48, 16, 2
	;; [unrolled: 1-line block ×6, first 2 shown]
	s_delay_alu instid0(VALU_DEP_4) | instskip(NEXT) | instid1(VALU_DEP_2)
	v_mul_i32_i24_e32 v48, v252, v115
	v_mul_i32_i24_e32 v49, v255, v123
	s_waitcnt vmcnt(0)
	v_add3_u32 v17, v5, s19, v126
	ds_load_b32 v139, v83
	ds_load_u16 v17, v17 offset:26112
	scratch_load_b32 v5, off, off offset:100 ; 4-byte Folded Reload
	s_waitcnt lgkmcnt(0)
	v_bfe_u32 v155, v17, 4, 4
	v_lshrrev_b16 v83, 8, v17
	v_and_b32_e32 v239, 15, v17
	s_delay_alu instid0(VALU_DEP_3) | instskip(NEXT) | instid1(VALU_DEP_1)
	v_mul_lo_u32 v84, 0x1010101, v155
	v_bfe_i32 v29, v84, 8, 8
	v_bfe_i32 v216, v84, 16, 8
	v_lshrrev_b32_e32 v159, 24, v84
	v_mul_i32_i24_e32 v84, v224, v85
	s_delay_alu instid0(VALU_DEP_1) | instskip(NEXT) | instid1(VALU_DEP_1)
	v_mad_i32_i24 v84, v226, v89, v84
	v_add3_u32 v84, v84, v133, v129
	v_mul_i32_i24_e32 v129, v247, v112
	v_mul_i32_i24_e32 v133, v253, v117
	s_delay_alu instid0(VALU_DEP_3) | instskip(SKIP_2) | instid1(VALU_DEP_3)
	v_add3_u32 v24, v84, v130, v24
	v_mul_i32_i24_e32 v84, v246, v110
	v_mul_i32_i24_e32 v130, v249, v113
	v_add3_u32 v24, v24, v136, v131
	v_mul_i32_i24_e32 v131, v250, v114
	s_delay_alu instid0(VALU_DEP_2) | instskip(SKIP_1) | instid1(VALU_DEP_2)
	v_add3_u32 v24, v24, v132, v45
	v_mul_i32_i24_e32 v132, v251, v116
	v_add3_u32 v24, v24, v134, v135
	v_mul_i32_i24_e32 v134, v254, v118
	s_delay_alu instid0(VALU_DEP_2) | instskip(SKIP_1) | instid1(VALU_DEP_2)
	v_add3_u32 v24, v24, v51, v137
	v_mul_i32_i24_e32 v51, v240, v102
	v_add3_u32 v24, v24, v138, v52
	v_mul_i32_i24_e32 v52, v242, v103
	s_delay_alu instid0(VALU_DEP_2) | instskip(SKIP_2) | instid1(VALU_DEP_2)
	v_mul_lo_u32 v17, v24, v239
	v_and_b32_e32 v24, 0xffff, v83
	v_mul_i32_i24_e32 v83, v244, v109
	v_lshrrev_b32_e32 v219, 4, v24
	v_and_b32_e32 v13, 15, v24
	s_delay_alu instid0(VALU_DEP_2) | instskip(NEXT) | instid1(VALU_DEP_1)
	v_mul_lo_u32 v45, 0x1010101, v219
	v_bfe_i32 v220, v45, 8, 8
	v_bfe_i32 v221, v45, 16, 8
	v_lshrrev_b32_e32 v222, 24, v45
	v_mul_i32_i24_e32 v45, v241, v101
	s_delay_alu instid0(VALU_DEP_1) | instskip(NEXT) | instid1(VALU_DEP_1)
	v_mad_i32_i24 v45, v243, v0, v45
	v_add3_u32 v45, v45, v129, v51
	v_mul_i32_i24_e32 v51, v46, v220
	s_delay_alu instid0(VALU_DEP_2) | instskip(SKIP_2) | instid1(VALU_DEP_3)
	v_add3_u32 v45, v45, v52, v80
	v_mul_i32_i24_e32 v52, v127, v159
	v_mul_i32_i24_e32 v80, v128, v216
	v_add3_u32 v45, v45, v132, v83
	v_mul_i32_i24_e32 v83, v155, v106
	s_delay_alu instid0(VALU_DEP_2) | instskip(NEXT) | instid1(VALU_DEP_2)
	v_add3_u32 v45, v45, v84, v81
	v_mad_i32_i24 v83, v219, v1, v83
	v_mul_i32_i24_e32 v81, v105, v29
	s_delay_alu instid0(VALU_DEP_3) | instskip(NEXT) | instid1(VALU_DEP_3)
	v_add3_u32 v45, v45, v130, v131
	v_add3_u32 v52, v83, v52, v80
	s_delay_alu instid0(VALU_DEP_2) | instskip(SKIP_1) | instid1(VALU_DEP_2)
	v_add3_u32 v45, v45, v48, v133
	v_mul_i32_i24_e32 v48, v2, v222
	v_add3_u32 v45, v45, v134, v49
	v_mul_i32_i24_e32 v49, v18, v221
	s_delay_alu instid0(VALU_DEP_3) | instskip(NEXT) | instid1(VALU_DEP_1)
	v_add3_u32 v48, v52, v81, v48
	v_add3_u32 v51, v48, v49, v51
	s_delay_alu instid0(VALU_DEP_4) | instskip(SKIP_1) | instid1(VALU_DEP_3)
	v_mad_u64_u32 v[48:49], null, v45, v13, v[17:18]
	v_lshrrev_b32_e32 v17, 16, v139
	v_cvt_f32_i32_e32 v24, v51
	s_delay_alu instid0(VALU_DEP_2) | instskip(NEXT) | instid1(VALU_DEP_4)
	v_cvt_f32_f16_e64 v180, v17
	v_cvt_f32_i32_e32 v17, v48
	s_delay_alu instid0(VALU_DEP_2) | instskip(NEXT) | instid1(VALU_DEP_1)
	v_mul_f32_e32 v24, v180, v24
	v_fma_mix_f32 v17, v139, v17, -v24 op_sel_hi:[1,0,0]
	v_add_nc_u32_e32 v24, s21, v141
	s_delay_alu instid0(VALU_DEP_2)
	v_dual_fmac_f32 v238, v3, v17 :: v_dual_add_nc_u32 v17, s20, v140
	ds_load_2addr_b32 v[48:49], v17 offset1:1
	s_waitcnt lgkmcnt(0)
	v_ashrrev_i32_e32 v45, s18, v48
	v_ashrrev_i32_e32 v52, s18, v49
	ds_load_2addr_b32 v[48:49], v17 offset0:2 offset1:3
	v_bfe_u32 v19, v45, 8, 2
	v_bfe_u32 v51, v52, 16, 2
	;; [unrolled: 1-line block ×3, first 2 shown]
	s_delay_alu instid0(VALU_DEP_3) | instskip(NEXT) | instid1(VALU_DEP_3)
	v_mul_i32_i24_e32 v137, v19, v86
	v_mul_i32_i24_e32 v142, v51, v91
	s_delay_alu instid0(VALU_DEP_3)
	v_mul_i32_i24_e32 v143, v187, v92
	s_waitcnt lgkmcnt(0)
	v_ashrrev_i32_e32 v80, s18, v48
	v_ashrrev_i32_e32 v81, s18, v49
	ds_load_2addr_b32 v[48:49], v17 offset0:4 offset1:5
	v_bfe_u32 v188, v80, 8, 2
	v_and_b32_e32 v190, 3, v81
	v_bfe_u32 v189, v80, 16, 2
	v_bfe_u32 v193, v80, 24, 2
	;; [unrolled: 1-line block ×3, first 2 shown]
	v_mul_i32_i24_e32 v145, v188, v94
	v_mul_i32_i24_e32 v147, v190, v97
	;; [unrolled: 1-line block ×3, first 2 shown]
	v_bfe_u32 v195, v81, 16, 2
	v_mul_i32_i24_e32 v148, v20, v98
	v_bfe_u32 v21, v81, 24, 2
	s_delay_alu instid0(VALU_DEP_3) | instskip(NEXT) | instid1(VALU_DEP_2)
	v_mul_i32_i24_e32 v149, v195, v99
	v_mul_i32_i24_e32 v81, v21, v100
	s_waitcnt lgkmcnt(0)
	v_ashrrev_i32_e32 v83, s18, v48
	v_ashrrev_i32_e32 v84, s18, v49
	ds_load_2addr_b32 v[48:49], v17 offset0:6 offset1:7
	v_and_b32_e32 v23, 3, v83
	v_bfe_u32 v199, v83, 8, 2
	v_and_b32_e32 v201, 3, v84
	v_bfe_u32 v200, v83, 16, 2
	v_bfe_u32 v25, v83, 24, 2
	;; [unrolled: 1-line block ×5, first 2 shown]
	s_delay_alu instid0(VALU_DEP_4) | instskip(NEXT) | instid1(VALU_DEP_2)
	v_mul_i32_i24_e32 v83, v25, v104
	v_mul_i32_i24_e32 v84, v206, v111
	s_waitcnt lgkmcnt(0)
	v_ashrrev_i32_e32 v129, s18, v48
	v_ashrrev_i32_e32 v130, s18, v49
	v_bfe_u32 v49, v45, 24, 2
	v_bfe_u32 v48, v52, 8, 2
	s_delay_alu instid0(VALU_DEP_4) | instskip(NEXT) | instid1(VALU_DEP_4)
	v_and_b32_e32 v204, 3, v129
	v_and_b32_e32 v209, 3, v130
	s_delay_alu instid0(VALU_DEP_4) | instskip(NEXT) | instid1(VALU_DEP_4)
	v_mul_i32_i24_e32 v140, v49, v88
	v_mul_i32_i24_e32 v141, v48, v90
	v_bfe_u32 v207, v129, 8, 2
	v_bfe_u32 v208, v129, 16, 2
	v_bfe_u32 v210, v129, 24, 2
	v_bfe_u32 v211, v130, 8, 2
	v_bfe_u32 v212, v130, 16, 2
	v_bfe_u32 v213, v130, 24, 2
	s_delay_alu instid0(VALU_DEP_4) | instskip(NEXT) | instid1(VALU_DEP_2)
	v_mul_i32_i24_e32 v129, v210, v115
	v_mul_i32_i24_e32 v130, v213, v123
	s_waitcnt vmcnt(0)
	v_add3_u32 v17, v5, s19, v126
	ds_load_b32 v131, v24
	ds_load_u16 v134, v17 offset:27136
	scratch_load_b32 v5, off, off offset:96 ; 4-byte Folded Reload
	v_bfe_u32 v24, v45, 16, 2
	s_delay_alu instid0(VALU_DEP_1) | instskip(SKIP_4) | instid1(VALU_DEP_3)
	v_mul_i32_i24_e32 v138, v24, v87
	s_waitcnt lgkmcnt(0)
	v_bfe_u32 v132, v134, 4, 4
	v_lshrrev_b16 v135, 8, v134
	v_and_b32_e32 v198, 15, v134
	v_mul_lo_u32 v17, 0x1010101, v132
	s_delay_alu instid0(VALU_DEP_1)
	v_bfe_i32 v9, v17, 8, 8
	v_bfe_i32 v10, v17, 16, 8
	v_lshrrev_b32_e32 v6, 24, v17
	v_and_b32_e32 v17, 3, v45
	v_and_b32_e32 v45, 3, v52
	;; [unrolled: 1-line block ×3, first 2 shown]
	v_mul_i32_i24_e32 v80, v193, v96
	s_delay_alu instid0(VALU_DEP_4) | instskip(NEXT) | instid1(VALU_DEP_3)
	v_mul_i32_i24_e32 v136, v17, v85
	v_mul_i32_i24_e32 v144, v52, v93
	s_delay_alu instid0(VALU_DEP_2) | instskip(NEXT) | instid1(VALU_DEP_1)
	v_mad_i32_i24 v136, v45, v89, v136
	v_add3_u32 v136, v136, v144, v137
	v_mul_i32_i24_e32 v137, v202, v109
	v_mul_i32_i24_e32 v144, v211, v117
	s_delay_alu instid0(VALU_DEP_3) | instskip(SKIP_2) | instid1(VALU_DEP_3)
	v_add3_u32 v136, v136, v138, v140
	v_mul_i32_i24_e32 v140, v204, v112
	v_mul_i32_i24_e32 v138, v205, v110
	v_add3_u32 v136, v136, v147, v141
	v_mul_i32_i24_e32 v141, v207, v113
	s_delay_alu instid0(VALU_DEP_2) | instskip(SKIP_2) | instid1(VALU_DEP_3)
	v_add3_u32 v136, v136, v142, v143
	v_mul_i32_i24_e32 v143, v209, v116
	v_mul_i32_i24_e32 v142, v208, v114
	v_add3_u32 v136, v136, v145, v146
	v_mul_i32_i24_e32 v145, v212, v118
	s_delay_alu instid0(VALU_DEP_2) | instskip(SKIP_1) | instid1(VALU_DEP_2)
	v_add3_u32 v80, v136, v80, v148
	v_mul_i32_i24_e32 v136, v200, v103
	v_add3_u32 v80, v80, v149, v81
	v_and_b32_e32 v81, 0xffff, v135
	v_mul_i32_i24_e32 v135, v199, v102
	s_delay_alu instid0(VALU_DEP_3) | instskip(NEXT) | instid1(VALU_DEP_3)
	v_mul_lo_u32 v80, v80, v198
	v_lshrrev_b32_e32 v182, 4, v81
	s_delay_alu instid0(VALU_DEP_1) | instskip(NEXT) | instid1(VALU_DEP_1)
	v_mul_lo_u32 v134, 0x1010101, v182
	v_bfe_i32 v184, v134, 8, 8
	v_bfe_i32 v185, v134, 16, 8
	v_lshrrev_b32_e32 v186, 24, v134
	v_mul_i32_i24_e32 v134, v23, v101
	s_delay_alu instid0(VALU_DEP_1) | instskip(NEXT) | instid1(VALU_DEP_1)
	v_mad_i32_i24 v134, v201, v0, v134
	v_add3_u32 v134, v134, v140, v135
	v_mul_i32_i24_e32 v135, v128, v10
	s_delay_alu instid0(VALU_DEP_2) | instskip(SKIP_2) | instid1(VALU_DEP_3)
	v_add3_u32 v83, v134, v136, v83
	v_mul_i32_i24_e32 v134, v127, v6
	v_mul_i32_i24_e32 v136, v105, v9
	v_add3_u32 v83, v83, v143, v137
	v_mul_i32_i24_e32 v137, v132, v106
	s_delay_alu instid0(VALU_DEP_2) | instskip(NEXT) | instid1(VALU_DEP_2)
	v_add3_u32 v83, v83, v138, v84
	v_mad_i32_i24 v137, v182, v1, v137
	v_mul_i32_i24_e32 v84, v18, v185
	s_delay_alu instid0(VALU_DEP_3) | instskip(NEXT) | instid1(VALU_DEP_3)
	v_add3_u32 v83, v83, v141, v142
	v_add3_u32 v134, v137, v134, v135
	s_delay_alu instid0(VALU_DEP_2) | instskip(NEXT) | instid1(VALU_DEP_1)
	v_add3_u32 v83, v83, v129, v144
	v_add3_u32 v129, v83, v145, v130
	v_mul_i32_i24_e32 v83, v2, v186
	v_mul_i32_i24_e32 v130, v46, v184
	s_delay_alu instid0(VALU_DEP_2) | instskip(SKIP_1) | instid1(VALU_DEP_2)
	v_add3_u32 v83, v134, v136, v83
	v_and_b32_e32 v136, 15, v81
	v_add3_u32 v130, v83, v84, v130
	s_delay_alu instid0(VALU_DEP_2) | instskip(SKIP_1) | instid1(VALU_DEP_3)
	v_mad_u64_u32 v[83:84], null, v129, v136, v[80:81]
	v_lshrrev_b32_e32 v80, 16, v131
	v_cvt_f32_i32_e32 v81, v130
	s_delay_alu instid0(VALU_DEP_2) | instskip(NEXT) | instid1(VALU_DEP_4)
	v_cvt_f32_f16_e32 v7, v80
	v_cvt_f32_i32_e32 v80, v83
	v_add_nc_u32_e32 v83, s20, v150
	s_delay_alu instid0(VALU_DEP_3) | instskip(NEXT) | instid1(VALU_DEP_1)
	v_mul_f32_e32 v81, v7, v81
	v_fma_mix_f32 v80, v131, v80, -v81 op_sel_hi:[1,0,0]
	s_delay_alu instid0(VALU_DEP_1)
	v_fmac_f32_e32 v234, v3, v80
	ds_load_2addr_b32 v[80:81], v83 offset1:1
	s_waitcnt lgkmcnt(0)
	v_ashrrev_i32_e32 v84, s18, v80
	v_ashrrev_i32_e32 v138, s18, v81
	ds_load_2addr_b32 v[80:81], v83 offset0:2 offset1:3
	v_and_b32_e32 v144, 3, v84
	v_bfe_u32 v148, v84, 24, 2
	v_and_b32_e32 v146, 3, v138
	v_bfe_u32 v147, v138, 8, 2
	v_bfe_u32 v149, v138, 16, 2
	v_mul_i32_i24_e32 v85, v144, v85
	v_bfe_u32 v151, v138, 24, 2
	v_bfe_u32 v145, v84, 16, 2
	s_delay_alu instid0(VALU_DEP_3) | instskip(NEXT) | instid1(VALU_DEP_2)
	v_mad_i32_i24 v85, v146, v89, v85
	v_mul_i32_i24_e32 v87, v145, v87
	s_waitcnt lgkmcnt(0)
	v_ashrrev_i32_e32 v140, s18, v80
	v_ashrrev_i32_e32 v141, s18, v81
	ds_load_2addr_b32 v[80:81], v83 offset0:4 offset1:5
	v_and_b32_e32 v142, 3, v140
	v_bfe_u32 v137, v140, 8, 2
	v_bfe_u32 v135, v140, 16, 2
	;; [unrolled: 1-line block ×6, first 2 shown]
	s_waitcnt lgkmcnt(0)
	v_ashrrev_i32_e32 v165, s18, v80
	v_ashrrev_i32_e32 v169, s18, v81
	ds_load_2addr_b32 v[80:81], v83 offset0:6 offset1:7
	v_and_b32_e32 v162, 3, v165
	v_bfe_u32 v8, v165, 8, 2
	v_bfe_u32 v163, v165, 16, 2
	;; [unrolled: 1-line block ×3, first 2 shown]
	v_and_b32_e32 v165, 3, v169
	v_bfe_u32 v164, v169, 8, 2
	v_bfe_u32 v167, v169, 16, 2
	;; [unrolled: 1-line block ×3, first 2 shown]
	s_delay_alu instid0(VALU_DEP_3) | instskip(SKIP_4) | instid1(VALU_DEP_2)
	v_mul_i32_i24_e32 v89, v164, v109
	s_waitcnt lgkmcnt(0)
	v_ashrrev_i32_e32 v83, s18, v80
	v_ashrrev_i32_e32 v81, s18, v81
	s_add_i32 s18, s18, 2
	v_and_b32_e32 v169, 3, v83
	s_delay_alu instid0(VALU_DEP_2)
	v_and_b32_e32 v172, 3, v81
	v_bfe_u32 v170, v83, 8, 2
	v_bfe_u32 v171, v83, 16, 2
	;; [unrolled: 1-line block ×6, first 2 shown]
	s_delay_alu instid0(VALU_DEP_4) | instskip(NEXT) | instid1(VALU_DEP_2)
	v_mul_i32_i24_e32 v83, v173, v115
	v_mul_i32_i24_e32 v81, v176, v123
	s_waitcnt vmcnt(0)
	v_add3_u32 v80, v5, s19, v126
	v_add_nc_u32_e32 v126, s21, v153
	ds_load_b32 v126, v126
	ds_load_u16 v80, v80 offset:28160
	v_and_b32_e32 v153, 3, v141
	s_add_i32 s19, s13, s18
	s_delay_alu instid0(SALU_CYCLE_1) | instskip(SKIP_4) | instid1(VALU_DEP_3)
	s_cmp_lt_u32 s19, s15
	s_waitcnt lgkmcnt(0)
	v_bfe_u32 v130, v80, 4, 4
	v_lshrrev_b16 v143, 8, v80
	v_and_b32_e32 v160, 15, v80
	v_mul_lo_u32 v129, 0x1010101, v130
	s_delay_alu instid0(VALU_DEP_1)
	v_bfe_i32 v178, v129, 8, 8
	v_bfe_i32 v179, v129, 16, 8
	v_lshrrev_b32_e32 v161, 24, v129
	v_bfe_u32 v129, v84, 8, 2
	v_mul_i32_i24_e32 v84, v148, v88
	v_mul_i32_i24_e32 v88, v147, v90
	;; [unrolled: 1-line block ×10, first 2 shown]
	v_add3_u32 v85, v85, v92, v86
	v_mul_i32_i24_e32 v97, v156, v98
	v_mul_i32_i24_e32 v98, v134, v99
	;; [unrolled: 1-line block ×4, first 2 shown]
	v_add3_u32 v84, v85, v87, v84
	v_mul_i32_i24_e32 v92, v169, v112
	v_mul_i32_i24_e32 v87, v163, v103
	s_delay_alu instid0(VALU_DEP_3) | instskip(SKIP_2) | instid1(VALU_DEP_3)
	v_add3_u32 v84, v84, v96, v88
	v_mul_i32_i24_e32 v88, v166, v104
	v_mul_i32_i24_e32 v96, v174, v117
	v_add3_u32 v84, v84, v90, v91
	v_mul_i32_i24_e32 v90, v167, v110
	v_mul_i32_i24_e32 v91, v168, v111
	s_delay_alu instid0(VALU_DEP_3) | instskip(SKIP_2) | instid1(VALU_DEP_3)
	v_add3_u32 v84, v84, v93, v94
	v_mul_i32_i24_e32 v93, v170, v113
	v_mul_i32_i24_e32 v94, v171, v114
	v_add3_u32 v84, v84, v95, v97
	v_mul_i32_i24_e32 v95, v172, v116
	v_mul_i32_i24_e32 v97, v175, v118
	s_delay_alu instid0(VALU_DEP_3) | instskip(NEXT) | instid1(VALU_DEP_1)
	v_add3_u32 v84, v84, v98, v99
	v_mul_lo_u32 v80, v84, v160
	v_and_b32_e32 v84, 0xffff, v143
	s_delay_alu instid0(VALU_DEP_1) | instskip(SKIP_1) | instid1(VALU_DEP_2)
	v_lshrrev_b32_e32 v138, 4, v84
	v_and_b32_e32 v158, 15, v84
	v_mul_lo_u32 v85, 0x1010101, v138
	s_delay_alu instid0(VALU_DEP_1) | instskip(SKIP_3) | instid1(VALU_DEP_1)
	v_bfe_i32 v140, v85, 8, 8
	v_bfe_i32 v141, v85, 16, 8
	v_lshrrev_b32_e32 v143, 24, v85
	v_mul_i32_i24_e32 v85, v162, v101
	v_mad_i32_i24 v0, v165, v0, v85
	v_mul_i32_i24_e32 v85, v105, v178
	s_delay_alu instid0(VALU_DEP_2) | instskip(SKIP_1) | instid1(VALU_DEP_2)
	v_add3_u32 v0, v0, v92, v86
	v_mul_i32_i24_e32 v86, v130, v106
	v_add3_u32 v0, v0, v87, v88
	s_delay_alu instid0(VALU_DEP_2) | instskip(NEXT) | instid1(VALU_DEP_2)
	v_mad_i32_i24 v1, v138, v1, v86
	v_add3_u32 v0, v0, v95, v89
	s_delay_alu instid0(VALU_DEP_1) | instskip(NEXT) | instid1(VALU_DEP_1)
	v_add3_u32 v0, v0, v90, v91
	v_add3_u32 v0, v0, v93, v94
	s_delay_alu instid0(VALU_DEP_1) | instskip(SKIP_1) | instid1(VALU_DEP_2)
	v_add3_u32 v0, v0, v83, v96
	v_mul_i32_i24_e32 v83, v128, v179
	v_add3_u32 v81, v0, v97, v81
	v_mul_i32_i24_e32 v0, v2, v143
	v_mul_i32_i24_e32 v2, v18, v141
	;; [unrolled: 1-line block ×4, first 2 shown]
	s_delay_alu instid0(VALU_DEP_1) | instskip(NEXT) | instid1(VALU_DEP_1)
	v_add3_u32 v1, v1, v46, v83
	v_add3_u32 v0, v1, v85, v0
	s_delay_alu instid0(VALU_DEP_1) | instskip(SKIP_2) | instid1(VALU_DEP_1)
	v_add3_u32 v2, v0, v2, v18
	v_mad_u64_u32 v[0:1], null, v81, v158, v[80:81]
	v_lshrrev_b32_e32 v1, 16, v126
	v_cvt_f32_f16_e64 v157, v1
	s_delay_alu instid0(VALU_DEP_4) | instskip(NEXT) | instid1(VALU_DEP_4)
	v_cvt_f32_i32_e32 v1, v2
	v_cvt_f32_i32_e32 v0, v0
	s_delay_alu instid0(VALU_DEP_2) | instskip(NEXT) | instid1(VALU_DEP_1)
	v_mul_f32_e32 v1, v157, v1
	v_fma_mix_f32 v0, v126, v0, -v1 op_sel_hi:[1,0,0]
	s_delay_alu instid0(VALU_DEP_1)
	v_fmac_f32_e32 v223, v3, v0
	ds_load_b128 v[0:3], v124 offset:1024
	s_waitcnt lgkmcnt(0)
	v_bfe_i32 v18, v0, 0, 8
	v_bfe_i32 v46, v0, 8, 8
	v_bfe_i32 v80, v0, 16, 8
	v_ashrrev_i32_e32 v81, 24, v0
	v_bfe_i32 v83, v1, 0, 8
	v_bfe_i32 v84, v1, 8, 8
	v_bfe_i32 v85, v1, 16, 8
	v_ashrrev_i32_e32 v86, 24, v1
	;; [unrolled: 4-line block ×4, first 2 shown]
	ds_load_b128 v[0:3], v124 offset:1040
	v_mul_i32_i24_e32 v107, v85, v55
	v_mul_i32_i24_e32 v108, v86, v58
	s_waitcnt lgkmcnt(0)
	v_ashrrev_i32_e32 v98, 24, v0
	v_ashrrev_i32_e32 v102, 24, v1
	v_bfe_i32 v95, v0, 0, 8
	v_bfe_i32 v96, v0, 8, 8
	;; [unrolled: 1-line block ×4, first 2 shown]
	v_ashrrev_i32_e32 v106, 24, v2
	v_bfe_i32 v109, v3, 0, 8
	v_bfe_i32 v110, v3, 8, 8
	;; [unrolled: 1-line block ×3, first 2 shown]
	v_ashrrev_i32_e32 v3, 24, v3
	v_add_nc_u32_e32 v0, v102, v98
	v_bfe_i32 v100, v1, 8, 8
	v_bfe_i32 v105, v2, 16, 8
	;; [unrolled: 1-line block ×4, first 2 shown]
	v_add3_u32 v112, v0, v106, v3
	v_add_nc_u32_e32 v0, v101, v97
	v_bfe_i32 v103, v2, 0, 8
	v_mul_i32_i24_e32 v1, v80, v47
	v_mul_i32_i24_e32 v2, v81, v54
	;; [unrolled: 1-line block ×3, first 2 shown]
	v_add3_u32 v113, v0, v105, v111
	v_add_nc_u32_e32 v0, v100, v96
	s_delay_alu instid0(VALU_DEP_1) | instskip(SKIP_1) | instid1(VALU_DEP_1)
	v_add3_u32 v114, v0, v104, v110
	v_add_nc_u32_e32 v0, v99, v95
	v_add3_u32 v115, v0, v103, v109
	v_add_nc_u32_e32 v0, v86, v81
	s_delay_alu instid0(VALU_DEP_1) | instskip(SKIP_1) | instid1(VALU_DEP_1)
	v_add3_u32 v116, v0, v90, v94
	v_add_nc_u32_e32 v0, v85, v80
	v_add3_u32 v117, v0, v89, v93
	v_add_nc_u32_e32 v0, v84, v46
	s_delay_alu instid0(VALU_DEP_2) | instskip(NEXT) | instid1(VALU_DEP_2)
	v_mul_i32_i24_e32 v150, v117, v34
	v_add3_u32 v118, v0, v88, v92
	v_add_nc_u32_e32 v0, v83, v18
	s_delay_alu instid0(VALU_DEP_2) | instskip(NEXT) | instid1(VALU_DEP_2)
	v_mul_i32_i24_e32 v152, v118, v27
	v_add3_u32 v123, v0, v87, v91
	v_mul_i32_i24_e32 v0, v18, v44
	s_delay_alu instid0(VALU_DEP_2) | instskip(NEXT) | instid1(VALU_DEP_2)
	v_mul_i32_i24_e32 v127, v123, v192
	v_mad_i32_i24 v0, v46, v41, v0
	s_delay_alu instid0(VALU_DEP_2) | instskip(NEXT) | instid1(VALU_DEP_2)
	v_mad_i32_i24 v127, v116, v196, v127
	v_add3_u32 v0, v0, v1, v2
	v_mul_i32_i24_e32 v1, v83, v50
	v_mul_i32_i24_e32 v2, v84, v53
	s_delay_alu instid0(VALU_DEP_4) | instskip(SKIP_2) | instid1(VALU_DEP_4)
	v_add3_u32 v127, v127, v150, v152
	v_mul_i32_i24_e32 v152, v123, v155
	v_mul_i32_i24_e32 v150, v118, v29
	v_add3_u32 v0, v0, v1, v2
	v_mul_i32_i24_e32 v1, v87, v56
	v_mul_i32_i24_e32 v2, v88, v59
	v_mad_i32_i24 v152, v116, v159, v152
	s_delay_alu instid0(VALU_DEP_4) | instskip(SKIP_2) | instid1(VALU_DEP_3)
	v_add3_u32 v0, v0, v107, v108
	v_mul_i32_i24_e32 v107, v89, v60
	v_mul_i32_i24_e32 v108, v90, v62
	v_add3_u32 v0, v0, v1, v2
	v_mul_i32_i24_e32 v1, v91, v61
	v_mul_i32_i24_e32 v2, v92, v63
	s_delay_alu instid0(VALU_DEP_3) | instskip(SKIP_2) | instid1(VALU_DEP_3)
	v_add3_u32 v0, v0, v107, v108
	v_mul_i32_i24_e32 v107, v93, v64
	v_mul_i32_i24_e32 v108, v94, v65
	v_add3_u32 v0, v0, v1, v2
	v_mul_i32_i24_e32 v1, v95, v69
	v_mul_i32_i24_e32 v2, v97, v70
	s_delay_alu instid0(VALU_DEP_3) | instskip(SKIP_1) | instid1(VALU_DEP_4)
	v_add3_u32 v0, v0, v107, v108
	v_mul_i32_i24_e32 v107, v98, v73
	v_mad_i32_i24 v1, v96, v67, v1
	v_mul_i32_i24_e32 v108, v101, v74
	s_delay_alu instid0(VALU_DEP_4) | instskip(NEXT) | instid1(VALU_DEP_3)
	v_mul_lo_u32 v0, v0, v66
	v_add3_u32 v1, v1, v2, v107
	v_mul_i32_i24_e32 v2, v99, v71
	v_mul_i32_i24_e32 v107, v100, v72
	s_delay_alu instid0(VALU_DEP_1) | instskip(SKIP_2) | instid1(VALU_DEP_3)
	v_add3_u32 v1, v1, v2, v107
	v_mul_i32_i24_e32 v2, v103, v75
	v_mul_i32_i24_e32 v107, v105, v78
	v_add3_u32 v1, v1, v108, v5
	v_mul_i32_i24_e32 v5, v104, v77
	v_mul_i32_i24_e32 v108, v106, v119
	s_delay_alu instid0(VALU_DEP_2) | instskip(SKIP_2) | instid1(VALU_DEP_3)
	v_add3_u32 v1, v1, v2, v5
	v_mul_i32_i24_e32 v2, v109, v82
	v_mul_i32_i24_e32 v5, v110, v120
	v_add3_u32 v1, v1, v107, v108
	v_mul_i32_i24_e32 v107, v111, v121
	v_mul_i32_i24_e32 v108, v3, v122
	s_delay_alu instid0(VALU_DEP_3) | instskip(SKIP_1) | instid1(VALU_DEP_2)
	v_add3_u32 v1, v1, v2, v5
	v_mul_i32_i24_e32 v2, v113, v40
	v_add3_u32 v5, v1, v107, v108
	v_mul_i32_i24_e32 v1, v112, v43
	v_mul_i32_i24_e32 v108, v115, v35
	;; [unrolled: 1-line block ×3, first 2 shown]
	s_delay_alu instid0(VALU_DEP_2) | instskip(SKIP_2) | instid1(VALU_DEP_3)
	v_add3_u32 v1, v127, v108, v1
	v_mul_i32_i24_e32 v108, v102, v248
	v_mul_i32_i24_e32 v127, v117, v216
	v_add3_u32 v107, v1, v2, v107
	v_mad_u64_u32 v[1:2], null, v5, v217, v[0:1]
	v_mul_i32_i24_e32 v2, v81, v227
	v_mul_i32_i24_e32 v5, v85, v228
	v_add3_u32 v127, v152, v127, v150
	v_mul_i32_i24_e32 v152, v123, v132
	v_mul_i32_i24_e32 v150, v118, v9
	v_cvt_f32_i32_e32 v0, v1
	v_cvt_f32_i32_e32 v1, v107
	v_mul_i32_i24_e32 v107, v86, v230
	v_mad_i32_i24 v152, v116, v6, v152
	s_delay_alu instid0(VALU_DEP_3) | instskip(NEXT) | instid1(VALU_DEP_1)
	v_mul_f32_e32 v1, v218, v1
	v_fma_mix_f32 v0, v183, v0, -v1 op_sel_hi:[1,0,0]
	v_mul_i32_i24_e32 v1, v80, v68
	s_delay_alu instid0(VALU_DEP_2) | instskip(SKIP_1) | instid1(VALU_DEP_1)
	v_fmac_f32_e32 v42, v4, v0
	v_mul_i32_i24_e32 v0, v18, v224
	v_mad_i32_i24 v0, v46, v57, v0
	s_delay_alu instid0(VALU_DEP_1) | instskip(SKIP_2) | instid1(VALU_DEP_1)
	v_add3_u32 v0, v0, v1, v2
	v_mul_i32_i24_e32 v1, v83, v226
	v_mul_i32_i24_e32 v2, v84, v225
	v_add3_u32 v0, v0, v1, v2
	v_mul_i32_i24_e32 v1, v87, v229
	v_mul_i32_i24_e32 v2, v88, v231
	s_delay_alu instid0(VALU_DEP_3) | instskip(SKIP_2) | instid1(VALU_DEP_3)
	v_add3_u32 v0, v0, v5, v107
	v_mul_i32_i24_e32 v5, v89, v232
	v_mul_i32_i24_e32 v107, v90, v235
	v_add3_u32 v0, v0, v1, v2
	v_mul_i32_i24_e32 v1, v91, v233
	v_mul_i32_i24_e32 v2, v92, v79
	s_delay_alu instid0(VALU_DEP_3) | instskip(SKIP_2) | instid1(VALU_DEP_3)
	v_add3_u32 v0, v0, v5, v107
	v_mul_i32_i24_e32 v5, v93, v236
	v_mul_i32_i24_e32 v107, v94, v237
	v_add3_u32 v0, v0, v1, v2
	v_mul_i32_i24_e32 v1, v95, v241
	v_mul_i32_i24_e32 v2, v97, v242
	s_delay_alu instid0(VALU_DEP_3) | instskip(SKIP_1) | instid1(VALU_DEP_4)
	v_add3_u32 v0, v0, v5, v107
	v_mul_i32_i24_e32 v5, v98, v245
	v_mad_i32_i24 v1, v96, v240, v1
	v_mul_i32_i24_e32 v107, v101, v246
	s_delay_alu instid0(VALU_DEP_4) | instskip(NEXT) | instid1(VALU_DEP_3)
	v_mul_lo_u32 v0, v0, v239
	v_add3_u32 v1, v1, v2, v5
	v_mul_i32_i24_e32 v2, v99, v243
	v_mul_i32_i24_e32 v5, v100, v244
	s_delay_alu instid0(VALU_DEP_1) | instskip(SKIP_2) | instid1(VALU_DEP_3)
	v_add3_u32 v1, v1, v2, v5
	v_mul_i32_i24_e32 v2, v103, v247
	v_mul_i32_i24_e32 v5, v104, v249
	v_add3_u32 v1, v1, v107, v108
	v_mul_i32_i24_e32 v107, v105, v250
	v_mul_i32_i24_e32 v108, v106, v252
	s_delay_alu instid0(VALU_DEP_3) | instskip(SKIP_2) | instid1(VALU_DEP_3)
	v_add3_u32 v1, v1, v2, v5
	v_mul_i32_i24_e32 v2, v109, v251
	v_mul_i32_i24_e32 v5, v110, v253
	v_add3_u32 v1, v1, v107, v108
	v_mul_i32_i24_e32 v107, v111, v254
	v_mul_i32_i24_e32 v108, v3, v255
	s_delay_alu instid0(VALU_DEP_3) | instskip(SKIP_1) | instid1(VALU_DEP_2)
	v_add3_u32 v1, v1, v2, v5
	v_mul_i32_i24_e32 v2, v113, v221
	v_add3_u32 v5, v1, v107, v108
	v_mul_i32_i24_e32 v1, v112, v222
	v_mul_i32_i24_e32 v108, v115, v219
	;; [unrolled: 1-line block ×3, first 2 shown]
	s_delay_alu instid0(VALU_DEP_2) | instskip(SKIP_2) | instid1(VALU_DEP_3)
	v_add3_u32 v1, v127, v108, v1
	v_mul_i32_i24_e32 v108, v102, v206
	v_mul_i32_i24_e32 v127, v117, v10
	v_add3_u32 v107, v1, v2, v107
	v_mad_u64_u32 v[1:2], null, v5, v13, v[0:1]
	v_mul_i32_i24_e32 v2, v81, v49
	v_mul_i32_i24_e32 v5, v85, v51
	v_add3_u32 v127, v152, v127, v150
	s_delay_alu instid0(VALU_DEP_4) | instskip(SKIP_2) | instid1(VALU_DEP_2)
	v_cvt_f32_i32_e32 v0, v1
	v_cvt_f32_i32_e32 v1, v107
	v_mul_i32_i24_e32 v107, v86, v187
	v_mul_f32_e32 v1, v180, v1
	s_delay_alu instid0(VALU_DEP_1) | instskip(SKIP_1) | instid1(VALU_DEP_2)
	v_fma_mix_f32 v0, v139, v0, -v1 op_sel_hi:[1,0,0]
	v_mul_i32_i24_e32 v1, v80, v24
	v_fmac_f32_e32 v39, v4, v0
	v_mul_i32_i24_e32 v0, v18, v17
	s_delay_alu instid0(VALU_DEP_1) | instskip(NEXT) | instid1(VALU_DEP_1)
	v_mad_i32_i24 v0, v46, v19, v0
	v_add3_u32 v0, v0, v1, v2
	v_mul_i32_i24_e32 v1, v83, v45
	v_mul_i32_i24_e32 v2, v84, v48
	s_delay_alu instid0(VALU_DEP_1) | instskip(SKIP_2) | instid1(VALU_DEP_3)
	v_add3_u32 v0, v0, v1, v2
	v_mul_i32_i24_e32 v1, v87, v52
	v_mul_i32_i24_e32 v2, v88, v188
	v_add3_u32 v0, v0, v5, v107
	v_mul_i32_i24_e32 v5, v89, v189
	v_mul_i32_i24_e32 v107, v90, v193
	s_delay_alu instid0(VALU_DEP_3) | instskip(SKIP_2) | instid1(VALU_DEP_3)
	v_add3_u32 v0, v0, v1, v2
	v_mul_i32_i24_e32 v1, v91, v190
	v_mul_i32_i24_e32 v2, v92, v20
	v_add3_u32 v0, v0, v5, v107
	v_mul_i32_i24_e32 v5, v93, v195
	v_mul_i32_i24_e32 v107, v94, v21
	s_delay_alu instid0(VALU_DEP_3) | instskip(SKIP_2) | instid1(VALU_DEP_3)
	v_add3_u32 v0, v0, v1, v2
	v_mul_i32_i24_e32 v1, v95, v23
	v_mul_i32_i24_e32 v2, v97, v200
	v_add3_u32 v0, v0, v5, v107
	v_mul_i32_i24_e32 v5, v98, v25
	s_delay_alu instid0(VALU_DEP_4) | instskip(SKIP_1) | instid1(VALU_DEP_4)
	v_mad_i32_i24 v1, v96, v199, v1
	v_mul_i32_i24_e32 v107, v101, v205
	v_mul_lo_u32 v0, v0, v198
	s_delay_alu instid0(VALU_DEP_3) | instskip(SKIP_2) | instid1(VALU_DEP_1)
	v_add3_u32 v1, v1, v2, v5
	v_mul_i32_i24_e32 v2, v99, v201
	v_mul_i32_i24_e32 v5, v100, v202
	v_add3_u32 v1, v1, v2, v5
	v_mul_i32_i24_e32 v2, v103, v204
	v_mul_i32_i24_e32 v5, v104, v207
	s_delay_alu instid0(VALU_DEP_3) | instskip(SKIP_2) | instid1(VALU_DEP_3)
	v_add3_u32 v1, v1, v107, v108
	v_mul_i32_i24_e32 v107, v105, v208
	v_mul_i32_i24_e32 v108, v106, v210
	v_add3_u32 v1, v1, v2, v5
	v_mul_i32_i24_e32 v2, v109, v209
	v_mul_i32_i24_e32 v5, v110, v211
	s_delay_alu instid0(VALU_DEP_3) | instskip(SKIP_3) | instid1(VALU_DEP_4)
	v_add3_u32 v1, v1, v107, v108
	v_mul_i32_i24_e32 v107, v111, v212
	v_mul_i32_i24_e32 v108, v3, v213
	;; [unrolled: 1-line block ×3, first 2 shown]
	v_add3_u32 v1, v1, v2, v5
	v_mul_i32_i24_e32 v2, v113, v185
	s_delay_alu instid0(VALU_DEP_2) | instskip(SKIP_3) | instid1(VALU_DEP_2)
	v_add3_u32 v5, v1, v107, v108
	v_mul_i32_i24_e32 v1, v112, v186
	v_mul_i32_i24_e32 v108, v115, v182
	v_mul_i32_i24_e32 v107, v114, v184
	v_add3_u32 v1, v127, v108, v1
	s_delay_alu instid0(VALU_DEP_1) | instskip(SKIP_4) | instid1(VALU_DEP_4)
	v_add3_u32 v107, v1, v2, v107
	v_mad_u64_u32 v[1:2], null, v5, v136, v[0:1]
	v_mul_i32_i24_e32 v2, v81, v148
	v_mul_i32_i24_e32 v5, v85, v149
	;; [unrolled: 1-line block ×3, first 2 shown]
	v_cvt_f32_i32_e32 v0, v1
	v_cvt_f32_i32_e32 v1, v107
	s_delay_alu instid0(VALU_DEP_3) | instskip(NEXT) | instid1(VALU_DEP_2)
	v_mad_i32_i24 v81, v116, v161, v81
	v_mul_f32_e32 v1, v7, v1
	s_delay_alu instid0(VALU_DEP_1) | instskip(SKIP_2) | instid1(VALU_DEP_3)
	v_fma_mix_f32 v0, v131, v0, -v1 op_sel_hi:[1,0,0]
	v_mul_i32_i24_e32 v1, v80, v145
	v_mul_i32_i24_e32 v80, v118, v178
	v_fmac_f32_e32 v37, v4, v0
	v_mul_i32_i24_e32 v0, v18, v144
	v_mul_i32_i24_e32 v18, v86, v151
	s_delay_alu instid0(VALU_DEP_2) | instskip(SKIP_1) | instid1(VALU_DEP_2)
	v_mad_i32_i24 v0, v46, v129, v0
	v_mul_i32_i24_e32 v46, v102, v168
	v_add3_u32 v0, v0, v1, v2
	v_mul_i32_i24_e32 v1, v83, v146
	v_mul_i32_i24_e32 v2, v84, v147
	s_delay_alu instid0(VALU_DEP_1) | instskip(SKIP_2) | instid1(VALU_DEP_3)
	v_add3_u32 v0, v0, v1, v2
	v_mul_i32_i24_e32 v1, v87, v142
	v_mul_i32_i24_e32 v2, v88, v137
	v_add3_u32 v0, v0, v5, v18
	v_mul_i32_i24_e32 v5, v89, v135
	v_mul_i32_i24_e32 v18, v90, v154
	s_delay_alu instid0(VALU_DEP_3) | instskip(SKIP_2) | instid1(VALU_DEP_3)
	v_add3_u32 v0, v0, v1, v2
	v_mul_i32_i24_e32 v1, v91, v153
	v_mul_i32_i24_e32 v2, v92, v156
	v_add3_u32 v0, v0, v5, v18
	v_mul_i32_i24_e32 v5, v93, v134
	v_mul_i32_i24_e32 v18, v94, v133
	s_delay_alu instid0(VALU_DEP_3) | instskip(SKIP_2) | instid1(VALU_DEP_3)
	v_add3_u32 v0, v0, v1, v2
	v_mul_i32_i24_e32 v1, v95, v162
	v_mul_i32_i24_e32 v2, v97, v163
	v_add3_u32 v0, v0, v5, v18
	v_mul_i32_i24_e32 v5, v98, v166
	s_delay_alu instid0(VALU_DEP_4) | instskip(SKIP_1) | instid1(VALU_DEP_4)
	v_mad_i32_i24 v1, v96, v8, v1
	v_mul_i32_i24_e32 v18, v101, v167
	v_mul_lo_u32 v0, v0, v160
	s_delay_alu instid0(VALU_DEP_3) | instskip(SKIP_2) | instid1(VALU_DEP_1)
	v_add3_u32 v1, v1, v2, v5
	v_mul_i32_i24_e32 v2, v99, v165
	v_mul_i32_i24_e32 v5, v100, v164
	v_add3_u32 v1, v1, v2, v5
	v_mul_i32_i24_e32 v2, v103, v169
	v_mul_i32_i24_e32 v5, v104, v170
	s_delay_alu instid0(VALU_DEP_3) | instskip(SKIP_2) | instid1(VALU_DEP_3)
	v_add3_u32 v1, v1, v18, v46
	v_mul_i32_i24_e32 v18, v105, v171
	v_mul_i32_i24_e32 v46, v106, v173
	v_add3_u32 v1, v1, v2, v5
	v_mul_i32_i24_e32 v2, v109, v172
	v_mul_i32_i24_e32 v5, v110, v174
	s_delay_alu instid0(VALU_DEP_3) | instskip(SKIP_2) | instid1(VALU_DEP_3)
	v_add3_u32 v1, v1, v18, v46
	v_mul_i32_i24_e32 v18, v111, v175
	v_mul_i32_i24_e32 v46, v117, v179
	v_add3_u32 v1, v1, v2, v5
	v_mul_i32_i24_e32 v2, v113, v141
	s_delay_alu instid0(VALU_DEP_3) | instskip(SKIP_1) | instid1(VALU_DEP_4)
	v_add3_u32 v46, v81, v46, v80
	v_mul_i32_i24_e32 v5, v114, v140
	v_add3_u32 v3, v1, v18, v3
	v_mul_i32_i24_e32 v1, v112, v143
	v_mul_i32_i24_e32 v18, v115, v138
	s_delay_alu instid0(VALU_DEP_1) | instskip(NEXT) | instid1(VALU_DEP_1)
	v_add3_u32 v1, v46, v18, v1
	v_add3_u32 v5, v1, v2, v5
	v_mad_u64_u32 v[1:2], null, v3, v158, v[0:1]
	s_delay_alu instid0(VALU_DEP_1) | instskip(NEXT) | instid1(VALU_DEP_3)
	v_cvt_f32_i32_e32 v0, v1
	v_cvt_f32_i32_e32 v1, v5
	s_delay_alu instid0(VALU_DEP_1) | instskip(NEXT) | instid1(VALU_DEP_1)
	v_mul_f32_e32 v1, v157, v1
	v_fma_mix_f32 v0, v126, v0, -v1 op_sel_hi:[1,0,0]
	s_delay_alu instid0(VALU_DEP_1)
	v_fmac_f32_e32 v36, v4, v0
	ds_load_2addr_b32 v[3:4], v125 offset0:64 offset1:96
	ds_load_b128 v[83:86], v124 offset:2048
	s_waitcnt lgkmcnt(0)
	v_bfe_i32 v5, v83, 0, 8
	v_bfe_i32 v18, v83, 8, 8
	v_bfe_i32 v46, v83, 16, 8
	v_ashrrev_i32_e32 v80, 24, v83
	v_bfe_i32 v81, v84, 0, 8
	v_bfe_i32 v87, v84, 8, 8
	v_bfe_i32 v88, v84, 16, 8
	v_ashrrev_i32_e32 v89, 24, v84
	;; [unrolled: 4-line block ×4, first 2 shown]
	ds_load_b128 v[83:86], v124 offset:2064
	v_mul_i32_i24_e32 v1, v46, v47
	v_mul_i32_i24_e32 v2, v80, v54
	;; [unrolled: 1-line block ×4, first 2 shown]
	s_waitcnt lgkmcnt(0)
	v_bfe_i32 v98, v83, 0, 8
	v_bfe_i32 v99, v83, 8, 8
	v_bfe_i32 v100, v83, 16, 8
	v_ashrrev_i32_e32 v83, 24, v83
	v_bfe_i32 v101, v84, 0, 8
	v_bfe_i32 v102, v84, 8, 8
	v_bfe_i32 v103, v84, 16, 8
	v_ashrrev_i32_e32 v84, 24, v84
	;; [unrolled: 4-line block ×4, first 2 shown]
	v_add_nc_u32_e32 v0, v84, v83
	v_mul_i32_i24_e32 v127, v84, v76
	s_delay_alu instid0(VALU_DEP_2) | instskip(SKIP_1) | instid1(VALU_DEP_1)
	v_add3_u32 v110, v0, v85, v86
	v_add_nc_u32_e32 v0, v103, v100
	v_add3_u32 v111, v0, v106, v109
	v_add_nc_u32_e32 v0, v102, v99
	s_delay_alu instid0(VALU_DEP_1) | instskip(SKIP_1) | instid1(VALU_DEP_1)
	v_add3_u32 v112, v0, v105, v108
	v_add_nc_u32_e32 v0, v101, v98
	v_add3_u32 v113, v0, v104, v107
	v_add_nc_u32_e32 v0, v89, v80
	s_delay_alu instid0(VALU_DEP_1) | instskip(SKIP_1) | instid1(VALU_DEP_1)
	v_add3_u32 v114, v0, v93, v97
	v_add_nc_u32_e32 v0, v88, v46
	v_add3_u32 v115, v0, v92, v96
	v_add_nc_u32_e32 v0, v87, v18
	s_delay_alu instid0(VALU_DEP_2) | instskip(NEXT) | instid1(VALU_DEP_2)
	v_mul_i32_i24_e32 v150, v115, v34
	v_add3_u32 v116, v0, v91, v95
	v_add_nc_u32_e32 v0, v81, v5
	s_delay_alu instid0(VALU_DEP_2) | instskip(NEXT) | instid1(VALU_DEP_2)
	v_mul_i32_i24_e32 v152, v116, v27
	v_add3_u32 v117, v0, v90, v94
	v_mul_i32_i24_e32 v0, v5, v44
	s_delay_alu instid0(VALU_DEP_2) | instskip(NEXT) | instid1(VALU_DEP_2)
	v_mul_i32_i24_e32 v128, v117, v192
	v_mad_i32_i24 v0, v18, v41, v0
	s_delay_alu instid0(VALU_DEP_2) | instskip(NEXT) | instid1(VALU_DEP_2)
	v_mad_i32_i24 v128, v114, v196, v128
	v_add3_u32 v0, v0, v1, v2
	v_mul_i32_i24_e32 v1, v81, v50
	v_mul_i32_i24_e32 v2, v87, v53
	s_delay_alu instid0(VALU_DEP_4) | instskip(SKIP_2) | instid1(VALU_DEP_4)
	v_add3_u32 v128, v128, v150, v152
	v_mul_i32_i24_e32 v152, v117, v155
	v_mul_i32_i24_e32 v150, v116, v29
	v_add3_u32 v0, v0, v1, v2
	v_mul_i32_i24_e32 v1, v90, v56
	v_mul_i32_i24_e32 v2, v91, v59
	v_mad_i32_i24 v152, v114, v159, v152
	s_delay_alu instid0(VALU_DEP_4) | instskip(SKIP_2) | instid1(VALU_DEP_3)
	v_add3_u32 v0, v0, v118, v123
	v_mul_i32_i24_e32 v118, v92, v60
	v_mul_i32_i24_e32 v123, v93, v62
	v_add3_u32 v0, v0, v1, v2
	v_mul_i32_i24_e32 v1, v94, v61
	v_mul_i32_i24_e32 v2, v95, v63
	s_delay_alu instid0(VALU_DEP_3) | instskip(SKIP_2) | instid1(VALU_DEP_3)
	v_add3_u32 v0, v0, v118, v123
	v_mul_i32_i24_e32 v118, v96, v64
	v_mul_i32_i24_e32 v123, v97, v65
	v_add3_u32 v0, v0, v1, v2
	v_mul_i32_i24_e32 v1, v98, v69
	v_mul_i32_i24_e32 v2, v100, v70
	s_delay_alu instid0(VALU_DEP_3) | instskip(SKIP_1) | instid1(VALU_DEP_4)
	v_add3_u32 v0, v0, v118, v123
	v_mul_i32_i24_e32 v118, v83, v73
	v_mad_i32_i24 v1, v99, v67, v1
	v_mul_i32_i24_e32 v123, v103, v74
	s_delay_alu instid0(VALU_DEP_4) | instskip(NEXT) | instid1(VALU_DEP_3)
	v_mul_lo_u32 v0, v0, v66
	v_add3_u32 v1, v1, v2, v118
	v_mul_i32_i24_e32 v2, v101, v71
	v_mul_i32_i24_e32 v118, v102, v72
	s_delay_alu instid0(VALU_DEP_1) | instskip(SKIP_2) | instid1(VALU_DEP_3)
	v_add3_u32 v1, v1, v2, v118
	v_mul_i32_i24_e32 v2, v104, v75
	v_mul_i32_i24_e32 v118, v105, v77
	v_add3_u32 v1, v1, v123, v127
	v_mul_i32_i24_e32 v123, v106, v78
	v_mul_i32_i24_e32 v127, v85, v119
	s_delay_alu instid0(VALU_DEP_3) | instskip(SKIP_2) | instid1(VALU_DEP_3)
	v_add3_u32 v1, v1, v2, v118
	v_mul_i32_i24_e32 v2, v107, v82
	v_mul_i32_i24_e32 v118, v108, v120
	v_add3_u32 v1, v1, v123, v127
	v_mul_i32_i24_e32 v123, v109, v121
	v_mul_i32_i24_e32 v127, v86, v122
	s_delay_alu instid0(VALU_DEP_3) | instskip(SKIP_1) | instid1(VALU_DEP_2)
	v_add3_u32 v1, v1, v2, v118
	v_mul_i32_i24_e32 v2, v111, v40
	v_add3_u32 v118, v1, v123, v127
	v_mul_i32_i24_e32 v1, v110, v43
	v_mul_i32_i24_e32 v127, v113, v35
	;; [unrolled: 1-line block ×3, first 2 shown]
	s_delay_alu instid0(VALU_DEP_2) | instskip(SKIP_2) | instid1(VALU_DEP_3)
	v_add3_u32 v1, v128, v127, v1
	v_mul_i32_i24_e32 v127, v84, v248
	v_mul_i32_i24_e32 v128, v115, v216
	v_add3_u32 v123, v1, v2, v123
	v_mad_u64_u32 v[1:2], null, v118, v217, v[0:1]
	v_mul_i32_i24_e32 v2, v80, v227
	v_mul_i32_i24_e32 v118, v88, v228
	v_add3_u32 v128, v152, v128, v150
	v_mul_i32_i24_e32 v152, v117, v132
	v_mul_i32_i24_e32 v150, v116, v9
	v_cvt_f32_i32_e32 v0, v1
	v_cvt_f32_i32_e32 v1, v123
	v_mul_i32_i24_e32 v123, v89, v230
	v_mad_i32_i24 v152, v114, v6, v152
	s_delay_alu instid0(VALU_DEP_3) | instskip(NEXT) | instid1(VALU_DEP_1)
	v_mul_f32_e32 v1, v218, v1
	v_fma_mix_f32 v0, v183, v0, -v1 op_sel_hi:[1,0,0]
	v_mul_i32_i24_e32 v1, v46, v68
	s_delay_alu instid0(VALU_DEP_2) | instskip(SKIP_1) | instid1(VALU_DEP_1)
	v_fmac_f32_e32 v33, v3, v0
	v_mul_i32_i24_e32 v0, v5, v224
	v_mad_i32_i24 v0, v18, v57, v0
	s_delay_alu instid0(VALU_DEP_1) | instskip(SKIP_2) | instid1(VALU_DEP_1)
	v_add3_u32 v0, v0, v1, v2
	v_mul_i32_i24_e32 v1, v81, v226
	v_mul_i32_i24_e32 v2, v87, v225
	v_add3_u32 v0, v0, v1, v2
	v_mul_i32_i24_e32 v1, v90, v229
	v_mul_i32_i24_e32 v2, v91, v231
	s_delay_alu instid0(VALU_DEP_3) | instskip(SKIP_2) | instid1(VALU_DEP_3)
	v_add3_u32 v0, v0, v118, v123
	v_mul_i32_i24_e32 v118, v92, v232
	v_mul_i32_i24_e32 v123, v93, v235
	v_add3_u32 v0, v0, v1, v2
	v_mul_i32_i24_e32 v1, v94, v233
	v_mul_i32_i24_e32 v2, v95, v79
	s_delay_alu instid0(VALU_DEP_3) | instskip(SKIP_2) | instid1(VALU_DEP_3)
	v_add3_u32 v0, v0, v118, v123
	v_mul_i32_i24_e32 v118, v96, v236
	v_mul_i32_i24_e32 v123, v97, v237
	v_add3_u32 v0, v0, v1, v2
	v_mul_i32_i24_e32 v1, v98, v241
	v_mul_i32_i24_e32 v2, v100, v242
	s_delay_alu instid0(VALU_DEP_3) | instskip(SKIP_1) | instid1(VALU_DEP_4)
	v_add3_u32 v0, v0, v118, v123
	v_mul_i32_i24_e32 v118, v83, v245
	v_mad_i32_i24 v1, v99, v240, v1
	v_mul_i32_i24_e32 v123, v103, v246
	s_delay_alu instid0(VALU_DEP_4) | instskip(NEXT) | instid1(VALU_DEP_3)
	v_mul_lo_u32 v0, v0, v239
	v_add3_u32 v1, v1, v2, v118
	v_mul_i32_i24_e32 v2, v101, v243
	v_mul_i32_i24_e32 v118, v102, v244
	s_delay_alu instid0(VALU_DEP_1) | instskip(SKIP_2) | instid1(VALU_DEP_3)
	v_add3_u32 v1, v1, v2, v118
	v_mul_i32_i24_e32 v2, v104, v247
	v_mul_i32_i24_e32 v118, v105, v249
	v_add3_u32 v1, v1, v123, v127
	v_mul_i32_i24_e32 v123, v106, v250
	v_mul_i32_i24_e32 v127, v85, v252
	s_delay_alu instid0(VALU_DEP_3) | instskip(SKIP_2) | instid1(VALU_DEP_3)
	v_add3_u32 v1, v1, v2, v118
	v_mul_i32_i24_e32 v2, v107, v251
	v_mul_i32_i24_e32 v118, v108, v253
	v_add3_u32 v1, v1, v123, v127
	v_mul_i32_i24_e32 v123, v109, v254
	v_mul_i32_i24_e32 v127, v86, v255
	s_delay_alu instid0(VALU_DEP_3) | instskip(SKIP_1) | instid1(VALU_DEP_2)
	v_add3_u32 v1, v1, v2, v118
	v_mul_i32_i24_e32 v2, v111, v221
	v_add3_u32 v118, v1, v123, v127
	v_mul_i32_i24_e32 v1, v110, v222
	v_mul_i32_i24_e32 v127, v113, v219
	;; [unrolled: 1-line block ×3, first 2 shown]
	s_delay_alu instid0(VALU_DEP_2) | instskip(SKIP_2) | instid1(VALU_DEP_3)
	v_add3_u32 v1, v128, v127, v1
	v_mul_i32_i24_e32 v127, v84, v206
	v_mul_i32_i24_e32 v128, v115, v10
	v_add3_u32 v123, v1, v2, v123
	v_mad_u64_u32 v[1:2], null, v118, v13, v[0:1]
	v_mul_i32_i24_e32 v2, v80, v49
	v_mul_i32_i24_e32 v118, v88, v51
	v_add3_u32 v128, v152, v128, v150
	s_delay_alu instid0(VALU_DEP_4) | instskip(SKIP_2) | instid1(VALU_DEP_2)
	v_cvt_f32_i32_e32 v0, v1
	v_cvt_f32_i32_e32 v1, v123
	v_mul_i32_i24_e32 v123, v89, v187
	v_mul_f32_e32 v1, v180, v1
	s_delay_alu instid0(VALU_DEP_1) | instskip(SKIP_1) | instid1(VALU_DEP_2)
	v_fma_mix_f32 v0, v139, v0, -v1 op_sel_hi:[1,0,0]
	v_mul_i32_i24_e32 v1, v46, v24
	v_fmac_f32_e32 v215, v3, v0
	v_mul_i32_i24_e32 v0, v5, v17
	s_delay_alu instid0(VALU_DEP_1) | instskip(NEXT) | instid1(VALU_DEP_1)
	v_mad_i32_i24 v0, v18, v19, v0
	v_add3_u32 v0, v0, v1, v2
	v_mul_i32_i24_e32 v1, v81, v45
	v_mul_i32_i24_e32 v2, v87, v48
	s_delay_alu instid0(VALU_DEP_1) | instskip(SKIP_2) | instid1(VALU_DEP_3)
	v_add3_u32 v0, v0, v1, v2
	v_mul_i32_i24_e32 v1, v90, v52
	v_mul_i32_i24_e32 v2, v91, v188
	v_add3_u32 v0, v0, v118, v123
	v_mul_i32_i24_e32 v118, v92, v189
	v_mul_i32_i24_e32 v123, v93, v193
	s_delay_alu instid0(VALU_DEP_3) | instskip(SKIP_2) | instid1(VALU_DEP_3)
	v_add3_u32 v0, v0, v1, v2
	v_mul_i32_i24_e32 v1, v94, v190
	v_mul_i32_i24_e32 v2, v95, v20
	v_add3_u32 v0, v0, v118, v123
	v_mul_i32_i24_e32 v118, v96, v195
	v_mul_i32_i24_e32 v123, v97, v21
	s_delay_alu instid0(VALU_DEP_3) | instskip(SKIP_2) | instid1(VALU_DEP_3)
	v_add3_u32 v0, v0, v1, v2
	v_mul_i32_i24_e32 v1, v98, v23
	v_mul_i32_i24_e32 v2, v100, v200
	v_add3_u32 v0, v0, v118, v123
	v_mul_i32_i24_e32 v118, v83, v25
	s_delay_alu instid0(VALU_DEP_4) | instskip(SKIP_1) | instid1(VALU_DEP_4)
	v_mad_i32_i24 v1, v99, v199, v1
	v_mul_i32_i24_e32 v123, v103, v205
	v_mul_lo_u32 v0, v0, v198
	s_delay_alu instid0(VALU_DEP_3) | instskip(SKIP_2) | instid1(VALU_DEP_1)
	v_add3_u32 v1, v1, v2, v118
	v_mul_i32_i24_e32 v2, v101, v201
	v_mul_i32_i24_e32 v118, v102, v202
	v_add3_u32 v1, v1, v2, v118
	v_mul_i32_i24_e32 v2, v104, v204
	v_mul_i32_i24_e32 v118, v105, v207
	s_delay_alu instid0(VALU_DEP_3) | instskip(SKIP_2) | instid1(VALU_DEP_3)
	v_add3_u32 v1, v1, v123, v127
	v_mul_i32_i24_e32 v123, v106, v208
	v_mul_i32_i24_e32 v127, v85, v210
	v_add3_u32 v1, v1, v2, v118
	v_mul_i32_i24_e32 v2, v107, v209
	v_mul_i32_i24_e32 v118, v108, v211
	s_delay_alu instid0(VALU_DEP_3) | instskip(SKIP_2) | instid1(VALU_DEP_3)
	v_add3_u32 v1, v1, v123, v127
	v_mul_i32_i24_e32 v123, v109, v212
	v_mul_i32_i24_e32 v127, v86, v213
	v_add3_u32 v1, v1, v2, v118
	v_mul_i32_i24_e32 v2, v111, v185
	s_delay_alu instid0(VALU_DEP_2) | instskip(SKIP_3) | instid1(VALU_DEP_2)
	v_add3_u32 v118, v1, v123, v127
	v_mul_i32_i24_e32 v1, v110, v186
	v_mul_i32_i24_e32 v127, v113, v182
	;; [unrolled: 1-line block ×3, first 2 shown]
	v_add3_u32 v1, v128, v127, v1
	s_delay_alu instid0(VALU_DEP_1) | instskip(SKIP_3) | instid1(VALU_DEP_3)
	v_add3_u32 v123, v1, v2, v123
	v_mad_u64_u32 v[1:2], null, v118, v136, v[0:1]
	v_mul_i32_i24_e32 v2, v80, v148
	v_mul_i32_i24_e32 v80, v115, v179
	v_cvt_f32_i32_e32 v0, v1
	v_cvt_f32_i32_e32 v1, v123
	s_delay_alu instid0(VALU_DEP_1) | instskip(NEXT) | instid1(VALU_DEP_1)
	v_mul_f32_e32 v1, v7, v1
	v_fma_mix_f32 v0, v131, v0, -v1 op_sel_hi:[1,0,0]
	v_mul_i32_i24_e32 v1, v46, v145
	v_mul_i32_i24_e32 v46, v84, v168
	s_delay_alu instid0(VALU_DEP_3) | instskip(SKIP_2) | instid1(VALU_DEP_2)
	v_fmac_f32_e32 v32, v3, v0
	v_mul_i32_i24_e32 v0, v5, v144
	v_mul_i32_i24_e32 v5, v88, v149
	v_mad_i32_i24 v0, v18, v129, v0
	v_mul_i32_i24_e32 v18, v89, v151
	s_delay_alu instid0(VALU_DEP_2) | instskip(SKIP_3) | instid1(VALU_DEP_2)
	v_add3_u32 v0, v0, v1, v2
	v_mul_i32_i24_e32 v1, v81, v146
	v_mul_i32_i24_e32 v2, v87, v147
	;; [unrolled: 1-line block ×3, first 2 shown]
	v_add3_u32 v0, v0, v1, v2
	v_mul_i32_i24_e32 v1, v90, v142
	v_mul_i32_i24_e32 v2, v91, v137
	s_delay_alu instid0(VALU_DEP_3) | instskip(SKIP_2) | instid1(VALU_DEP_3)
	v_add3_u32 v0, v0, v5, v18
	v_mul_i32_i24_e32 v5, v92, v135
	v_mul_i32_i24_e32 v18, v93, v154
	v_add3_u32 v0, v0, v1, v2
	v_mul_i32_i24_e32 v1, v94, v153
	v_mul_i32_i24_e32 v2, v95, v156
	s_delay_alu instid0(VALU_DEP_3) | instskip(SKIP_2) | instid1(VALU_DEP_3)
	v_add3_u32 v0, v0, v5, v18
	v_mul_i32_i24_e32 v5, v96, v134
	v_mul_i32_i24_e32 v18, v97, v133
	v_add3_u32 v0, v0, v1, v2
	v_mul_i32_i24_e32 v1, v98, v162
	v_mul_i32_i24_e32 v2, v100, v163
	s_delay_alu instid0(VALU_DEP_3) | instskip(SKIP_1) | instid1(VALU_DEP_4)
	v_add3_u32 v0, v0, v5, v18
	v_mul_i32_i24_e32 v5, v83, v166
	v_mad_i32_i24 v1, v99, v8, v1
	v_mul_i32_i24_e32 v18, v103, v167
	v_mul_i32_i24_e32 v83, v117, v130
	v_mul_lo_u32 v0, v0, v160
	s_delay_alu instid0(VALU_DEP_4) | instskip(SKIP_3) | instid1(VALU_DEP_2)
	v_add3_u32 v1, v1, v2, v5
	v_mul_i32_i24_e32 v2, v101, v165
	v_mul_i32_i24_e32 v5, v102, v164
	v_mad_i32_i24 v83, v114, v161, v83
	v_add3_u32 v1, v1, v2, v5
	v_mul_i32_i24_e32 v2, v104, v169
	v_mul_i32_i24_e32 v5, v105, v170
	s_delay_alu instid0(VALU_DEP_4) | instskip(NEXT) | instid1(VALU_DEP_4)
	v_add3_u32 v80, v83, v80, v81
	v_add3_u32 v1, v1, v18, v46
	v_mul_i32_i24_e32 v18, v106, v171
	v_mul_i32_i24_e32 v46, v85, v173
	s_delay_alu instid0(VALU_DEP_3) | instskip(SKIP_2) | instid1(VALU_DEP_3)
	v_add3_u32 v1, v1, v2, v5
	v_mul_i32_i24_e32 v2, v107, v172
	v_mul_i32_i24_e32 v5, v108, v174
	v_add3_u32 v1, v1, v18, v46
	v_mul_i32_i24_e32 v18, v109, v175
	v_mul_i32_i24_e32 v46, v86, v176
	s_delay_alu instid0(VALU_DEP_3) | instskip(SKIP_1) | instid1(VALU_DEP_2)
	v_add3_u32 v1, v1, v2, v5
	v_mul_i32_i24_e32 v2, v111, v141
	v_add3_u32 v5, v1, v18, v46
	v_mul_i32_i24_e32 v1, v110, v143
	v_mul_i32_i24_e32 v46, v113, v138
	;; [unrolled: 1-line block ×3, first 2 shown]
	s_delay_alu instid0(VALU_DEP_2) | instskip(NEXT) | instid1(VALU_DEP_1)
	v_add3_u32 v1, v80, v46, v1
	v_add3_u32 v18, v1, v2, v18
	v_mad_u64_u32 v[1:2], null, v5, v158, v[0:1]
	s_delay_alu instid0(VALU_DEP_1) | instskip(NEXT) | instid1(VALU_DEP_3)
	v_cvt_f32_i32_e32 v0, v1
	v_cvt_f32_i32_e32 v1, v18
	s_delay_alu instid0(VALU_DEP_1) | instskip(NEXT) | instid1(VALU_DEP_1)
	v_mul_f32_e32 v1, v157, v1
	v_fma_mix_f32 v0, v126, v0, -v1 op_sel_hi:[1,0,0]
	s_delay_alu instid0(VALU_DEP_1)
	v_fmac_f32_e32 v31, v3, v0
	ds_load_b128 v[0:3], v124 offset:3072
	s_waitcnt lgkmcnt(0)
	v_bfe_i32 v5, v0, 0, 8
	v_bfe_i32 v18, v0, 8, 8
	v_bfe_i32 v46, v0, 16, 8
	v_ashrrev_i32_e32 v80, 24, v0
	v_bfe_i32 v81, v1, 0, 8
	v_bfe_i32 v83, v1, 8, 8
	v_bfe_i32 v84, v1, 16, 8
	v_ashrrev_i32_e32 v85, 24, v1
	;; [unrolled: 4-line block ×4, first 2 shown]
	ds_load_b128 v[0:3], v124 offset:3088
	v_mul_i32_i24_e32 v117, v84, v55
	v_mul_i32_i24_e32 v118, v85, v58
	s_waitcnt lgkmcnt(0)
	v_ashrrev_i32_e32 v97, 24, v0
	v_ashrrev_i32_e32 v101, 24, v1
	v_bfe_i32 v94, v0, 0, 8
	v_bfe_i32 v95, v0, 8, 8
	;; [unrolled: 1-line block ×4, first 2 shown]
	v_ashrrev_i32_e32 v105, 24, v2
	v_bfe_i32 v106, v3, 0, 8
	v_bfe_i32 v107, v3, 8, 8
	v_bfe_i32 v108, v3, 16, 8
	v_ashrrev_i32_e32 v3, 24, v3
	v_add_nc_u32_e32 v0, v101, v97
	v_bfe_i32 v99, v1, 8, 8
	v_bfe_i32 v104, v2, 16, 8
	;; [unrolled: 1-line block ×4, first 2 shown]
	v_add3_u32 v109, v0, v105, v3
	v_add_nc_u32_e32 v0, v100, v96
	v_bfe_i32 v102, v2, 0, 8
	v_mul_i32_i24_e32 v1, v46, v47
	v_mul_i32_i24_e32 v2, v80, v54
	;; [unrolled: 1-line block ×3, first 2 shown]
	v_add3_u32 v110, v0, v104, v108
	v_add_nc_u32_e32 v0, v99, v95
	s_delay_alu instid0(VALU_DEP_1) | instskip(SKIP_1) | instid1(VALU_DEP_1)
	v_add3_u32 v111, v0, v103, v107
	v_add_nc_u32_e32 v0, v98, v94
	v_add3_u32 v112, v0, v102, v106
	v_add_nc_u32_e32 v0, v85, v80
	s_delay_alu instid0(VALU_DEP_1) | instskip(SKIP_1) | instid1(VALU_DEP_1)
	v_add3_u32 v113, v0, v89, v93
	v_add_nc_u32_e32 v0, v84, v46
	v_add3_u32 v114, v0, v88, v92
	v_add_nc_u32_e32 v0, v83, v18
	s_delay_alu instid0(VALU_DEP_2) | instskip(NEXT) | instid1(VALU_DEP_2)
	v_mul_i32_i24_e32 v127, v114, v34
	v_add3_u32 v115, v0, v87, v91
	v_add_nc_u32_e32 v0, v81, v5
	s_delay_alu instid0(VALU_DEP_2) | instskip(NEXT) | instid1(VALU_DEP_2)
	v_mul_i32_i24_e32 v128, v115, v27
	v_add3_u32 v116, v0, v86, v90
	v_mul_i32_i24_e32 v0, v5, v44
	s_delay_alu instid0(VALU_DEP_2) | instskip(NEXT) | instid1(VALU_DEP_2)
	v_mul_i32_i24_e32 v150, v116, v192
	v_mad_i32_i24 v0, v18, v41, v0
	s_delay_alu instid0(VALU_DEP_2) | instskip(NEXT) | instid1(VALU_DEP_2)
	v_mad_i32_i24 v150, v113, v196, v150
	v_add3_u32 v0, v0, v1, v2
	v_mul_i32_i24_e32 v1, v81, v50
	v_mul_i32_i24_e32 v2, v83, v53
	s_delay_alu instid0(VALU_DEP_4) | instskip(SKIP_2) | instid1(VALU_DEP_4)
	v_add3_u32 v127, v150, v127, v128
	v_mul_i32_i24_e32 v150, v116, v155
	v_mul_i32_i24_e32 v128, v115, v29
	v_add3_u32 v0, v0, v1, v2
	v_mul_i32_i24_e32 v1, v86, v56
	v_mul_i32_i24_e32 v2, v87, v59
	v_mad_i32_i24 v150, v113, v159, v150
	s_delay_alu instid0(VALU_DEP_4) | instskip(SKIP_2) | instid1(VALU_DEP_3)
	v_add3_u32 v0, v0, v117, v118
	v_mul_i32_i24_e32 v117, v88, v60
	v_mul_i32_i24_e32 v118, v89, v62
	v_add3_u32 v0, v0, v1, v2
	v_mul_i32_i24_e32 v1, v90, v61
	v_mul_i32_i24_e32 v2, v91, v63
	s_delay_alu instid0(VALU_DEP_3) | instskip(SKIP_2) | instid1(VALU_DEP_3)
	v_add3_u32 v0, v0, v117, v118
	v_mul_i32_i24_e32 v117, v92, v64
	v_mul_i32_i24_e32 v118, v93, v65
	v_add3_u32 v0, v0, v1, v2
	v_mul_i32_i24_e32 v1, v94, v69
	v_mul_i32_i24_e32 v2, v96, v70
	s_delay_alu instid0(VALU_DEP_3) | instskip(SKIP_1) | instid1(VALU_DEP_4)
	v_add3_u32 v0, v0, v117, v118
	v_mul_i32_i24_e32 v117, v97, v73
	v_mad_i32_i24 v1, v95, v67, v1
	v_mul_i32_i24_e32 v118, v100, v74
	s_delay_alu instid0(VALU_DEP_4) | instskip(NEXT) | instid1(VALU_DEP_3)
	v_mul_lo_u32 v0, v0, v66
	v_add3_u32 v1, v1, v2, v117
	v_mul_i32_i24_e32 v2, v98, v71
	v_mul_i32_i24_e32 v117, v99, v72
	s_delay_alu instid0(VALU_DEP_1) | instskip(SKIP_2) | instid1(VALU_DEP_3)
	v_add3_u32 v1, v1, v2, v117
	v_mul_i32_i24_e32 v2, v102, v75
	v_mul_i32_i24_e32 v117, v103, v77
	v_add3_u32 v1, v1, v118, v123
	v_mul_i32_i24_e32 v118, v104, v78
	v_mul_i32_i24_e32 v123, v105, v119
	s_delay_alu instid0(VALU_DEP_3) | instskip(SKIP_2) | instid1(VALU_DEP_3)
	v_add3_u32 v1, v1, v2, v117
	v_mul_i32_i24_e32 v2, v106, v82
	v_mul_i32_i24_e32 v117, v107, v120
	v_add3_u32 v1, v1, v118, v123
	v_mul_i32_i24_e32 v118, v108, v121
	v_mul_i32_i24_e32 v123, v3, v122
	s_delay_alu instid0(VALU_DEP_3) | instskip(SKIP_1) | instid1(VALU_DEP_2)
	v_add3_u32 v1, v1, v2, v117
	v_mul_i32_i24_e32 v2, v110, v40
	v_add3_u32 v117, v1, v118, v123
	v_mul_i32_i24_e32 v1, v109, v43
	v_mul_i32_i24_e32 v123, v112, v35
	;; [unrolled: 1-line block ×3, first 2 shown]
	s_delay_alu instid0(VALU_DEP_2) | instskip(SKIP_2) | instid1(VALU_DEP_3)
	v_add3_u32 v1, v127, v123, v1
	v_mul_i32_i24_e32 v123, v101, v248
	v_mul_i32_i24_e32 v127, v114, v216
	v_add3_u32 v118, v1, v2, v118
	v_mad_u64_u32 v[1:2], null, v117, v217, v[0:1]
	v_mul_i32_i24_e32 v2, v80, v227
	v_mul_i32_i24_e32 v117, v84, v228
	v_add3_u32 v127, v150, v127, v128
	v_mul_i32_i24_e32 v150, v116, v132
	v_mul_i32_i24_e32 v128, v115, v9
	v_cvt_f32_i32_e32 v0, v1
	v_cvt_f32_i32_e32 v1, v118
	v_mul_i32_i24_e32 v118, v85, v230
	v_mad_i32_i24 v150, v113, v6, v150
	s_delay_alu instid0(VALU_DEP_3) | instskip(NEXT) | instid1(VALU_DEP_1)
	v_mul_f32_e32 v1, v218, v1
	v_fma_mix_f32 v0, v183, v0, -v1 op_sel_hi:[1,0,0]
	v_mul_i32_i24_e32 v1, v46, v68
	s_delay_alu instid0(VALU_DEP_2) | instskip(SKIP_1) | instid1(VALU_DEP_1)
	v_fmac_f32_e32 v30, v4, v0
	v_mul_i32_i24_e32 v0, v5, v224
	v_mad_i32_i24 v0, v18, v57, v0
	s_delay_alu instid0(VALU_DEP_1) | instskip(SKIP_2) | instid1(VALU_DEP_1)
	v_add3_u32 v0, v0, v1, v2
	v_mul_i32_i24_e32 v1, v81, v226
	v_mul_i32_i24_e32 v2, v83, v225
	v_add3_u32 v0, v0, v1, v2
	v_mul_i32_i24_e32 v1, v86, v229
	v_mul_i32_i24_e32 v2, v87, v231
	s_delay_alu instid0(VALU_DEP_3) | instskip(SKIP_2) | instid1(VALU_DEP_3)
	v_add3_u32 v0, v0, v117, v118
	v_mul_i32_i24_e32 v117, v88, v232
	v_mul_i32_i24_e32 v118, v89, v235
	v_add3_u32 v0, v0, v1, v2
	v_mul_i32_i24_e32 v1, v90, v233
	v_mul_i32_i24_e32 v2, v91, v79
	s_delay_alu instid0(VALU_DEP_3) | instskip(SKIP_2) | instid1(VALU_DEP_3)
	v_add3_u32 v0, v0, v117, v118
	v_mul_i32_i24_e32 v117, v92, v236
	v_mul_i32_i24_e32 v118, v93, v237
	v_add3_u32 v0, v0, v1, v2
	v_mul_i32_i24_e32 v1, v94, v241
	v_mul_i32_i24_e32 v2, v96, v242
	s_delay_alu instid0(VALU_DEP_3) | instskip(SKIP_1) | instid1(VALU_DEP_4)
	v_add3_u32 v0, v0, v117, v118
	v_mul_i32_i24_e32 v117, v97, v245
	v_mad_i32_i24 v1, v95, v240, v1
	v_mul_i32_i24_e32 v118, v100, v246
	s_delay_alu instid0(VALU_DEP_4) | instskip(NEXT) | instid1(VALU_DEP_3)
	v_mul_lo_u32 v0, v0, v239
	v_add3_u32 v1, v1, v2, v117
	v_mul_i32_i24_e32 v2, v98, v243
	v_mul_i32_i24_e32 v117, v99, v244
	s_delay_alu instid0(VALU_DEP_1) | instskip(SKIP_2) | instid1(VALU_DEP_3)
	v_add3_u32 v1, v1, v2, v117
	v_mul_i32_i24_e32 v2, v102, v247
	v_mul_i32_i24_e32 v117, v103, v249
	v_add3_u32 v1, v1, v118, v123
	v_mul_i32_i24_e32 v118, v104, v250
	v_mul_i32_i24_e32 v123, v105, v252
	s_delay_alu instid0(VALU_DEP_3) | instskip(SKIP_2) | instid1(VALU_DEP_3)
	v_add3_u32 v1, v1, v2, v117
	v_mul_i32_i24_e32 v2, v106, v251
	v_mul_i32_i24_e32 v117, v107, v253
	v_add3_u32 v1, v1, v118, v123
	v_mul_i32_i24_e32 v118, v108, v254
	v_mul_i32_i24_e32 v123, v3, v255
	s_delay_alu instid0(VALU_DEP_3) | instskip(SKIP_1) | instid1(VALU_DEP_2)
	v_add3_u32 v1, v1, v2, v117
	v_mul_i32_i24_e32 v2, v110, v221
	v_add3_u32 v117, v1, v118, v123
	v_mul_i32_i24_e32 v1, v109, v222
	v_mul_i32_i24_e32 v123, v112, v219
	;; [unrolled: 1-line block ×3, first 2 shown]
	s_delay_alu instid0(VALU_DEP_2) | instskip(SKIP_2) | instid1(VALU_DEP_3)
	v_add3_u32 v1, v127, v123, v1
	v_mul_i32_i24_e32 v123, v101, v206
	v_mul_i32_i24_e32 v127, v114, v10
	v_add3_u32 v118, v1, v2, v118
	v_mad_u64_u32 v[1:2], null, v117, v13, v[0:1]
	v_mul_i32_i24_e32 v2, v80, v49
	v_mul_i32_i24_e32 v117, v84, v51
	v_add3_u32 v127, v150, v127, v128
	s_delay_alu instid0(VALU_DEP_4) | instskip(SKIP_2) | instid1(VALU_DEP_2)
	v_cvt_f32_i32_e32 v0, v1
	v_cvt_f32_i32_e32 v1, v118
	v_mul_i32_i24_e32 v118, v85, v187
	v_mul_f32_e32 v1, v180, v1
	s_delay_alu instid0(VALU_DEP_1) | instskip(SKIP_1) | instid1(VALU_DEP_2)
	v_fma_mix_f32 v0, v139, v0, -v1 op_sel_hi:[1,0,0]
	v_mul_i32_i24_e32 v1, v46, v24
	v_fmac_f32_e32 v28, v4, v0
	v_mul_i32_i24_e32 v0, v5, v17
	s_delay_alu instid0(VALU_DEP_1) | instskip(NEXT) | instid1(VALU_DEP_1)
	v_mad_i32_i24 v0, v18, v19, v0
	v_add3_u32 v0, v0, v1, v2
	v_mul_i32_i24_e32 v1, v81, v45
	v_mul_i32_i24_e32 v2, v83, v48
	s_delay_alu instid0(VALU_DEP_1) | instskip(SKIP_2) | instid1(VALU_DEP_3)
	v_add3_u32 v0, v0, v1, v2
	v_mul_i32_i24_e32 v1, v86, v52
	v_mul_i32_i24_e32 v2, v87, v188
	v_add3_u32 v0, v0, v117, v118
	v_mul_i32_i24_e32 v117, v88, v189
	v_mul_i32_i24_e32 v118, v89, v193
	s_delay_alu instid0(VALU_DEP_3) | instskip(SKIP_2) | instid1(VALU_DEP_3)
	v_add3_u32 v0, v0, v1, v2
	v_mul_i32_i24_e32 v1, v90, v190
	v_mul_i32_i24_e32 v2, v91, v20
	v_add3_u32 v0, v0, v117, v118
	v_mul_i32_i24_e32 v117, v92, v195
	v_mul_i32_i24_e32 v118, v93, v21
	s_delay_alu instid0(VALU_DEP_3) | instskip(SKIP_2) | instid1(VALU_DEP_3)
	v_add3_u32 v0, v0, v1, v2
	v_mul_i32_i24_e32 v1, v94, v23
	v_mul_i32_i24_e32 v2, v96, v200
	v_add3_u32 v0, v0, v117, v118
	v_mul_i32_i24_e32 v117, v97, v25
	s_delay_alu instid0(VALU_DEP_4) | instskip(SKIP_1) | instid1(VALU_DEP_4)
	v_mad_i32_i24 v1, v95, v199, v1
	v_mul_i32_i24_e32 v118, v100, v205
	v_mul_lo_u32 v0, v0, v198
	s_delay_alu instid0(VALU_DEP_3) | instskip(SKIP_2) | instid1(VALU_DEP_1)
	v_add3_u32 v1, v1, v2, v117
	v_mul_i32_i24_e32 v2, v98, v201
	v_mul_i32_i24_e32 v117, v99, v202
	v_add3_u32 v1, v1, v2, v117
	v_mul_i32_i24_e32 v2, v102, v204
	v_mul_i32_i24_e32 v117, v103, v207
	s_delay_alu instid0(VALU_DEP_3) | instskip(SKIP_2) | instid1(VALU_DEP_3)
	v_add3_u32 v1, v1, v118, v123
	v_mul_i32_i24_e32 v118, v104, v208
	v_mul_i32_i24_e32 v123, v105, v210
	v_add3_u32 v1, v1, v2, v117
	v_mul_i32_i24_e32 v2, v106, v209
	v_mul_i32_i24_e32 v117, v107, v211
	s_delay_alu instid0(VALU_DEP_3) | instskip(SKIP_3) | instid1(VALU_DEP_4)
	v_add3_u32 v1, v1, v118, v123
	v_mul_i32_i24_e32 v118, v108, v212
	v_mul_i32_i24_e32 v123, v3, v213
	v_mul_i32_i24_e32 v3, v3, v176
	v_add3_u32 v1, v1, v2, v117
	v_mul_i32_i24_e32 v2, v110, v185
	s_delay_alu instid0(VALU_DEP_2) | instskip(SKIP_3) | instid1(VALU_DEP_2)
	v_add3_u32 v117, v1, v118, v123
	v_mul_i32_i24_e32 v1, v109, v186
	v_mul_i32_i24_e32 v123, v112, v182
	;; [unrolled: 1-line block ×3, first 2 shown]
	v_add3_u32 v1, v127, v123, v1
	s_delay_alu instid0(VALU_DEP_1) | instskip(SKIP_3) | instid1(VALU_DEP_3)
	v_add3_u32 v118, v1, v2, v118
	v_mad_u64_u32 v[1:2], null, v117, v136, v[0:1]
	v_mul_i32_i24_e32 v2, v80, v148
	v_mul_i32_i24_e32 v80, v115, v178
	v_cvt_f32_i32_e32 v0, v1
	v_cvt_f32_i32_e32 v1, v118
	s_delay_alu instid0(VALU_DEP_1) | instskip(NEXT) | instid1(VALU_DEP_1)
	v_mul_f32_e32 v1, v7, v1
	v_fma_mix_f32 v0, v131, v0, -v1 op_sel_hi:[1,0,0]
	v_mul_i32_i24_e32 v1, v46, v145
	v_mul_i32_i24_e32 v46, v101, v168
	s_delay_alu instid0(VALU_DEP_3) | instskip(SKIP_2) | instid1(VALU_DEP_2)
	v_fmac_f32_e32 v26, v4, v0
	v_mul_i32_i24_e32 v0, v5, v144
	v_mul_i32_i24_e32 v5, v84, v149
	v_mad_i32_i24 v0, v18, v129, v0
	v_mul_i32_i24_e32 v18, v85, v151
	s_delay_alu instid0(VALU_DEP_2) | instskip(SKIP_3) | instid1(VALU_DEP_2)
	v_add3_u32 v0, v0, v1, v2
	v_mul_i32_i24_e32 v1, v81, v146
	v_mul_i32_i24_e32 v2, v83, v147
	;; [unrolled: 1-line block ×3, first 2 shown]
	v_add3_u32 v0, v0, v1, v2
	v_mul_i32_i24_e32 v1, v86, v142
	v_mul_i32_i24_e32 v2, v87, v137
	s_delay_alu instid0(VALU_DEP_4) | instskip(NEXT) | instid1(VALU_DEP_4)
	v_mad_i32_i24 v81, v113, v161, v81
	v_add3_u32 v0, v0, v5, v18
	v_mul_i32_i24_e32 v5, v88, v135
	v_mul_i32_i24_e32 v18, v89, v154
	s_delay_alu instid0(VALU_DEP_3) | instskip(SKIP_2) | instid1(VALU_DEP_3)
	v_add3_u32 v0, v0, v1, v2
	v_mul_i32_i24_e32 v1, v90, v153
	v_mul_i32_i24_e32 v2, v91, v156
	v_add3_u32 v0, v0, v5, v18
	v_mul_i32_i24_e32 v5, v92, v134
	v_mul_i32_i24_e32 v18, v93, v133
	s_delay_alu instid0(VALU_DEP_3) | instskip(SKIP_2) | instid1(VALU_DEP_3)
	v_add3_u32 v0, v0, v1, v2
	v_mul_i32_i24_e32 v1, v94, v162
	v_mul_i32_i24_e32 v2, v96, v163
	v_add3_u32 v0, v0, v5, v18
	v_mul_i32_i24_e32 v5, v97, v166
	s_delay_alu instid0(VALU_DEP_4) | instskip(SKIP_1) | instid1(VALU_DEP_4)
	v_mad_i32_i24 v1, v95, v8, v1
	v_mul_i32_i24_e32 v18, v100, v167
	v_mul_lo_u32 v0, v0, v160
	s_delay_alu instid0(VALU_DEP_3) | instskip(SKIP_2) | instid1(VALU_DEP_1)
	v_add3_u32 v1, v1, v2, v5
	v_mul_i32_i24_e32 v2, v98, v165
	v_mul_i32_i24_e32 v5, v99, v164
	v_add3_u32 v1, v1, v2, v5
	v_mul_i32_i24_e32 v2, v102, v169
	v_mul_i32_i24_e32 v5, v103, v170
	s_delay_alu instid0(VALU_DEP_3) | instskip(SKIP_2) | instid1(VALU_DEP_3)
	v_add3_u32 v1, v1, v18, v46
	v_mul_i32_i24_e32 v18, v104, v171
	v_mul_i32_i24_e32 v46, v105, v173
	v_add3_u32 v1, v1, v2, v5
	v_mul_i32_i24_e32 v2, v106, v172
	v_mul_i32_i24_e32 v5, v107, v174
	s_delay_alu instid0(VALU_DEP_3) | instskip(SKIP_2) | instid1(VALU_DEP_3)
	v_add3_u32 v1, v1, v18, v46
	v_mul_i32_i24_e32 v18, v108, v175
	v_mul_i32_i24_e32 v46, v114, v179
	v_add3_u32 v1, v1, v2, v5
	v_mul_i32_i24_e32 v2, v110, v141
	s_delay_alu instid0(VALU_DEP_3) | instskip(SKIP_1) | instid1(VALU_DEP_4)
	v_add3_u32 v46, v81, v46, v80
	v_mul_i32_i24_e32 v5, v111, v140
	v_add3_u32 v3, v1, v18, v3
	v_mul_i32_i24_e32 v1, v109, v143
	v_mul_i32_i24_e32 v18, v112, v138
	s_delay_alu instid0(VALU_DEP_1) | instskip(NEXT) | instid1(VALU_DEP_1)
	v_add3_u32 v1, v46, v18, v1
	v_add3_u32 v5, v1, v2, v5
	v_mad_u64_u32 v[1:2], null, v3, v158, v[0:1]
	s_delay_alu instid0(VALU_DEP_1) | instskip(NEXT) | instid1(VALU_DEP_3)
	v_cvt_f32_i32_e32 v0, v1
	v_cvt_f32_i32_e32 v1, v5
	s_delay_alu instid0(VALU_DEP_1) | instskip(NEXT) | instid1(VALU_DEP_1)
	v_mul_f32_e32 v1, v157, v1
	v_fma_mix_f32 v0, v126, v0, -v1 op_sel_hi:[1,0,0]
	s_delay_alu instid0(VALU_DEP_1)
	v_fmac_f32_e32 v214, v4, v0
	ds_load_2addr_b32 v[3:4], v125 offset0:128 offset1:160
	ds_load_b128 v[83:86], v124 offset:4096
	s_waitcnt lgkmcnt(0)
	v_bfe_i32 v5, v83, 0, 8
	v_bfe_i32 v18, v83, 8, 8
	v_bfe_i32 v46, v83, 16, 8
	v_ashrrev_i32_e32 v80, 24, v83
	v_bfe_i32 v81, v84, 0, 8
	v_bfe_i32 v87, v84, 8, 8
	v_bfe_i32 v88, v84, 16, 8
	v_ashrrev_i32_e32 v89, 24, v84
	;; [unrolled: 4-line block ×4, first 2 shown]
	ds_load_b128 v[83:86], v124 offset:4112
	v_mul_i32_i24_e32 v1, v46, v47
	v_mul_i32_i24_e32 v2, v80, v54
	;; [unrolled: 1-line block ×4, first 2 shown]
	s_waitcnt lgkmcnt(0)
	v_bfe_i32 v98, v83, 0, 8
	v_bfe_i32 v99, v83, 8, 8
	v_bfe_i32 v100, v83, 16, 8
	v_ashrrev_i32_e32 v83, 24, v83
	v_bfe_i32 v101, v84, 0, 8
	v_bfe_i32 v102, v84, 8, 8
	v_bfe_i32 v103, v84, 16, 8
	v_ashrrev_i32_e32 v84, 24, v84
	;; [unrolled: 4-line block ×4, first 2 shown]
	v_add_nc_u32_e32 v0, v84, v83
	v_mul_i32_i24_e32 v127, v84, v76
	s_delay_alu instid0(VALU_DEP_2) | instskip(SKIP_1) | instid1(VALU_DEP_1)
	v_add3_u32 v110, v0, v85, v86
	v_add_nc_u32_e32 v0, v103, v100
	v_add3_u32 v111, v0, v106, v109
	v_add_nc_u32_e32 v0, v102, v99
	s_delay_alu instid0(VALU_DEP_1) | instskip(SKIP_1) | instid1(VALU_DEP_1)
	v_add3_u32 v112, v0, v105, v108
	v_add_nc_u32_e32 v0, v101, v98
	v_add3_u32 v113, v0, v104, v107
	v_add_nc_u32_e32 v0, v89, v80
	s_delay_alu instid0(VALU_DEP_1) | instskip(SKIP_1) | instid1(VALU_DEP_1)
	v_add3_u32 v114, v0, v93, v97
	v_add_nc_u32_e32 v0, v88, v46
	v_add3_u32 v115, v0, v92, v96
	v_add_nc_u32_e32 v0, v87, v18
	s_delay_alu instid0(VALU_DEP_2) | instskip(NEXT) | instid1(VALU_DEP_2)
	v_mul_i32_i24_e32 v128, v115, v34
	v_add3_u32 v116, v0, v91, v95
	v_add_nc_u32_e32 v0, v81, v5
	s_delay_alu instid0(VALU_DEP_2) | instskip(NEXT) | instid1(VALU_DEP_2)
	v_mul_i32_i24_e32 v150, v116, v27
	v_add3_u32 v117, v0, v90, v94
	v_mul_i32_i24_e32 v0, v5, v44
	s_delay_alu instid0(VALU_DEP_2) | instskip(NEXT) | instid1(VALU_DEP_2)
	v_mul_i32_i24_e32 v152, v117, v192
	v_mad_i32_i24 v0, v18, v41, v0
	s_delay_alu instid0(VALU_DEP_2) | instskip(NEXT) | instid1(VALU_DEP_2)
	v_mad_i32_i24 v152, v114, v196, v152
	v_add3_u32 v0, v0, v1, v2
	v_mul_i32_i24_e32 v1, v81, v50
	v_mul_i32_i24_e32 v2, v87, v53
	s_delay_alu instid0(VALU_DEP_4) | instskip(SKIP_2) | instid1(VALU_DEP_4)
	v_add3_u32 v128, v152, v128, v150
	v_mul_i32_i24_e32 v152, v117, v155
	v_mul_i32_i24_e32 v150, v116, v29
	v_add3_u32 v0, v0, v1, v2
	v_mul_i32_i24_e32 v1, v90, v56
	v_mul_i32_i24_e32 v2, v91, v59
	v_mad_i32_i24 v152, v114, v159, v152
	s_delay_alu instid0(VALU_DEP_4) | instskip(SKIP_2) | instid1(VALU_DEP_3)
	v_add3_u32 v0, v0, v118, v123
	v_mul_i32_i24_e32 v118, v92, v60
	v_mul_i32_i24_e32 v123, v93, v62
	v_add3_u32 v0, v0, v1, v2
	v_mul_i32_i24_e32 v1, v94, v61
	v_mul_i32_i24_e32 v2, v95, v63
	s_delay_alu instid0(VALU_DEP_3) | instskip(SKIP_2) | instid1(VALU_DEP_3)
	v_add3_u32 v0, v0, v118, v123
	v_mul_i32_i24_e32 v118, v96, v64
	v_mul_i32_i24_e32 v123, v97, v65
	v_add3_u32 v0, v0, v1, v2
	v_mul_i32_i24_e32 v1, v98, v69
	v_mul_i32_i24_e32 v2, v100, v70
	s_delay_alu instid0(VALU_DEP_3) | instskip(SKIP_1) | instid1(VALU_DEP_4)
	v_add3_u32 v0, v0, v118, v123
	v_mul_i32_i24_e32 v118, v83, v73
	v_mad_i32_i24 v1, v99, v67, v1
	v_mul_i32_i24_e32 v123, v103, v74
	s_delay_alu instid0(VALU_DEP_4) | instskip(NEXT) | instid1(VALU_DEP_3)
	v_mul_lo_u32 v0, v0, v66
	v_add3_u32 v1, v1, v2, v118
	v_mul_i32_i24_e32 v2, v101, v71
	v_mul_i32_i24_e32 v118, v102, v72
	s_delay_alu instid0(VALU_DEP_1) | instskip(SKIP_2) | instid1(VALU_DEP_3)
	v_add3_u32 v1, v1, v2, v118
	v_mul_i32_i24_e32 v2, v104, v75
	v_mul_i32_i24_e32 v118, v105, v77
	v_add3_u32 v1, v1, v123, v127
	v_mul_i32_i24_e32 v123, v106, v78
	v_mul_i32_i24_e32 v127, v85, v119
	s_delay_alu instid0(VALU_DEP_3) | instskip(SKIP_2) | instid1(VALU_DEP_3)
	v_add3_u32 v1, v1, v2, v118
	v_mul_i32_i24_e32 v2, v107, v82
	v_mul_i32_i24_e32 v118, v108, v120
	v_add3_u32 v1, v1, v123, v127
	v_mul_i32_i24_e32 v123, v109, v121
	v_mul_i32_i24_e32 v127, v86, v122
	s_delay_alu instid0(VALU_DEP_3) | instskip(SKIP_1) | instid1(VALU_DEP_2)
	v_add3_u32 v1, v1, v2, v118
	v_mul_i32_i24_e32 v2, v111, v40
	v_add3_u32 v118, v1, v123, v127
	v_mul_i32_i24_e32 v1, v110, v43
	v_mul_i32_i24_e32 v127, v113, v35
	;; [unrolled: 1-line block ×3, first 2 shown]
	s_delay_alu instid0(VALU_DEP_2) | instskip(SKIP_2) | instid1(VALU_DEP_3)
	v_add3_u32 v1, v128, v127, v1
	v_mul_i32_i24_e32 v127, v84, v248
	v_mul_i32_i24_e32 v128, v115, v216
	v_add3_u32 v123, v1, v2, v123
	v_mad_u64_u32 v[1:2], null, v118, v217, v[0:1]
	v_mul_i32_i24_e32 v2, v80, v227
	v_mul_i32_i24_e32 v118, v88, v228
	v_add3_u32 v128, v152, v128, v150
	v_mul_i32_i24_e32 v152, v117, v132
	v_mul_i32_i24_e32 v150, v116, v9
	v_cvt_f32_i32_e32 v0, v1
	v_cvt_f32_i32_e32 v1, v123
	v_mul_i32_i24_e32 v123, v89, v230
	v_mad_i32_i24 v152, v114, v6, v152
	s_delay_alu instid0(VALU_DEP_3) | instskip(NEXT) | instid1(VALU_DEP_1)
	v_mul_f32_e32 v1, v218, v1
	v_fma_mix_f32 v0, v183, v0, -v1 op_sel_hi:[1,0,0]
	v_mul_i32_i24_e32 v1, v46, v68
	s_delay_alu instid0(VALU_DEP_2) | instskip(SKIP_1) | instid1(VALU_DEP_1)
	v_fmac_f32_e32 v203, v3, v0
	v_mul_i32_i24_e32 v0, v5, v224
	v_mad_i32_i24 v0, v18, v57, v0
	s_delay_alu instid0(VALU_DEP_1) | instskip(SKIP_2) | instid1(VALU_DEP_1)
	v_add3_u32 v0, v0, v1, v2
	v_mul_i32_i24_e32 v1, v81, v226
	v_mul_i32_i24_e32 v2, v87, v225
	v_add3_u32 v0, v0, v1, v2
	v_mul_i32_i24_e32 v1, v90, v229
	v_mul_i32_i24_e32 v2, v91, v231
	s_delay_alu instid0(VALU_DEP_3) | instskip(SKIP_2) | instid1(VALU_DEP_3)
	v_add3_u32 v0, v0, v118, v123
	v_mul_i32_i24_e32 v118, v92, v232
	v_mul_i32_i24_e32 v123, v93, v235
	v_add3_u32 v0, v0, v1, v2
	v_mul_i32_i24_e32 v1, v94, v233
	v_mul_i32_i24_e32 v2, v95, v79
	s_delay_alu instid0(VALU_DEP_3) | instskip(SKIP_2) | instid1(VALU_DEP_3)
	v_add3_u32 v0, v0, v118, v123
	v_mul_i32_i24_e32 v118, v96, v236
	v_mul_i32_i24_e32 v123, v97, v237
	v_add3_u32 v0, v0, v1, v2
	v_mul_i32_i24_e32 v1, v98, v241
	v_mul_i32_i24_e32 v2, v100, v242
	s_delay_alu instid0(VALU_DEP_3) | instskip(SKIP_1) | instid1(VALU_DEP_4)
	v_add3_u32 v0, v0, v118, v123
	v_mul_i32_i24_e32 v118, v83, v245
	v_mad_i32_i24 v1, v99, v240, v1
	v_mul_i32_i24_e32 v123, v103, v246
	s_delay_alu instid0(VALU_DEP_4) | instskip(NEXT) | instid1(VALU_DEP_3)
	v_mul_lo_u32 v0, v0, v239
	v_add3_u32 v1, v1, v2, v118
	v_mul_i32_i24_e32 v2, v101, v243
	v_mul_i32_i24_e32 v118, v102, v244
	s_delay_alu instid0(VALU_DEP_1) | instskip(SKIP_2) | instid1(VALU_DEP_3)
	v_add3_u32 v1, v1, v2, v118
	v_mul_i32_i24_e32 v2, v104, v247
	v_mul_i32_i24_e32 v118, v105, v249
	v_add3_u32 v1, v1, v123, v127
	v_mul_i32_i24_e32 v123, v106, v250
	v_mul_i32_i24_e32 v127, v85, v252
	s_delay_alu instid0(VALU_DEP_3) | instskip(SKIP_2) | instid1(VALU_DEP_3)
	v_add3_u32 v1, v1, v2, v118
	v_mul_i32_i24_e32 v2, v107, v251
	v_mul_i32_i24_e32 v118, v108, v253
	v_add3_u32 v1, v1, v123, v127
	v_mul_i32_i24_e32 v123, v109, v254
	v_mul_i32_i24_e32 v127, v86, v255
	s_delay_alu instid0(VALU_DEP_3) | instskip(SKIP_1) | instid1(VALU_DEP_2)
	v_add3_u32 v1, v1, v2, v118
	v_mul_i32_i24_e32 v2, v111, v221
	v_add3_u32 v118, v1, v123, v127
	v_mul_i32_i24_e32 v1, v110, v222
	v_mul_i32_i24_e32 v127, v113, v219
	;; [unrolled: 1-line block ×3, first 2 shown]
	s_delay_alu instid0(VALU_DEP_2) | instskip(SKIP_2) | instid1(VALU_DEP_3)
	v_add3_u32 v1, v128, v127, v1
	v_mul_i32_i24_e32 v127, v84, v206
	v_mul_i32_i24_e32 v128, v115, v10
	v_add3_u32 v123, v1, v2, v123
	v_mad_u64_u32 v[1:2], null, v118, v13, v[0:1]
	v_mul_i32_i24_e32 v2, v80, v49
	v_mul_i32_i24_e32 v118, v88, v51
	v_add3_u32 v128, v152, v128, v150
	s_delay_alu instid0(VALU_DEP_4) | instskip(SKIP_2) | instid1(VALU_DEP_2)
	v_cvt_f32_i32_e32 v0, v1
	v_cvt_f32_i32_e32 v1, v123
	v_mul_i32_i24_e32 v123, v89, v187
	v_mul_f32_e32 v1, v180, v1
	s_delay_alu instid0(VALU_DEP_1) | instskip(SKIP_1) | instid1(VALU_DEP_2)
	v_fma_mix_f32 v0, v139, v0, -v1 op_sel_hi:[1,0,0]
	v_mul_i32_i24_e32 v1, v46, v24
	v_fmac_f32_e32 v22, v3, v0
	v_mul_i32_i24_e32 v0, v5, v17
	s_delay_alu instid0(VALU_DEP_1) | instskip(NEXT) | instid1(VALU_DEP_1)
	v_mad_i32_i24 v0, v18, v19, v0
	v_add3_u32 v0, v0, v1, v2
	v_mul_i32_i24_e32 v1, v81, v45
	v_mul_i32_i24_e32 v2, v87, v48
	s_delay_alu instid0(VALU_DEP_1) | instskip(SKIP_2) | instid1(VALU_DEP_3)
	v_add3_u32 v0, v0, v1, v2
	v_mul_i32_i24_e32 v1, v90, v52
	v_mul_i32_i24_e32 v2, v91, v188
	v_add3_u32 v0, v0, v118, v123
	v_mul_i32_i24_e32 v118, v92, v189
	v_mul_i32_i24_e32 v123, v93, v193
	s_delay_alu instid0(VALU_DEP_3) | instskip(SKIP_2) | instid1(VALU_DEP_3)
	v_add3_u32 v0, v0, v1, v2
	v_mul_i32_i24_e32 v1, v94, v190
	v_mul_i32_i24_e32 v2, v95, v20
	v_add3_u32 v0, v0, v118, v123
	v_mul_i32_i24_e32 v118, v96, v195
	v_mul_i32_i24_e32 v123, v97, v21
	s_delay_alu instid0(VALU_DEP_3) | instskip(SKIP_2) | instid1(VALU_DEP_3)
	v_add3_u32 v0, v0, v1, v2
	v_mul_i32_i24_e32 v1, v98, v23
	v_mul_i32_i24_e32 v2, v100, v200
	v_add3_u32 v0, v0, v118, v123
	v_mul_i32_i24_e32 v118, v83, v25
	s_delay_alu instid0(VALU_DEP_4) | instskip(SKIP_1) | instid1(VALU_DEP_4)
	v_mad_i32_i24 v1, v99, v199, v1
	v_mul_i32_i24_e32 v123, v103, v205
	v_mul_lo_u32 v0, v0, v198
	s_delay_alu instid0(VALU_DEP_3) | instskip(SKIP_2) | instid1(VALU_DEP_1)
	v_add3_u32 v1, v1, v2, v118
	v_mul_i32_i24_e32 v2, v101, v201
	v_mul_i32_i24_e32 v118, v102, v202
	v_add3_u32 v1, v1, v2, v118
	v_mul_i32_i24_e32 v2, v104, v204
	v_mul_i32_i24_e32 v118, v105, v207
	s_delay_alu instid0(VALU_DEP_3) | instskip(SKIP_2) | instid1(VALU_DEP_3)
	v_add3_u32 v1, v1, v123, v127
	v_mul_i32_i24_e32 v123, v106, v208
	v_mul_i32_i24_e32 v127, v85, v210
	v_add3_u32 v1, v1, v2, v118
	v_mul_i32_i24_e32 v2, v107, v209
	v_mul_i32_i24_e32 v118, v108, v211
	s_delay_alu instid0(VALU_DEP_3) | instskip(SKIP_2) | instid1(VALU_DEP_3)
	v_add3_u32 v1, v1, v123, v127
	v_mul_i32_i24_e32 v123, v109, v212
	v_mul_i32_i24_e32 v127, v86, v213
	v_add3_u32 v1, v1, v2, v118
	v_mul_i32_i24_e32 v2, v111, v185
	s_delay_alu instid0(VALU_DEP_2) | instskip(SKIP_3) | instid1(VALU_DEP_2)
	v_add3_u32 v118, v1, v123, v127
	v_mul_i32_i24_e32 v1, v110, v186
	v_mul_i32_i24_e32 v127, v113, v182
	;; [unrolled: 1-line block ×3, first 2 shown]
	v_add3_u32 v1, v128, v127, v1
	s_delay_alu instid0(VALU_DEP_1) | instskip(SKIP_3) | instid1(VALU_DEP_3)
	v_add3_u32 v123, v1, v2, v123
	v_mad_u64_u32 v[1:2], null, v118, v136, v[0:1]
	v_mul_i32_i24_e32 v2, v80, v148
	v_mul_i32_i24_e32 v80, v115, v179
	v_cvt_f32_i32_e32 v0, v1
	v_cvt_f32_i32_e32 v1, v123
	s_delay_alu instid0(VALU_DEP_1) | instskip(NEXT) | instid1(VALU_DEP_1)
	v_mul_f32_e32 v1, v7, v1
	v_fma_mix_f32 v0, v131, v0, -v1 op_sel_hi:[1,0,0]
	v_mul_i32_i24_e32 v1, v46, v145
	v_mul_i32_i24_e32 v46, v84, v168
	s_delay_alu instid0(VALU_DEP_3) | instskip(SKIP_2) | instid1(VALU_DEP_2)
	v_fmac_f32_e32 v197, v3, v0
	v_mul_i32_i24_e32 v0, v5, v144
	v_mul_i32_i24_e32 v5, v88, v149
	v_mad_i32_i24 v0, v18, v129, v0
	v_mul_i32_i24_e32 v18, v89, v151
	s_delay_alu instid0(VALU_DEP_2) | instskip(SKIP_3) | instid1(VALU_DEP_2)
	v_add3_u32 v0, v0, v1, v2
	v_mul_i32_i24_e32 v1, v81, v146
	v_mul_i32_i24_e32 v2, v87, v147
	v_mul_i32_i24_e32 v81, v116, v178
	v_add3_u32 v0, v0, v1, v2
	v_mul_i32_i24_e32 v1, v90, v142
	v_mul_i32_i24_e32 v2, v91, v137
	s_delay_alu instid0(VALU_DEP_3) | instskip(SKIP_2) | instid1(VALU_DEP_3)
	v_add3_u32 v0, v0, v5, v18
	v_mul_i32_i24_e32 v5, v92, v135
	v_mul_i32_i24_e32 v18, v93, v154
	v_add3_u32 v0, v0, v1, v2
	v_mul_i32_i24_e32 v1, v94, v153
	v_mul_i32_i24_e32 v2, v95, v156
	s_delay_alu instid0(VALU_DEP_3) | instskip(SKIP_2) | instid1(VALU_DEP_3)
	v_add3_u32 v0, v0, v5, v18
	v_mul_i32_i24_e32 v5, v96, v134
	v_mul_i32_i24_e32 v18, v97, v133
	v_add3_u32 v0, v0, v1, v2
	v_mul_i32_i24_e32 v1, v98, v162
	v_mul_i32_i24_e32 v2, v100, v163
	s_delay_alu instid0(VALU_DEP_3) | instskip(SKIP_1) | instid1(VALU_DEP_4)
	v_add3_u32 v0, v0, v5, v18
	v_mul_i32_i24_e32 v5, v83, v166
	v_mad_i32_i24 v1, v99, v8, v1
	v_mul_i32_i24_e32 v18, v103, v167
	v_mul_i32_i24_e32 v83, v117, v130
	v_mul_lo_u32 v0, v0, v160
	s_delay_alu instid0(VALU_DEP_4) | instskip(SKIP_3) | instid1(VALU_DEP_2)
	v_add3_u32 v1, v1, v2, v5
	v_mul_i32_i24_e32 v2, v101, v165
	v_mul_i32_i24_e32 v5, v102, v164
	v_mad_i32_i24 v83, v114, v161, v83
	v_add3_u32 v1, v1, v2, v5
	v_mul_i32_i24_e32 v2, v104, v169
	v_mul_i32_i24_e32 v5, v105, v170
	s_delay_alu instid0(VALU_DEP_4) | instskip(NEXT) | instid1(VALU_DEP_4)
	v_add3_u32 v80, v83, v80, v81
	v_add3_u32 v1, v1, v18, v46
	v_mul_i32_i24_e32 v18, v106, v171
	v_mul_i32_i24_e32 v46, v85, v173
	s_delay_alu instid0(VALU_DEP_3) | instskip(SKIP_2) | instid1(VALU_DEP_3)
	v_add3_u32 v1, v1, v2, v5
	v_mul_i32_i24_e32 v2, v107, v172
	v_mul_i32_i24_e32 v5, v108, v174
	v_add3_u32 v1, v1, v18, v46
	v_mul_i32_i24_e32 v18, v109, v175
	v_mul_i32_i24_e32 v46, v86, v176
	s_delay_alu instid0(VALU_DEP_3) | instskip(SKIP_1) | instid1(VALU_DEP_2)
	v_add3_u32 v1, v1, v2, v5
	v_mul_i32_i24_e32 v2, v111, v141
	v_add3_u32 v5, v1, v18, v46
	v_mul_i32_i24_e32 v1, v110, v143
	v_mul_i32_i24_e32 v46, v113, v138
	;; [unrolled: 1-line block ×3, first 2 shown]
	s_delay_alu instid0(VALU_DEP_2) | instskip(NEXT) | instid1(VALU_DEP_1)
	v_add3_u32 v1, v80, v46, v1
	v_add3_u32 v18, v1, v2, v18
	v_mad_u64_u32 v[1:2], null, v5, v158, v[0:1]
	s_delay_alu instid0(VALU_DEP_1) | instskip(NEXT) | instid1(VALU_DEP_3)
	v_cvt_f32_i32_e32 v0, v1
	v_cvt_f32_i32_e32 v1, v18
	s_delay_alu instid0(VALU_DEP_1) | instskip(NEXT) | instid1(VALU_DEP_1)
	v_mul_f32_e32 v1, v157, v1
	v_fma_mix_f32 v0, v126, v0, -v1 op_sel_hi:[1,0,0]
	s_delay_alu instid0(VALU_DEP_1)
	v_fmac_f32_e32 v191, v3, v0
	ds_load_b128 v[0:3], v124 offset:5120
	s_waitcnt lgkmcnt(0)
	v_bfe_i32 v5, v0, 0, 8
	v_bfe_i32 v18, v0, 8, 8
	v_bfe_i32 v46, v0, 16, 8
	v_ashrrev_i32_e32 v80, 24, v0
	v_bfe_i32 v81, v1, 0, 8
	v_bfe_i32 v83, v1, 8, 8
	v_bfe_i32 v84, v1, 16, 8
	v_ashrrev_i32_e32 v85, 24, v1
	;; [unrolled: 4-line block ×4, first 2 shown]
	ds_load_b128 v[0:3], v124 offset:5136
	v_mul_i32_i24_e32 v117, v84, v55
	v_mul_i32_i24_e32 v118, v85, v58
	s_waitcnt lgkmcnt(0)
	v_ashrrev_i32_e32 v97, 24, v0
	v_ashrrev_i32_e32 v101, 24, v1
	v_bfe_i32 v94, v0, 0, 8
	v_bfe_i32 v95, v0, 8, 8
	;; [unrolled: 1-line block ×4, first 2 shown]
	v_ashrrev_i32_e32 v105, 24, v2
	v_bfe_i32 v106, v3, 0, 8
	v_bfe_i32 v107, v3, 8, 8
	;; [unrolled: 1-line block ×3, first 2 shown]
	v_ashrrev_i32_e32 v3, 24, v3
	v_add_nc_u32_e32 v0, v101, v97
	v_bfe_i32 v99, v1, 8, 8
	v_bfe_i32 v104, v2, 16, 8
	;; [unrolled: 1-line block ×4, first 2 shown]
	v_add3_u32 v109, v0, v105, v3
	v_add_nc_u32_e32 v0, v100, v96
	v_bfe_i32 v102, v2, 0, 8
	v_mul_i32_i24_e32 v1, v46, v47
	v_mul_i32_i24_e32 v2, v80, v54
	;; [unrolled: 1-line block ×3, first 2 shown]
	v_add3_u32 v110, v0, v104, v108
	v_add_nc_u32_e32 v0, v99, v95
	s_delay_alu instid0(VALU_DEP_1) | instskip(SKIP_1) | instid1(VALU_DEP_1)
	v_add3_u32 v111, v0, v103, v107
	v_add_nc_u32_e32 v0, v98, v94
	v_add3_u32 v112, v0, v102, v106
	v_add_nc_u32_e32 v0, v85, v80
	s_delay_alu instid0(VALU_DEP_1) | instskip(SKIP_1) | instid1(VALU_DEP_1)
	v_add3_u32 v113, v0, v89, v93
	v_add_nc_u32_e32 v0, v84, v46
	v_add3_u32 v114, v0, v88, v92
	v_add_nc_u32_e32 v0, v83, v18
	s_delay_alu instid0(VALU_DEP_2) | instskip(NEXT) | instid1(VALU_DEP_2)
	v_mul_i32_i24_e32 v127, v114, v34
	v_add3_u32 v115, v0, v87, v91
	v_add_nc_u32_e32 v0, v81, v5
	s_delay_alu instid0(VALU_DEP_2) | instskip(NEXT) | instid1(VALU_DEP_2)
	v_mul_i32_i24_e32 v128, v115, v27
	v_add3_u32 v116, v0, v86, v90
	v_mul_i32_i24_e32 v0, v5, v44
	s_delay_alu instid0(VALU_DEP_2) | instskip(NEXT) | instid1(VALU_DEP_2)
	v_mul_i32_i24_e32 v150, v116, v192
	v_mad_i32_i24 v0, v18, v41, v0
	s_delay_alu instid0(VALU_DEP_2) | instskip(NEXT) | instid1(VALU_DEP_2)
	v_mad_i32_i24 v150, v113, v196, v150
	v_add3_u32 v0, v0, v1, v2
	v_mul_i32_i24_e32 v1, v81, v50
	v_mul_i32_i24_e32 v2, v83, v53
	s_delay_alu instid0(VALU_DEP_4) | instskip(SKIP_2) | instid1(VALU_DEP_4)
	v_add3_u32 v127, v150, v127, v128
	v_mul_i32_i24_e32 v150, v116, v155
	v_mul_i32_i24_e32 v128, v115, v29
	v_add3_u32 v0, v0, v1, v2
	v_mul_i32_i24_e32 v1, v86, v56
	v_mul_i32_i24_e32 v2, v87, v59
	v_mad_i32_i24 v150, v113, v159, v150
	s_delay_alu instid0(VALU_DEP_4) | instskip(SKIP_2) | instid1(VALU_DEP_3)
	v_add3_u32 v0, v0, v117, v118
	v_mul_i32_i24_e32 v117, v88, v60
	v_mul_i32_i24_e32 v118, v89, v62
	v_add3_u32 v0, v0, v1, v2
	v_mul_i32_i24_e32 v1, v90, v61
	v_mul_i32_i24_e32 v2, v91, v63
	s_delay_alu instid0(VALU_DEP_3) | instskip(SKIP_2) | instid1(VALU_DEP_3)
	v_add3_u32 v0, v0, v117, v118
	v_mul_i32_i24_e32 v117, v92, v64
	v_mul_i32_i24_e32 v118, v93, v65
	v_add3_u32 v0, v0, v1, v2
	v_mul_i32_i24_e32 v1, v94, v69
	v_mul_i32_i24_e32 v2, v96, v70
	s_delay_alu instid0(VALU_DEP_3) | instskip(SKIP_1) | instid1(VALU_DEP_4)
	v_add3_u32 v0, v0, v117, v118
	v_mul_i32_i24_e32 v117, v97, v73
	v_mad_i32_i24 v1, v95, v67, v1
	v_mul_i32_i24_e32 v118, v100, v74
	s_delay_alu instid0(VALU_DEP_4) | instskip(NEXT) | instid1(VALU_DEP_3)
	v_mul_lo_u32 v0, v0, v66
	v_add3_u32 v1, v1, v2, v117
	v_mul_i32_i24_e32 v2, v98, v71
	v_mul_i32_i24_e32 v117, v99, v72
	s_delay_alu instid0(VALU_DEP_1) | instskip(SKIP_2) | instid1(VALU_DEP_3)
	v_add3_u32 v1, v1, v2, v117
	v_mul_i32_i24_e32 v2, v102, v75
	v_mul_i32_i24_e32 v117, v103, v77
	v_add3_u32 v1, v1, v118, v123
	v_mul_i32_i24_e32 v118, v104, v78
	v_mul_i32_i24_e32 v123, v105, v119
	s_delay_alu instid0(VALU_DEP_3) | instskip(SKIP_2) | instid1(VALU_DEP_3)
	v_add3_u32 v1, v1, v2, v117
	v_mul_i32_i24_e32 v2, v106, v82
	v_mul_i32_i24_e32 v117, v107, v120
	v_add3_u32 v1, v1, v118, v123
	v_mul_i32_i24_e32 v118, v108, v121
	v_mul_i32_i24_e32 v123, v3, v122
	s_delay_alu instid0(VALU_DEP_3) | instskip(SKIP_1) | instid1(VALU_DEP_2)
	v_add3_u32 v1, v1, v2, v117
	v_mul_i32_i24_e32 v2, v110, v40
	v_add3_u32 v117, v1, v118, v123
	v_mul_i32_i24_e32 v1, v109, v43
	v_mul_i32_i24_e32 v123, v112, v35
	;; [unrolled: 1-line block ×3, first 2 shown]
	s_delay_alu instid0(VALU_DEP_2) | instskip(SKIP_2) | instid1(VALU_DEP_3)
	v_add3_u32 v1, v127, v123, v1
	v_mul_i32_i24_e32 v123, v101, v248
	v_mul_i32_i24_e32 v127, v114, v216
	v_add3_u32 v118, v1, v2, v118
	v_mad_u64_u32 v[1:2], null, v117, v217, v[0:1]
	v_mul_i32_i24_e32 v2, v80, v227
	v_mul_i32_i24_e32 v117, v84, v228
	v_add3_u32 v127, v150, v127, v128
	v_mul_i32_i24_e32 v150, v116, v132
	v_mul_i32_i24_e32 v128, v115, v9
	v_cvt_f32_i32_e32 v0, v1
	v_cvt_f32_i32_e32 v1, v118
	v_mul_i32_i24_e32 v118, v85, v230
	v_mad_i32_i24 v150, v113, v6, v150
	s_delay_alu instid0(VALU_DEP_3) | instskip(NEXT) | instid1(VALU_DEP_1)
	v_mul_f32_e32 v1, v218, v1
	v_fma_mix_f32 v0, v183, v0, -v1 op_sel_hi:[1,0,0]
	v_mul_i32_i24_e32 v1, v46, v68
	s_delay_alu instid0(VALU_DEP_2) | instskip(SKIP_1) | instid1(VALU_DEP_1)
	v_fmac_f32_e32 v16, v4, v0
	v_mul_i32_i24_e32 v0, v5, v224
	v_mad_i32_i24 v0, v18, v57, v0
	s_delay_alu instid0(VALU_DEP_1) | instskip(SKIP_2) | instid1(VALU_DEP_1)
	v_add3_u32 v0, v0, v1, v2
	v_mul_i32_i24_e32 v1, v81, v226
	v_mul_i32_i24_e32 v2, v83, v225
	v_add3_u32 v0, v0, v1, v2
	v_mul_i32_i24_e32 v1, v86, v229
	v_mul_i32_i24_e32 v2, v87, v231
	s_delay_alu instid0(VALU_DEP_3) | instskip(SKIP_2) | instid1(VALU_DEP_3)
	v_add3_u32 v0, v0, v117, v118
	v_mul_i32_i24_e32 v117, v88, v232
	v_mul_i32_i24_e32 v118, v89, v235
	v_add3_u32 v0, v0, v1, v2
	v_mul_i32_i24_e32 v1, v90, v233
	v_mul_i32_i24_e32 v2, v91, v79
	s_delay_alu instid0(VALU_DEP_3) | instskip(SKIP_2) | instid1(VALU_DEP_3)
	v_add3_u32 v0, v0, v117, v118
	v_mul_i32_i24_e32 v117, v92, v236
	v_mul_i32_i24_e32 v118, v93, v237
	v_add3_u32 v0, v0, v1, v2
	v_mul_i32_i24_e32 v1, v94, v241
	v_mul_i32_i24_e32 v2, v96, v242
	s_delay_alu instid0(VALU_DEP_3) | instskip(SKIP_1) | instid1(VALU_DEP_4)
	v_add3_u32 v0, v0, v117, v118
	v_mul_i32_i24_e32 v117, v97, v245
	v_mad_i32_i24 v1, v95, v240, v1
	v_mul_i32_i24_e32 v118, v100, v246
	s_delay_alu instid0(VALU_DEP_4) | instskip(NEXT) | instid1(VALU_DEP_3)
	v_mul_lo_u32 v0, v0, v239
	v_add3_u32 v1, v1, v2, v117
	v_mul_i32_i24_e32 v2, v98, v243
	v_mul_i32_i24_e32 v117, v99, v244
	s_delay_alu instid0(VALU_DEP_1) | instskip(SKIP_2) | instid1(VALU_DEP_3)
	v_add3_u32 v1, v1, v2, v117
	v_mul_i32_i24_e32 v2, v102, v247
	v_mul_i32_i24_e32 v117, v103, v249
	v_add3_u32 v1, v1, v118, v123
	v_mul_i32_i24_e32 v118, v104, v250
	v_mul_i32_i24_e32 v123, v105, v252
	s_delay_alu instid0(VALU_DEP_3) | instskip(SKIP_2) | instid1(VALU_DEP_3)
	v_add3_u32 v1, v1, v2, v117
	v_mul_i32_i24_e32 v2, v106, v251
	v_mul_i32_i24_e32 v117, v107, v253
	v_add3_u32 v1, v1, v118, v123
	v_mul_i32_i24_e32 v118, v108, v254
	v_mul_i32_i24_e32 v123, v3, v255
	s_delay_alu instid0(VALU_DEP_3) | instskip(SKIP_1) | instid1(VALU_DEP_2)
	v_add3_u32 v1, v1, v2, v117
	v_mul_i32_i24_e32 v2, v110, v221
	v_add3_u32 v117, v1, v118, v123
	v_mul_i32_i24_e32 v1, v109, v222
	v_mul_i32_i24_e32 v123, v112, v219
	;; [unrolled: 1-line block ×3, first 2 shown]
	s_delay_alu instid0(VALU_DEP_2) | instskip(SKIP_2) | instid1(VALU_DEP_3)
	v_add3_u32 v1, v127, v123, v1
	v_mul_i32_i24_e32 v123, v101, v206
	v_mul_i32_i24_e32 v127, v114, v10
	v_add3_u32 v118, v1, v2, v118
	v_mad_u64_u32 v[1:2], null, v117, v13, v[0:1]
	v_mul_i32_i24_e32 v2, v80, v49
	v_mul_i32_i24_e32 v117, v84, v51
	v_add3_u32 v127, v150, v127, v128
	s_delay_alu instid0(VALU_DEP_4) | instskip(SKIP_2) | instid1(VALU_DEP_2)
	v_cvt_f32_i32_e32 v0, v1
	v_cvt_f32_i32_e32 v1, v118
	v_mul_i32_i24_e32 v118, v85, v187
	v_mul_f32_e32 v1, v180, v1
	s_delay_alu instid0(VALU_DEP_1) | instskip(SKIP_1) | instid1(VALU_DEP_2)
	v_fma_mix_f32 v0, v139, v0, -v1 op_sel_hi:[1,0,0]
	v_mul_i32_i24_e32 v1, v46, v24
	v_fmac_f32_e32 v15, v4, v0
	v_mul_i32_i24_e32 v0, v5, v17
	s_delay_alu instid0(VALU_DEP_1) | instskip(NEXT) | instid1(VALU_DEP_1)
	v_mad_i32_i24 v0, v18, v19, v0
	v_add3_u32 v0, v0, v1, v2
	v_mul_i32_i24_e32 v1, v81, v45
	v_mul_i32_i24_e32 v2, v83, v48
	s_delay_alu instid0(VALU_DEP_1) | instskip(SKIP_2) | instid1(VALU_DEP_3)
	v_add3_u32 v0, v0, v1, v2
	v_mul_i32_i24_e32 v1, v86, v52
	v_mul_i32_i24_e32 v2, v87, v188
	v_add3_u32 v0, v0, v117, v118
	v_mul_i32_i24_e32 v117, v88, v189
	v_mul_i32_i24_e32 v118, v89, v193
	s_delay_alu instid0(VALU_DEP_3) | instskip(SKIP_2) | instid1(VALU_DEP_3)
	v_add3_u32 v0, v0, v1, v2
	v_mul_i32_i24_e32 v1, v90, v190
	v_mul_i32_i24_e32 v2, v91, v20
	v_add3_u32 v0, v0, v117, v118
	v_mul_i32_i24_e32 v117, v92, v195
	v_mul_i32_i24_e32 v118, v93, v21
	s_delay_alu instid0(VALU_DEP_3) | instskip(SKIP_2) | instid1(VALU_DEP_3)
	v_add3_u32 v0, v0, v1, v2
	v_mul_i32_i24_e32 v1, v94, v23
	v_mul_i32_i24_e32 v2, v96, v200
	v_add3_u32 v0, v0, v117, v118
	v_mul_i32_i24_e32 v117, v97, v25
	s_delay_alu instid0(VALU_DEP_4) | instskip(SKIP_1) | instid1(VALU_DEP_4)
	v_mad_i32_i24 v1, v95, v199, v1
	v_mul_i32_i24_e32 v118, v100, v205
	v_mul_lo_u32 v0, v0, v198
	s_delay_alu instid0(VALU_DEP_3) | instskip(SKIP_2) | instid1(VALU_DEP_1)
	v_add3_u32 v1, v1, v2, v117
	v_mul_i32_i24_e32 v2, v98, v201
	v_mul_i32_i24_e32 v117, v99, v202
	v_add3_u32 v1, v1, v2, v117
	v_mul_i32_i24_e32 v2, v102, v204
	v_mul_i32_i24_e32 v117, v103, v207
	s_delay_alu instid0(VALU_DEP_3) | instskip(SKIP_2) | instid1(VALU_DEP_3)
	v_add3_u32 v1, v1, v118, v123
	v_mul_i32_i24_e32 v118, v104, v208
	v_mul_i32_i24_e32 v123, v105, v210
	v_add3_u32 v1, v1, v2, v117
	v_mul_i32_i24_e32 v2, v106, v209
	v_mul_i32_i24_e32 v117, v107, v211
	s_delay_alu instid0(VALU_DEP_3) | instskip(SKIP_3) | instid1(VALU_DEP_4)
	v_add3_u32 v1, v1, v118, v123
	v_mul_i32_i24_e32 v118, v108, v212
	v_mul_i32_i24_e32 v123, v3, v213
	;; [unrolled: 1-line block ×3, first 2 shown]
	v_add3_u32 v1, v1, v2, v117
	v_mul_i32_i24_e32 v2, v110, v185
	s_delay_alu instid0(VALU_DEP_2) | instskip(SKIP_3) | instid1(VALU_DEP_2)
	v_add3_u32 v117, v1, v118, v123
	v_mul_i32_i24_e32 v1, v109, v186
	v_mul_i32_i24_e32 v123, v112, v182
	;; [unrolled: 1-line block ×3, first 2 shown]
	v_add3_u32 v1, v127, v123, v1
	s_delay_alu instid0(VALU_DEP_1) | instskip(SKIP_3) | instid1(VALU_DEP_3)
	v_add3_u32 v118, v1, v2, v118
	v_mad_u64_u32 v[1:2], null, v117, v136, v[0:1]
	v_mul_i32_i24_e32 v2, v80, v148
	v_mul_i32_i24_e32 v80, v115, v178
	v_cvt_f32_i32_e32 v0, v1
	v_cvt_f32_i32_e32 v1, v118
	s_delay_alu instid0(VALU_DEP_1) | instskip(NEXT) | instid1(VALU_DEP_1)
	v_mul_f32_e32 v1, v7, v1
	v_fma_mix_f32 v0, v131, v0, -v1 op_sel_hi:[1,0,0]
	v_mul_i32_i24_e32 v1, v46, v145
	v_mul_i32_i24_e32 v46, v101, v168
	s_delay_alu instid0(VALU_DEP_3) | instskip(SKIP_2) | instid1(VALU_DEP_2)
	v_fmac_f32_e32 v14, v4, v0
	v_mul_i32_i24_e32 v0, v5, v144
	v_mul_i32_i24_e32 v5, v84, v149
	v_mad_i32_i24 v0, v18, v129, v0
	v_mul_i32_i24_e32 v18, v85, v151
	s_delay_alu instid0(VALU_DEP_2) | instskip(SKIP_3) | instid1(VALU_DEP_2)
	v_add3_u32 v0, v0, v1, v2
	v_mul_i32_i24_e32 v1, v81, v146
	v_mul_i32_i24_e32 v2, v83, v147
	;; [unrolled: 1-line block ×3, first 2 shown]
	v_add3_u32 v0, v0, v1, v2
	v_mul_i32_i24_e32 v1, v86, v142
	v_mul_i32_i24_e32 v2, v87, v137
	s_delay_alu instid0(VALU_DEP_4) | instskip(NEXT) | instid1(VALU_DEP_4)
	v_mad_i32_i24 v81, v113, v161, v81
	v_add3_u32 v0, v0, v5, v18
	v_mul_i32_i24_e32 v5, v88, v135
	v_mul_i32_i24_e32 v18, v89, v154
	s_delay_alu instid0(VALU_DEP_3) | instskip(SKIP_2) | instid1(VALU_DEP_3)
	v_add3_u32 v0, v0, v1, v2
	v_mul_i32_i24_e32 v1, v90, v153
	v_mul_i32_i24_e32 v2, v91, v156
	v_add3_u32 v0, v0, v5, v18
	v_mul_i32_i24_e32 v5, v92, v134
	v_mul_i32_i24_e32 v18, v93, v133
	s_delay_alu instid0(VALU_DEP_3) | instskip(SKIP_2) | instid1(VALU_DEP_3)
	v_add3_u32 v0, v0, v1, v2
	v_mul_i32_i24_e32 v1, v94, v162
	v_mul_i32_i24_e32 v2, v96, v163
	v_add3_u32 v0, v0, v5, v18
	v_mul_i32_i24_e32 v5, v97, v166
	s_delay_alu instid0(VALU_DEP_4) | instskip(SKIP_1) | instid1(VALU_DEP_4)
	v_mad_i32_i24 v1, v95, v8, v1
	v_mul_i32_i24_e32 v18, v100, v167
	v_mul_lo_u32 v0, v0, v160
	s_delay_alu instid0(VALU_DEP_3) | instskip(SKIP_2) | instid1(VALU_DEP_1)
	v_add3_u32 v1, v1, v2, v5
	v_mul_i32_i24_e32 v2, v98, v165
	v_mul_i32_i24_e32 v5, v99, v164
	v_add3_u32 v1, v1, v2, v5
	v_mul_i32_i24_e32 v2, v102, v169
	v_mul_i32_i24_e32 v5, v103, v170
	s_delay_alu instid0(VALU_DEP_3) | instskip(SKIP_2) | instid1(VALU_DEP_3)
	v_add3_u32 v1, v1, v18, v46
	v_mul_i32_i24_e32 v18, v104, v171
	v_mul_i32_i24_e32 v46, v105, v173
	v_add3_u32 v1, v1, v2, v5
	v_mul_i32_i24_e32 v2, v106, v172
	v_mul_i32_i24_e32 v5, v107, v174
	s_delay_alu instid0(VALU_DEP_3) | instskip(SKIP_2) | instid1(VALU_DEP_3)
	v_add3_u32 v1, v1, v18, v46
	v_mul_i32_i24_e32 v18, v108, v175
	v_mul_i32_i24_e32 v46, v114, v179
	v_add3_u32 v1, v1, v2, v5
	v_mul_i32_i24_e32 v2, v110, v141
	s_delay_alu instid0(VALU_DEP_3) | instskip(SKIP_1) | instid1(VALU_DEP_4)
	v_add3_u32 v46, v81, v46, v80
	v_mul_i32_i24_e32 v5, v111, v140
	v_add3_u32 v3, v1, v18, v3
	v_mul_i32_i24_e32 v1, v109, v143
	v_mul_i32_i24_e32 v18, v112, v138
	s_delay_alu instid0(VALU_DEP_1) | instskip(NEXT) | instid1(VALU_DEP_1)
	v_add3_u32 v1, v46, v18, v1
	v_add3_u32 v5, v1, v2, v5
	v_mad_u64_u32 v[1:2], null, v3, v158, v[0:1]
	s_delay_alu instid0(VALU_DEP_1) | instskip(NEXT) | instid1(VALU_DEP_3)
	v_cvt_f32_i32_e32 v0, v1
	v_cvt_f32_i32_e32 v1, v5
	s_delay_alu instid0(VALU_DEP_1) | instskip(NEXT) | instid1(VALU_DEP_1)
	v_mul_f32_e32 v1, v157, v1
	v_fma_mix_f32 v0, v126, v0, -v1 op_sel_hi:[1,0,0]
	s_delay_alu instid0(VALU_DEP_1)
	v_fmac_f32_e32 v181, v4, v0
	ds_load_2addr_b32 v[3:4], v125 offset0:192 offset1:224
	ds_load_b128 v[83:86], v124 offset:6144
	v_add_nc_u32_e32 v125, 4, v125
	s_waitcnt lgkmcnt(0)
	v_bfe_i32 v5, v83, 0, 8
	v_bfe_i32 v18, v83, 8, 8
	v_bfe_i32 v46, v83, 16, 8
	v_ashrrev_i32_e32 v80, 24, v83
	v_bfe_i32 v81, v84, 0, 8
	v_bfe_i32 v87, v84, 8, 8
	v_bfe_i32 v88, v84, 16, 8
	v_ashrrev_i32_e32 v89, 24, v84
	;; [unrolled: 4-line block ×4, first 2 shown]
	ds_load_b128 v[83:86], v124 offset:6160
	v_mul_i32_i24_e32 v1, v46, v47
	v_mul_i32_i24_e32 v2, v80, v54
	;; [unrolled: 1-line block ×4, first 2 shown]
	s_waitcnt lgkmcnt(0)
	v_bfe_i32 v98, v83, 0, 8
	v_bfe_i32 v99, v83, 8, 8
	v_bfe_i32 v100, v83, 16, 8
	v_ashrrev_i32_e32 v83, 24, v83
	v_bfe_i32 v101, v84, 0, 8
	v_bfe_i32 v102, v84, 8, 8
	v_bfe_i32 v103, v84, 16, 8
	v_ashrrev_i32_e32 v84, 24, v84
	;; [unrolled: 4-line block ×4, first 2 shown]
	v_add_nc_u32_e32 v0, v84, v83
	v_mul_i32_i24_e32 v127, v84, v76
	s_delay_alu instid0(VALU_DEP_2) | instskip(SKIP_1) | instid1(VALU_DEP_1)
	v_add3_u32 v110, v0, v85, v86
	v_add_nc_u32_e32 v0, v103, v100
	v_add3_u32 v111, v0, v106, v109
	v_add_nc_u32_e32 v0, v102, v99
	s_delay_alu instid0(VALU_DEP_1) | instskip(SKIP_1) | instid1(VALU_DEP_1)
	v_add3_u32 v112, v0, v105, v108
	v_add_nc_u32_e32 v0, v101, v98
	v_add3_u32 v113, v0, v104, v107
	v_add_nc_u32_e32 v0, v89, v80
	s_delay_alu instid0(VALU_DEP_1) | instskip(SKIP_1) | instid1(VALU_DEP_1)
	v_add3_u32 v114, v0, v93, v97
	v_add_nc_u32_e32 v0, v88, v46
	v_add3_u32 v115, v0, v92, v96
	v_add_nc_u32_e32 v0, v87, v18
	s_delay_alu instid0(VALU_DEP_2) | instskip(NEXT) | instid1(VALU_DEP_2)
	v_mul_i32_i24_e32 v128, v115, v34
	v_add3_u32 v116, v0, v91, v95
	v_add_nc_u32_e32 v0, v81, v5
	s_delay_alu instid0(VALU_DEP_2) | instskip(NEXT) | instid1(VALU_DEP_2)
	v_mul_i32_i24_e32 v150, v116, v27
	v_add3_u32 v117, v0, v90, v94
	v_mul_i32_i24_e32 v0, v5, v44
	s_delay_alu instid0(VALU_DEP_2) | instskip(NEXT) | instid1(VALU_DEP_2)
	v_mul_i32_i24_e32 v152, v117, v192
	v_mad_i32_i24 v0, v18, v41, v0
	s_delay_alu instid0(VALU_DEP_2) | instskip(NEXT) | instid1(VALU_DEP_2)
	v_mad_i32_i24 v152, v114, v196, v152
	v_add3_u32 v0, v0, v1, v2
	v_mul_i32_i24_e32 v1, v81, v50
	v_mul_i32_i24_e32 v2, v87, v53
	s_delay_alu instid0(VALU_DEP_4) | instskip(SKIP_2) | instid1(VALU_DEP_4)
	v_add3_u32 v128, v152, v128, v150
	v_mul_i32_i24_e32 v152, v117, v155
	v_mul_i32_i24_e32 v150, v116, v29
	v_add3_u32 v0, v0, v1, v2
	v_mul_i32_i24_e32 v1, v90, v56
	v_mul_i32_i24_e32 v2, v91, v59
	v_mad_i32_i24 v152, v114, v159, v152
	s_delay_alu instid0(VALU_DEP_4) | instskip(SKIP_2) | instid1(VALU_DEP_3)
	v_add3_u32 v0, v0, v118, v123
	v_mul_i32_i24_e32 v118, v92, v60
	v_mul_i32_i24_e32 v123, v93, v62
	v_add3_u32 v0, v0, v1, v2
	v_mul_i32_i24_e32 v1, v94, v61
	v_mul_i32_i24_e32 v2, v95, v63
	s_delay_alu instid0(VALU_DEP_3) | instskip(SKIP_2) | instid1(VALU_DEP_3)
	v_add3_u32 v0, v0, v118, v123
	v_mul_i32_i24_e32 v118, v96, v64
	v_mul_i32_i24_e32 v123, v97, v65
	v_add3_u32 v0, v0, v1, v2
	v_mul_i32_i24_e32 v1, v98, v69
	v_mul_i32_i24_e32 v2, v100, v70
	s_delay_alu instid0(VALU_DEP_3) | instskip(SKIP_1) | instid1(VALU_DEP_4)
	v_add3_u32 v0, v0, v118, v123
	v_mul_i32_i24_e32 v118, v83, v73
	v_mad_i32_i24 v1, v99, v67, v1
	v_mul_i32_i24_e32 v123, v103, v74
	s_delay_alu instid0(VALU_DEP_4) | instskip(NEXT) | instid1(VALU_DEP_3)
	v_mul_lo_u32 v0, v0, v66
	v_add3_u32 v1, v1, v2, v118
	v_mul_i32_i24_e32 v2, v101, v71
	v_mul_i32_i24_e32 v118, v102, v72
	s_delay_alu instid0(VALU_DEP_1) | instskip(SKIP_2) | instid1(VALU_DEP_3)
	v_add3_u32 v1, v1, v2, v118
	v_mul_i32_i24_e32 v2, v104, v75
	v_mul_i32_i24_e32 v118, v105, v77
	v_add3_u32 v1, v1, v123, v127
	v_mul_i32_i24_e32 v123, v106, v78
	v_mul_i32_i24_e32 v127, v85, v119
	s_delay_alu instid0(VALU_DEP_3) | instskip(SKIP_2) | instid1(VALU_DEP_3)
	v_add3_u32 v1, v1, v2, v118
	v_mul_i32_i24_e32 v2, v107, v82
	v_mul_i32_i24_e32 v118, v108, v120
	v_add3_u32 v1, v1, v123, v127
	v_mul_i32_i24_e32 v123, v109, v121
	v_mul_i32_i24_e32 v127, v86, v122
	s_delay_alu instid0(VALU_DEP_3) | instskip(SKIP_1) | instid1(VALU_DEP_2)
	v_add3_u32 v1, v1, v2, v118
	v_mul_i32_i24_e32 v2, v111, v40
	v_add3_u32 v118, v1, v123, v127
	v_mul_i32_i24_e32 v1, v110, v43
	v_mul_i32_i24_e32 v127, v113, v35
	;; [unrolled: 1-line block ×3, first 2 shown]
	s_delay_alu instid0(VALU_DEP_2) | instskip(SKIP_2) | instid1(VALU_DEP_3)
	v_add3_u32 v1, v128, v127, v1
	v_mul_i32_i24_e32 v127, v84, v248
	v_mul_i32_i24_e32 v128, v115, v216
	v_add3_u32 v123, v1, v2, v123
	v_mad_u64_u32 v[1:2], null, v118, v217, v[0:1]
	v_mul_i32_i24_e32 v2, v80, v227
	v_mul_i32_i24_e32 v118, v88, v228
	v_add3_u32 v128, v152, v128, v150
	v_mul_i32_i24_e32 v152, v117, v132
	v_mul_i32_i24_e32 v150, v116, v9
	v_cvt_f32_i32_e32 v0, v1
	v_cvt_f32_i32_e32 v1, v123
	v_mul_i32_i24_e32 v123, v89, v230
	v_mad_i32_i24 v152, v114, v6, v152
	s_delay_alu instid0(VALU_DEP_3) | instskip(NEXT) | instid1(VALU_DEP_1)
	v_mul_f32_e32 v1, v218, v1
	v_fma_mix_f32 v0, v183, v0, -v1 op_sel_hi:[1,0,0]
	v_mul_i32_i24_e32 v1, v46, v68
	s_delay_alu instid0(VALU_DEP_2) | instskip(SKIP_1) | instid1(VALU_DEP_1)
	v_fmac_f32_e32 v12, v3, v0
	v_mul_i32_i24_e32 v0, v5, v224
	v_mad_i32_i24 v0, v18, v57, v0
	s_delay_alu instid0(VALU_DEP_1) | instskip(SKIP_2) | instid1(VALU_DEP_1)
	v_add3_u32 v0, v0, v1, v2
	v_mul_i32_i24_e32 v1, v81, v226
	v_mul_i32_i24_e32 v2, v87, v225
	v_add3_u32 v0, v0, v1, v2
	v_mul_i32_i24_e32 v1, v90, v229
	v_mul_i32_i24_e32 v2, v91, v231
	s_delay_alu instid0(VALU_DEP_3) | instskip(SKIP_2) | instid1(VALU_DEP_3)
	v_add3_u32 v0, v0, v118, v123
	v_mul_i32_i24_e32 v118, v92, v232
	v_mul_i32_i24_e32 v123, v93, v235
	v_add3_u32 v0, v0, v1, v2
	v_mul_i32_i24_e32 v1, v94, v233
	v_mul_i32_i24_e32 v2, v95, v79
	s_delay_alu instid0(VALU_DEP_3) | instskip(SKIP_2) | instid1(VALU_DEP_3)
	v_add3_u32 v0, v0, v118, v123
	v_mul_i32_i24_e32 v118, v96, v236
	v_mul_i32_i24_e32 v123, v97, v237
	v_add3_u32 v0, v0, v1, v2
	v_mul_i32_i24_e32 v1, v98, v241
	v_mul_i32_i24_e32 v2, v100, v242
	s_delay_alu instid0(VALU_DEP_3) | instskip(SKIP_1) | instid1(VALU_DEP_4)
	v_add3_u32 v0, v0, v118, v123
	v_mul_i32_i24_e32 v118, v83, v245
	v_mad_i32_i24 v1, v99, v240, v1
	v_mul_i32_i24_e32 v123, v103, v246
	s_delay_alu instid0(VALU_DEP_4) | instskip(NEXT) | instid1(VALU_DEP_3)
	v_mul_lo_u32 v0, v0, v239
	v_add3_u32 v1, v1, v2, v118
	v_mul_i32_i24_e32 v2, v101, v243
	v_mul_i32_i24_e32 v118, v102, v244
	s_delay_alu instid0(VALU_DEP_1) | instskip(SKIP_2) | instid1(VALU_DEP_3)
	v_add3_u32 v1, v1, v2, v118
	v_mul_i32_i24_e32 v2, v104, v247
	v_mul_i32_i24_e32 v118, v105, v249
	v_add3_u32 v1, v1, v123, v127
	v_mul_i32_i24_e32 v123, v106, v250
	v_mul_i32_i24_e32 v127, v85, v252
	s_delay_alu instid0(VALU_DEP_3) | instskip(SKIP_2) | instid1(VALU_DEP_3)
	v_add3_u32 v1, v1, v2, v118
	v_mul_i32_i24_e32 v2, v107, v251
	v_mul_i32_i24_e32 v118, v108, v253
	v_add3_u32 v1, v1, v123, v127
	v_mul_i32_i24_e32 v123, v109, v254
	v_mul_i32_i24_e32 v127, v86, v255
	s_delay_alu instid0(VALU_DEP_3) | instskip(SKIP_1) | instid1(VALU_DEP_2)
	v_add3_u32 v1, v1, v2, v118
	v_mul_i32_i24_e32 v2, v111, v221
	v_add3_u32 v118, v1, v123, v127
	v_mul_i32_i24_e32 v1, v110, v222
	v_mul_i32_i24_e32 v127, v113, v219
	;; [unrolled: 1-line block ×3, first 2 shown]
	s_delay_alu instid0(VALU_DEP_2) | instskip(SKIP_2) | instid1(VALU_DEP_3)
	v_add3_u32 v1, v128, v127, v1
	v_mul_i32_i24_e32 v127, v84, v206
	v_mul_i32_i24_e32 v128, v115, v10
	v_add3_u32 v123, v1, v2, v123
	v_mad_u64_u32 v[1:2], null, v118, v13, v[0:1]
	v_mul_i32_i24_e32 v2, v80, v49
	v_mul_i32_i24_e32 v118, v88, v51
	v_add3_u32 v128, v152, v128, v150
	scratch_load_b32 v150, off, off offset:72 ; 4-byte Folded Reload
	v_cvt_f32_i32_e32 v0, v1
	v_cvt_f32_i32_e32 v1, v123
	v_mul_i32_i24_e32 v123, v89, v187
	s_delay_alu instid0(VALU_DEP_2) | instskip(NEXT) | instid1(VALU_DEP_1)
	v_mul_f32_e32 v1, v180, v1
	v_fma_mix_f32 v0, v139, v0, -v1 op_sel_hi:[1,0,0]
	v_mul_i32_i24_e32 v1, v46, v24
	s_delay_alu instid0(VALU_DEP_2) | instskip(SKIP_1) | instid1(VALU_DEP_1)
	v_fmac_f32_e32 v11, v3, v0
	v_mul_i32_i24_e32 v0, v5, v17
	v_mad_i32_i24 v0, v18, v19, v0
	s_delay_alu instid0(VALU_DEP_1) | instskip(SKIP_2) | instid1(VALU_DEP_1)
	v_add3_u32 v0, v0, v1, v2
	v_mul_i32_i24_e32 v1, v81, v45
	v_mul_i32_i24_e32 v2, v87, v48
	v_add3_u32 v0, v0, v1, v2
	v_mul_i32_i24_e32 v1, v90, v52
	v_mul_i32_i24_e32 v2, v91, v188
	s_delay_alu instid0(VALU_DEP_3) | instskip(SKIP_2) | instid1(VALU_DEP_3)
	v_add3_u32 v0, v0, v118, v123
	v_mul_i32_i24_e32 v118, v92, v189
	v_mul_i32_i24_e32 v123, v93, v193
	v_add3_u32 v0, v0, v1, v2
	v_mul_i32_i24_e32 v1, v94, v190
	v_mul_i32_i24_e32 v2, v95, v20
	s_delay_alu instid0(VALU_DEP_3) | instskip(SKIP_2) | instid1(VALU_DEP_3)
	v_add3_u32 v0, v0, v118, v123
	v_mul_i32_i24_e32 v118, v96, v195
	v_mul_i32_i24_e32 v123, v97, v21
	v_add3_u32 v0, v0, v1, v2
	v_mul_i32_i24_e32 v1, v98, v23
	v_mul_i32_i24_e32 v2, v100, v200
	s_delay_alu instid0(VALU_DEP_3) | instskip(SKIP_1) | instid1(VALU_DEP_4)
	v_add3_u32 v0, v0, v118, v123
	v_mul_i32_i24_e32 v118, v83, v25
	v_mad_i32_i24 v1, v99, v199, v1
	v_mul_i32_i24_e32 v123, v103, v205
	s_delay_alu instid0(VALU_DEP_4) | instskip(NEXT) | instid1(VALU_DEP_3)
	v_mul_lo_u32 v0, v0, v198
	v_add3_u32 v1, v1, v2, v118
	v_mul_i32_i24_e32 v2, v101, v201
	v_mul_i32_i24_e32 v118, v102, v202
	s_delay_alu instid0(VALU_DEP_1) | instskip(SKIP_2) | instid1(VALU_DEP_3)
	v_add3_u32 v1, v1, v2, v118
	v_mul_i32_i24_e32 v2, v104, v204
	v_mul_i32_i24_e32 v118, v105, v207
	v_add3_u32 v1, v1, v123, v127
	v_mul_i32_i24_e32 v123, v106, v208
	v_mul_i32_i24_e32 v127, v85, v210
	s_delay_alu instid0(VALU_DEP_3) | instskip(SKIP_2) | instid1(VALU_DEP_3)
	v_add3_u32 v1, v1, v2, v118
	v_mul_i32_i24_e32 v2, v107, v209
	v_mul_i32_i24_e32 v118, v108, v211
	v_add3_u32 v1, v1, v123, v127
	v_mul_i32_i24_e32 v123, v109, v212
	v_mul_i32_i24_e32 v127, v86, v213
	s_delay_alu instid0(VALU_DEP_3) | instskip(SKIP_1) | instid1(VALU_DEP_2)
	v_add3_u32 v1, v1, v2, v118
	v_mul_i32_i24_e32 v2, v111, v185
	v_add3_u32 v118, v1, v123, v127
	v_mul_i32_i24_e32 v1, v110, v186
	v_mul_i32_i24_e32 v127, v113, v182
	;; [unrolled: 1-line block ×3, first 2 shown]
	s_delay_alu instid0(VALU_DEP_2)
	v_add3_u32 v1, v128, v127, v1
	scratch_load_b32 v127, off, off offset:16 ; 4-byte Folded Reload
	v_add3_u32 v123, v1, v2, v123
	v_mad_u64_u32 v[1:2], null, v118, v136, v[0:1]
	v_mul_i32_i24_e32 v2, v80, v148
	v_mul_i32_i24_e32 v80, v115, v179
	s_delay_alu instid0(VALU_DEP_3) | instskip(SKIP_1) | instid1(VALU_DEP_1)
	v_cvt_f32_i32_e32 v0, v1
	v_cvt_f32_i32_e32 v1, v123
	v_mul_f32_e32 v1, v7, v1
	s_delay_alu instid0(VALU_DEP_1) | instskip(SKIP_3) | instid1(VALU_DEP_3)
	v_fma_mix_f32 v0, v131, v0, -v1 op_sel_hi:[1,0,0]
	v_mul_i32_i24_e32 v1, v46, v145
	v_mul_i32_i24_e32 v46, v84, v168
	s_waitcnt vmcnt(0)
	v_fmac_f32_e32 v127, v3, v0
	v_mul_i32_i24_e32 v0, v5, v144
	v_mul_i32_i24_e32 v5, v88, v149
	s_delay_alu instid0(VALU_DEP_2) | instskip(SKIP_1) | instid1(VALU_DEP_2)
	v_mad_i32_i24 v0, v18, v129, v0
	v_mul_i32_i24_e32 v18, v89, v151
	v_add3_u32 v0, v0, v1, v2
	v_mul_i32_i24_e32 v1, v81, v146
	v_mul_i32_i24_e32 v2, v87, v147
	;; [unrolled: 1-line block ×3, first 2 shown]
	s_delay_alu instid0(VALU_DEP_2) | instskip(SKIP_2) | instid1(VALU_DEP_3)
	v_add3_u32 v0, v0, v1, v2
	v_mul_i32_i24_e32 v1, v90, v142
	v_mul_i32_i24_e32 v2, v91, v137
	v_add3_u32 v0, v0, v5, v18
	v_mul_i32_i24_e32 v5, v92, v135
	v_mul_i32_i24_e32 v18, v93, v154
	s_delay_alu instid0(VALU_DEP_3) | instskip(SKIP_2) | instid1(VALU_DEP_3)
	v_add3_u32 v0, v0, v1, v2
	v_mul_i32_i24_e32 v1, v94, v153
	v_mul_i32_i24_e32 v2, v95, v156
	v_add3_u32 v0, v0, v5, v18
	v_mul_i32_i24_e32 v5, v96, v134
	v_mul_i32_i24_e32 v18, v97, v133
	s_delay_alu instid0(VALU_DEP_3) | instskip(SKIP_2) | instid1(VALU_DEP_3)
	v_add3_u32 v0, v0, v1, v2
	v_mul_i32_i24_e32 v1, v98, v162
	v_mul_i32_i24_e32 v2, v100, v163
	v_add3_u32 v0, v0, v5, v18
	v_mul_i32_i24_e32 v5, v83, v166
	s_delay_alu instid0(VALU_DEP_4) | instskip(SKIP_3) | instid1(VALU_DEP_4)
	v_mad_i32_i24 v1, v99, v8, v1
	v_mul_i32_i24_e32 v18, v103, v167
	v_mul_i32_i24_e32 v83, v117, v130
	v_mul_lo_u32 v0, v0, v160
	v_add3_u32 v1, v1, v2, v5
	v_mul_i32_i24_e32 v2, v101, v165
	v_mul_i32_i24_e32 v5, v102, v164
	v_mad_i32_i24 v83, v114, v161, v83
	ds_load_b128 v[98:101], v124 offset:7184
	v_add3_u32 v1, v1, v2, v5
	v_mul_i32_i24_e32 v5, v105, v170
	scratch_load_b32 v105, off, off offset:12 ; 4-byte Folded Reload
	v_mul_i32_i24_e32 v2, v104, v169
	v_add3_u32 v80, v83, v80, v81
	v_add3_u32 v1, v1, v18, v46
	v_mul_i32_i24_e32 v18, v106, v171
	v_mul_i32_i24_e32 v46, v85, v173
	s_delay_alu instid0(VALU_DEP_3) | instskip(SKIP_2) | instid1(VALU_DEP_3)
	v_add3_u32 v1, v1, v2, v5
	v_mul_i32_i24_e32 v2, v107, v172
	v_mul_i32_i24_e32 v5, v108, v174
	v_add3_u32 v1, v1, v18, v46
	v_mul_i32_i24_e32 v18, v109, v175
	v_mul_i32_i24_e32 v46, v86, v176
	s_waitcnt lgkmcnt(0)
	v_ashrrev_i32_e32 v116, 24, v98
	v_ashrrev_i32_e32 v114, 24, v100
	v_add3_u32 v1, v1, v2, v5
	v_mul_i32_i24_e32 v2, v111, v141
	v_ashrrev_i32_e32 v111, 24, v99
	v_ashrrev_i32_e32 v117, 24, v101
	v_bfe_i32 v123, v98, 8, 8
	v_add3_u32 v5, v1, v18, v46
	v_mul_i32_i24_e32 v1, v110, v143
	v_mul_i32_i24_e32 v46, v113, v138
	;; [unrolled: 1-line block ×3, first 2 shown]
	v_bfe_i32 v113, v98, 16, 8
	v_bfe_i32 v110, v99, 16, 8
	;; [unrolled: 1-line block ×3, first 2 shown]
	v_add3_u32 v1, v80, v46, v1
	v_bfe_i32 v109, v100, 16, 8
	v_bfe_i32 v98, v101, 16, 8
	;; [unrolled: 1-line block ×4, first 2 shown]
	v_add3_u32 v18, v1, v2, v18
	v_mad_u64_u32 v[1:2], null, v5, v158, v[0:1]
	s_delay_alu instid0(VALU_DEP_1) | instskip(NEXT) | instid1(VALU_DEP_3)
	v_cvt_f32_i32_e32 v0, v1
	v_cvt_f32_i32_e32 v1, v18
	v_bfe_i32 v18, v100, 0, 8
	s_delay_alu instid0(VALU_DEP_2) | instskip(NEXT) | instid1(VALU_DEP_1)
	v_mul_f32_e32 v1, v157, v1
	v_fma_mix_f32 v0, v126, v0, -v1 op_sel_hi:[1,0,0]
	s_waitcnt vmcnt(0)
	s_delay_alu instid0(VALU_DEP_1)
	v_fmac_f32_e32 v105, v3, v0
	ds_load_b128 v[0:3], v124 offset:7168
	v_add_nc_u32_e32 v124, 32, v124
	s_waitcnt lgkmcnt(0)
	v_bfe_i32 v84, v2, 0, 8
	v_bfe_i32 v85, v2, 8, 8
	;; [unrolled: 1-line block ×3, first 2 shown]
	v_ashrrev_i32_e32 v87, 24, v2
	v_bfe_i32 v2, v3, 0, 8
	v_bfe_i32 v46, v3, 8, 8
	;; [unrolled: 1-line block ×3, first 2 shown]
	v_ashrrev_i32_e32 v83, 24, v3
	v_add_nc_u32_e32 v3, v111, v116
	v_bfe_i32 v89, v1, 0, 8
	v_bfe_i32 v90, v1, 8, 8
	;; [unrolled: 1-line block ×3, first 2 shown]
	v_ashrrev_i32_e32 v92, 24, v1
	v_bfe_i32 v1, v99, 8, 8
	v_add3_u32 v115, v3, v114, v117
	v_add_nc_u32_e32 v3, v110, v113
	v_bfe_i32 v93, v0, 0, 8
	v_bfe_i32 v88, v0, 8, 8
	;; [unrolled: 1-line block ×3, first 2 shown]
	v_ashrrev_i32_e32 v95, 24, v0
	v_bfe_i32 v0, v99, 0, 8
	v_bfe_i32 v99, v100, 8, 8
	v_add3_u32 v118, v3, v109, v98
	v_add_nc_u32_e32 v3, v1, v123
	v_mul_i32_i24_e32 v5, v94, v47
	v_mul_i32_i24_e32 v47, v92, v58
	;; [unrolled: 1-line block ×4, first 2 shown]
	v_add3_u32 v100, v3, v99, v97
	v_add_nc_u32_e32 v3, v0, v112
	s_delay_alu instid0(VALU_DEP_2) | instskip(NEXT) | instid1(VALU_DEP_2)
	v_mul_i32_i24_e32 v38, v100, v38
	v_add3_u32 v101, v3, v18, v96
	v_add_nc_u32_e32 v3, v92, v95
	s_delay_alu instid0(VALU_DEP_2) | instskip(NEXT) | instid1(VALU_DEP_2)
	v_mul_i32_i24_e32 v35, v101, v35
	v_add3_u32 v80, v3, v87, v83
	v_add_nc_u32_e32 v3, v91, v94
	s_delay_alu instid0(VALU_DEP_1) | instskip(SKIP_1) | instid1(VALU_DEP_2)
	v_add3_u32 v102, v3, v86, v81
	v_add_nc_u32_e32 v3, v90, v88
	v_mul_i32_i24_e32 v34, v102, v34
	s_delay_alu instid0(VALU_DEP_2) | instskip(SKIP_1) | instid1(VALU_DEP_2)
	v_add3_u32 v103, v3, v85, v46
	v_add_nc_u32_e32 v3, v89, v93
	v_mul_i32_i24_e32 v27, v103, v27
	s_delay_alu instid0(VALU_DEP_2) | instskip(SKIP_2) | instid1(VALU_DEP_2)
	v_add3_u32 v104, v3, v84, v2
	v_mul_i32_i24_e32 v3, v93, v44
	v_mul_i32_i24_e32 v44, v95, v54
	v_mad_i32_i24 v3, v88, v41, v3
	v_mul_i32_i24_e32 v41, v90, v53
	s_delay_alu instid0(VALU_DEP_2) | instskip(SKIP_3) | instid1(VALU_DEP_3)
	v_add3_u32 v3, v3, v5, v44
	v_mul_i32_i24_e32 v5, v89, v50
	v_mul_i32_i24_e32 v44, v91, v55
	v_mul_i32_i24_e32 v50, v111, v76
	v_add3_u32 v3, v3, v5, v41
	v_mul_i32_i24_e32 v5, v84, v56
	v_mul_i32_i24_e32 v41, v85, v59
	s_delay_alu instid0(VALU_DEP_3) | instskip(SKIP_2) | instid1(VALU_DEP_3)
	v_add3_u32 v3, v3, v44, v47
	v_mul_i32_i24_e32 v44, v86, v60
	v_mul_i32_i24_e32 v47, v87, v62
	v_add3_u32 v3, v3, v5, v41
	v_mul_i32_i24_e32 v5, v2, v61
	v_mul_i32_i24_e32 v41, v46, v63
	s_delay_alu instid0(VALU_DEP_3) | instskip(SKIP_2) | instid1(VALU_DEP_3)
	v_add3_u32 v3, v3, v44, v47
	v_mul_i32_i24_e32 v44, v81, v64
	v_mul_i32_i24_e32 v47, v83, v65
	v_add3_u32 v3, v3, v5, v41
	v_mul_i32_i24_e32 v5, v112, v69
	v_mul_i32_i24_e32 v41, v113, v70
	scratch_load_b32 v69, off, off offset:52 ; 4-byte Folded Reload
	v_add3_u32 v3, v3, v44, v47
	v_mul_i32_i24_e32 v44, v116, v73
	v_mad_i32_i24 v5, v123, v67, v5
	scratch_load_b32 v67, off, off offset:48 ; 4-byte Folded Reload
	v_mul_i32_i24_e32 v47, v110, v74
	v_mul_lo_u32 v3, v3, v66
	scratch_load_b32 v66, off, off offset:44 ; 4-byte Folded Reload
	v_add3_u32 v5, v5, v41, v44
	v_mul_i32_i24_e32 v41, v0, v71
	v_mul_i32_i24_e32 v44, v1, v72
	s_delay_alu instid0(VALU_DEP_1) | instskip(SKIP_2) | instid1(VALU_DEP_3)
	v_add3_u32 v5, v5, v41, v44
	v_mul_i32_i24_e32 v41, v18, v75
	v_mul_i32_i24_e32 v44, v99, v77
	v_add3_u32 v5, v5, v47, v50
	v_mul_i32_i24_e32 v47, v109, v78
	scratch_load_b32 v78, off, off offset:4 ; 4-byte Folded Reload
	v_mul_i32_i24_e32 v50, v114, v119
	v_add3_u32 v5, v5, v41, v44
	v_mul_i32_i24_e32 v41, v96, v82
	scratch_load_b32 v82, off, off offset:8 ; 4-byte Folded Reload
	v_mul_i32_i24_e32 v44, v97, v120
	v_add3_u32 v5, v5, v47, v50
	v_mul_i32_i24_e32 v47, v98, v121
	v_mul_i32_i24_e32 v50, v117, v122
	s_delay_alu instid0(VALU_DEP_3) | instskip(NEXT) | instid1(VALU_DEP_1)
	v_add3_u32 v5, v5, v41, v44
	v_add3_u32 v41, v5, v47, v50
	v_mul_i32_i24_e32 v5, v104, v192
	s_delay_alu instid0(VALU_DEP_1) | instskip(NEXT) | instid1(VALU_DEP_1)
	v_mad_i32_i24 v5, v80, v196, v5
	v_add3_u32 v5, v5, v34, v27
	v_mul_i32_i24_e32 v27, v95, v227
	s_delay_alu instid0(VALU_DEP_2) | instskip(SKIP_3) | instid1(VALU_DEP_4)
	v_add3_u32 v5, v5, v35, v43
	v_mad_u64_u32 v[34:35], null, v41, v217, v[3:4]
	v_mul_i32_i24_e32 v35, v92, v230
	v_mul_i32_i24_e32 v43, v104, v155
	v_add3_u32 v5, v5, v40, v38
	v_mul_i32_i24_e32 v38, v111, v248
	v_mul_i32_i24_e32 v40, v102, v216
	;; [unrolled: 1-line block ×3, first 2 shown]
	v_cvt_f32_i32_e32 v3, v34
	v_cvt_f32_i32_e32 v5, v5
	v_mul_i32_i24_e32 v34, v91, v228
	v_mad_i32_i24 v43, v80, v159, v43
	s_delay_alu instid0(VALU_DEP_3) | instskip(NEXT) | instid1(VALU_DEP_2)
	v_mul_f32_e32 v5, v218, v5
	v_add3_u32 v40, v43, v40, v41
	s_delay_alu instid0(VALU_DEP_2) | instskip(SKIP_2) | instid1(VALU_DEP_2)
	v_fma_mix_f32 v3, v183, v3, -v5 op_sel_hi:[1,0,0]
	v_mul_i32_i24_e32 v5, v94, v68
	s_waitcnt vmcnt(0)
	v_fmac_f32_e32 v82, v4, v3
	v_mul_i32_i24_e32 v3, v93, v224
	s_delay_alu instid0(VALU_DEP_1) | instskip(NEXT) | instid1(VALU_DEP_1)
	v_mad_i32_i24 v3, v88, v57, v3
	v_add3_u32 v3, v3, v5, v27
	v_mul_i32_i24_e32 v5, v89, v226
	v_mul_i32_i24_e32 v27, v90, v225
	s_delay_alu instid0(VALU_DEP_1) | instskip(SKIP_2) | instid1(VALU_DEP_3)
	v_add3_u32 v3, v3, v5, v27
	v_mul_i32_i24_e32 v5, v84, v229
	v_mul_i32_i24_e32 v27, v85, v231
	v_add3_u32 v3, v3, v34, v35
	v_mul_i32_i24_e32 v34, v86, v232
	v_mul_i32_i24_e32 v35, v87, v235
	s_delay_alu instid0(VALU_DEP_3) | instskip(SKIP_2) | instid1(VALU_DEP_3)
	v_add3_u32 v3, v3, v5, v27
	v_mul_i32_i24_e32 v5, v2, v233
	v_mul_i32_i24_e32 v27, v46, v79
	v_add3_u32 v3, v3, v34, v35
	v_mul_i32_i24_e32 v34, v81, v236
	v_mul_i32_i24_e32 v35, v83, v237
	s_delay_alu instid0(VALU_DEP_3) | instskip(SKIP_2) | instid1(VALU_DEP_3)
	v_add3_u32 v3, v3, v5, v27
	v_mul_i32_i24_e32 v5, v112, v241
	v_mul_i32_i24_e32 v27, v113, v242
	v_add3_u32 v3, v3, v34, v35
	v_mul_i32_i24_e32 v34, v116, v245
	s_delay_alu instid0(VALU_DEP_4) | instskip(SKIP_1) | instid1(VALU_DEP_4)
	v_mad_i32_i24 v5, v123, v240, v5
	v_mul_i32_i24_e32 v35, v110, v246
	v_mul_lo_u32 v3, v3, v239
	s_delay_alu instid0(VALU_DEP_3) | instskip(SKIP_2) | instid1(VALU_DEP_1)
	v_add3_u32 v5, v5, v27, v34
	v_mul_i32_i24_e32 v27, v0, v243
	v_mul_i32_i24_e32 v34, v1, v244
	v_add3_u32 v5, v5, v27, v34
	v_mul_i32_i24_e32 v27, v18, v247
	v_mul_i32_i24_e32 v34, v99, v249
	s_delay_alu instid0(VALU_DEP_3) | instskip(SKIP_2) | instid1(VALU_DEP_3)
	v_add3_u32 v5, v5, v35, v38
	v_mul_i32_i24_e32 v35, v109, v250
	v_mul_i32_i24_e32 v38, v114, v252
	v_add3_u32 v5, v5, v27, v34
	v_mul_i32_i24_e32 v27, v96, v251
	v_mul_i32_i24_e32 v34, v97, v253
	s_delay_alu instid0(VALU_DEP_3) | instskip(SKIP_2) | instid1(VALU_DEP_3)
	v_add3_u32 v5, v5, v35, v38
	v_mul_i32_i24_e32 v35, v98, v254
	v_mul_i32_i24_e32 v38, v117, v255
	v_add3_u32 v5, v5, v27, v34
	v_mul_i32_i24_e32 v27, v115, v222
	v_mul_i32_i24_e32 v34, v118, v221
	s_delay_alu instid0(VALU_DEP_3) | instskip(SKIP_2) | instid1(VALU_DEP_2)
	v_add3_u32 v5, v5, v35, v38
	v_mul_i32_i24_e32 v38, v101, v219
	v_mul_i32_i24_e32 v35, v100, v220
	v_add3_u32 v27, v40, v38, v27
	v_mul_i32_i24_e32 v40, v104, v132
	v_mul_i32_i24_e32 v38, v103, v9
	s_delay_alu instid0(VALU_DEP_3) | instskip(NEXT) | instid1(VALU_DEP_3)
	v_add3_u32 v27, v27, v34, v35
	v_mad_i32_i24 v40, v80, v6, v40
	scratch_load_b32 v6, off, off           ; 4-byte Folded Reload
	v_mad_u64_u32 v[34:35], null, v5, v13, v[3:4]
	v_cvt_f32_i32_e32 v5, v27
	v_mul_i32_i24_e32 v27, v92, v187
	v_mul_i32_i24_e32 v35, v102, v10
	s_delay_alu instid0(VALU_DEP_3) | instskip(SKIP_2) | instid1(VALU_DEP_4)
	v_mul_f32_e32 v5, v180, v5
	v_cvt_f32_i32_e32 v3, v34
	v_mul_i32_i24_e32 v34, v111, v206
	v_add3_u32 v35, v40, v35, v38
	s_delay_alu instid0(VALU_DEP_3) | instskip(SKIP_2) | instid1(VALU_DEP_3)
	v_fma_mix_f32 v3, v139, v3, -v5 op_sel_hi:[1,0,0]
	v_mul_i32_i24_e32 v5, v94, v24
	v_mul_i32_i24_e32 v24, v91, v51
	v_fmac_f32_e32 v78, v4, v3
	v_mul_i32_i24_e32 v3, v93, v17
	v_mul_i32_i24_e32 v17, v95, v49
	s_delay_alu instid0(VALU_DEP_2) | instskip(NEXT) | instid1(VALU_DEP_1)
	v_mad_i32_i24 v3, v88, v19, v3
	v_add3_u32 v3, v3, v5, v17
	v_mul_i32_i24_e32 v5, v89, v45
	v_mul_i32_i24_e32 v17, v90, v48
	s_delay_alu instid0(VALU_DEP_1) | instskip(SKIP_2) | instid1(VALU_DEP_3)
	v_add3_u32 v3, v3, v5, v17
	v_mul_i32_i24_e32 v5, v84, v52
	v_mul_i32_i24_e32 v17, v85, v188
	v_add3_u32 v3, v3, v24, v27
	v_mul_i32_i24_e32 v24, v86, v189
	v_mul_i32_i24_e32 v27, v87, v193
	s_delay_alu instid0(VALU_DEP_3)
	v_add3_u32 v3, v3, v5, v17
	v_mul_i32_i24_e32 v5, v2, v190
	v_mul_i32_i24_e32 v17, v46, v20
	;; [unrolled: 1-line block ×3, first 2 shown]
	scratch_load_b32 v153, off, off offset:76 ; 4-byte Folded Reload
	v_add3_u32 v3, v3, v24, v27
	v_mul_i32_i24_e32 v24, v81, v195
	v_mul_i32_i24_e32 v27, v83, v21
	s_delay_alu instid0(VALU_DEP_3) | instskip(SKIP_2) | instid1(VALU_DEP_3)
	v_add3_u32 v3, v3, v5, v17
	v_mul_i32_i24_e32 v5, v112, v23
	v_mul_i32_i24_e32 v17, v113, v200
	v_add3_u32 v3, v3, v24, v27
	v_mul_i32_i24_e32 v24, v116, v25
	s_delay_alu instid0(VALU_DEP_4) | instskip(SKIP_1) | instid1(VALU_DEP_4)
	v_mad_i32_i24 v5, v123, v199, v5
	v_mul_i32_i24_e32 v27, v110, v205
	v_mul_lo_u32 v3, v3, v198
	s_delay_alu instid0(VALU_DEP_3) | instskip(SKIP_4) | instid1(VALU_DEP_3)
	v_add3_u32 v5, v5, v17, v24
	v_mul_i32_i24_e32 v17, v0, v201
	v_mul_i32_i24_e32 v24, v1, v202
	;; [unrolled: 1-line block ×4, first 2 shown]
	v_add3_u32 v5, v5, v17, v24
	v_mul_i32_i24_e32 v17, v18, v204
	v_mul_i32_i24_e32 v24, v99, v207
	s_delay_alu instid0(VALU_DEP_3) | instskip(SKIP_2) | instid1(VALU_DEP_3)
	v_add3_u32 v5, v5, v27, v34
	v_mul_i32_i24_e32 v27, v109, v208
	v_mul_i32_i24_e32 v34, v114, v210
	v_add3_u32 v5, v5, v17, v24
	v_mul_i32_i24_e32 v17, v96, v209
	v_mul_i32_i24_e32 v24, v97, v211
	s_delay_alu instid0(VALU_DEP_3) | instskip(SKIP_2) | instid1(VALU_DEP_3)
	v_add3_u32 v5, v5, v27, v34
	v_mul_i32_i24_e32 v27, v98, v212
	v_mul_i32_i24_e32 v34, v117, v213
	v_add3_u32 v5, v5, v17, v24
	v_mul_i32_i24_e32 v17, v115, v186
	v_mul_i32_i24_e32 v24, v118, v185
	s_delay_alu instid0(VALU_DEP_3) | instskip(SKIP_2) | instid1(VALU_DEP_2)
	v_add3_u32 v5, v5, v27, v34
	v_mul_i32_i24_e32 v34, v101, v182
	v_mul_i32_i24_e32 v27, v100, v184
	v_add3_u32 v17, v35, v34, v17
	s_delay_alu instid0(VALU_DEP_4)
	v_mad_u64_u32 v[34:35], null, v5, v136, v[3:4]
	scratch_load_b32 v136, off, off offset:60 ; 4-byte Folded Reload
	v_add3_u32 v17, v17, v24, v27
	v_mul_i32_i24_e32 v24, v91, v149
	v_mul_i32_i24_e32 v27, v92, v151
	v_cvt_f32_i32_e32 v3, v34
	s_delay_alu instid0(VALU_DEP_4) | instskip(SKIP_1) | instid1(VALU_DEP_2)
	v_cvt_f32_i32_e32 v5, v17
	v_mul_i32_i24_e32 v17, v95, v148
	v_mul_f32_e32 v5, v7, v5
	s_delay_alu instid0(VALU_DEP_1) | instskip(SKIP_2) | instid1(VALU_DEP_2)
	v_fma_mix_f32 v3, v131, v3, -v5 op_sel_hi:[1,0,0]
	v_mul_i32_i24_e32 v5, v94, v145
	s_waitcnt vmcnt(2)
	v_fmac_f32_e32 v6, v4, v3
	v_mul_i32_i24_e32 v3, v93, v144
	s_delay_alu instid0(VALU_DEP_1) | instskip(NEXT) | instid1(VALU_DEP_1)
	v_mad_i32_i24 v3, v88, v129, v3
	v_add3_u32 v3, v3, v5, v17
	v_mul_i32_i24_e32 v5, v89, v146
	v_mul_i32_i24_e32 v17, v90, v147
	s_delay_alu instid0(VALU_DEP_1) | instskip(SKIP_2) | instid1(VALU_DEP_3)
	v_add3_u32 v3, v3, v5, v17
	v_mul_i32_i24_e32 v5, v84, v142
	v_mul_i32_i24_e32 v17, v85, v137
	v_add3_u32 v3, v3, v24, v27
	v_mul_i32_i24_e32 v24, v86, v135
	v_mul_i32_i24_e32 v27, v87, v154
	s_delay_alu instid0(VALU_DEP_3) | instskip(SKIP_2) | instid1(VALU_DEP_3)
	v_add3_u32 v3, v3, v5, v17
	v_mul_i32_i24_e32 v5, v46, v156
	v_mul_i32_i24_e32 v17, v81, v134
	v_add3_u32 v3, v3, v24, v27
	v_mul_i32_i24_e32 v24, v83, v133
	v_mul_i32_i24_e32 v27, v103, v178
	s_delay_alu instid0(VALU_DEP_3) | instskip(SKIP_1) | instid1(VALU_DEP_2)
	v_add3_u32 v2, v3, v2, v5
	v_mul_i32_i24_e32 v5, v113, v163
	v_add3_u32 v2, v2, v17, v24
	v_mul_i32_i24_e32 v17, v116, v166
	v_mul_i32_i24_e32 v24, v102, v179
	s_delay_alu instid0(VALU_DEP_3) | instskip(SKIP_1) | instid1(VALU_DEP_1)
	v_mul_lo_u32 v3, v2, v160
	v_mul_i32_i24_e32 v2, v112, v162
	v_mad_i32_i24 v2, v123, v8, v2
	s_delay_alu instid0(VALU_DEP_1) | instskip(SKIP_2) | instid1(VALU_DEP_3)
	v_add3_u32 v2, v2, v5, v17
	v_mul_i32_i24_e32 v5, v110, v167
	v_mul_i32_i24_e32 v17, v111, v168
	v_add3_u32 v0, v2, v0, v1
	v_mul_i32_i24_e32 v1, v18, v169
	v_mul_i32_i24_e32 v2, v99, v170
	;; [unrolled: 1-line block ×3, first 2 shown]
	s_delay_alu instid0(VALU_DEP_4) | instskip(SKIP_2) | instid1(VALU_DEP_3)
	v_add3_u32 v0, v0, v5, v17
	v_mul_i32_i24_e32 v5, v109, v171
	v_mul_i32_i24_e32 v17, v114, v173
	v_add3_u32 v0, v0, v1, v2
	v_mul_i32_i24_e32 v1, v96, v172
	v_mul_i32_i24_e32 v2, v97, v174
	s_delay_alu instid0(VALU_DEP_3) | instskip(SKIP_2) | instid1(VALU_DEP_3)
	v_add3_u32 v0, v0, v5, v17
	v_mul_i32_i24_e32 v5, v98, v175
	v_mul_i32_i24_e32 v17, v117, v176
	v_add3_u32 v0, v0, v1, v2
	v_mul_i32_i24_e32 v1, v118, v141
	scratch_load_b32 v141, off, off offset:68 ; 4-byte Folded Reload
	v_mul_i32_i24_e32 v2, v100, v140
	s_clause 0x1
	scratch_load_b32 v140, off, off offset:64
	scratch_load_b32 v135, off, off offset:56
	v_add3_u32 v0, v0, v5, v17
	v_mul_i32_i24_e32 v5, v104, v130
	v_mul_i32_i24_e32 v17, v115, v143
	s_delay_alu instid0(VALU_DEP_2) | instskip(NEXT) | instid1(VALU_DEP_1)
	v_mad_i32_i24 v5, v80, v161, v5
	v_add3_u32 v24, v5, v24, v27
	s_delay_alu instid0(VALU_DEP_1) | instskip(SKIP_1) | instid1(VALU_DEP_2)
	v_add3_u32 v5, v24, v18, v17
	v_mad_u64_u32 v[17:18], null, v0, v158, v[3:4]
	v_add3_u32 v1, v5, v1, v2
	s_delay_alu instid0(VALU_DEP_2) | instskip(NEXT) | instid1(VALU_DEP_2)
	v_cvt_f32_i32_e32 v0, v17
	v_cvt_f32_i32_e32 v1, v1
	s_delay_alu instid0(VALU_DEP_1) | instskip(NEXT) | instid1(VALU_DEP_1)
	v_mul_f32_e32 v1, v157, v1
	v_fma_mix_f32 v0, v126, v0, -v1 op_sel_hi:[1,0,0]
	s_delay_alu instid0(VALU_DEP_1)
	v_fmac_f32_e32 v177, v4, v0
	s_cbranch_scc1 .LBB127_10
; %bb.11:                               ;   in Loop: Header=BB127_8 Depth=2
	scratch_load_b32 v0, off, off offset:132 ; 4-byte Folded Reload
	s_waitcnt vmcnt(0)
	s_waitcnt_vscnt null, 0x0
	s_barrier
	buffer_gl0_inv
	v_dual_mov_b32 v249, v12 :: v_dual_mov_b32 v58, v203
	v_mov_b32_e32 v190, v16
	v_mov_b32_e32 v220, v214
	;; [unrolled: 1-line block ×5, first 2 shown]
	s_add_i32 s14, s14, 2
	scratch_load_b64 v[51:52], off, off offset:136 ; 8-byte Folded Reload
	v_mov_b32_e32 v23, v6
	s_lshl_b32 s17, s14, 3
	v_dual_mov_b32 v187, v14 :: v_dual_mov_b32 v128, v105
	v_mov_b32_e32 v59, v191
	v_dual_mov_b32 v134, v127 :: v_dual_mov_b32 v219, v26
	v_mov_b32_e32 v21, v238
	v_lshl_add_u32 v0, s16, 5, v0
	s_delay_alu instid0(VALU_DEP_1) | instskip(NEXT) | instid1(VALU_DEP_1)
	v_lshrrev_b32_e32 v0, 3, v0
	v_add_nc_u32_e32 v4, s12, v0
	scratch_load_b32 v0, off, off offset:128 ; 4-byte Folded Reload
	s_waitcnt vmcnt(0)
	v_lshl_add_u32 v5, s16, 2, v0
	scratch_load_b32 v0, off, off offset:148 ; 4-byte Folded Reload
	s_mov_b32 s16, 0
	v_mad_u64_u32 v[43:44], null, v5, 36, s[2:3]
	scratch_load_b32 v5, off, off offset:204 ; 4-byte Folded Reload
	s_waitcnt vmcnt(1)
	v_add_nc_u32_e32 v2, v4, v0
	scratch_load_b32 v0, off, off offset:156 ; 4-byte Folded Reload
	s_waitcnt vmcnt(0)
	v_add_nc_u32_e32 v17, v4, v0
	scratch_load_b32 v0, off, off offset:164 ; 4-byte Folded Reload
	s_waitcnt vmcnt(0)
	v_add_nc_u32_e32 v24, v4, v0
	scratch_load_b32 v0, off, off offset:172 ; 4-byte Folded Reload
	s_waitcnt vmcnt(0)
	v_add_nc_u32_e32 v27, v4, v0
	scratch_load_b32 v0, off, off offset:180 ; 4-byte Folded Reload
	v_mad_i64_i32 v[34:35], null, v27, 36, v[51:52]
	scratch_load_b32 v27, off, off offset:196 ; 4-byte Folded Reload
	s_waitcnt vmcnt(1)
	v_add_nc_u32_e32 v38, v4, v0
	v_mad_i64_i32 v[0:1], null, v2, 36, v[51:52]
	v_mad_i64_i32 v[2:3], null, v17, 36, v[51:52]
	;; [unrolled: 1-line block ×3, first 2 shown]
	scratch_load_b32 v24, off, off offset:188 ; 4-byte Folded Reload
	s_waitcnt vmcnt(1)
	v_add_nc_u32_e32 v27, v4, v27
	v_mad_i64_i32 v[40:41], null, v38, 36, v[51:52]
	s_delay_alu instid0(VALU_DEP_2) | instskip(SKIP_3) | instid1(VALU_DEP_2)
	v_mad_i64_i32 v[47:48], null, v27, 36, v[51:52]
	s_waitcnt vmcnt(0)
	v_add_nc_u32_e32 v24, v4, v24
	v_add_nc_u32_e32 v4, v4, v5
	v_mad_i64_i32 v[45:46], null, v24, 36, v[51:52]
	s_delay_alu instid0(VALU_DEP_2)
	v_mad_i64_i32 v[49:50], null, v4, 36, v[51:52]
	s_clause 0x8
	global_load_b32 v4, v[43:44], off
	global_load_b32 v2, v[2:3], off offset:4
	global_load_b32 v3, v[17:18], off offset:4
	;; [unrolled: 1-line block ×8, first 2 shown]
	s_clause 0x1
	scratch_load_b32 v124, off, off offset:216
	scratch_load_b32 v125, off, off offset:212
	v_mov_b32_e32 v44, v78
	v_mov_b32_e32 v43, v82
	s_waitcnt vmcnt(10)
	v_cvt_f32_f16_e32 v1, v4
	scratch_load_b32 v4, off, off offset:160 ; 4-byte Folded Reload
	s_waitcnt vmcnt(0)
	ds_store_b32 v4, v2
	scratch_load_b32 v2, off, off offset:168 ; 4-byte Folded Reload
	s_waitcnt vmcnt(0)
	ds_store_b32 v2, v3
	;; [unrolled: 3-line block ×9, first 2 shown]
	s_waitcnt lgkmcnt(0)
	s_barrier
	buffer_gl0_inv
	s_clause 0x5
	scratch_store_b32 off, v11, off offset:36
	scratch_store_b32 off, v181, off offset:40
	;; [unrolled: 1-line block ×6, first 2 shown]
.LBB127_12:                             ;   Parent Loop BB127_6 Depth=1
                                        ;     Parent Loop BB127_8 Depth=2
                                        ; =>    This Inner Loop Header: Depth=3
	s_clause 0x6
	scratch_store_b32 off, v23, off
	scratch_store_b32 off, v44, off offset:4
	scratch_store_b32 off, v134, off offset:16
	scratch_store_b32 off, v128, off offset:12
	scratch_store_b32 off, v43, off offset:8
	scratch_store_b32 off, v59, off offset:92
	scratch_store_b32 off, v177, off offset:80
	ds_load_2addr_b32 v[3:4], v125 offset1:32
	ds_load_b128 v[43:46], v124
	ds_load_b128 v[47:50], v124 offset:16
	s_add_i32 s18, s13, s16
	v_add_nc_u32_e32 v105, s16, v67
	s_add_i32 s20, s18, 8
	s_and_b32 s18, s15, -16
	s_and_b32 s19, s20, 0x3ffffff8
	s_lshr_b32 s20, s20, 2
	s_lshl_b32 s19, s19, 2
	s_and_b32 s20, s20, 0x3ffffffc
	s_add_i32 s15, s15, 2
	v_mov_b32_e32 v78, v58
	v_dual_mov_b32 v246, v190 :: v_dual_mov_b32 v241, v220
	v_dual_mov_b32 v220, v219 :: v_dual_mov_b32 v219, v230
	v_mov_b32_e32 v251, v249
	s_waitcnt lgkmcnt(1)
	v_ashrrev_i32_e32 v87, 24, v43
	v_ashrrev_i32_e32 v91, 24, v44
	v_bfe_i32 v86, v43, 16, 8
	v_bfe_i32 v90, v44, 16, 8
	v_ashrrev_i32_e32 v95, 24, v45
	v_ashrrev_i32_e32 v99, 24, v46
	v_add_nc_u32_e32 v17, v91, v87
	v_bfe_i32 v85, v43, 8, 8
	v_bfe_i32 v89, v44, 8, 8
	;; [unrolled: 1-line block ×4, first 2 shown]
	v_add3_u32 v80, v17, v95, v99
	v_add_nc_u32_e32 v17, v90, v86
	v_bfe_i32 v5, v43, 0, 8
	v_bfe_i32 v88, v44, 0, 8
	;; [unrolled: 1-line block ×4, first 2 shown]
	v_add3_u32 v117, v17, v94, v98
	v_add_nc_u32_e32 v17, v89, v85
	v_bfe_i32 v92, v45, 0, 8
	v_bfe_i32 v96, v46, 0, 8
	s_waitcnt lgkmcnt(0)
	v_bfe_i32 v0, v48, 0, 8
	v_bfe_i32 v104, v48, 8, 8
	v_add3_u32 v118, v17, v93, v97
	v_add_nc_u32_e32 v17, v88, v5
	v_bfe_i32 v107, v48, 16, 8
	v_ashrrev_i32_e32 v108, 24, v48
	v_bfe_i32 v100, v47, 0, 8
	v_bfe_i32 v101, v47, 8, 8
	v_add3_u32 v123, v17, v92, v96
	v_add_nc_u32_e32 v17, s19, v66
	v_bfe_i32 v102, v47, 16, 8
	v_ashrrev_i32_e32 v103, 24, v47
	v_bfe_i32 v109, v49, 0, 8
	v_bfe_i32 v110, v49, 8, 8
	ds_load_2addr_b32 v[34:35], v17 offset1:1
	v_bfe_i32 v111, v49, 16, 8
	v_ashrrev_i32_e32 v112, 24, v49
	v_bfe_i32 v113, v50, 0, 8
	v_bfe_i32 v114, v50, 8, 8
	;; [unrolled: 1-line block ×3, first 2 shown]
	v_ashrrev_i32_e32 v116, 24, v50
	v_add_nc_u32_e32 v1, v108, v103
	s_delay_alu instid0(VALU_DEP_1)
	v_add3_u32 v2, v1, v112, v116
	v_add_nc_u32_e32 v1, v107, v102
	s_waitcnt lgkmcnt(0)
	v_ashrrev_i32_e32 v24, s16, v34
	v_ashrrev_i32_e32 v27, s16, v35
	ds_load_2addr_b32 v[34:35], v17 offset0:2 offset1:3
	v_and_b32_e32 v193, 3, v24
	v_bfe_u32 v60, v24, 8, 2
	v_and_b32_e32 v61, 3, v27
	v_bfe_u32 v198, v24, 16, 2
	v_bfe_u32 v199, v24, 24, 2
	;; [unrolled: 1-line block ×3, first 2 shown]
	v_mul_i32_i24_e32 v43, v60, v85
	v_bfe_u32 v64, v27, 16, 2
	v_mul_i32_i24_e32 v47, v198, v86
	v_mul_i32_i24_e32 v24, v199, v87
	;; [unrolled: 1-line block ×3, first 2 shown]
	v_bfe_u32 v216, v27, 24, 2
	v_mul_i32_i24_e32 v50, v64, v90
	s_delay_alu instid0(VALU_DEP_2)
	v_mul_i32_i24_e32 v27, v216, v91
	s_waitcnt lgkmcnt(0)
	v_ashrrev_i32_e32 v38, s16, v34
	v_ashrrev_i32_e32 v40, s16, v35
	ds_load_2addr_b32 v[34:35], v17 offset0:4 offset1:5
	v_and_b32_e32 v63, 3, v38
	v_and_b32_e32 v66, 3, v40
	v_bfe_u32 v250, v38, 8, 2
	v_bfe_u32 v67, v38, 16, 2
	;; [unrolled: 1-line block ×3, first 2 shown]
	v_mul_i32_i24_e32 v51, v63, v92
	v_mul_i32_i24_e32 v56, v66, v96
	;; [unrolled: 1-line block ×5, first 2 shown]
	v_bfe_u32 v70, v40, 16, 2
	v_bfe_u32 v71, v40, 24, 2
	s_delay_alu instid0(VALU_DEP_2)
	v_mul_i32_i24_e32 v59, v70, v98
	s_waitcnt lgkmcnt(0)
	v_ashrrev_i32_e32 v41, s16, v34
	v_ashrrev_i32_e32 v44, s16, v35
	ds_load_2addr_b32 v[34:35], v17 offset0:6 offset1:7
	scratch_load_b32 v17, off, off offset:124 ; 4-byte Folded Reload
	v_and_b32_e32 v192, 3, v41
	v_bfe_u32 v218, v41, 8, 2
	v_and_b32_e32 v240, 3, v44
	v_bfe_u32 v120, v41, 16, 2
	v_bfe_u32 v76, v41, 24, 2
	;; [unrolled: 1-line block ×5, first 2 shown]
	s_delay_alu instid0(VALU_DEP_4) | instskip(NEXT) | instid1(VALU_DEP_4)
	v_mul_i32_i24_e32 v81, v76, v103
	v_mul_i32_i24_e32 v83, v122, v104
	s_delay_alu instid0(VALU_DEP_4) | instskip(NEXT) | instid1(VALU_DEP_4)
	v_mul_i32_i24_e32 v84, v77, v107
	v_mul_i32_i24_e32 v106, v74, v108
	s_waitcnt lgkmcnt(0)
	v_ashrrev_i32_e32 v45, s16, v34
	v_add_nc_u32_e32 v34, s20, v69
	v_ashrrev_i32_e32 v48, s16, v35
	v_bfe_u32 v69, v40, 8, 2
	v_mul_i32_i24_e32 v40, v71, v99
	v_and_b32_e32 v119, 3, v45
	v_bfe_u32 v75, v45, 8, 2
	v_and_b32_e32 v72, 3, v48
	v_mul_i32_i24_e32 v58, v69, v97
	v_bfe_u32 v73, v45, 16, 2
	v_mul_i32_i24_e32 v126, v119, v109
	v_mul_i32_i24_e32 v127, v75, v110
	;; [unrolled: 1-line block ×3, first 2 shown]
	v_bfe_u32 v243, v45, 24, 2
	v_mul_i32_i24_e32 v128, v73, v111
	v_bfe_u32 v242, v48, 8, 2
	v_bfe_u32 v244, v48, 16, 2
	;; [unrolled: 1-line block ×3, first 2 shown]
	v_mul_i32_i24_e32 v45, v243, v112
	s_delay_alu instid0(VALU_DEP_4) | instskip(NEXT) | instid1(VALU_DEP_4)
	v_mul_i32_i24_e32 v130, v242, v114
	v_mul_i32_i24_e32 v131, v244, v115
	s_delay_alu instid0(VALU_DEP_4)
	v_mul_i32_i24_e32 v48, v255, v116
	s_waitcnt vmcnt(0)
	v_add3_u32 v17, v17, s18, v105
	ds_load_b32 v182, v34
	ds_load_u16 v17, v17
	s_waitcnt lgkmcnt(0)
	v_bfe_u32 v195, v17, 4, 4
	v_lshrrev_b16 v34, 8, v17
	v_and_b32_e32 v217, 15, v17
	s_delay_alu instid0(VALU_DEP_3) | instskip(NEXT) | instid1(VALU_DEP_1)
	v_mul_lo_u32 v35, 0x1010101, v195
	v_bfe_i32 v7, v35, 8, 8
	v_bfe_i32 v121, v35, 16, 8
	v_lshrrev_b32_e32 v39, 24, v35
	v_mul_i32_i24_e32 v35, v193, v5
	s_delay_alu instid0(VALU_DEP_1) | instskip(NEXT) | instid1(VALU_DEP_1)
	v_mad_i32_i24 v35, v61, v88, v35
	v_add3_u32 v35, v35, v51, v43
	v_mul_i32_i24_e32 v51, v218, v101
	s_delay_alu instid0(VALU_DEP_2) | instskip(NEXT) | instid1(VALU_DEP_1)
	v_add3_u32 v24, v35, v47, v24
	v_add3_u32 v24, v24, v56, v49
	v_mul_i32_i24_e32 v49, v192, v100
	s_delay_alu instid0(VALU_DEP_2) | instskip(NEXT) | instid1(VALU_DEP_2)
	v_add3_u32 v24, v24, v50, v27
	v_mad_i32_i24 v49, v240, v0, v49
	s_delay_alu instid0(VALU_DEP_2) | instskip(SKIP_1) | instid1(VALU_DEP_3)
	v_add3_u32 v24, v24, v52, v55
	v_mul_i32_i24_e32 v52, v120, v102
	v_add3_u32 v49, v49, v126, v51
	v_mov_b32_e32 v55, v7
	s_delay_alu instid0(VALU_DEP_4) | instskip(SKIP_1) | instid1(VALU_DEP_4)
	v_add3_u32 v24, v24, v38, v58
	v_mov_b32_e32 v58, v22
	v_add3_u32 v49, v49, v52, v81
	v_add3_u32 v18, v1, v111, v115
	v_add_nc_u32_e32 v1, v104, v101
	v_add3_u32 v24, v24, v59, v40
	v_mul_i32_i24_e32 v52, v80, v39
	v_add3_u32 v49, v49, v129, v83
	v_mul_i32_i24_e32 v81, v117, v121
	v_add3_u32 v46, v1, v110, v114
	v_mul_lo_u32 v17, v24, v217
	v_and_b32_e32 v24, 0xffff, v34
	v_add_nc_u32_e32 v1, v0, v100
	v_add3_u32 v49, v49, v84, v106
	v_mul_i32_i24_e32 v84, v195, v123
	v_mul_i32_i24_e32 v83, v118, v7
	v_lshrrev_b32_e32 v56, 4, v24
	v_add3_u32 v1, v1, v109, v113
	v_add3_u32 v49, v49, v127, v128
	v_and_b32_e32 v227, 15, v24
	v_mov_b32_e32 v59, v187
	v_mul_lo_u32 v27, 0x1010101, v56
	v_mad_i32_i24 v84, v56, v1, v84
	v_add3_u32 v45, v49, v45, v130
	s_delay_alu instid0(VALU_DEP_2) | instskip(NEXT) | instid1(VALU_DEP_2)
	v_add3_u32 v52, v84, v52, v81
	v_add3_u32 v45, v45, v131, v48
	v_lshrrev_b32_e32 v239, 24, v27
	v_bfe_i32 v221, v27, 8, 8
	v_bfe_i32 v224, v27, 16, 8
	s_delay_alu instid0(VALU_DEP_3) | instskip(NEXT) | instid1(VALU_DEP_3)
	v_mul_i32_i24_e32 v48, v2, v239
	v_mul_i32_i24_e32 v51, v46, v221
	s_delay_alu instid0(VALU_DEP_3) | instskip(NEXT) | instid1(VALU_DEP_3)
	v_mul_i32_i24_e32 v49, v18, v224
	v_add3_u32 v48, v52, v83, v48
	s_delay_alu instid0(VALU_DEP_1) | instskip(SKIP_2) | instid1(VALU_DEP_3)
	v_add3_u32 v51, v48, v49, v51
	v_mad_u64_u32 v[48:49], null, v45, v227, v[17:18]
	v_lshrrev_b32_e32 v17, 16, v182
	v_cvt_f32_i32_e32 v24, v51
	s_delay_alu instid0(VALU_DEP_2) | instskip(NEXT) | instid1(VALU_DEP_4)
	v_cvt_f32_f16_e64 v228, v17
	v_cvt_f32_i32_e32 v17, v48
	s_delay_alu instid0(VALU_DEP_2) | instskip(NEXT) | instid1(VALU_DEP_1)
	v_mul_f32_e32 v24, v228, v24
	v_fma_mix_f32 v17, v182, v17, -v24 op_sel_hi:[1,0,0]
	s_delay_alu instid0(VALU_DEP_1) | instskip(NEXT) | instid1(VALU_DEP_1)
	v_dual_fmac_f32 v194, v3, v17 :: v_dual_add_nc_u32 v17, s19, v135
	v_mov_b32_e32 v211, v194
	ds_load_2addr_b32 v[48:49], v17 offset1:1
	s_waitcnt lgkmcnt(0)
	v_ashrrev_i32_e32 v24, s16, v48
	v_ashrrev_i32_e32 v45, s16, v49
	ds_load_2addr_b32 v[48:49], v17 offset0:2 offset1:3
	v_and_b32_e32 v231, 3, v24
	v_bfe_u32 v229, v24, 8, 2
	v_and_b32_e32 v233, 3, v45
	v_bfe_u32 v232, v24, 16, 2
	v_bfe_u32 v79, v24, 24, 2
	;; [unrolled: 1-line block ×3, first 2 shown]
	v_mul_i32_i24_e32 v126, v229, v85
	v_bfe_u32 v236, v45, 16, 2
	v_mul_i32_i24_e32 v127, v232, v86
	v_mul_i32_i24_e32 v24, v79, v87
	;; [unrolled: 1-line block ×3, first 2 shown]
	v_bfe_u32 v238, v45, 24, 2
	v_mul_i32_i24_e32 v129, v236, v90
	s_delay_alu instid0(VALU_DEP_2)
	v_mul_i32_i24_e32 v45, v238, v91
	s_waitcnt lgkmcnt(0)
	v_ashrrev_i32_e32 v51, s16, v48
	v_ashrrev_i32_e32 v52, s16, v49
	ds_load_2addr_b32 v[48:49], v17 offset0:4 offset1:5
	v_and_b32_e32 v237, 3, v51
	v_and_b32_e32 v35, 3, v52
	v_bfe_u32 v245, v51, 8, 2
	v_bfe_u32 v34, v51, 16, 2
	v_bfe_u32 v147, v51, 24, 2
	v_mul_i32_i24_e32 v130, v237, v92
	v_mul_i32_i24_e32 v133, v35, v96
	;; [unrolled: 1-line block ×4, first 2 shown]
	v_bfe_u32 v38, v52, 8, 2
	v_mul_i32_i24_e32 v51, v147, v95
	v_bfe_u32 v40, v52, 16, 2
	v_bfe_u32 v41, v52, 24, 2
	s_delay_alu instid0(VALU_DEP_4) | instskip(NEXT) | instid1(VALU_DEP_3)
	v_mul_i32_i24_e32 v134, v38, v97
	v_mul_i32_i24_e32 v135, v40, v98
	s_waitcnt lgkmcnt(0)
	v_ashrrev_i32_e32 v83, s16, v48
	v_ashrrev_i32_e32 v84, s16, v49
	ds_load_2addr_b32 v[48:49], v17 offset0:6 offset1:7
	scratch_load_b32 v17, off, off offset:120 ; 4-byte Folded Reload
	v_mul_i32_i24_e32 v52, v41, v99
	v_and_b32_e32 v148, 3, v83
	v_bfe_u32 v44, v83, 8, 2
	v_and_b32_e32 v185, 3, v84
	v_bfe_u32 v149, v83, 16, 2
	v_bfe_u32 v157, v83, 24, 2
	;; [unrolled: 1-line block ×4, first 2 shown]
	s_delay_alu instid0(VALU_DEP_3) | instskip(SKIP_4) | instid1(VALU_DEP_3)
	v_mul_i32_i24_e32 v83, v157, v103
	s_waitcnt lgkmcnt(0)
	v_ashrrev_i32_e32 v106, s16, v49
	v_add_nc_u32_e32 v49, s20, v136
	v_ashrrev_i32_e32 v48, s16, v48
	v_bfe_u32 v53, v106, 16, 2
	v_bfe_u32 v54, v106, 24, 2
	s_delay_alu instid0(VALU_DEP_3) | instskip(SKIP_1) | instid1(VALU_DEP_4)
	v_bfe_u32 v50, v48, 8, 2
	v_bfe_u32 v161, v48, 24, 2
	v_mul_i32_i24_e32 v139, v53, v115
	s_waitcnt vmcnt(0)
	v_add3_u32 v17, v17, s18, v105
	ds_load_b32 v138, v49
	ds_load_u16 v17, v17
	s_waitcnt lgkmcnt(0)
	v_bfe_u32 v151, v17, 4, 4
	v_lshrrev_b16 v49, 8, v17
	v_and_b32_e32 v43, 15, v17
	s_delay_alu instid0(VALU_DEP_3) | instskip(NEXT) | instid1(VALU_DEP_1)
	v_mul_lo_u32 v81, 0x1010101, v151
	v_bfe_i32 v6, v81, 8, 8
	v_bfe_i32 v155, v81, 16, 8
	v_lshrrev_b32_e32 v14, 24, v81
	v_mul_i32_i24_e32 v81, v231, v5
	s_delay_alu instid0(VALU_DEP_4) | instskip(NEXT) | instid1(VALU_DEP_2)
	v_mov_b32_e32 v230, v6
	v_mad_i32_i24 v81, v233, v88, v81
	s_delay_alu instid0(VALU_DEP_1) | instskip(SKIP_2) | instid1(VALU_DEP_3)
	v_add3_u32 v81, v81, v130, v126
	v_and_b32_e32 v126, 0xffff, v49
	v_and_b32_e32 v49, 3, v48
	v_add3_u32 v24, v81, v127, v24
	v_mul_i32_i24_e32 v127, v148, v100
	s_delay_alu instid0(VALU_DEP_4) | instskip(SKIP_1) | instid1(VALU_DEP_4)
	v_lshrrev_b32_e32 v226, 4, v126
	v_and_b32_e32 v15, 15, v126
	v_add3_u32 v24, v24, v133, v128
	v_mul_i32_i24_e32 v128, v44, v101
	v_mad_i32_i24 v127, v185, v0, v127
	v_mul_i32_i24_e32 v133, v50, v110
	v_mul_lo_u32 v17, 0x1010101, v226
	v_add3_u32 v24, v24, v129, v45
	v_mul_i32_i24_e32 v129, v149, v102
	v_bfe_u32 v45, v84, 8, 2
	v_mul_i32_i24_e32 v84, v158, v108
	s_delay_alu instid0(VALU_DEP_4) | instskip(SKIP_1) | instid1(VALU_DEP_4)
	v_add3_u32 v24, v24, v131, v132
	v_mul_i32_i24_e32 v132, v49, v109
	v_mul_i32_i24_e32 v130, v45, v104
	;; [unrolled: 1-line block ×3, first 2 shown]
	v_lshrrev_b32_e32 v184, 24, v17
	v_add3_u32 v24, v24, v51, v134
	v_bfe_u32 v51, v48, 16, 2
	v_and_b32_e32 v48, 3, v106
	v_add3_u32 v127, v127, v132, v128
	v_mul_i32_i24_e32 v128, v80, v14
	v_add3_u32 v24, v24, v135, v52
	v_mul_i32_i24_e32 v134, v51, v111
	v_mul_i32_i24_e32 v136, v48, v113
	v_add3_u32 v83, v127, v129, v83
	v_bfe_u32 v52, v106, 8, 2
	v_mul_i32_i24_e32 v135, v161, v112
	v_mul_i32_i24_e32 v106, v54, v116
	;; [unrolled: 1-line block ×3, first 2 shown]
	v_add3_u32 v83, v83, v136, v130
	v_mul_i32_i24_e32 v137, v52, v114
	v_bfe_i32 v165, v17, 8, 8
	v_bfe_i32 v169, v17, 16, 8
	v_mul_i32_i24_e32 v130, v118, v6
	v_add3_u32 v83, v83, v131, v84
	v_mul_i32_i24_e32 v131, v151, v123
	v_mul_lo_u32 v81, v24, v43
	v_mul_i32_i24_e32 v84, v18, v169
	v_mul_i32_i24_e32 v127, v46, v165
	v_add3_u32 v83, v83, v133, v134
	v_mad_i32_i24 v131, v226, v1, v131
	s_delay_alu instid0(VALU_DEP_2) | instskip(NEXT) | instid1(VALU_DEP_2)
	v_add3_u32 v83, v83, v135, v137
	v_add3_u32 v128, v131, v128, v129
	v_add_nc_u32_e32 v131, s20, v141
	s_delay_alu instid0(VALU_DEP_3) | instskip(SKIP_1) | instid1(VALU_DEP_1)
	v_add3_u32 v106, v83, v139, v106
	v_mul_i32_i24_e32 v83, v2, v184
	v_add3_u32 v83, v128, v130, v83
	s_delay_alu instid0(VALU_DEP_1) | instskip(NEXT) | instid1(VALU_DEP_4)
	v_add3_u32 v127, v83, v84, v127
	v_mad_u64_u32 v[83:84], null, v106, v15, v[81:82]
	v_lshrrev_b32_e32 v81, 16, v138
	s_delay_alu instid0(VALU_DEP_1) | instskip(NEXT) | instid1(VALU_DEP_3)
	v_cvt_f32_f16_e32 v19, v81
	v_cvt_f32_i32_e32 v81, v83
	v_cvt_f32_i32_e32 v83, v127
	s_delay_alu instid0(VALU_DEP_1) | instskip(NEXT) | instid1(VALU_DEP_1)
	v_mul_f32_e32 v83, v19, v83
	v_fma_mix_f32 v81, v138, v81, -v83 op_sel_hi:[1,0,0]
	s_delay_alu instid0(VALU_DEP_1)
	v_fmac_f32_e32 v21, v3, v81
	v_add_nc_u32_e32 v81, s19, v140
	scratch_store_b32 off, v21, off offset:88 ; 4-byte Folded Spill
	ds_load_2addr_b32 v[83:84], v81 offset1:1
	s_waitcnt lgkmcnt(0)
	v_ashrrev_i32_e32 v106, s16, v83
	v_ashrrev_i32_e32 v126, s16, v84
	ds_load_2addr_b32 v[83:84], v81 offset0:2 offset1:3
	v_and_b32_e32 v188, 3, v106
	v_bfe_u32 v8, v106, 8, 2
	v_and_b32_e32 v9, 3, v126
	v_bfe_u32 v189, v106, 16, 2
	v_bfe_u32 v191, v106, 24, 2
	v_mul_i32_i24_e32 v135, v188, v5
	v_mul_i32_i24_e32 v136, v8, v85
	v_bfe_u32 v10, v126, 8, 2
	v_mul_i32_i24_e32 v137, v189, v86
	v_mul_i32_i24_e32 v106, v191, v87
	v_mad_i32_i24 v135, v9, v88, v135
	v_bfe_u32 v252, v126, 16, 2
	v_mul_i32_i24_e32 v139, v10, v89
	v_bfe_u32 v196, v126, 24, 2
	v_mov_b32_e32 v247, v8
	s_delay_alu instid0(VALU_DEP_4)
	v_mul_i32_i24_e32 v140, v252, v90
	s_waitcnt lgkmcnt(0)
	v_ashrrev_i32_e32 v127, s16, v83
	v_ashrrev_i32_e32 v128, s16, v84
	ds_load_2addr_b32 v[83:84], v81 offset0:4 offset1:5
	v_mul_i32_i24_e32 v126, v196, v91
	v_and_b32_e32 v253, 3, v127
	v_and_b32_e32 v248, 3, v128
	v_bfe_u32 v82, v127, 8, 2
	v_bfe_u32 v254, v127, 16, 2
	;; [unrolled: 1-line block ×3, first 2 shown]
	v_mul_i32_i24_e32 v141, v253, v92
	v_mul_i32_i24_e32 v144, v248, v96
	;; [unrolled: 1-line block ×4, first 2 shown]
	v_bfe_u32 v20, v128, 8, 2
	v_add3_u32 v135, v135, v141, v136
	v_mul_i32_i24_e32 v127, v200, v95
	v_bfe_u32 v21, v128, 16, 2
	v_bfe_u32 v22, v128, 24, 2
	v_mul_i32_i24_e32 v145, v20, v97
	v_add3_u32 v106, v135, v137, v106
	s_waitcnt lgkmcnt(0)
	v_ashrrev_i32_e32 v129, s16, v83
	v_ashrrev_i32_e32 v130, s16, v84
	ds_load_2addr_b32 v[83:84], v81 offset0:6 offset1:7
	scratch_load_b32 v81, off, off offset:116 ; 4-byte Folded Reload
	v_add3_u32 v106, v106, v144, v139
	v_mul_i32_i24_e32 v146, v21, v98
	v_mul_i32_i24_e32 v128, v22, v99
	v_and_b32_e32 v210, 3, v129
	v_bfe_u32 v209, v129, 8, 2
	v_add3_u32 v106, v106, v140, v126
	v_and_b32_e32 v152, 3, v130
	v_bfe_u32 v213, v129, 16, 2
	v_bfe_u32 v28, v129, 24, 2
	;; [unrolled: 1-line block ×3, first 2 shown]
	v_add3_u32 v106, v106, v142, v143
	v_bfe_u32 v214, v130, 16, 2
	v_bfe_u32 v26, v130, 24, 2
	v_mul_i32_i24_e32 v129, v28, v103
	v_mov_b32_e32 v29, v152
	v_add3_u32 v106, v106, v127, v145
	v_mul_i32_i24_e32 v127, v209, v101
	v_mul_i32_i24_e32 v135, v214, v107
	s_waitcnt lgkmcnt(0)
	v_ashrrev_i32_e32 v83, s16, v83
	v_ashrrev_i32_e32 v84, s16, v84
	v_add3_u32 v106, v106, v146, v128
	v_mul_i32_i24_e32 v128, v213, v102
	v_mul_i32_i24_e32 v130, v26, v108
	v_and_b32_e32 v225, 3, v83
	v_and_b32_e32 v57, 3, v84
	v_bfe_u32 v42, v83, 8, 2
	v_bfe_u32 v222, v83, 16, 2
	;; [unrolled: 1-line block ×3, first 2 shown]
	v_mul_i32_i24_e32 v136, v225, v109
	v_mul_i32_i24_e32 v140, v57, v113
	;; [unrolled: 1-line block ×4, first 2 shown]
	v_bfe_u32 v146, v84, 8, 2
	v_mul_i32_i24_e32 v83, v145, v112
	v_bfe_u32 v144, v84, 16, 2
	v_bfe_u32 v143, v84, 24, 2
	v_mov_b32_e32 v68, v29
	v_mul_i32_i24_e32 v141, v146, v114
	v_mov_b32_e32 v29, v26
	v_mul_i32_i24_e32 v142, v144, v115
	v_mul_i32_i24_e32 v84, v143, v116
	v_dual_mov_b32 v26, v225 :: v_dual_mov_b32 v225, v227
	v_mov_b32_e32 v27, v68
	s_waitcnt vmcnt(0)
	v_add3_u32 v81, v81, s18, v105
	ds_load_b32 v131, v131
	ds_load_u16 v81, v81
	s_waitcnt lgkmcnt(0)
	v_lshrrev_b16 v134, 8, v81
	v_and_b32_e32 v208, 15, v81
	v_bfe_u32 v132, v81, 4, 4
	s_delay_alu instid0(VALU_DEP_2) | instskip(NEXT) | instid1(VALU_DEP_4)
	v_mul_lo_u32 v81, v106, v208
	v_and_b32_e32 v106, 0xffff, v134
	v_mul_i32_i24_e32 v134, v212, v104
	s_delay_alu instid0(VALU_DEP_4) | instskip(NEXT) | instid1(VALU_DEP_3)
	v_mul_lo_u32 v133, 0x1010101, v132
	v_lshrrev_b32_e32 v183, 4, v106
	v_and_b32_e32 v235, 15, v106
	s_delay_alu instid0(VALU_DEP_2) | instskip(NEXT) | instid1(VALU_DEP_4)
	v_mul_lo_u32 v126, 0x1010101, v183
	v_bfe_i32 v204, v133, 8, 8
	v_bfe_i32 v7, v133, 16, 8
	v_lshrrev_b32_e32 v133, 24, v133
	s_delay_alu instid0(VALU_DEP_4) | instskip(SKIP_3) | instid1(VALU_DEP_1)
	v_bfe_i32 v23, v126, 8, 8
	v_bfe_i32 v24, v126, 16, 8
	v_lshrrev_b32_e32 v25, 24, v126
	v_mul_i32_i24_e32 v126, v210, v100
	v_mad_i32_i24 v126, v152, v0, v126
	s_delay_alu instid0(VALU_DEP_1) | instskip(SKIP_1) | instid1(VALU_DEP_2)
	v_add3_u32 v126, v126, v136, v127
	v_mul_i32_i24_e32 v127, v46, v23
	v_add3_u32 v126, v126, v128, v129
	v_mul_i32_i24_e32 v128, v80, v133
	v_mul_i32_i24_e32 v129, v117, v7
	s_delay_alu instid0(VALU_DEP_3) | instskip(SKIP_1) | instid1(VALU_DEP_2)
	v_add3_u32 v126, v126, v140, v134
	v_mul_i32_i24_e32 v134, v132, v123
	v_add3_u32 v126, v126, v135, v130
	s_delay_alu instid0(VALU_DEP_2) | instskip(SKIP_1) | instid1(VALU_DEP_3)
	v_mad_i32_i24 v134, v183, v1, v134
	v_mul_i32_i24_e32 v130, v118, v204
	v_add3_u32 v126, v126, v137, v139
	s_delay_alu instid0(VALU_DEP_3) | instskip(NEXT) | instid1(VALU_DEP_2)
	v_add3_u32 v128, v134, v128, v129
	v_add3_u32 v83, v126, v83, v141
	s_delay_alu instid0(VALU_DEP_1) | instskip(SKIP_2) | instid1(VALU_DEP_2)
	v_add3_u32 v126, v83, v142, v84
	v_mul_i32_i24_e32 v83, v2, v25
	v_mul_i32_i24_e32 v84, v18, v24
	v_add3_u32 v83, v128, v130, v83
	s_delay_alu instid0(VALU_DEP_1) | instskip(SKIP_2) | instid1(VALU_DEP_1)
	v_add3_u32 v127, v83, v84, v127
	v_mad_u64_u32 v[83:84], null, v126, v235, v[81:82]
	v_lshrrev_b32_e32 v81, 16, v131
	v_cvt_f32_f16_e64 v162, v81
	s_delay_alu instid0(VALU_DEP_3) | instskip(SKIP_1) | instid1(VALU_DEP_1)
	v_cvt_f32_i32_e32 v81, v83
	v_cvt_f32_i32_e32 v83, v127
	v_mul_f32_e32 v83, v162, v83
	s_delay_alu instid0(VALU_DEP_1) | instskip(NEXT) | instid1(VALU_DEP_1)
	v_fma_mix_f32 v81, v131, v81, -v83 op_sel_hi:[1,0,0]
	v_dual_fmac_f32 v154, v3, v81 :: v_dual_add_nc_u32 v81, s19, v150
	scratch_store_b32 off, v154, off offset:84 ; 4-byte Folded Spill
	ds_load_2addr_b32 v[83:84], v81 offset1:1
	s_waitcnt lgkmcnt(0)
	v_ashrrev_i32_e32 v106, s16, v83
	v_ashrrev_i32_e32 v127, s16, v84
	ds_load_2addr_b32 v[83:84], v81 offset0:2 offset1:3
	v_bfe_u32 v163, v106, 8, 2
	v_bfe_u32 v164, v106, 16, 2
	;; [unrolled: 1-line block ×3, first 2 shown]
	v_and_b32_e32 v166, 3, v127
	v_bfe_u32 v129, v127, 16, 2
	v_bfe_u32 v170, v127, 24, 2
	v_mul_i32_i24_e32 v85, v163, v85
	v_mul_i32_i24_e32 v86, v164, v86
	;; [unrolled: 1-line block ×5, first 2 shown]
	s_waitcnt lgkmcnt(0)
	v_ashrrev_i32_e32 v128, s16, v83
	v_ashrrev_i32_e32 v139, s16, v84
	ds_load_2addr_b32 v[83:84], v81 offset0:4 offset1:5
	v_bfe_u32 v135, v128, 8, 2
	v_and_b32_e32 v171, 3, v139
	v_bfe_u32 v137, v128, 16, 2
	v_bfe_u32 v172, v128, 24, 2
	;; [unrolled: 1-line block ×3, first 2 shown]
	v_mul_i32_i24_e32 v93, v135, v93
	v_mul_i32_i24_e32 v96, v171, v96
	;; [unrolled: 1-line block ×5, first 2 shown]
	v_bfe_u32 v175, v139, 16, 2
	v_bfe_u32 v176, v139, 24, 2
	s_delay_alu instid0(VALU_DEP_2) | instskip(NEXT) | instid1(VALU_DEP_2)
	v_mul_i32_i24_e32 v98, v175, v98
	v_mul_i32_i24_e32 v99, v176, v99
	s_waitcnt lgkmcnt(0)
	v_ashrrev_i32_e32 v150, s16, v83
	v_ashrrev_i32_e32 v152, s16, v84
	ds_load_2addr_b32 v[83:84], v81 offset0:6 offset1:7
	scratch_load_b32 v81, off, off offset:112 ; 4-byte Folded Reload
	v_and_b32_e32 v6, 3, v150
	v_bfe_u32 v206, v150, 8, 2
	v_and_b32_e32 v181, 3, v152
	v_bfe_u32 v178, v150, 16, 2
	v_bfe_u32 v179, v150, 24, 2
	v_mov_b32_e32 v187, v6
	v_bfe_u32 v202, v152, 8, 2
	v_bfe_u32 v201, v152, 16, 2
	;; [unrolled: 1-line block ×3, first 2 shown]
	s_delay_alu instid0(VALU_DEP_2) | instskip(NEXT) | instid1(VALU_DEP_2)
	v_mov_b32_e32 v11, v201
	v_mov_b32_e32 v13, v197
	s_waitcnt lgkmcnt(0)
	v_ashrrev_i32_e32 v83, s16, v83
	v_ashrrev_i32_e32 v84, s16, v84
	s_add_i32 s16, s16, 2
	s_delay_alu instid0(VALU_DEP_2) | instskip(NEXT) | instid1(VALU_DEP_2)
	v_bfe_u32 v203, v83, 8, 2
	v_and_b32_e32 v207, 3, v84
	v_bfe_u32 v186, v83, 16, 2
	v_bfe_u32 v142, v83, 24, 2
	;; [unrolled: 1-line block ×3, first 2 shown]
	v_mov_b32_e32 v16, v203
	s_waitcnt vmcnt(0)
	v_add3_u32 v81, v81, s18, v105
	v_add_nc_u32_e32 v105, s20, v153
	ds_load_b32 v126, v105
	ds_load_u16 v81, v81
	s_add_i32 s18, s13, s16
	s_delay_alu instid0(SALU_CYCLE_1) | instskip(NEXT) | instid1(SALU_CYCLE_1)
	s_add_i32 s18, s18, 8
	s_cmp_lt_u32 s18, s17
	s_waitcnt lgkmcnt(0)
	v_bfe_u32 v130, v81, 4, 4
	v_lshrrev_b16 v140, 8, v81
	v_and_b32_e32 v177, 15, v81
	s_delay_alu instid0(VALU_DEP_3) | instskip(NEXT) | instid1(VALU_DEP_1)
	v_mul_lo_u32 v105, 0x1010101, v130
	v_bfe_i32 v167, v105, 8, 8
	v_bfe_i32 v174, v105, 16, 8
	v_lshrrev_b32_e32 v160, 24, v105
	v_and_b32_e32 v105, 3, v106
	v_bfe_u32 v106, v127, 8, 2
	v_and_b32_e32 v127, 3, v128
	s_delay_alu instid0(VALU_DEP_3) | instskip(NEXT) | instid1(VALU_DEP_3)
	v_mul_i32_i24_e32 v141, v105, v5
	v_mul_i32_i24_e32 v89, v106, v89
	s_delay_alu instid0(VALU_DEP_3) | instskip(NEXT) | instid1(VALU_DEP_3)
	v_mul_i32_i24_e32 v92, v127, v92
	v_mad_i32_i24 v88, v166, v88, v141
	v_bfe_u32 v141, v84, 16, 2
	s_delay_alu instid0(VALU_DEP_2) | instskip(SKIP_2) | instid1(VALU_DEP_3)
	v_add3_u32 v85, v88, v92, v85
	v_mul_i32_i24_e32 v88, v178, v102
	v_mul_i32_i24_e32 v92, v197, v108
	v_add3_u32 v85, v85, v86, v87
	v_mul_i32_i24_e32 v87, v206, v101
	s_delay_alu instid0(VALU_DEP_2) | instskip(SKIP_2) | instid1(VALU_DEP_3)
	v_add3_u32 v85, v85, v96, v89
	v_mul_i32_i24_e32 v89, v179, v103
	v_mul_i32_i24_e32 v96, v207, v113
	v_add3_u32 v85, v85, v90, v91
	v_mul_i32_i24_e32 v90, v202, v104
	v_mul_i32_i24_e32 v91, v201, v107
	s_delay_alu instid0(VALU_DEP_3) | instskip(SKIP_1) | instid1(VALU_DEP_2)
	v_add3_u32 v85, v85, v93, v94
	v_mul_i32_i24_e32 v94, v203, v110
	v_add3_u32 v85, v85, v95, v97
	v_mul_i32_i24_e32 v95, v186, v111
	v_mul_i32_i24_e32 v97, v223, v114
	s_delay_alu instid0(VALU_DEP_3) | instskip(SKIP_1) | instid1(VALU_DEP_2)
	v_add3_u32 v85, v85, v98, v99
	v_mul_i32_i24_e32 v98, v141, v115
	v_mul_lo_u32 v81, v85, v177
	v_and_b32_e32 v85, 0xffff, v140
	v_bfe_u32 v140, v84, 24, 2
	s_delay_alu instid0(VALU_DEP_2) | instskip(NEXT) | instid1(VALU_DEP_2)
	v_lshrrev_b32_e32 v139, 4, v85
	v_mul_i32_i24_e32 v84, v140, v116
	v_and_b32_e32 v159, 15, v85
	s_delay_alu instid0(VALU_DEP_3) | instskip(NEXT) | instid1(VALU_DEP_1)
	v_mul_lo_u32 v86, 0x1010101, v139
	v_bfe_i32 v5, v86, 8, 8
	v_bfe_i32 v99, v86, 16, 8
	v_lshrrev_b32_e32 v180, 24, v86
	v_mul_i32_i24_e32 v86, v6, v100
	v_and_b32_e32 v6, 3, v83
	v_mul_i32_i24_e32 v83, v142, v112
	v_mov_b32_e32 v190, v99
	s_delay_alu instid0(VALU_DEP_4) | instskip(NEXT) | instid1(VALU_DEP_4)
	v_mad_i32_i24 v0, v181, v0, v86
	v_mul_i32_i24_e32 v93, v6, v109
	v_mul_i32_i24_e32 v86, v130, v123
	v_mov_b32_e32 v194, v6
	v_mov_b32_e32 v6, v5
	s_delay_alu instid0(VALU_DEP_4) | instskip(NEXT) | instid1(VALU_DEP_4)
	v_add3_u32 v0, v0, v93, v87
	v_mad_i32_i24 v1, v139, v1, v86
	s_delay_alu instid0(VALU_DEP_4) | instskip(NEXT) | instid1(VALU_DEP_3)
	v_mov_b32_e32 v12, v194
	v_add3_u32 v0, v0, v88, v89
	s_delay_alu instid0(VALU_DEP_1) | instskip(NEXT) | instid1(VALU_DEP_1)
	v_add3_u32 v0, v0, v96, v90
	v_add3_u32 v0, v0, v91, v92
	s_delay_alu instid0(VALU_DEP_1) | instskip(NEXT) | instid1(VALU_DEP_1)
	v_add3_u32 v0, v0, v94, v95
	v_add3_u32 v0, v0, v83, v97
	s_delay_alu instid0(VALU_DEP_1)
	v_add3_u32 v83, v0, v98, v84
	v_mul_i32_i24_e32 v0, v2, v180
	v_mul_i32_i24_e32 v2, v18, v99
	;; [unrolled: 1-line block ×6, first 2 shown]
	s_delay_alu instid0(VALU_DEP_2) | instskip(NEXT) | instid1(VALU_DEP_1)
	v_add3_u32 v1, v1, v46, v80
	v_add3_u32 v0, v1, v84, v0
	s_delay_alu instid0(VALU_DEP_1) | instskip(SKIP_2) | instid1(VALU_DEP_1)
	v_add3_u32 v2, v0, v2, v18
	v_mad_u64_u32 v[0:1], null, v83, v159, v[81:82]
	v_lshrrev_b32_e32 v1, 16, v126
	v_cvt_f32_f16_e32 v5, v1
	s_delay_alu instid0(VALU_DEP_4) | instskip(NEXT) | instid1(VALU_DEP_4)
	v_cvt_f32_i32_e32 v1, v2
	v_cvt_f32_i32_e32 v0, v0
	s_delay_alu instid0(VALU_DEP_2) | instskip(NEXT) | instid1(VALU_DEP_1)
	v_mul_f32_e32 v1, v5, v1
	v_fma_mix_f32 v0, v126, v0, -v1 op_sel_hi:[1,0,0]
	s_delay_alu instid0(VALU_DEP_1)
	v_fmac_f32_e32 v156, v3, v0
	ds_load_b128 v[0:3], v124 offset:1024
	v_dual_mov_b32 v136, v156 :: v_dual_mov_b32 v249, v63
	s_waitcnt lgkmcnt(0)
	v_bfe_i32 v18, v0, 0, 8
	v_bfe_i32 v46, v0, 8, 8
	v_bfe_i32 v80, v0, 16, 8
	v_ashrrev_i32_e32 v81, 24, v0
	v_bfe_i32 v83, v1, 0, 8
	v_bfe_i32 v84, v1, 8, 8
	v_bfe_i32 v85, v1, 16, 8
	v_ashrrev_i32_e32 v86, 24, v1
	;; [unrolled: 4-line block ×4, first 2 shown]
	ds_load_b128 v[0:3], v124 offset:1040
	v_mul_i32_i24_e32 v150, v85, v64
	v_mul_i32_i24_e32 v152, v86, v216
	s_waitcnt lgkmcnt(0)
	v_ashrrev_i32_e32 v98, 24, v0
	v_ashrrev_i32_e32 v102, 24, v1
	v_bfe_i32 v95, v0, 0, 8
	v_bfe_i32 v96, v0, 8, 8
	;; [unrolled: 1-line block ×4, first 2 shown]
	v_ashrrev_i32_e32 v108, 24, v2
	v_bfe_i32 v109, v3, 0, 8
	v_bfe_i32 v110, v3, 8, 8
	;; [unrolled: 1-line block ×3, first 2 shown]
	v_ashrrev_i32_e32 v3, 24, v3
	v_add_nc_u32_e32 v0, v102, v98
	v_bfe_i32 v100, v1, 8, 8
	v_bfe_i32 v107, v2, 16, 8
	;; [unrolled: 1-line block ×4, first 2 shown]
	v_add3_u32 v112, v0, v108, v3
	v_add_nc_u32_e32 v0, v101, v97
	v_bfe_i32 v103, v2, 0, 8
	v_mul_i32_i24_e32 v1, v80, v198
	v_mul_i32_i24_e32 v2, v81, v199
	v_mul_i32_i24_e32 v153, v102, v74
	v_add3_u32 v113, v0, v107, v111
	v_add_nc_u32_e32 v0, v100, v96
	s_delay_alu instid0(VALU_DEP_1) | instskip(SKIP_1) | instid1(VALU_DEP_1)
	v_add3_u32 v114, v0, v104, v110
	v_add_nc_u32_e32 v0, v99, v95
	v_add3_u32 v115, v0, v103, v109
	v_add_nc_u32_e32 v0, v86, v81
	s_delay_alu instid0(VALU_DEP_1) | instskip(SKIP_1) | instid1(VALU_DEP_1)
	v_add3_u32 v116, v0, v90, v94
	v_add_nc_u32_e32 v0, v85, v80
	v_add3_u32 v117, v0, v89, v93
	v_add_nc_u32_e32 v0, v84, v46
	s_delay_alu instid0(VALU_DEP_2) | instskip(NEXT) | instid1(VALU_DEP_2)
	v_mul_i32_i24_e32 v154, v117, v121
	v_add3_u32 v118, v0, v88, v92
	v_add_nc_u32_e32 v0, v83, v18
	s_delay_alu instid0(VALU_DEP_2) | instskip(NEXT) | instid1(VALU_DEP_2)
	v_mul_i32_i24_e32 v156, v118, v55
	v_add3_u32 v123, v0, v87, v91
	v_mul_i32_i24_e32 v0, v18, v193
	s_delay_alu instid0(VALU_DEP_2) | instskip(NEXT) | instid1(VALU_DEP_2)
	v_mul_i32_i24_e32 v128, v123, v195
	v_mad_i32_i24 v0, v46, v60, v0
	s_delay_alu instid0(VALU_DEP_2) | instskip(NEXT) | instid1(VALU_DEP_2)
	v_mad_i32_i24 v128, v116, v39, v128
	v_add3_u32 v0, v0, v1, v2
	v_mul_i32_i24_e32 v1, v83, v61
	v_mul_i32_i24_e32 v2, v84, v62
	s_delay_alu instid0(VALU_DEP_4) | instskip(SKIP_2) | instid1(VALU_DEP_4)
	v_add3_u32 v128, v128, v154, v156
	v_mul_i32_i24_e32 v156, v123, v151
	v_mul_i32_i24_e32 v154, v118, v230
	v_add3_u32 v0, v0, v1, v2
	v_mul_i32_i24_e32 v1, v87, v63
	v_mul_i32_i24_e32 v2, v88, v250
	v_mad_i32_i24 v156, v116, v14, v156
	s_delay_alu instid0(VALU_DEP_4) | instskip(SKIP_2) | instid1(VALU_DEP_3)
	v_add3_u32 v0, v0, v150, v152
	v_mul_i32_i24_e32 v150, v89, v67
	v_mul_i32_i24_e32 v152, v90, v205
	v_add3_u32 v0, v0, v1, v2
	v_mul_i32_i24_e32 v1, v91, v66
	v_mul_i32_i24_e32 v2, v92, v69
	s_delay_alu instid0(VALU_DEP_3) | instskip(SKIP_2) | instid1(VALU_DEP_3)
	v_add3_u32 v0, v0, v150, v152
	v_mul_i32_i24_e32 v150, v93, v70
	v_mul_i32_i24_e32 v152, v94, v71
	v_add3_u32 v0, v0, v1, v2
	v_mul_i32_i24_e32 v1, v95, v192
	v_mul_i32_i24_e32 v2, v97, v120
	s_delay_alu instid0(VALU_DEP_3) | instskip(SKIP_1) | instid1(VALU_DEP_4)
	v_add3_u32 v0, v0, v150, v152
	v_mul_i32_i24_e32 v150, v98, v76
	v_mad_i32_i24 v1, v96, v218, v1
	v_mul_i32_i24_e32 v152, v101, v77
	s_delay_alu instid0(VALU_DEP_4) | instskip(NEXT) | instid1(VALU_DEP_3)
	v_mul_lo_u32 v0, v0, v217
	v_add3_u32 v1, v1, v2, v150
	v_mul_i32_i24_e32 v2, v99, v240
	v_mul_i32_i24_e32 v150, v100, v122
	s_delay_alu instid0(VALU_DEP_1) | instskip(SKIP_2) | instid1(VALU_DEP_3)
	v_add3_u32 v1, v1, v2, v150
	v_mul_i32_i24_e32 v2, v103, v119
	v_mul_i32_i24_e32 v150, v104, v75
	v_add3_u32 v1, v1, v152, v153
	v_mul_i32_i24_e32 v152, v107, v73
	v_mul_i32_i24_e32 v153, v108, v243
	s_delay_alu instid0(VALU_DEP_3) | instskip(SKIP_2) | instid1(VALU_DEP_3)
	v_add3_u32 v1, v1, v2, v150
	v_mul_i32_i24_e32 v2, v109, v72
	v_mul_i32_i24_e32 v150, v110, v242
	v_add3_u32 v1, v1, v152, v153
	v_mul_i32_i24_e32 v152, v111, v244
	v_mul_i32_i24_e32 v153, v3, v255
	s_delay_alu instid0(VALU_DEP_3) | instskip(SKIP_1) | instid1(VALU_DEP_2)
	v_add3_u32 v1, v1, v2, v150
	v_mul_i32_i24_e32 v2, v113, v224
	v_add3_u32 v150, v1, v152, v153
	v_mul_i32_i24_e32 v1, v112, v239
	v_mul_i32_i24_e32 v153, v115, v56
	;; [unrolled: 1-line block ×3, first 2 shown]
	s_delay_alu instid0(VALU_DEP_2) | instskip(SKIP_1) | instid1(VALU_DEP_2)
	v_add3_u32 v1, v128, v153, v1
	v_mul_i32_i24_e32 v153, v117, v155
	v_add3_u32 v128, v1, v2, v152
	v_mad_u64_u32 v[1:2], null, v150, v227, v[0:1]
	v_mul_i32_i24_e32 v2, v81, v79
	v_mul_i32_i24_e32 v150, v86, v238
	;; [unrolled: 1-line block ×3, first 2 shown]
	v_add3_u32 v153, v156, v153, v154
	v_mul_i32_i24_e32 v156, v123, v132
	v_mul_i32_i24_e32 v154, v118, v204
	v_cvt_f32_i32_e32 v0, v1
	v_cvt_f32_i32_e32 v1, v128
	v_mul_i32_i24_e32 v128, v85, v236
	v_mad_i32_i24 v156, v116, v133, v156
	s_delay_alu instid0(VALU_DEP_3) | instskip(NEXT) | instid1(VALU_DEP_1)
	v_mul_f32_e32 v1, v228, v1
	v_fma_mix_f32 v0, v182, v0, -v1 op_sel_hi:[1,0,0]
	scratch_load_b32 v1, off, off offset:24 ; 4-byte Folded Reload
	s_waitcnt vmcnt(0)
	v_fmac_f32_e32 v1, v4, v0
	v_mul_i32_i24_e32 v0, v18, v231
	scratch_store_b32 off, v1, off offset:24 ; 4-byte Folded Spill
	v_mul_i32_i24_e32 v1, v80, v232
	v_mad_i32_i24 v0, v46, v229, v0
	s_delay_alu instid0(VALU_DEP_1) | instskip(SKIP_2) | instid1(VALU_DEP_1)
	v_add3_u32 v0, v0, v1, v2
	v_mul_i32_i24_e32 v1, v83, v233
	v_mul_i32_i24_e32 v2, v84, v234
	v_add3_u32 v0, v0, v1, v2
	v_mul_i32_i24_e32 v1, v87, v237
	v_mul_i32_i24_e32 v2, v88, v245
	s_delay_alu instid0(VALU_DEP_3) | instskip(SKIP_2) | instid1(VALU_DEP_3)
	v_add3_u32 v0, v0, v128, v150
	v_mul_i32_i24_e32 v128, v89, v34
	v_mul_i32_i24_e32 v150, v90, v147
	v_add3_u32 v0, v0, v1, v2
	v_mul_i32_i24_e32 v1, v91, v35
	v_mul_i32_i24_e32 v2, v92, v38
	s_delay_alu instid0(VALU_DEP_3) | instskip(SKIP_2) | instid1(VALU_DEP_3)
	v_add3_u32 v0, v0, v128, v150
	v_mul_i32_i24_e32 v128, v93, v40
	v_mul_i32_i24_e32 v150, v94, v41
	v_add3_u32 v0, v0, v1, v2
	v_mul_i32_i24_e32 v1, v95, v148
	v_mul_i32_i24_e32 v2, v97, v149
	s_delay_alu instid0(VALU_DEP_3) | instskip(SKIP_1) | instid1(VALU_DEP_4)
	v_add3_u32 v0, v0, v128, v150
	v_mul_i32_i24_e32 v128, v98, v157
	v_mad_i32_i24 v1, v96, v44, v1
	v_mul_i32_i24_e32 v150, v101, v47
	s_delay_alu instid0(VALU_DEP_4) | instskip(NEXT) | instid1(VALU_DEP_3)
	v_mul_lo_u32 v0, v0, v43
	v_add3_u32 v1, v1, v2, v128
	v_mul_i32_i24_e32 v2, v99, v185
	v_mul_i32_i24_e32 v128, v100, v45
	s_delay_alu instid0(VALU_DEP_1) | instskip(SKIP_2) | instid1(VALU_DEP_3)
	v_add3_u32 v1, v1, v2, v128
	v_mul_i32_i24_e32 v2, v103, v49
	v_mul_i32_i24_e32 v128, v104, v50
	v_add3_u32 v1, v1, v150, v152
	v_mul_i32_i24_e32 v150, v107, v51
	v_mul_i32_i24_e32 v152, v108, v161
	s_delay_alu instid0(VALU_DEP_3) | instskip(SKIP_2) | instid1(VALU_DEP_3)
	v_add3_u32 v1, v1, v2, v128
	v_mul_i32_i24_e32 v2, v109, v48
	v_mul_i32_i24_e32 v128, v110, v52
	v_add3_u32 v1, v1, v150, v152
	v_mul_i32_i24_e32 v150, v111, v53
	v_mul_i32_i24_e32 v152, v3, v54
	s_delay_alu instid0(VALU_DEP_3) | instskip(SKIP_1) | instid1(VALU_DEP_2)
	v_add3_u32 v1, v1, v2, v128
	v_mul_i32_i24_e32 v2, v113, v169
	v_add3_u32 v128, v1, v150, v152
	v_mul_i32_i24_e32 v1, v112, v184
	v_mul_i32_i24_e32 v152, v115, v226
	;; [unrolled: 1-line block ×3, first 2 shown]
	s_delay_alu instid0(VALU_DEP_2) | instskip(SKIP_2) | instid1(VALU_DEP_3)
	v_add3_u32 v1, v153, v152, v1
	v_mul_i32_i24_e32 v152, v102, v29
	v_mul_i32_i24_e32 v153, v117, v7
	v_add3_u32 v150, v1, v2, v150
	v_mad_u64_u32 v[1:2], null, v128, v15, v[0:1]
	v_mul_i32_i24_e32 v2, v81, v191
	v_mul_i32_i24_e32 v128, v85, v252
	v_add3_u32 v153, v156, v153, v154
	s_delay_alu instid0(VALU_DEP_4) | instskip(SKIP_2) | instid1(VALU_DEP_2)
	v_cvt_f32_i32_e32 v0, v1
	v_cvt_f32_i32_e32 v1, v150
	v_mul_i32_i24_e32 v150, v86, v196
	v_mul_f32_e32 v1, v19, v1
	s_delay_alu instid0(VALU_DEP_1)
	v_fma_mix_f32 v0, v138, v0, -v1 op_sel_hi:[1,0,0]
	scratch_load_b32 v1, off, off offset:20 ; 4-byte Folded Reload
	s_waitcnt vmcnt(0)
	v_fmac_f32_e32 v1, v4, v0
	v_mul_i32_i24_e32 v0, v18, v188
	scratch_store_b32 off, v1, off offset:20 ; 4-byte Folded Spill
	v_mul_i32_i24_e32 v1, v80, v189
	v_mad_i32_i24 v0, v46, v8, v0
	s_delay_alu instid0(VALU_DEP_1) | instskip(SKIP_2) | instid1(VALU_DEP_1)
	v_add3_u32 v0, v0, v1, v2
	v_mul_i32_i24_e32 v1, v83, v9
	v_mul_i32_i24_e32 v2, v84, v10
	v_add3_u32 v0, v0, v1, v2
	v_mul_i32_i24_e32 v1, v87, v253
	v_mul_i32_i24_e32 v2, v88, v82
	s_delay_alu instid0(VALU_DEP_3) | instskip(SKIP_2) | instid1(VALU_DEP_3)
	v_add3_u32 v0, v0, v128, v150
	v_mul_i32_i24_e32 v128, v89, v254
	v_mul_i32_i24_e32 v150, v90, v200
	v_add3_u32 v0, v0, v1, v2
	v_mul_i32_i24_e32 v1, v91, v248
	v_mul_i32_i24_e32 v2, v92, v20
	s_delay_alu instid0(VALU_DEP_3) | instskip(SKIP_2) | instid1(VALU_DEP_3)
	v_add3_u32 v0, v0, v128, v150
	v_mul_i32_i24_e32 v128, v93, v21
	v_mul_i32_i24_e32 v150, v94, v22
	v_add3_u32 v0, v0, v1, v2
	v_mul_i32_i24_e32 v1, v95, v210
	v_mul_i32_i24_e32 v2, v97, v213
	s_delay_alu instid0(VALU_DEP_3) | instskip(SKIP_1) | instid1(VALU_DEP_4)
	v_add3_u32 v0, v0, v128, v150
	v_mul_i32_i24_e32 v128, v98, v28
	v_mad_i32_i24 v1, v96, v209, v1
	v_mul_i32_i24_e32 v150, v101, v214
	s_delay_alu instid0(VALU_DEP_4) | instskip(NEXT) | instid1(VALU_DEP_3)
	v_mul_lo_u32 v0, v0, v208
	v_add3_u32 v1, v1, v2, v128
	v_mul_i32_i24_e32 v2, v99, v68
	v_mul_i32_i24_e32 v128, v100, v212
	s_delay_alu instid0(VALU_DEP_1) | instskip(SKIP_2) | instid1(VALU_DEP_3)
	v_add3_u32 v1, v1, v2, v128
	v_mul_i32_i24_e32 v2, v103, v26
	v_mul_i32_i24_e32 v128, v104, v42
	v_add3_u32 v1, v1, v150, v152
	v_mul_i32_i24_e32 v150, v107, v222
	v_mul_i32_i24_e32 v152, v108, v145
	s_delay_alu instid0(VALU_DEP_3) | instskip(SKIP_2) | instid1(VALU_DEP_3)
	v_add3_u32 v1, v1, v2, v128
	v_mul_i32_i24_e32 v2, v109, v57
	v_mul_i32_i24_e32 v128, v110, v146
	v_add3_u32 v1, v1, v150, v152
	v_mul_i32_i24_e32 v150, v111, v144
	v_mul_i32_i24_e32 v152, v3, v143
	v_mul_i32_i24_e32 v3, v3, v140
	s_delay_alu instid0(VALU_DEP_4) | instskip(SKIP_1) | instid1(VALU_DEP_2)
	v_add3_u32 v1, v1, v2, v128
	v_mul_i32_i24_e32 v2, v113, v24
	v_add3_u32 v128, v1, v150, v152
	v_mul_i32_i24_e32 v1, v112, v25
	v_mul_i32_i24_e32 v152, v115, v183
	;; [unrolled: 1-line block ×3, first 2 shown]
	s_delay_alu instid0(VALU_DEP_2) | instskip(NEXT) | instid1(VALU_DEP_1)
	v_add3_u32 v1, v153, v152, v1
	v_add3_u32 v150, v1, v2, v150
	v_mad_u64_u32 v[1:2], null, v128, v235, v[0:1]
	v_mul_i32_i24_e32 v2, v81, v168
	v_mul_i32_i24_e32 v81, v118, v167
	s_delay_alu instid0(VALU_DEP_3) | instskip(SKIP_1) | instid1(VALU_DEP_1)
	v_cvt_f32_i32_e32 v0, v1
	v_cvt_f32_i32_e32 v1, v150
	v_mul_f32_e32 v1, v162, v1
	s_delay_alu instid0(VALU_DEP_1) | instskip(SKIP_2) | instid1(VALU_DEP_3)
	v_fma_mix_f32 v0, v131, v0, -v1 op_sel_hi:[1,0,0]
	v_mul_i32_i24_e32 v1, v80, v164
	v_mul_i32_i24_e32 v80, v102, v197
	v_fmac_f32_e32 v37, v4, v0
	v_mul_i32_i24_e32 v0, v18, v105
	v_mul_i32_i24_e32 v18, v85, v129
	s_delay_alu instid0(VALU_DEP_2) | instskip(SKIP_1) | instid1(VALU_DEP_2)
	v_mad_i32_i24 v0, v46, v163, v0
	v_mul_i32_i24_e32 v46, v86, v170
	v_add3_u32 v0, v0, v1, v2
	v_mul_i32_i24_e32 v1, v83, v166
	v_mul_i32_i24_e32 v2, v84, v106
	;; [unrolled: 1-line block ×3, first 2 shown]
	s_delay_alu instid0(VALU_DEP_2) | instskip(SKIP_2) | instid1(VALU_DEP_4)
	v_add3_u32 v0, v0, v1, v2
	v_mul_i32_i24_e32 v1, v87, v127
	v_mul_i32_i24_e32 v2, v88, v135
	v_mad_i32_i24 v83, v116, v160, v83
	s_delay_alu instid0(VALU_DEP_4) | instskip(SKIP_2) | instid1(VALU_DEP_3)
	v_add3_u32 v0, v0, v18, v46
	v_mul_i32_i24_e32 v18, v89, v137
	v_mul_i32_i24_e32 v46, v90, v172
	v_add3_u32 v0, v0, v1, v2
	v_mul_i32_i24_e32 v1, v91, v171
	v_mul_i32_i24_e32 v2, v92, v173
	s_delay_alu instid0(VALU_DEP_3) | instskip(SKIP_2) | instid1(VALU_DEP_3)
	v_add3_u32 v0, v0, v18, v46
	v_mul_i32_i24_e32 v18, v93, v175
	v_mul_i32_i24_e32 v46, v94, v176
	v_add3_u32 v0, v0, v1, v2
	v_mul_i32_i24_e32 v1, v95, v187
	v_mul_i32_i24_e32 v2, v97, v178
	s_delay_alu instid0(VALU_DEP_3) | instskip(SKIP_1) | instid1(VALU_DEP_4)
	v_add3_u32 v0, v0, v18, v46
	v_mul_i32_i24_e32 v18, v98, v179
	v_mad_i32_i24 v1, v96, v206, v1
	v_mul_i32_i24_e32 v46, v101, v201
	s_delay_alu instid0(VALU_DEP_4) | instskip(NEXT) | instid1(VALU_DEP_3)
	v_mul_lo_u32 v0, v0, v177
	v_add3_u32 v1, v1, v2, v18
	v_mul_i32_i24_e32 v2, v99, v181
	v_mul_i32_i24_e32 v18, v100, v202
	s_delay_alu instid0(VALU_DEP_1) | instskip(SKIP_2) | instid1(VALU_DEP_3)
	v_add3_u32 v1, v1, v2, v18
	v_mul_i32_i24_e32 v2, v103, v194
	v_mul_i32_i24_e32 v18, v104, v203
	v_add3_u32 v1, v1, v46, v80
	v_mul_i32_i24_e32 v46, v107, v186
	v_mul_i32_i24_e32 v80, v108, v142
	s_delay_alu instid0(VALU_DEP_3) | instskip(SKIP_2) | instid1(VALU_DEP_3)
	v_add3_u32 v1, v1, v2, v18
	v_mul_i32_i24_e32 v2, v109, v207
	v_mul_i32_i24_e32 v18, v110, v223
	v_add3_u32 v1, v1, v46, v80
	v_mul_i32_i24_e32 v46, v111, v141
	v_mul_i32_i24_e32 v80, v117, v174
	s_delay_alu instid0(VALU_DEP_3) | instskip(SKIP_1) | instid1(VALU_DEP_3)
	v_add3_u32 v1, v1, v2, v18
	v_mul_i32_i24_e32 v2, v113, v190
	v_add3_u32 v80, v83, v80, v81
	v_mul_i32_i24_e32 v18, v114, v6
	s_delay_alu instid0(VALU_DEP_4) | instskip(SKIP_2) | instid1(VALU_DEP_1)
	v_add3_u32 v3, v1, v46, v3
	v_mul_i32_i24_e32 v1, v112, v180
	v_mul_i32_i24_e32 v46, v115, v139
	v_add3_u32 v1, v80, v46, v1
	s_delay_alu instid0(VALU_DEP_1) | instskip(SKIP_1) | instid1(VALU_DEP_1)
	v_add3_u32 v18, v1, v2, v18
	v_mad_u64_u32 v[1:2], null, v3, v159, v[0:1]
	v_cvt_f32_i32_e32 v0, v1
	s_delay_alu instid0(VALU_DEP_3) | instskip(NEXT) | instid1(VALU_DEP_1)
	v_cvt_f32_i32_e32 v1, v18
	v_mul_f32_e32 v1, v5, v1
	s_delay_alu instid0(VALU_DEP_1) | instskip(NEXT) | instid1(VALU_DEP_1)
	v_fma_mix_f32 v0, v126, v0, -v1 op_sel_hi:[1,0,0]
	v_fmac_f32_e32 v36, v4, v0
	ds_load_2addr_b32 v[3:4], v125 offset0:64 offset1:96
	ds_load_b128 v[83:86], v124 offset:2048
	s_waitcnt lgkmcnt(0)
	v_bfe_i32 v18, v83, 0, 8
	v_bfe_i32 v46, v83, 8, 8
	v_bfe_i32 v80, v83, 16, 8
	v_ashrrev_i32_e32 v81, 24, v83
	v_bfe_i32 v87, v84, 0, 8
	v_bfe_i32 v88, v84, 8, 8
	v_bfe_i32 v89, v84, 16, 8
	v_ashrrev_i32_e32 v90, 24, v84
	;; [unrolled: 4-line block ×4, first 2 shown]
	ds_load_b128 v[83:86], v124 offset:2064
	v_mul_i32_i24_e32 v1, v80, v198
	v_mul_i32_i24_e32 v2, v81, v199
	;; [unrolled: 1-line block ×4, first 2 shown]
	s_waitcnt lgkmcnt(0)
	v_bfe_i32 v99, v83, 0, 8
	v_bfe_i32 v100, v83, 8, 8
	v_bfe_i32 v101, v83, 16, 8
	v_ashrrev_i32_e32 v83, 24, v83
	v_bfe_i32 v102, v84, 0, 8
	v_bfe_i32 v103, v84, 8, 8
	v_bfe_i32 v104, v84, 16, 8
	v_ashrrev_i32_e32 v84, 24, v84
	;; [unrolled: 4-line block ×4, first 2 shown]
	v_add_nc_u32_e32 v0, v84, v83
	v_mul_i32_i24_e32 v153, v84, v74
	s_delay_alu instid0(VALU_DEP_2) | instskip(SKIP_1) | instid1(VALU_DEP_1)
	v_add3_u32 v113, v0, v85, v86
	v_add_nc_u32_e32 v0, v104, v101
	v_add3_u32 v114, v0, v109, v112
	v_add_nc_u32_e32 v0, v103, v100
	s_delay_alu instid0(VALU_DEP_1) | instskip(SKIP_1) | instid1(VALU_DEP_1)
	v_add3_u32 v115, v0, v108, v111
	v_add_nc_u32_e32 v0, v102, v99
	v_add3_u32 v116, v0, v107, v110
	v_add_nc_u32_e32 v0, v90, v81
	s_delay_alu instid0(VALU_DEP_1) | instskip(SKIP_1) | instid1(VALU_DEP_1)
	v_add3_u32 v117, v0, v94, v98
	v_add_nc_u32_e32 v0, v89, v80
	v_add3_u32 v118, v0, v93, v97
	v_add_nc_u32_e32 v0, v88, v46
	s_delay_alu instid0(VALU_DEP_2) | instskip(NEXT) | instid1(VALU_DEP_2)
	v_mul_i32_i24_e32 v154, v118, v121
	v_add3_u32 v123, v0, v92, v96
	v_add_nc_u32_e32 v0, v87, v18
	s_delay_alu instid0(VALU_DEP_2) | instskip(NEXT) | instid1(VALU_DEP_2)
	v_mul_i32_i24_e32 v156, v123, v55
	v_add3_u32 v128, v0, v91, v95
	v_mul_i32_i24_e32 v0, v18, v193
	s_delay_alu instid0(VALU_DEP_2) | instskip(NEXT) | instid1(VALU_DEP_2)
	v_mul_i32_i24_e32 v134, v128, v195
	v_mad_i32_i24 v0, v46, v60, v0
	s_delay_alu instid0(VALU_DEP_2) | instskip(NEXT) | instid1(VALU_DEP_2)
	v_mad_i32_i24 v134, v117, v39, v134
	v_add3_u32 v0, v0, v1, v2
	v_mul_i32_i24_e32 v1, v87, v61
	v_mul_i32_i24_e32 v2, v88, v62
	s_delay_alu instid0(VALU_DEP_4) | instskip(SKIP_2) | instid1(VALU_DEP_4)
	v_add3_u32 v134, v134, v154, v156
	v_mul_i32_i24_e32 v156, v128, v151
	v_mul_i32_i24_e32 v154, v123, v230
	v_add3_u32 v0, v0, v1, v2
	v_mul_i32_i24_e32 v1, v91, v63
	v_mul_i32_i24_e32 v2, v92, v250
	v_mad_i32_i24 v156, v117, v14, v156
	s_delay_alu instid0(VALU_DEP_4) | instskip(SKIP_2) | instid1(VALU_DEP_3)
	v_add3_u32 v0, v0, v150, v152
	v_mul_i32_i24_e32 v150, v93, v67
	v_mul_i32_i24_e32 v152, v94, v205
	v_add3_u32 v0, v0, v1, v2
	v_mul_i32_i24_e32 v1, v95, v66
	v_mul_i32_i24_e32 v2, v96, v69
	s_delay_alu instid0(VALU_DEP_3) | instskip(SKIP_2) | instid1(VALU_DEP_3)
	v_add3_u32 v0, v0, v150, v152
	v_mul_i32_i24_e32 v150, v97, v70
	v_mul_i32_i24_e32 v152, v98, v71
	v_add3_u32 v0, v0, v1, v2
	v_mul_i32_i24_e32 v1, v99, v192
	v_mul_i32_i24_e32 v2, v101, v120
	s_delay_alu instid0(VALU_DEP_3) | instskip(SKIP_1) | instid1(VALU_DEP_4)
	v_add3_u32 v0, v0, v150, v152
	v_mul_i32_i24_e32 v150, v83, v76
	v_mad_i32_i24 v1, v100, v218, v1
	v_mul_i32_i24_e32 v152, v104, v77
	s_delay_alu instid0(VALU_DEP_4) | instskip(NEXT) | instid1(VALU_DEP_3)
	v_mul_lo_u32 v0, v0, v217
	v_add3_u32 v1, v1, v2, v150
	v_mul_i32_i24_e32 v2, v102, v240
	v_mul_i32_i24_e32 v150, v103, v122
	s_delay_alu instid0(VALU_DEP_1) | instskip(SKIP_2) | instid1(VALU_DEP_3)
	v_add3_u32 v1, v1, v2, v150
	v_mul_i32_i24_e32 v2, v107, v119
	v_mul_i32_i24_e32 v150, v108, v75
	v_add3_u32 v1, v1, v152, v153
	v_mul_i32_i24_e32 v152, v109, v73
	v_mul_i32_i24_e32 v153, v85, v243
	s_delay_alu instid0(VALU_DEP_3) | instskip(SKIP_2) | instid1(VALU_DEP_3)
	v_add3_u32 v1, v1, v2, v150
	v_mul_i32_i24_e32 v2, v110, v72
	v_mul_i32_i24_e32 v150, v111, v242
	v_add3_u32 v1, v1, v152, v153
	v_mul_i32_i24_e32 v152, v112, v244
	v_mul_i32_i24_e32 v153, v86, v255
	s_delay_alu instid0(VALU_DEP_3) | instskip(SKIP_1) | instid1(VALU_DEP_2)
	v_add3_u32 v1, v1, v2, v150
	v_mul_i32_i24_e32 v2, v114, v224
	v_add3_u32 v150, v1, v152, v153
	v_mul_i32_i24_e32 v1, v113, v239
	v_mul_i32_i24_e32 v153, v116, v56
	;; [unrolled: 1-line block ×3, first 2 shown]
	s_delay_alu instid0(VALU_DEP_2) | instskip(SKIP_1) | instid1(VALU_DEP_2)
	v_add3_u32 v1, v134, v153, v1
	v_mul_i32_i24_e32 v153, v118, v155
	v_add3_u32 v134, v1, v2, v152
	v_mad_u64_u32 v[1:2], null, v150, v227, v[0:1]
	v_mul_i32_i24_e32 v2, v81, v79
	v_mul_i32_i24_e32 v150, v90, v238
	v_mul_i32_i24_e32 v152, v84, v158
	v_add3_u32 v153, v156, v153, v154
	v_mul_i32_i24_e32 v156, v128, v132
	v_mul_i32_i24_e32 v154, v123, v204
	v_cvt_f32_i32_e32 v0, v1
	v_cvt_f32_i32_e32 v1, v134
	v_mul_i32_i24_e32 v134, v89, v236
	v_mad_i32_i24 v156, v117, v133, v156
	v_mov_b32_e32 v227, v228
	s_delay_alu instid0(VALU_DEP_4) | instskip(NEXT) | instid1(VALU_DEP_1)
	v_dual_mul_f32 v1, v228, v1 :: v_dual_mov_b32 v228, v229
	v_fma_mix_f32 v0, v182, v0, -v1 op_sel_hi:[1,0,0]
	v_mul_i32_i24_e32 v1, v80, v232
	s_delay_alu instid0(VALU_DEP_2) | instskip(SKIP_1) | instid1(VALU_DEP_1)
	v_fmac_f32_e32 v33, v3, v0
	v_mul_i32_i24_e32 v0, v18, v231
	v_mad_i32_i24 v0, v46, v229, v0
	v_dual_mov_b32 v229, v230 :: v_dual_mov_b32 v230, v219
	v_dual_mov_b32 v219, v220 :: v_dual_mov_b32 v220, v241
	s_delay_alu instid0(VALU_DEP_3) | instskip(SKIP_3) | instid1(VALU_DEP_2)
	v_add3_u32 v0, v0, v1, v2
	v_mul_i32_i24_e32 v1, v87, v233
	v_mul_i32_i24_e32 v2, v88, v234
	v_mov_b32_e32 v241, v22
	v_add3_u32 v0, v0, v1, v2
	v_mul_i32_i24_e32 v1, v91, v237
	v_mul_i32_i24_e32 v2, v92, v245
	s_delay_alu instid0(VALU_DEP_3) | instskip(SKIP_2) | instid1(VALU_DEP_3)
	v_add3_u32 v0, v0, v134, v150
	v_mul_i32_i24_e32 v134, v93, v34
	v_mul_i32_i24_e32 v150, v94, v147
	v_add3_u32 v0, v0, v1, v2
	v_mul_i32_i24_e32 v1, v95, v35
	v_mul_i32_i24_e32 v2, v96, v38
	s_delay_alu instid0(VALU_DEP_3) | instskip(SKIP_2) | instid1(VALU_DEP_3)
	v_add3_u32 v0, v0, v134, v150
	v_mul_i32_i24_e32 v134, v97, v40
	v_mul_i32_i24_e32 v150, v98, v41
	v_add3_u32 v0, v0, v1, v2
	v_mul_i32_i24_e32 v1, v99, v148
	v_mul_i32_i24_e32 v2, v101, v149
	s_delay_alu instid0(VALU_DEP_3) | instskip(SKIP_1) | instid1(VALU_DEP_4)
	v_add3_u32 v0, v0, v134, v150
	v_mul_i32_i24_e32 v134, v83, v157
	v_mad_i32_i24 v1, v100, v44, v1
	v_mul_i32_i24_e32 v150, v104, v47
	s_delay_alu instid0(VALU_DEP_4) | instskip(NEXT) | instid1(VALU_DEP_3)
	v_mul_lo_u32 v0, v0, v43
	v_add3_u32 v1, v1, v2, v134
	v_mul_i32_i24_e32 v2, v102, v185
	v_mul_i32_i24_e32 v134, v103, v45
	s_delay_alu instid0(VALU_DEP_1) | instskip(SKIP_2) | instid1(VALU_DEP_3)
	v_add3_u32 v1, v1, v2, v134
	v_mul_i32_i24_e32 v2, v107, v49
	v_mul_i32_i24_e32 v134, v108, v50
	v_add3_u32 v1, v1, v150, v152
	v_mul_i32_i24_e32 v150, v109, v51
	v_mul_i32_i24_e32 v152, v85, v161
	s_delay_alu instid0(VALU_DEP_3) | instskip(SKIP_2) | instid1(VALU_DEP_3)
	v_add3_u32 v1, v1, v2, v134
	v_mul_i32_i24_e32 v2, v110, v48
	v_mul_i32_i24_e32 v134, v111, v52
	v_add3_u32 v1, v1, v150, v152
	v_mul_i32_i24_e32 v150, v112, v53
	v_mul_i32_i24_e32 v152, v86, v54
	s_delay_alu instid0(VALU_DEP_3) | instskip(SKIP_1) | instid1(VALU_DEP_2)
	v_add3_u32 v1, v1, v2, v134
	v_mul_i32_i24_e32 v2, v114, v169
	v_add3_u32 v134, v1, v150, v152
	v_mul_i32_i24_e32 v1, v113, v184
	v_mul_i32_i24_e32 v152, v116, v226
	;; [unrolled: 1-line block ×3, first 2 shown]
	s_delay_alu instid0(VALU_DEP_2) | instskip(SKIP_2) | instid1(VALU_DEP_3)
	v_add3_u32 v1, v153, v152, v1
	v_mul_i32_i24_e32 v152, v84, v29
	v_mul_i32_i24_e32 v153, v118, v7
	v_add3_u32 v150, v1, v2, v150
	v_mad_u64_u32 v[1:2], null, v134, v15, v[0:1]
	v_mul_i32_i24_e32 v2, v81, v191
	v_mul_i32_i24_e32 v134, v89, v252
	v_add3_u32 v153, v156, v153, v154
	s_delay_alu instid0(VALU_DEP_4) | instskip(SKIP_2) | instid1(VALU_DEP_2)
	v_cvt_f32_i32_e32 v0, v1
	v_cvt_f32_i32_e32 v1, v150
	v_mul_i32_i24_e32 v150, v90, v196
	v_mul_f32_e32 v1, v19, v1
	s_delay_alu instid0(VALU_DEP_1) | instskip(SKIP_1) | instid1(VALU_DEP_2)
	v_fma_mix_f32 v0, v138, v0, -v1 op_sel_hi:[1,0,0]
	v_mul_i32_i24_e32 v1, v80, v189
	v_fmac_f32_e32 v215, v3, v0
	v_mul_i32_i24_e32 v0, v18, v188
	s_delay_alu instid0(VALU_DEP_1) | instskip(NEXT) | instid1(VALU_DEP_1)
	v_mad_i32_i24 v0, v46, v8, v0
	v_add3_u32 v0, v0, v1, v2
	v_mul_i32_i24_e32 v1, v87, v9
	v_mul_i32_i24_e32 v2, v88, v10
	s_delay_alu instid0(VALU_DEP_1) | instskip(SKIP_2) | instid1(VALU_DEP_3)
	v_add3_u32 v0, v0, v1, v2
	v_mul_i32_i24_e32 v1, v91, v253
	v_mul_i32_i24_e32 v2, v92, v82
	v_add3_u32 v0, v0, v134, v150
	v_mul_i32_i24_e32 v134, v93, v254
	v_mul_i32_i24_e32 v150, v94, v200
	s_delay_alu instid0(VALU_DEP_3) | instskip(SKIP_2) | instid1(VALU_DEP_3)
	v_add3_u32 v0, v0, v1, v2
	v_mul_i32_i24_e32 v1, v95, v248
	v_mul_i32_i24_e32 v2, v96, v20
	v_add3_u32 v0, v0, v134, v150
	v_mul_i32_i24_e32 v134, v97, v21
	v_mul_i32_i24_e32 v150, v98, v22
	v_mov_b32_e32 v22, v58
	v_mov_b32_e32 v58, v78
	v_add3_u32 v0, v0, v1, v2
	v_mul_i32_i24_e32 v1, v99, v210
	v_mul_i32_i24_e32 v2, v101, v213
	v_mov_b32_e32 v17, v207
	s_delay_alu instid0(VALU_DEP_4) | instskip(SKIP_3) | instid1(VALU_DEP_4)
	v_add3_u32 v0, v0, v134, v150
	v_mul_i32_i24_e32 v134, v83, v28
	v_mad_i32_i24 v1, v100, v209, v1
	v_mul_i32_i24_e32 v150, v104, v214
	v_mul_lo_u32 v0, v0, v208
	s_delay_alu instid0(VALU_DEP_3) | instskip(SKIP_3) | instid1(VALU_DEP_2)
	v_add3_u32 v1, v1, v2, v134
	v_mul_i32_i24_e32 v2, v102, v68
	v_mul_i32_i24_e32 v134, v103, v212
	v_mov_b32_e32 v68, v42
	v_add3_u32 v1, v1, v2, v134
	v_mul_i32_i24_e32 v2, v107, v26
	v_mul_i32_i24_e32 v134, v108, v42
	v_mov_b32_e32 v42, v57
	s_delay_alu instid0(VALU_DEP_4) | instskip(SKIP_2) | instid1(VALU_DEP_3)
	v_add3_u32 v1, v1, v150, v152
	v_mul_i32_i24_e32 v150, v109, v222
	v_mul_i32_i24_e32 v152, v85, v145
	v_add3_u32 v1, v1, v2, v134
	v_mul_i32_i24_e32 v2, v110, v57
	v_mul_i32_i24_e32 v134, v111, v146
	v_mov_b32_e32 v57, v25
	s_delay_alu instid0(VALU_DEP_4) | instskip(SKIP_2) | instid1(VALU_DEP_3)
	v_add3_u32 v1, v1, v150, v152
	v_mul_i32_i24_e32 v150, v112, v144
	v_mul_i32_i24_e32 v152, v86, v143
	v_add3_u32 v1, v1, v2, v134
	v_mul_i32_i24_e32 v2, v114, v24
	s_delay_alu instid0(VALU_DEP_2)
	v_add3_u32 v134, v1, v150, v152
	v_mul_i32_i24_e32 v1, v113, v25
	v_mul_i32_i24_e32 v152, v116, v183
	;; [unrolled: 1-line block ×3, first 2 shown]
	v_mov_b32_e32 v25, v24
	v_mov_b32_e32 v24, v60
	;; [unrolled: 1-line block ×3, first 2 shown]
	v_add3_u32 v1, v153, v152, v1
	s_delay_alu instid0(VALU_DEP_4) | instskip(NEXT) | instid1(VALU_DEP_2)
	v_mov_b32_e32 v65, v25
	v_add3_u32 v150, v1, v2, v150
	v_mad_u64_u32 v[1:2], null, v134, v235, v[0:1]
	v_mul_i32_i24_e32 v2, v81, v168
	v_mul_i32_i24_e32 v81, v118, v174
	s_delay_alu instid0(VALU_DEP_3) | instskip(SKIP_1) | instid1(VALU_DEP_1)
	v_cvt_f32_i32_e32 v0, v1
	v_cvt_f32_i32_e32 v1, v150
	v_mul_f32_e32 v1, v162, v1
	s_delay_alu instid0(VALU_DEP_1) | instskip(SKIP_3) | instid1(VALU_DEP_4)
	v_fma_mix_f32 v0, v131, v0, -v1 op_sel_hi:[1,0,0]
	v_mul_i32_i24_e32 v1, v80, v164
	v_mul_i32_i24_e32 v80, v84, v197
	;; [unrolled: 1-line block ×3, first 2 shown]
	v_fmac_f32_e32 v32, v3, v0
	v_mul_i32_i24_e32 v0, v18, v105
	v_mul_i32_i24_e32 v18, v89, v129
	s_delay_alu instid0(VALU_DEP_4) | instskip(NEXT) | instid1(VALU_DEP_3)
	v_mad_i32_i24 v84, v117, v160, v84
	v_mad_i32_i24 v0, v46, v163, v0
	v_mul_i32_i24_e32 v46, v90, v170
	s_delay_alu instid0(VALU_DEP_2) | instskip(SKIP_2) | instid1(VALU_DEP_1)
	v_add3_u32 v0, v0, v1, v2
	v_mul_i32_i24_e32 v1, v87, v166
	v_mul_i32_i24_e32 v2, v88, v106
	v_add3_u32 v0, v0, v1, v2
	v_mul_i32_i24_e32 v1, v91, v127
	v_mul_i32_i24_e32 v2, v92, v135
	s_delay_alu instid0(VALU_DEP_3) | instskip(SKIP_2) | instid1(VALU_DEP_3)
	v_add3_u32 v0, v0, v18, v46
	v_mul_i32_i24_e32 v18, v93, v137
	v_mul_i32_i24_e32 v46, v94, v172
	v_add3_u32 v0, v0, v1, v2
	v_mul_i32_i24_e32 v1, v95, v171
	v_mul_i32_i24_e32 v2, v96, v173
	s_delay_alu instid0(VALU_DEP_3) | instskip(SKIP_2) | instid1(VALU_DEP_3)
	v_add3_u32 v0, v0, v18, v46
	v_mul_i32_i24_e32 v18, v97, v175
	v_mul_i32_i24_e32 v46, v98, v176
	v_add3_u32 v0, v0, v1, v2
	v_mul_i32_i24_e32 v1, v99, v187
	v_mul_i32_i24_e32 v2, v101, v178
	s_delay_alu instid0(VALU_DEP_3) | instskip(SKIP_1) | instid1(VALU_DEP_4)
	v_add3_u32 v0, v0, v18, v46
	v_mul_i32_i24_e32 v18, v83, v179
	v_mad_i32_i24 v1, v100, v206, v1
	v_mul_i32_i24_e32 v46, v104, v201
	v_mul_i32_i24_e32 v83, v123, v167
	v_mul_lo_u32 v0, v0, v177
	s_delay_alu instid0(VALU_DEP_4) | instskip(SKIP_3) | instid1(VALU_DEP_2)
	v_add3_u32 v1, v1, v2, v18
	v_mul_i32_i24_e32 v2, v102, v181
	v_mul_i32_i24_e32 v18, v103, v202
	v_add3_u32 v81, v84, v81, v83
	v_add3_u32 v1, v1, v2, v18
	v_mul_i32_i24_e32 v2, v107, v194
	v_mul_i32_i24_e32 v18, v108, v203
	s_delay_alu instid0(VALU_DEP_3) | instskip(SKIP_2) | instid1(VALU_DEP_3)
	v_add3_u32 v1, v1, v46, v80
	v_mul_i32_i24_e32 v46, v109, v186
	v_mul_i32_i24_e32 v80, v85, v142
	v_add3_u32 v1, v1, v2, v18
	v_mul_i32_i24_e32 v2, v110, v207
	v_mul_i32_i24_e32 v18, v111, v223
	s_delay_alu instid0(VALU_DEP_3) | instskip(SKIP_2) | instid1(VALU_DEP_3)
	v_add3_u32 v1, v1, v46, v80
	v_mul_i32_i24_e32 v46, v112, v141
	v_mul_i32_i24_e32 v80, v86, v140
	v_add3_u32 v1, v1, v2, v18
	v_mul_i32_i24_e32 v2, v114, v190
	s_delay_alu instid0(VALU_DEP_2) | instskip(SKIP_3) | instid1(VALU_DEP_2)
	v_add3_u32 v18, v1, v46, v80
	v_mul_i32_i24_e32 v1, v113, v180
	v_mul_i32_i24_e32 v80, v116, v139
	v_mul_i32_i24_e32 v46, v115, v6
	v_add3_u32 v1, v81, v80, v1
	s_delay_alu instid0(VALU_DEP_1) | instskip(SKIP_1) | instid1(VALU_DEP_1)
	v_add3_u32 v46, v1, v2, v46
	v_mad_u64_u32 v[1:2], null, v18, v159, v[0:1]
	v_cvt_f32_i32_e32 v0, v1
	s_delay_alu instid0(VALU_DEP_3) | instskip(NEXT) | instid1(VALU_DEP_1)
	v_cvt_f32_i32_e32 v1, v46
	v_mul_f32_e32 v1, v5, v1
	s_delay_alu instid0(VALU_DEP_1) | instskip(NEXT) | instid1(VALU_DEP_1)
	v_fma_mix_f32 v0, v126, v0, -v1 op_sel_hi:[1,0,0]
	v_fmac_f32_e32 v31, v3, v0
	ds_load_b128 v[0:3], v124 offset:3072
	s_waitcnt lgkmcnt(0)
	v_bfe_i32 v18, v0, 0, 8
	v_bfe_i32 v46, v0, 8, 8
	v_bfe_i32 v80, v0, 16, 8
	v_ashrrev_i32_e32 v81, 24, v0
	v_bfe_i32 v83, v1, 0, 8
	v_bfe_i32 v84, v1, 8, 8
	v_bfe_i32 v85, v1, 16, 8
	v_ashrrev_i32_e32 v86, 24, v1
	;; [unrolled: 4-line block ×4, first 2 shown]
	ds_load_b128 v[0:3], v124 offset:3088
	v_mul_i32_i24_e32 v128, v85, v64
	v_mul_i32_i24_e32 v134, v86, v216
	s_waitcnt lgkmcnt(0)
	v_ashrrev_i32_e32 v98, 24, v0
	v_ashrrev_i32_e32 v102, 24, v1
	v_bfe_i32 v95, v0, 0, 8
	v_bfe_i32 v96, v0, 8, 8
	;; [unrolled: 1-line block ×4, first 2 shown]
	v_ashrrev_i32_e32 v108, 24, v2
	v_bfe_i32 v109, v3, 0, 8
	v_bfe_i32 v110, v3, 8, 8
	;; [unrolled: 1-line block ×3, first 2 shown]
	v_ashrrev_i32_e32 v3, 24, v3
	v_add_nc_u32_e32 v0, v102, v98
	v_bfe_i32 v100, v1, 8, 8
	v_bfe_i32 v107, v2, 16, 8
	;; [unrolled: 1-line block ×4, first 2 shown]
	v_add3_u32 v112, v0, v108, v3
	v_add_nc_u32_e32 v0, v101, v97
	v_bfe_i32 v103, v2, 0, 8
	v_mul_i32_i24_e32 v1, v80, v198
	v_mul_i32_i24_e32 v2, v81, v199
	;; [unrolled: 1-line block ×3, first 2 shown]
	v_add3_u32 v113, v0, v107, v111
	v_add_nc_u32_e32 v0, v100, v96
	s_delay_alu instid0(VALU_DEP_1) | instskip(SKIP_1) | instid1(VALU_DEP_1)
	v_add3_u32 v114, v0, v104, v110
	v_add_nc_u32_e32 v0, v99, v95
	v_add3_u32 v115, v0, v103, v109
	v_add_nc_u32_e32 v0, v86, v81
	s_delay_alu instid0(VALU_DEP_1) | instskip(SKIP_1) | instid1(VALU_DEP_1)
	v_add3_u32 v116, v0, v90, v94
	v_add_nc_u32_e32 v0, v85, v80
	v_add3_u32 v117, v0, v89, v93
	v_add_nc_u32_e32 v0, v84, v46
	s_delay_alu instid0(VALU_DEP_2) | instskip(NEXT) | instid1(VALU_DEP_2)
	v_mul_i32_i24_e32 v152, v117, v121
	v_add3_u32 v118, v0, v88, v92
	v_add_nc_u32_e32 v0, v83, v18
	s_delay_alu instid0(VALU_DEP_2) | instskip(NEXT) | instid1(VALU_DEP_2)
	v_mul_i32_i24_e32 v153, v118, v55
	v_add3_u32 v123, v0, v87, v91
	v_mul_i32_i24_e32 v0, v18, v193
	s_delay_alu instid0(VALU_DEP_2) | instskip(NEXT) | instid1(VALU_DEP_2)
	v_mul_i32_i24_e32 v154, v123, v195
	v_mad_i32_i24 v0, v46, v60, v0
	s_delay_alu instid0(VALU_DEP_2) | instskip(NEXT) | instid1(VALU_DEP_2)
	v_mad_i32_i24 v154, v116, v39, v154
	v_add3_u32 v0, v0, v1, v2
	v_mul_i32_i24_e32 v1, v83, v61
	v_mul_i32_i24_e32 v2, v84, v62
	s_delay_alu instid0(VALU_DEP_4) | instskip(SKIP_2) | instid1(VALU_DEP_4)
	v_add3_u32 v152, v154, v152, v153
	v_mul_i32_i24_e32 v154, v123, v151
	v_mul_i32_i24_e32 v153, v118, v229
	v_add3_u32 v0, v0, v1, v2
	v_mul_i32_i24_e32 v1, v87, v63
	v_mul_i32_i24_e32 v2, v88, v250
	v_mad_i32_i24 v154, v116, v14, v154
	s_delay_alu instid0(VALU_DEP_4) | instskip(SKIP_2) | instid1(VALU_DEP_3)
	v_add3_u32 v0, v0, v128, v134
	v_mul_i32_i24_e32 v128, v89, v67
	v_mul_i32_i24_e32 v134, v90, v205
	v_add3_u32 v0, v0, v1, v2
	v_mul_i32_i24_e32 v1, v91, v66
	v_mul_i32_i24_e32 v2, v92, v69
	s_delay_alu instid0(VALU_DEP_3) | instskip(SKIP_2) | instid1(VALU_DEP_3)
	v_add3_u32 v0, v0, v128, v134
	v_mul_i32_i24_e32 v128, v93, v70
	v_mul_i32_i24_e32 v134, v94, v71
	v_add3_u32 v0, v0, v1, v2
	v_mul_i32_i24_e32 v1, v95, v192
	v_mul_i32_i24_e32 v2, v97, v120
	s_delay_alu instid0(VALU_DEP_3) | instskip(SKIP_1) | instid1(VALU_DEP_4)
	v_add3_u32 v0, v0, v128, v134
	v_mul_i32_i24_e32 v128, v98, v76
	v_mad_i32_i24 v1, v96, v218, v1
	v_mul_i32_i24_e32 v134, v101, v77
	s_delay_alu instid0(VALU_DEP_4) | instskip(NEXT) | instid1(VALU_DEP_3)
	v_mul_lo_u32 v0, v0, v217
	v_add3_u32 v1, v1, v2, v128
	v_mul_i32_i24_e32 v2, v99, v240
	v_mul_i32_i24_e32 v128, v100, v122
	s_delay_alu instid0(VALU_DEP_1) | instskip(SKIP_2) | instid1(VALU_DEP_3)
	v_add3_u32 v1, v1, v2, v128
	v_mul_i32_i24_e32 v2, v103, v119
	v_mul_i32_i24_e32 v128, v104, v75
	v_add3_u32 v1, v1, v134, v150
	v_mul_i32_i24_e32 v134, v107, v73
	v_mul_i32_i24_e32 v150, v108, v243
	s_delay_alu instid0(VALU_DEP_3) | instskip(SKIP_2) | instid1(VALU_DEP_3)
	v_add3_u32 v1, v1, v2, v128
	v_mul_i32_i24_e32 v2, v109, v72
	v_mul_i32_i24_e32 v128, v110, v242
	v_add3_u32 v1, v1, v134, v150
	v_mul_i32_i24_e32 v134, v111, v244
	v_mul_i32_i24_e32 v150, v3, v255
	s_delay_alu instid0(VALU_DEP_3) | instskip(SKIP_1) | instid1(VALU_DEP_2)
	v_add3_u32 v1, v1, v2, v128
	v_mul_i32_i24_e32 v2, v113, v224
	v_add3_u32 v128, v1, v134, v150
	v_mul_i32_i24_e32 v1, v112, v239
	v_mul_i32_i24_e32 v150, v115, v56
	;; [unrolled: 1-line block ×3, first 2 shown]
	s_delay_alu instid0(VALU_DEP_2) | instskip(SKIP_2) | instid1(VALU_DEP_3)
	v_add3_u32 v1, v152, v150, v1
	v_mul_i32_i24_e32 v150, v102, v158
	v_mul_i32_i24_e32 v152, v117, v155
	v_add3_u32 v134, v1, v2, v134
	v_mad_u64_u32 v[1:2], null, v128, v225, v[0:1]
	v_mul_i32_i24_e32 v2, v81, v79
	v_mul_i32_i24_e32 v128, v85, v236
	v_add3_u32 v152, v154, v152, v153
	v_mul_i32_i24_e32 v154, v123, v132
	v_mul_i32_i24_e32 v153, v118, v204
	v_cvt_f32_i32_e32 v0, v1
	v_cvt_f32_i32_e32 v1, v134
	v_mul_i32_i24_e32 v134, v86, v238
	v_mad_i32_i24 v154, v116, v133, v154
	s_delay_alu instid0(VALU_DEP_3) | instskip(NEXT) | instid1(VALU_DEP_1)
	v_mul_f32_e32 v1, v227, v1
	v_fma_mix_f32 v0, v182, v0, -v1 op_sel_hi:[1,0,0]
	v_mul_i32_i24_e32 v1, v80, v232
	s_delay_alu instid0(VALU_DEP_2) | instskip(SKIP_1) | instid1(VALU_DEP_1)
	v_fmac_f32_e32 v30, v4, v0
	v_mul_i32_i24_e32 v0, v18, v231
	v_mad_i32_i24 v0, v46, v228, v0
	s_delay_alu instid0(VALU_DEP_1) | instskip(SKIP_2) | instid1(VALU_DEP_1)
	v_add3_u32 v0, v0, v1, v2
	v_mul_i32_i24_e32 v1, v83, v233
	v_mul_i32_i24_e32 v2, v84, v234
	v_add3_u32 v0, v0, v1, v2
	v_mul_i32_i24_e32 v1, v87, v237
	v_mul_i32_i24_e32 v2, v88, v245
	s_delay_alu instid0(VALU_DEP_3) | instskip(SKIP_2) | instid1(VALU_DEP_3)
	v_add3_u32 v0, v0, v128, v134
	v_mul_i32_i24_e32 v128, v89, v34
	v_mul_i32_i24_e32 v134, v90, v147
	v_add3_u32 v0, v0, v1, v2
	v_mul_i32_i24_e32 v1, v91, v35
	v_mul_i32_i24_e32 v2, v92, v38
	s_delay_alu instid0(VALU_DEP_3) | instskip(SKIP_2) | instid1(VALU_DEP_3)
	v_add3_u32 v0, v0, v128, v134
	v_mul_i32_i24_e32 v128, v93, v40
	v_mul_i32_i24_e32 v134, v94, v41
	v_add3_u32 v0, v0, v1, v2
	v_mul_i32_i24_e32 v1, v95, v148
	v_mul_i32_i24_e32 v2, v97, v149
	s_delay_alu instid0(VALU_DEP_3) | instskip(SKIP_1) | instid1(VALU_DEP_4)
	v_add3_u32 v0, v0, v128, v134
	v_mul_i32_i24_e32 v128, v98, v157
	v_mad_i32_i24 v1, v96, v44, v1
	v_mul_i32_i24_e32 v134, v101, v47
	s_delay_alu instid0(VALU_DEP_4) | instskip(NEXT) | instid1(VALU_DEP_3)
	v_mul_lo_u32 v0, v0, v43
	v_add3_u32 v1, v1, v2, v128
	v_mul_i32_i24_e32 v2, v99, v185
	v_mul_i32_i24_e32 v128, v100, v45
	s_delay_alu instid0(VALU_DEP_1) | instskip(SKIP_2) | instid1(VALU_DEP_3)
	v_add3_u32 v1, v1, v2, v128
	v_mul_i32_i24_e32 v2, v103, v49
	v_mul_i32_i24_e32 v128, v104, v50
	v_add3_u32 v1, v1, v134, v150
	v_mul_i32_i24_e32 v134, v107, v51
	v_mul_i32_i24_e32 v150, v108, v161
	s_delay_alu instid0(VALU_DEP_3) | instskip(SKIP_2) | instid1(VALU_DEP_3)
	v_add3_u32 v1, v1, v2, v128
	v_mul_i32_i24_e32 v2, v109, v48
	v_mul_i32_i24_e32 v128, v110, v52
	v_add3_u32 v1, v1, v134, v150
	v_mul_i32_i24_e32 v134, v111, v53
	v_mul_i32_i24_e32 v150, v3, v54
	s_delay_alu instid0(VALU_DEP_3) | instskip(SKIP_1) | instid1(VALU_DEP_2)
	v_add3_u32 v1, v1, v2, v128
	v_mul_i32_i24_e32 v2, v113, v169
	v_add3_u32 v128, v1, v134, v150
	v_mul_i32_i24_e32 v1, v112, v184
	v_mul_i32_i24_e32 v150, v115, v226
	;; [unrolled: 1-line block ×3, first 2 shown]
	s_delay_alu instid0(VALU_DEP_2) | instskip(SKIP_2) | instid1(VALU_DEP_3)
	v_add3_u32 v1, v152, v150, v1
	v_mul_i32_i24_e32 v150, v102, v29
	v_mul_i32_i24_e32 v152, v117, v7
	v_add3_u32 v134, v1, v2, v134
	v_mad_u64_u32 v[1:2], null, v128, v15, v[0:1]
	v_mul_i32_i24_e32 v2, v81, v191
	v_mul_i32_i24_e32 v128, v85, v252
	v_add3_u32 v152, v154, v152, v153
	s_delay_alu instid0(VALU_DEP_4) | instskip(SKIP_2) | instid1(VALU_DEP_2)
	v_cvt_f32_i32_e32 v0, v1
	v_cvt_f32_i32_e32 v1, v134
	v_mul_i32_i24_e32 v134, v86, v196
	v_mul_f32_e32 v1, v19, v1
	s_delay_alu instid0(VALU_DEP_1) | instskip(SKIP_1) | instid1(VALU_DEP_2)
	v_fma_mix_f32 v0, v138, v0, -v1 op_sel_hi:[1,0,0]
	v_mul_i32_i24_e32 v1, v80, v189
	v_fmac_f32_e32 v230, v4, v0
	v_mul_i32_i24_e32 v0, v18, v188
	s_delay_alu instid0(VALU_DEP_1) | instskip(NEXT) | instid1(VALU_DEP_1)
	v_mad_i32_i24 v0, v46, v8, v0
	v_add3_u32 v0, v0, v1, v2
	v_mul_i32_i24_e32 v1, v83, v9
	v_mul_i32_i24_e32 v2, v84, v10
	s_delay_alu instid0(VALU_DEP_1) | instskip(SKIP_2) | instid1(VALU_DEP_3)
	v_add3_u32 v0, v0, v1, v2
	v_mul_i32_i24_e32 v1, v87, v253
	v_mul_i32_i24_e32 v2, v88, v82
	v_add3_u32 v0, v0, v128, v134
	v_mul_i32_i24_e32 v128, v89, v254
	v_mul_i32_i24_e32 v134, v90, v200
	s_delay_alu instid0(VALU_DEP_3) | instskip(SKIP_2) | instid1(VALU_DEP_3)
	v_add3_u32 v0, v0, v1, v2
	v_mul_i32_i24_e32 v1, v91, v248
	v_mul_i32_i24_e32 v2, v92, v20
	v_add3_u32 v0, v0, v128, v134
	v_mul_i32_i24_e32 v128, v93, v21
	v_mul_i32_i24_e32 v134, v94, v241
	s_delay_alu instid0(VALU_DEP_3) | instskip(SKIP_2) | instid1(VALU_DEP_3)
	v_add3_u32 v0, v0, v1, v2
	v_mul_i32_i24_e32 v1, v95, v210
	v_mul_i32_i24_e32 v2, v97, v213
	v_add3_u32 v0, v0, v128, v134
	v_mul_i32_i24_e32 v128, v98, v28
	s_delay_alu instid0(VALU_DEP_4) | instskip(SKIP_1) | instid1(VALU_DEP_4)
	v_mad_i32_i24 v1, v96, v209, v1
	v_mul_i32_i24_e32 v134, v101, v214
	v_mul_lo_u32 v0, v0, v208
	s_delay_alu instid0(VALU_DEP_3) | instskip(SKIP_2) | instid1(VALU_DEP_1)
	v_add3_u32 v1, v1, v2, v128
	v_mul_i32_i24_e32 v2, v99, v27
	v_mul_i32_i24_e32 v128, v100, v212
	v_add3_u32 v1, v1, v2, v128
	v_mul_i32_i24_e32 v2, v103, v26
	v_mul_i32_i24_e32 v128, v104, v68
	s_delay_alu instid0(VALU_DEP_3) | instskip(SKIP_2) | instid1(VALU_DEP_3)
	v_add3_u32 v1, v1, v134, v150
	v_mul_i32_i24_e32 v134, v107, v222
	v_mul_i32_i24_e32 v150, v108, v145
	v_add3_u32 v1, v1, v2, v128
	v_mul_i32_i24_e32 v2, v109, v42
	v_mul_i32_i24_e32 v128, v110, v146
	s_delay_alu instid0(VALU_DEP_3) | instskip(SKIP_3) | instid1(VALU_DEP_4)
	v_add3_u32 v1, v1, v134, v150
	v_mul_i32_i24_e32 v134, v111, v144
	v_mul_i32_i24_e32 v150, v3, v143
	;; [unrolled: 1-line block ×3, first 2 shown]
	v_add3_u32 v1, v1, v2, v128
	v_mul_i32_i24_e32 v2, v113, v25
	s_delay_alu instid0(VALU_DEP_2) | instskip(SKIP_3) | instid1(VALU_DEP_2)
	v_add3_u32 v128, v1, v134, v150
	v_mul_i32_i24_e32 v1, v112, v57
	v_mul_i32_i24_e32 v150, v115, v183
	;; [unrolled: 1-line block ×3, first 2 shown]
	v_add3_u32 v1, v152, v150, v1
	s_delay_alu instid0(VALU_DEP_1) | instskip(SKIP_3) | instid1(VALU_DEP_3)
	v_add3_u32 v134, v1, v2, v134
	v_mad_u64_u32 v[1:2], null, v128, v235, v[0:1]
	v_mul_i32_i24_e32 v2, v81, v168
	v_mul_i32_i24_e32 v81, v118, v167
	v_cvt_f32_i32_e32 v0, v1
	v_cvt_f32_i32_e32 v1, v134
	s_delay_alu instid0(VALU_DEP_1) | instskip(NEXT) | instid1(VALU_DEP_1)
	v_mul_f32_e32 v1, v162, v1
	v_fma_mix_f32 v0, v131, v0, -v1 op_sel_hi:[1,0,0]
	v_mul_i32_i24_e32 v1, v80, v164
	v_mul_i32_i24_e32 v80, v102, v197
	v_mov_b32_e32 v197, v65
	s_delay_alu instid0(VALU_DEP_4) | instskip(SKIP_2) | instid1(VALU_DEP_2)
	v_fmac_f32_e32 v219, v4, v0
	v_mul_i32_i24_e32 v0, v18, v105
	v_mul_i32_i24_e32 v18, v85, v129
	v_mad_i32_i24 v0, v46, v163, v0
	v_mul_i32_i24_e32 v46, v86, v170
	s_delay_alu instid0(VALU_DEP_2) | instskip(SKIP_3) | instid1(VALU_DEP_2)
	v_add3_u32 v0, v0, v1, v2
	v_mul_i32_i24_e32 v1, v83, v166
	v_mul_i32_i24_e32 v2, v84, v106
	;; [unrolled: 1-line block ×3, first 2 shown]
	v_add3_u32 v0, v0, v1, v2
	v_mul_i32_i24_e32 v1, v87, v127
	v_mul_i32_i24_e32 v2, v88, v135
	s_delay_alu instid0(VALU_DEP_4) | instskip(NEXT) | instid1(VALU_DEP_4)
	v_mad_i32_i24 v83, v116, v160, v83
	v_add3_u32 v0, v0, v18, v46
	v_mul_i32_i24_e32 v18, v89, v137
	v_mul_i32_i24_e32 v46, v90, v172
	s_delay_alu instid0(VALU_DEP_3) | instskip(SKIP_2) | instid1(VALU_DEP_3)
	v_add3_u32 v0, v0, v1, v2
	v_mul_i32_i24_e32 v1, v91, v171
	v_mul_i32_i24_e32 v2, v92, v173
	v_add3_u32 v0, v0, v18, v46
	v_mul_i32_i24_e32 v18, v93, v175
	v_mul_i32_i24_e32 v46, v94, v176
	s_delay_alu instid0(VALU_DEP_3) | instskip(SKIP_2) | instid1(VALU_DEP_3)
	v_add3_u32 v0, v0, v1, v2
	v_mul_i32_i24_e32 v1, v95, v187
	v_mul_i32_i24_e32 v2, v97, v178
	v_add3_u32 v0, v0, v18, v46
	v_mul_i32_i24_e32 v18, v98, v179
	s_delay_alu instid0(VALU_DEP_4) | instskip(SKIP_1) | instid1(VALU_DEP_4)
	v_mad_i32_i24 v1, v96, v206, v1
	v_mul_i32_i24_e32 v46, v101, v201
	v_mul_lo_u32 v0, v0, v177
	s_delay_alu instid0(VALU_DEP_3) | instskip(SKIP_2) | instid1(VALU_DEP_1)
	v_add3_u32 v1, v1, v2, v18
	v_mul_i32_i24_e32 v2, v99, v181
	v_mul_i32_i24_e32 v18, v100, v202
	v_add3_u32 v1, v1, v2, v18
	v_mul_i32_i24_e32 v2, v103, v194
	v_mul_i32_i24_e32 v18, v104, v203
	v_dual_mov_b32 v194, v211 :: v_dual_mov_b32 v211, v40
	s_delay_alu instid0(VALU_DEP_4) | instskip(SKIP_3) | instid1(VALU_DEP_4)
	v_add3_u32 v1, v1, v46, v80
	v_mul_i32_i24_e32 v46, v107, v186
	v_mul_i32_i24_e32 v80, v108, v142
	v_mov_b32_e32 v203, v44
	v_add3_u32 v1, v1, v2, v18
	v_mul_i32_i24_e32 v2, v109, v207
	v_mul_i32_i24_e32 v18, v110, v223
	s_delay_alu instid0(VALU_DEP_3) | instskip(SKIP_2) | instid1(VALU_DEP_3)
	v_add3_u32 v1, v1, v46, v80
	v_mul_i32_i24_e32 v46, v111, v141
	v_mul_i32_i24_e32 v80, v117, v174
	v_add3_u32 v1, v1, v2, v18
	v_mul_i32_i24_e32 v2, v113, v190
	s_delay_alu instid0(VALU_DEP_3) | instskip(SKIP_1) | instid1(VALU_DEP_4)
	v_add3_u32 v80, v83, v80, v81
	v_mul_i32_i24_e32 v18, v114, v6
	v_add3_u32 v3, v1, v46, v3
	v_mul_i32_i24_e32 v1, v112, v180
	v_mul_i32_i24_e32 v46, v115, v139
	s_delay_alu instid0(VALU_DEP_1) | instskip(NEXT) | instid1(VALU_DEP_1)
	v_add3_u32 v1, v80, v46, v1
	v_add3_u32 v18, v1, v2, v18
	v_mad_u64_u32 v[1:2], null, v3, v159, v[0:1]
	s_delay_alu instid0(VALU_DEP_1) | instskip(NEXT) | instid1(VALU_DEP_3)
	v_cvt_f32_i32_e32 v0, v1
	v_cvt_f32_i32_e32 v1, v18
	s_delay_alu instid0(VALU_DEP_1) | instskip(NEXT) | instid1(VALU_DEP_1)
	v_mul_f32_e32 v1, v5, v1
	v_fma_mix_f32 v0, v126, v0, -v1 op_sel_hi:[1,0,0]
	s_delay_alu instid0(VALU_DEP_1)
	v_fmac_f32_e32 v220, v4, v0
	ds_load_2addr_b32 v[3:4], v125 offset0:128 offset1:160
	ds_load_b128 v[83:86], v124 offset:4096
	s_waitcnt lgkmcnt(0)
	v_bfe_i32 v18, v83, 0, 8
	v_bfe_i32 v46, v83, 8, 8
	v_bfe_i32 v80, v83, 16, 8
	v_ashrrev_i32_e32 v81, 24, v83
	v_bfe_i32 v87, v84, 0, 8
	v_bfe_i32 v88, v84, 8, 8
	v_bfe_i32 v89, v84, 16, 8
	v_ashrrev_i32_e32 v90, 24, v84
	;; [unrolled: 4-line block ×4, first 2 shown]
	ds_load_b128 v[83:86], v124 offset:4112
	v_mul_i32_i24_e32 v1, v80, v198
	v_mul_i32_i24_e32 v2, v81, v199
	v_mul_i32_i24_e32 v134, v89, v64
	v_mul_i32_i24_e32 v150, v90, v216
	s_waitcnt lgkmcnt(0)
	v_bfe_i32 v99, v83, 0, 8
	v_bfe_i32 v100, v83, 8, 8
	v_bfe_i32 v101, v83, 16, 8
	v_ashrrev_i32_e32 v83, 24, v83
	v_bfe_i32 v102, v84, 0, 8
	v_bfe_i32 v103, v84, 8, 8
	v_bfe_i32 v104, v84, 16, 8
	v_ashrrev_i32_e32 v84, 24, v84
	;; [unrolled: 4-line block ×4, first 2 shown]
	v_add_nc_u32_e32 v0, v84, v83
	v_mul_i32_i24_e32 v152, v84, v74
	s_delay_alu instid0(VALU_DEP_2) | instskip(SKIP_1) | instid1(VALU_DEP_1)
	v_add3_u32 v113, v0, v85, v86
	v_add_nc_u32_e32 v0, v104, v101
	v_add3_u32 v114, v0, v109, v112
	v_add_nc_u32_e32 v0, v103, v100
	s_delay_alu instid0(VALU_DEP_1) | instskip(SKIP_1) | instid1(VALU_DEP_1)
	v_add3_u32 v115, v0, v108, v111
	v_add_nc_u32_e32 v0, v102, v99
	v_add3_u32 v116, v0, v107, v110
	v_add_nc_u32_e32 v0, v90, v81
	s_delay_alu instid0(VALU_DEP_1) | instskip(SKIP_1) | instid1(VALU_DEP_1)
	v_add3_u32 v117, v0, v94, v98
	v_add_nc_u32_e32 v0, v89, v80
	v_add3_u32 v118, v0, v93, v97
	v_add_nc_u32_e32 v0, v88, v46
	s_delay_alu instid0(VALU_DEP_2) | instskip(NEXT) | instid1(VALU_DEP_2)
	v_mul_i32_i24_e32 v153, v118, v121
	v_add3_u32 v123, v0, v92, v96
	v_add_nc_u32_e32 v0, v87, v18
	s_delay_alu instid0(VALU_DEP_2) | instskip(NEXT) | instid1(VALU_DEP_2)
	v_mul_i32_i24_e32 v154, v123, v55
	v_add3_u32 v128, v0, v91, v95
	v_mul_i32_i24_e32 v0, v18, v193
	s_delay_alu instid0(VALU_DEP_2) | instskip(NEXT) | instid1(VALU_DEP_2)
	v_mul_i32_i24_e32 v156, v128, v195
	v_mad_i32_i24 v0, v46, v60, v0
	v_mov_b32_e32 v60, v61
	s_delay_alu instid0(VALU_DEP_3) | instskip(NEXT) | instid1(VALU_DEP_3)
	v_mad_i32_i24 v156, v117, v39, v156
	v_add3_u32 v0, v0, v1, v2
	v_mul_i32_i24_e32 v1, v87, v61
	v_mul_i32_i24_e32 v2, v88, v62
	v_mov_b32_e32 v61, v66
	v_add3_u32 v153, v156, v153, v154
	v_mul_i32_i24_e32 v156, v128, v151
	v_mul_i32_i24_e32 v154, v123, v229
	v_add3_u32 v0, v0, v1, v2
	v_mul_i32_i24_e32 v1, v91, v63
	v_mul_i32_i24_e32 v2, v92, v250
	v_mad_i32_i24 v156, v117, v14, v156
	v_mov_b32_e32 v63, v9
	v_add3_u32 v0, v0, v134, v150
	v_mul_i32_i24_e32 v134, v93, v67
	v_mul_i32_i24_e32 v150, v94, v205
	s_delay_alu instid0(VALU_DEP_3) | instskip(SKIP_3) | instid1(VALU_DEP_4)
	v_add3_u32 v0, v0, v1, v2
	v_mul_i32_i24_e32 v1, v95, v66
	v_mul_i32_i24_e32 v2, v96, v69
	v_dual_mov_b32 v66, v69 :: v_dual_mov_b32 v69, v27
	v_add3_u32 v0, v0, v134, v150
	v_mul_i32_i24_e32 v134, v97, v70
	v_mul_i32_i24_e32 v150, v98, v71
	s_delay_alu instid0(VALU_DEP_3) | instskip(SKIP_2) | instid1(VALU_DEP_3)
	v_add3_u32 v0, v0, v1, v2
	v_mul_i32_i24_e32 v1, v99, v192
	v_mul_i32_i24_e32 v2, v101, v120
	v_add3_u32 v0, v0, v134, v150
	v_mul_i32_i24_e32 v134, v83, v76
	s_delay_alu instid0(VALU_DEP_4) | instskip(SKIP_1) | instid1(VALU_DEP_4)
	v_mad_i32_i24 v1, v100, v218, v1
	v_mul_i32_i24_e32 v150, v104, v77
	v_mul_lo_u32 v0, v0, v217
	s_delay_alu instid0(VALU_DEP_3) | instskip(SKIP_2) | instid1(VALU_DEP_1)
	v_add3_u32 v1, v1, v2, v134
	v_mul_i32_i24_e32 v2, v102, v240
	v_mul_i32_i24_e32 v134, v103, v122
	v_add3_u32 v1, v1, v2, v134
	v_mul_i32_i24_e32 v2, v107, v119
	v_mul_i32_i24_e32 v134, v108, v75
	s_delay_alu instid0(VALU_DEP_3) | instskip(SKIP_2) | instid1(VALU_DEP_3)
	v_add3_u32 v1, v1, v150, v152
	v_mul_i32_i24_e32 v150, v109, v73
	v_mul_i32_i24_e32 v152, v85, v243
	v_add3_u32 v1, v1, v2, v134
	v_mul_i32_i24_e32 v2, v110, v72
	v_mul_i32_i24_e32 v134, v111, v242
	s_delay_alu instid0(VALU_DEP_3) | instskip(SKIP_2) | instid1(VALU_DEP_3)
	v_add3_u32 v1, v1, v150, v152
	v_mul_i32_i24_e32 v150, v112, v244
	v_mul_i32_i24_e32 v152, v86, v255
	v_add3_u32 v1, v1, v2, v134
	v_mul_i32_i24_e32 v2, v114, v224
	s_delay_alu instid0(VALU_DEP_2) | instskip(SKIP_3) | instid1(VALU_DEP_2)
	v_add3_u32 v134, v1, v150, v152
	v_mul_i32_i24_e32 v1, v113, v239
	v_mul_i32_i24_e32 v152, v116, v56
	;; [unrolled: 1-line block ×3, first 2 shown]
	v_add3_u32 v1, v153, v152, v1
	v_mul_i32_i24_e32 v152, v84, v158
	v_mul_i32_i24_e32 v153, v118, v155
	s_delay_alu instid0(VALU_DEP_3)
	v_add3_u32 v150, v1, v2, v150
	v_mad_u64_u32 v[1:2], null, v134, v225, v[0:1]
	v_mul_i32_i24_e32 v2, v81, v79
	v_mul_i32_i24_e32 v134, v89, v236
	v_add3_u32 v153, v156, v153, v154
	v_mul_i32_i24_e32 v156, v128, v132
	v_mul_i32_i24_e32 v154, v123, v204
	v_cvt_f32_i32_e32 v0, v1
	v_cvt_f32_i32_e32 v1, v150
	v_mul_i32_i24_e32 v150, v90, v238
	v_mad_i32_i24 v156, v117, v133, v156
	s_delay_alu instid0(VALU_DEP_3) | instskip(NEXT) | instid1(VALU_DEP_1)
	v_mul_f32_e32 v1, v227, v1
	v_fma_mix_f32 v0, v182, v0, -v1 op_sel_hi:[1,0,0]
	v_mul_i32_i24_e32 v1, v80, v232
	s_delay_alu instid0(VALU_DEP_2) | instskip(SKIP_1) | instid1(VALU_DEP_1)
	v_fmac_f32_e32 v58, v3, v0
	v_mul_i32_i24_e32 v0, v18, v231
	v_mad_i32_i24 v0, v46, v228, v0
	s_delay_alu instid0(VALU_DEP_1) | instskip(SKIP_2) | instid1(VALU_DEP_1)
	v_add3_u32 v0, v0, v1, v2
	v_mul_i32_i24_e32 v1, v87, v233
	v_mul_i32_i24_e32 v2, v88, v234
	v_add3_u32 v0, v0, v1, v2
	v_mul_i32_i24_e32 v1, v91, v237
	v_mul_i32_i24_e32 v2, v92, v245
	s_delay_alu instid0(VALU_DEP_3) | instskip(SKIP_2) | instid1(VALU_DEP_3)
	v_add3_u32 v0, v0, v134, v150
	v_mul_i32_i24_e32 v134, v93, v34
	v_mul_i32_i24_e32 v150, v94, v147
	v_add3_u32 v0, v0, v1, v2
	v_mul_i32_i24_e32 v1, v95, v35
	v_mul_i32_i24_e32 v2, v96, v38
	v_mov_b32_e32 v35, v10
	s_delay_alu instid0(VALU_DEP_4) | instskip(SKIP_2) | instid1(VALU_DEP_3)
	v_add3_u32 v0, v0, v134, v150
	v_mul_i32_i24_e32 v134, v97, v40
	v_mul_i32_i24_e32 v150, v98, v41
	v_add3_u32 v0, v0, v1, v2
	v_mul_i32_i24_e32 v1, v99, v148
	v_mul_i32_i24_e32 v2, v101, v149
	s_delay_alu instid0(VALU_DEP_3) | instskip(SKIP_1) | instid1(VALU_DEP_4)
	v_add3_u32 v0, v0, v134, v150
	v_mul_i32_i24_e32 v134, v83, v157
	v_mad_i32_i24 v1, v100, v44, v1
	v_mul_i32_i24_e32 v150, v104, v47
	s_delay_alu instid0(VALU_DEP_4) | instskip(NEXT) | instid1(VALU_DEP_3)
	v_mul_lo_u32 v0, v0, v43
	v_add3_u32 v1, v1, v2, v134
	v_mul_i32_i24_e32 v2, v102, v185
	v_mul_i32_i24_e32 v134, v103, v45
	s_delay_alu instid0(VALU_DEP_1) | instskip(SKIP_2) | instid1(VALU_DEP_3)
	v_add3_u32 v1, v1, v2, v134
	v_mul_i32_i24_e32 v2, v107, v49
	v_mul_i32_i24_e32 v134, v108, v50
	v_add3_u32 v1, v1, v150, v152
	v_mul_i32_i24_e32 v150, v109, v51
	v_mul_i32_i24_e32 v152, v85, v161
	s_delay_alu instid0(VALU_DEP_3) | instskip(SKIP_2) | instid1(VALU_DEP_3)
	v_add3_u32 v1, v1, v2, v134
	v_mul_i32_i24_e32 v2, v110, v48
	v_mul_i32_i24_e32 v134, v111, v52
	v_add3_u32 v1, v1, v150, v152
	v_mul_i32_i24_e32 v150, v112, v53
	v_mul_i32_i24_e32 v152, v86, v54
	s_delay_alu instid0(VALU_DEP_3) | instskip(SKIP_1) | instid1(VALU_DEP_2)
	v_add3_u32 v1, v1, v2, v134
	v_mul_i32_i24_e32 v2, v114, v169
	v_add3_u32 v134, v1, v150, v152
	v_mul_i32_i24_e32 v1, v113, v184
	v_mul_i32_i24_e32 v152, v116, v226
	;; [unrolled: 1-line block ×3, first 2 shown]
	s_delay_alu instid0(VALU_DEP_2) | instskip(SKIP_2) | instid1(VALU_DEP_3)
	v_add3_u32 v1, v153, v152, v1
	v_mul_i32_i24_e32 v152, v84, v29
	v_mul_i32_i24_e32 v153, v118, v7
	v_add3_u32 v150, v1, v2, v150
	v_mad_u64_u32 v[1:2], null, v134, v15, v[0:1]
	v_mul_i32_i24_e32 v2, v81, v191
	v_mul_i32_i24_e32 v134, v89, v252
	v_add3_u32 v153, v156, v153, v154
	s_delay_alu instid0(VALU_DEP_4) | instskip(SKIP_2) | instid1(VALU_DEP_2)
	v_cvt_f32_i32_e32 v0, v1
	v_cvt_f32_i32_e32 v1, v150
	v_mul_i32_i24_e32 v150, v90, v196
	v_mul_f32_e32 v1, v19, v1
	s_delay_alu instid0(VALU_DEP_1) | instskip(SKIP_1) | instid1(VALU_DEP_2)
	v_fma_mix_f32 v0, v138, v0, -v1 op_sel_hi:[1,0,0]
	v_mul_i32_i24_e32 v1, v80, v189
	v_fmac_f32_e32 v22, v3, v0
	v_mul_i32_i24_e32 v0, v18, v188
	s_delay_alu instid0(VALU_DEP_1)
	v_mad_i32_i24 v0, v46, v8, v0
	v_mov_b32_e32 v8, v187
	v_mov_b32_e32 v187, v59
	scratch_load_b32 v59, off, off offset:92 ; 4-byte Folded Reload
	v_add3_u32 v0, v0, v1, v2
	v_mul_i32_i24_e32 v1, v87, v9
	v_mul_i32_i24_e32 v2, v88, v10
	v_mov_b32_e32 v10, v190
	v_mov_b32_e32 v9, v202
	;; [unrolled: 1-line block ×4, first 2 shown]
	v_add3_u32 v0, v0, v1, v2
	v_mul_i32_i24_e32 v1, v91, v253
	v_mul_i32_i24_e32 v2, v92, v82
	s_delay_alu instid0(VALU_DEP_3) | instskip(SKIP_2) | instid1(VALU_DEP_3)
	v_add3_u32 v0, v0, v134, v150
	v_mul_i32_i24_e32 v134, v93, v254
	v_mul_i32_i24_e32 v150, v94, v200
	v_add3_u32 v0, v0, v1, v2
	v_mul_i32_i24_e32 v1, v95, v248
	v_mul_i32_i24_e32 v2, v96, v20
	s_delay_alu instid0(VALU_DEP_3) | instskip(SKIP_2) | instid1(VALU_DEP_3)
	v_add3_u32 v0, v0, v134, v150
	v_mul_i32_i24_e32 v134, v97, v21
	v_mul_i32_i24_e32 v150, v98, v241
	v_add3_u32 v0, v0, v1, v2
	v_mul_i32_i24_e32 v1, v99, v210
	v_mul_i32_i24_e32 v2, v101, v213
	s_delay_alu instid0(VALU_DEP_3) | instskip(SKIP_1) | instid1(VALU_DEP_4)
	v_add3_u32 v0, v0, v134, v150
	v_mul_i32_i24_e32 v134, v83, v28
	v_mad_i32_i24 v1, v100, v209, v1
	v_mul_i32_i24_e32 v150, v104, v214
	s_delay_alu instid0(VALU_DEP_4) | instskip(NEXT) | instid1(VALU_DEP_3)
	v_mul_lo_u32 v0, v0, v208
	v_add3_u32 v1, v1, v2, v134
	v_mul_i32_i24_e32 v2, v102, v27
	v_mul_i32_i24_e32 v134, v103, v212
	v_mov_b32_e32 v27, v7
	v_dual_mov_b32 v7, v206 :: v_dual_mov_b32 v206, v41
	s_delay_alu instid0(VALU_DEP_3) | instskip(SKIP_2) | instid1(VALU_DEP_3)
	v_add3_u32 v1, v1, v2, v134
	v_mul_i32_i24_e32 v2, v107, v26
	v_mul_i32_i24_e32 v134, v108, v68
	v_add3_u32 v1, v1, v150, v152
	v_mul_i32_i24_e32 v150, v109, v222
	v_mul_i32_i24_e32 v152, v85, v145
	s_delay_alu instid0(VALU_DEP_3) | instskip(SKIP_2) | instid1(VALU_DEP_3)
	v_add3_u32 v1, v1, v2, v134
	v_mul_i32_i24_e32 v2, v110, v42
	v_mul_i32_i24_e32 v134, v111, v146
	v_add3_u32 v1, v1, v150, v152
	v_mul_i32_i24_e32 v150, v112, v144
	v_mul_i32_i24_e32 v152, v86, v143
	s_delay_alu instid0(VALU_DEP_3) | instskip(SKIP_3) | instid1(VALU_DEP_4)
	v_add3_u32 v1, v1, v2, v134
	v_mul_i32_i24_e32 v2, v114, v25
	v_mov_b32_e32 v25, v223
	v_mov_b32_e32 v223, v43
	v_add3_u32 v134, v1, v150, v152
	v_mul_i32_i24_e32 v1, v113, v57
	v_mul_i32_i24_e32 v152, v116, v183
	;; [unrolled: 1-line block ×3, first 2 shown]
	s_delay_alu instid0(VALU_DEP_2) | instskip(NEXT) | instid1(VALU_DEP_1)
	v_add3_u32 v1, v153, v152, v1
	v_add3_u32 v150, v1, v2, v150
	v_mad_u64_u32 v[1:2], null, v134, v235, v[0:1]
	v_mul_i32_i24_e32 v2, v81, v168
	v_mul_i32_i24_e32 v81, v118, v174
	s_delay_alu instid0(VALU_DEP_3) | instskip(SKIP_1) | instid1(VALU_DEP_1)
	v_cvt_f32_i32_e32 v0, v1
	v_cvt_f32_i32_e32 v1, v150
	v_mul_f32_e32 v1, v162, v1
	s_delay_alu instid0(VALU_DEP_1)
	v_fma_mix_f32 v0, v131, v0, -v1 op_sel_hi:[1,0,0]
	scratch_load_b32 v1, off, off offset:28 ; 4-byte Folded Reload
	s_waitcnt vmcnt(0)
	v_fmac_f32_e32 v1, v3, v0
	v_mul_i32_i24_e32 v0, v18, v105
	v_mul_i32_i24_e32 v18, v89, v129
	scratch_store_b32 off, v1, off offset:28 ; 4-byte Folded Spill
	v_mul_i32_i24_e32 v1, v80, v164
	v_mad_i32_i24 v0, v46, v163, v0
	v_mul_i32_i24_e32 v46, v90, v170
	v_mul_i32_i24_e32 v80, v84, v13
	;; [unrolled: 1-line block ×3, first 2 shown]
	s_delay_alu instid0(VALU_DEP_4) | instskip(SKIP_2) | instid1(VALU_DEP_4)
	v_add3_u32 v0, v0, v1, v2
	v_mul_i32_i24_e32 v1, v87, v166
	v_mul_i32_i24_e32 v2, v88, v106
	v_mad_i32_i24 v84, v117, v160, v84
	s_delay_alu instid0(VALU_DEP_2) | instskip(SKIP_2) | instid1(VALU_DEP_3)
	v_add3_u32 v0, v0, v1, v2
	v_mul_i32_i24_e32 v1, v91, v127
	v_mul_i32_i24_e32 v2, v92, v135
	v_add3_u32 v0, v0, v18, v46
	v_mul_i32_i24_e32 v18, v93, v137
	v_mul_i32_i24_e32 v46, v94, v172
	s_delay_alu instid0(VALU_DEP_3) | instskip(SKIP_2) | instid1(VALU_DEP_3)
	v_add3_u32 v0, v0, v1, v2
	v_mul_i32_i24_e32 v1, v95, v171
	v_mul_i32_i24_e32 v2, v96, v173
	v_add3_u32 v0, v0, v18, v46
	v_mul_i32_i24_e32 v18, v97, v175
	v_mul_i32_i24_e32 v46, v98, v176
	s_delay_alu instid0(VALU_DEP_3) | instskip(SKIP_2) | instid1(VALU_DEP_3)
	v_add3_u32 v0, v0, v1, v2
	v_mul_i32_i24_e32 v1, v99, v8
	v_mul_i32_i24_e32 v2, v101, v178
	v_add3_u32 v0, v0, v18, v46
	v_mul_i32_i24_e32 v18, v83, v179
	s_delay_alu instid0(VALU_DEP_4) | instskip(SKIP_3) | instid1(VALU_DEP_4)
	v_mad_i32_i24 v1, v100, v7, v1
	v_mul_i32_i24_e32 v46, v104, v11
	v_mul_i32_i24_e32 v83, v123, v167
	v_mul_lo_u32 v0, v0, v177
	v_add3_u32 v1, v1, v2, v18
	v_mul_i32_i24_e32 v2, v102, v181
	v_mul_i32_i24_e32 v18, v103, v9
	v_add3_u32 v81, v84, v81, v83
	s_delay_alu instid0(VALU_DEP_2) | instskip(SKIP_2) | instid1(VALU_DEP_3)
	v_add3_u32 v1, v1, v2, v18
	v_mul_i32_i24_e32 v2, v107, v12
	v_mul_i32_i24_e32 v18, v108, v16
	v_add3_u32 v1, v1, v46, v80
	v_mul_i32_i24_e32 v46, v109, v186
	v_mul_i32_i24_e32 v80, v85, v142
	s_delay_alu instid0(VALU_DEP_3) | instskip(SKIP_2) | instid1(VALU_DEP_3)
	v_add3_u32 v1, v1, v2, v18
	v_mul_i32_i24_e32 v2, v110, v17
	v_mul_i32_i24_e32 v18, v111, v25
	v_add3_u32 v1, v1, v46, v80
	v_mul_i32_i24_e32 v46, v112, v141
	v_mul_i32_i24_e32 v80, v86, v140
	s_delay_alu instid0(VALU_DEP_3) | instskip(SKIP_1) | instid1(VALU_DEP_2)
	v_add3_u32 v1, v1, v2, v18
	v_mul_i32_i24_e32 v2, v114, v10
	v_add3_u32 v18, v1, v46, v80
	v_mul_i32_i24_e32 v1, v113, v180
	v_mul_i32_i24_e32 v80, v116, v139
	;; [unrolled: 1-line block ×3, first 2 shown]
	s_delay_alu instid0(VALU_DEP_2) | instskip(NEXT) | instid1(VALU_DEP_1)
	v_add3_u32 v1, v81, v80, v1
	v_add3_u32 v46, v1, v2, v46
	v_mad_u64_u32 v[1:2], null, v18, v159, v[0:1]
	s_delay_alu instid0(VALU_DEP_1) | instskip(NEXT) | instid1(VALU_DEP_3)
	v_cvt_f32_i32_e32 v0, v1
	v_cvt_f32_i32_e32 v1, v46
	s_delay_alu instid0(VALU_DEP_1) | instskip(NEXT) | instid1(VALU_DEP_1)
	v_mul_f32_e32 v1, v5, v1
	v_fma_mix_f32 v0, v126, v0, -v1 op_sel_hi:[1,0,0]
	s_delay_alu instid0(VALU_DEP_1)
	v_fmac_f32_e32 v59, v3, v0
	ds_load_b128 v[0:3], v124 offset:5120
	s_waitcnt lgkmcnt(0)
	v_bfe_i32 v18, v0, 0, 8
	v_bfe_i32 v46, v0, 8, 8
	v_bfe_i32 v80, v0, 16, 8
	v_ashrrev_i32_e32 v81, 24, v0
	v_bfe_i32 v83, v1, 0, 8
	v_bfe_i32 v84, v1, 8, 8
	v_bfe_i32 v85, v1, 16, 8
	v_ashrrev_i32_e32 v86, 24, v1
	;; [unrolled: 4-line block ×4, first 2 shown]
	ds_load_b128 v[0:3], v124 offset:5136
	v_mul_i32_i24_e32 v128, v85, v64
	v_mul_i32_i24_e32 v134, v86, v216
	s_waitcnt lgkmcnt(0)
	v_ashrrev_i32_e32 v98, 24, v0
	v_ashrrev_i32_e32 v102, 24, v1
	v_bfe_i32 v95, v0, 0, 8
	v_bfe_i32 v96, v0, 8, 8
	;; [unrolled: 1-line block ×4, first 2 shown]
	v_ashrrev_i32_e32 v108, 24, v2
	v_bfe_i32 v109, v3, 0, 8
	v_bfe_i32 v110, v3, 8, 8
	;; [unrolled: 1-line block ×3, first 2 shown]
	v_ashrrev_i32_e32 v3, 24, v3
	v_add_nc_u32_e32 v0, v102, v98
	v_bfe_i32 v100, v1, 8, 8
	v_bfe_i32 v107, v2, 16, 8
	;; [unrolled: 1-line block ×4, first 2 shown]
	v_add3_u32 v112, v0, v108, v3
	v_add_nc_u32_e32 v0, v101, v97
	v_bfe_i32 v103, v2, 0, 8
	v_mul_i32_i24_e32 v1, v80, v198
	v_mul_i32_i24_e32 v2, v81, v199
	v_mul_i32_i24_e32 v150, v102, v74
	v_add3_u32 v113, v0, v107, v111
	v_dual_mov_b32 v207, v38 :: v_dual_add_nc_u32 v0, v100, v96
	v_mov_b32_e32 v246, v27
	s_delay_alu instid0(VALU_DEP_2) | instskip(SKIP_1) | instid1(VALU_DEP_1)
	v_add3_u32 v114, v0, v104, v110
	v_add_nc_u32_e32 v0, v99, v95
	v_add3_u32 v115, v0, v103, v109
	v_add_nc_u32_e32 v0, v86, v81
	s_delay_alu instid0(VALU_DEP_1) | instskip(SKIP_1) | instid1(VALU_DEP_1)
	v_add3_u32 v116, v0, v90, v94
	v_add_nc_u32_e32 v0, v85, v80
	v_add3_u32 v117, v0, v89, v93
	v_add_nc_u32_e32 v0, v84, v46
	s_delay_alu instid0(VALU_DEP_2) | instskip(NEXT) | instid1(VALU_DEP_2)
	v_mul_i32_i24_e32 v152, v117, v121
	v_add3_u32 v118, v0, v88, v92
	v_add_nc_u32_e32 v0, v83, v18
	s_delay_alu instid0(VALU_DEP_2) | instskip(NEXT) | instid1(VALU_DEP_2)
	v_mul_i32_i24_e32 v153, v118, v55
	v_add3_u32 v123, v0, v87, v91
	v_mul_i32_i24_e32 v0, v18, v193
	s_delay_alu instid0(VALU_DEP_2) | instskip(NEXT) | instid1(VALU_DEP_2)
	v_mul_i32_i24_e32 v154, v123, v195
	v_mad_i32_i24 v0, v46, v24, v0
	s_delay_alu instid0(VALU_DEP_2) | instskip(NEXT) | instid1(VALU_DEP_2)
	v_mad_i32_i24 v154, v116, v39, v154
	v_add3_u32 v0, v0, v1, v2
	v_mul_i32_i24_e32 v1, v83, v60
	v_mul_i32_i24_e32 v2, v84, v62
	s_delay_alu instid0(VALU_DEP_4) | instskip(SKIP_2) | instid1(VALU_DEP_4)
	v_add3_u32 v152, v154, v152, v153
	v_mul_i32_i24_e32 v154, v123, v151
	v_mul_i32_i24_e32 v153, v118, v229
	v_add3_u32 v0, v0, v1, v2
	v_mul_i32_i24_e32 v1, v87, v249
	v_mul_i32_i24_e32 v2, v88, v250
	v_mad_i32_i24 v154, v116, v14, v154
	s_delay_alu instid0(VALU_DEP_4) | instskip(SKIP_2) | instid1(VALU_DEP_3)
	v_add3_u32 v0, v0, v128, v134
	v_mul_i32_i24_e32 v128, v89, v67
	v_mul_i32_i24_e32 v134, v90, v205
	v_add3_u32 v0, v0, v1, v2
	v_mul_i32_i24_e32 v1, v91, v61
	v_mul_i32_i24_e32 v2, v92, v66
	s_delay_alu instid0(VALU_DEP_3) | instskip(SKIP_2) | instid1(VALU_DEP_3)
	v_add3_u32 v0, v0, v128, v134
	v_mul_i32_i24_e32 v128, v93, v70
	v_mul_i32_i24_e32 v134, v94, v71
	v_add3_u32 v0, v0, v1, v2
	v_mul_i32_i24_e32 v1, v95, v192
	v_mul_i32_i24_e32 v2, v97, v120
	s_delay_alu instid0(VALU_DEP_3) | instskip(SKIP_1) | instid1(VALU_DEP_4)
	v_add3_u32 v0, v0, v128, v134
	v_mul_i32_i24_e32 v128, v98, v76
	v_mad_i32_i24 v1, v96, v218, v1
	v_mul_i32_i24_e32 v134, v101, v77
	s_delay_alu instid0(VALU_DEP_4) | instskip(NEXT) | instid1(VALU_DEP_3)
	v_mul_lo_u32 v0, v0, v217
	v_add3_u32 v1, v1, v2, v128
	v_mul_i32_i24_e32 v2, v99, v240
	v_mul_i32_i24_e32 v128, v100, v122
	s_delay_alu instid0(VALU_DEP_1) | instskip(SKIP_2) | instid1(VALU_DEP_3)
	v_add3_u32 v1, v1, v2, v128
	v_mul_i32_i24_e32 v2, v103, v119
	v_mul_i32_i24_e32 v128, v104, v75
	v_add3_u32 v1, v1, v134, v150
	v_mul_i32_i24_e32 v134, v107, v73
	v_mul_i32_i24_e32 v150, v108, v243
	s_delay_alu instid0(VALU_DEP_3) | instskip(SKIP_2) | instid1(VALU_DEP_3)
	v_add3_u32 v1, v1, v2, v128
	v_mul_i32_i24_e32 v2, v109, v72
	v_mul_i32_i24_e32 v128, v110, v242
	v_add3_u32 v1, v1, v134, v150
	v_mul_i32_i24_e32 v134, v111, v244
	v_mul_i32_i24_e32 v150, v3, v255
	s_delay_alu instid0(VALU_DEP_3) | instskip(SKIP_1) | instid1(VALU_DEP_2)
	v_add3_u32 v1, v1, v2, v128
	v_mul_i32_i24_e32 v2, v113, v224
	v_add3_u32 v128, v1, v134, v150
	v_mul_i32_i24_e32 v1, v112, v239
	v_mul_i32_i24_e32 v150, v115, v56
	;; [unrolled: 1-line block ×3, first 2 shown]
	s_delay_alu instid0(VALU_DEP_2) | instskip(SKIP_2) | instid1(VALU_DEP_3)
	v_add3_u32 v1, v152, v150, v1
	v_mul_i32_i24_e32 v150, v102, v158
	v_mul_i32_i24_e32 v152, v117, v155
	v_add3_u32 v134, v1, v2, v134
	v_mad_u64_u32 v[1:2], null, v128, v225, v[0:1]
	v_mul_i32_i24_e32 v2, v81, v79
	v_mul_i32_i24_e32 v128, v85, v236
	v_add3_u32 v152, v154, v152, v153
	v_mul_i32_i24_e32 v154, v123, v132
	v_mul_i32_i24_e32 v153, v118, v204
	v_cvt_f32_i32_e32 v0, v1
	v_cvt_f32_i32_e32 v1, v134
	v_mul_i32_i24_e32 v134, v86, v238
	v_mad_i32_i24 v154, v116, v133, v154
	s_delay_alu instid0(VALU_DEP_3) | instskip(NEXT) | instid1(VALU_DEP_1)
	v_mul_f32_e32 v1, v227, v1
	v_fma_mix_f32 v0, v182, v0, -v1 op_sel_hi:[1,0,0]
	v_mul_i32_i24_e32 v1, v80, v232
	s_delay_alu instid0(VALU_DEP_2) | instskip(SKIP_1) | instid1(VALU_DEP_1)
	v_fmac_f32_e32 v190, v4, v0
	v_mul_i32_i24_e32 v0, v18, v231
	v_mad_i32_i24 v0, v46, v228, v0
	s_delay_alu instid0(VALU_DEP_1) | instskip(SKIP_2) | instid1(VALU_DEP_1)
	v_add3_u32 v0, v0, v1, v2
	v_mul_i32_i24_e32 v1, v83, v233
	v_mul_i32_i24_e32 v2, v84, v234
	v_add3_u32 v0, v0, v1, v2
	v_mul_i32_i24_e32 v1, v87, v237
	v_mul_i32_i24_e32 v2, v88, v245
	s_delay_alu instid0(VALU_DEP_3) | instskip(SKIP_2) | instid1(VALU_DEP_3)
	v_add3_u32 v0, v0, v128, v134
	v_mul_i32_i24_e32 v128, v89, v34
	v_mul_i32_i24_e32 v134, v90, v147
	v_add3_u32 v0, v0, v1, v2
	v_mul_i32_i24_e32 v1, v91, v78
	v_mul_i32_i24_e32 v2, v92, v38
	v_mov_b32_e32 v38, v252
	v_mov_b32_e32 v252, v63
	v_add3_u32 v0, v0, v128, v134
	v_mul_i32_i24_e32 v128, v93, v40
	v_mul_i32_i24_e32 v134, v94, v41
	v_mov_b32_e32 v40, v253
	s_delay_alu instid0(VALU_DEP_4) | instskip(SKIP_2) | instid1(VALU_DEP_3)
	v_add3_u32 v0, v0, v1, v2
	v_mul_i32_i24_e32 v1, v95, v148
	v_mul_i32_i24_e32 v2, v97, v149
	v_add3_u32 v0, v0, v128, v134
	v_mul_i32_i24_e32 v128, v98, v157
	s_delay_alu instid0(VALU_DEP_4)
	v_mad_i32_i24 v1, v96, v44, v1
	v_mul_i32_i24_e32 v134, v101, v47
	v_mov_b32_e32 v44, v248
	v_mul_lo_u32 v0, v0, v43
	v_mov_b32_e32 v43, v254
	v_add3_u32 v1, v1, v2, v128
	v_mul_i32_i24_e32 v2, v99, v185
	v_mul_i32_i24_e32 v128, v100, v45
	v_mov_b32_e32 v254, v17
	v_mov_b32_e32 v248, v253
	s_delay_alu instid0(VALU_DEP_3) | instskip(SKIP_2) | instid1(VALU_DEP_3)
	v_add3_u32 v1, v1, v2, v128
	v_mul_i32_i24_e32 v2, v103, v49
	v_mul_i32_i24_e32 v128, v104, v50
	v_add3_u32 v1, v1, v134, v150
	v_mul_i32_i24_e32 v134, v107, v51
	v_mul_i32_i24_e32 v150, v108, v161
	s_delay_alu instid0(VALU_DEP_3) | instskip(SKIP_2) | instid1(VALU_DEP_3)
	v_add3_u32 v1, v1, v2, v128
	v_mul_i32_i24_e32 v2, v109, v48
	v_mul_i32_i24_e32 v128, v110, v52
	v_add3_u32 v1, v1, v134, v150
	v_mul_i32_i24_e32 v134, v111, v53
	v_mul_i32_i24_e32 v150, v3, v54
	s_delay_alu instid0(VALU_DEP_3) | instskip(SKIP_1) | instid1(VALU_DEP_2)
	v_add3_u32 v1, v1, v2, v128
	v_mul_i32_i24_e32 v2, v113, v169
	v_add3_u32 v128, v1, v134, v150
	v_mul_i32_i24_e32 v1, v112, v184
	v_mul_i32_i24_e32 v150, v115, v226
	;; [unrolled: 1-line block ×3, first 2 shown]
	s_delay_alu instid0(VALU_DEP_2) | instskip(SKIP_3) | instid1(VALU_DEP_4)
	v_add3_u32 v1, v152, v150, v1
	v_mul_i32_i24_e32 v150, v102, v29
	v_mul_i32_i24_e32 v152, v117, v27
	v_mov_b32_e32 v27, v159
	v_add3_u32 v134, v1, v2, v134
	v_mad_u64_u32 v[1:2], null, v128, v15, v[0:1]
	v_mul_i32_i24_e32 v2, v81, v191
	v_mul_i32_i24_e32 v128, v85, v38
	v_add3_u32 v152, v154, v152, v153
	s_delay_alu instid0(VALU_DEP_4) | instskip(SKIP_2) | instid1(VALU_DEP_2)
	v_cvt_f32_i32_e32 v0, v1
	v_cvt_f32_i32_e32 v1, v134
	v_mul_i32_i24_e32 v134, v86, v196
	v_mul_f32_e32 v1, v19, v1
	s_delay_alu instid0(VALU_DEP_1)
	v_fma_mix_f32 v0, v138, v0, -v1 op_sel_hi:[1,0,0]
	scratch_load_b32 v1, off, off offset:32 ; 4-byte Folded Reload
	s_waitcnt vmcnt(0)
	v_fmac_f32_e32 v1, v4, v0
	v_mul_i32_i24_e32 v0, v18, v188
	scratch_store_b32 off, v1, off offset:32 ; 4-byte Folded Spill
	v_mul_i32_i24_e32 v1, v80, v189
	v_mad_i32_i24 v0, v46, v247, v0
	s_delay_alu instid0(VALU_DEP_1) | instskip(SKIP_2) | instid1(VALU_DEP_1)
	v_add3_u32 v0, v0, v1, v2
	v_mul_i32_i24_e32 v1, v83, v63
	v_mul_i32_i24_e32 v2, v84, v35
	v_add3_u32 v0, v0, v1, v2
	v_mul_i32_i24_e32 v1, v87, v40
	v_mul_i32_i24_e32 v2, v88, v82
	s_delay_alu instid0(VALU_DEP_3) | instskip(SKIP_2) | instid1(VALU_DEP_3)
	v_add3_u32 v0, v0, v128, v134
	v_mul_i32_i24_e32 v128, v89, v43
	v_mul_i32_i24_e32 v134, v90, v200
	v_add3_u32 v0, v0, v1, v2
	v_mul_i32_i24_e32 v1, v91, v44
	v_mul_i32_i24_e32 v2, v92, v20
	s_delay_alu instid0(VALU_DEP_3) | instskip(SKIP_2) | instid1(VALU_DEP_3)
	v_add3_u32 v0, v0, v128, v134
	v_mul_i32_i24_e32 v128, v93, v21
	v_mul_i32_i24_e32 v134, v94, v241
	v_add3_u32 v0, v0, v1, v2
	v_mul_i32_i24_e32 v1, v95, v210
	v_mul_i32_i24_e32 v2, v97, v213
	s_delay_alu instid0(VALU_DEP_3) | instskip(SKIP_1) | instid1(VALU_DEP_4)
	v_add3_u32 v0, v0, v128, v134
	v_mul_i32_i24_e32 v128, v98, v28
	v_mad_i32_i24 v1, v96, v209, v1
	v_mul_i32_i24_e32 v134, v101, v214
	s_delay_alu instid0(VALU_DEP_4) | instskip(NEXT) | instid1(VALU_DEP_3)
	v_mul_lo_u32 v0, v0, v208
	v_add3_u32 v1, v1, v2, v128
	v_mul_i32_i24_e32 v2, v99, v69
	v_mul_i32_i24_e32 v128, v100, v212
	s_delay_alu instid0(VALU_DEP_1) | instskip(SKIP_2) | instid1(VALU_DEP_3)
	v_add3_u32 v1, v1, v2, v128
	v_mul_i32_i24_e32 v2, v103, v26
	v_mul_i32_i24_e32 v128, v104, v68
	v_add3_u32 v1, v1, v134, v150
	v_mul_i32_i24_e32 v134, v107, v222
	v_mul_i32_i24_e32 v150, v108, v145
	s_delay_alu instid0(VALU_DEP_3) | instskip(SKIP_2) | instid1(VALU_DEP_3)
	v_add3_u32 v1, v1, v2, v128
	v_mul_i32_i24_e32 v2, v109, v42
	v_mul_i32_i24_e32 v128, v110, v146
	v_add3_u32 v1, v1, v134, v150
	v_mul_i32_i24_e32 v134, v111, v144
	v_mul_i32_i24_e32 v150, v3, v143
	;; [unrolled: 1-line block ×3, first 2 shown]
	s_delay_alu instid0(VALU_DEP_4) | instskip(SKIP_1) | instid1(VALU_DEP_2)
	v_add3_u32 v1, v1, v2, v128
	v_mul_i32_i24_e32 v2, v113, v65
	v_add3_u32 v128, v1, v134, v150
	v_mul_i32_i24_e32 v1, v112, v57
	v_mul_i32_i24_e32 v150, v115, v183
	;; [unrolled: 1-line block ×3, first 2 shown]
	s_delay_alu instid0(VALU_DEP_2) | instskip(NEXT) | instid1(VALU_DEP_1)
	v_add3_u32 v1, v152, v150, v1
	v_add3_u32 v134, v1, v2, v134
	v_mad_u64_u32 v[1:2], null, v128, v235, v[0:1]
	v_mul_i32_i24_e32 v2, v81, v168
	v_mul_i32_i24_e32 v81, v118, v167
	s_delay_alu instid0(VALU_DEP_3) | instskip(SKIP_1) | instid1(VALU_DEP_1)
	v_cvt_f32_i32_e32 v0, v1
	v_cvt_f32_i32_e32 v1, v134
	v_mul_f32_e32 v1, v162, v1
	s_delay_alu instid0(VALU_DEP_1) | instskip(SKIP_2) | instid1(VALU_DEP_3)
	v_fma_mix_f32 v0, v131, v0, -v1 op_sel_hi:[1,0,0]
	v_mul_i32_i24_e32 v1, v80, v164
	v_mul_i32_i24_e32 v80, v102, v13
	v_fmac_f32_e32 v187, v4, v0
	v_mul_i32_i24_e32 v0, v18, v105
	v_mul_i32_i24_e32 v18, v85, v129
	s_delay_alu instid0(VALU_DEP_2) | instskip(SKIP_1) | instid1(VALU_DEP_2)
	v_mad_i32_i24 v0, v46, v163, v0
	v_mul_i32_i24_e32 v46, v86, v170
	v_add3_u32 v0, v0, v1, v2
	v_mul_i32_i24_e32 v1, v83, v166
	v_mul_i32_i24_e32 v2, v84, v106
	;; [unrolled: 1-line block ×3, first 2 shown]
	s_delay_alu instid0(VALU_DEP_2) | instskip(SKIP_2) | instid1(VALU_DEP_4)
	v_add3_u32 v0, v0, v1, v2
	v_mul_i32_i24_e32 v1, v87, v127
	v_mul_i32_i24_e32 v2, v88, v135
	v_mad_i32_i24 v83, v116, v160, v83
	s_delay_alu instid0(VALU_DEP_4) | instskip(SKIP_2) | instid1(VALU_DEP_3)
	v_add3_u32 v0, v0, v18, v46
	v_mul_i32_i24_e32 v18, v89, v137
	v_mul_i32_i24_e32 v46, v90, v172
	v_add3_u32 v0, v0, v1, v2
	v_mul_i32_i24_e32 v1, v91, v171
	v_mul_i32_i24_e32 v2, v92, v173
	s_delay_alu instid0(VALU_DEP_3) | instskip(SKIP_2) | instid1(VALU_DEP_3)
	v_add3_u32 v0, v0, v18, v46
	v_mul_i32_i24_e32 v18, v93, v175
	v_mul_i32_i24_e32 v46, v94, v176
	v_add3_u32 v0, v0, v1, v2
	v_mul_i32_i24_e32 v1, v95, v8
	v_mul_i32_i24_e32 v2, v97, v178
	s_delay_alu instid0(VALU_DEP_3) | instskip(SKIP_1) | instid1(VALU_DEP_4)
	v_add3_u32 v0, v0, v18, v46
	v_mul_i32_i24_e32 v18, v98, v179
	v_mad_i32_i24 v1, v96, v7, v1
	v_mul_i32_i24_e32 v46, v101, v11
	s_delay_alu instid0(VALU_DEP_4) | instskip(NEXT) | instid1(VALU_DEP_3)
	v_mul_lo_u32 v0, v0, v177
	v_add3_u32 v1, v1, v2, v18
	v_mul_i32_i24_e32 v2, v99, v181
	v_mul_i32_i24_e32 v18, v100, v9
	s_delay_alu instid0(VALU_DEP_1) | instskip(SKIP_2) | instid1(VALU_DEP_3)
	v_add3_u32 v1, v1, v2, v18
	v_mul_i32_i24_e32 v2, v103, v12
	v_mul_i32_i24_e32 v18, v104, v16
	v_add3_u32 v1, v1, v46, v80
	v_mul_i32_i24_e32 v46, v107, v186
	v_mul_i32_i24_e32 v80, v108, v142
	s_delay_alu instid0(VALU_DEP_3) | instskip(SKIP_2) | instid1(VALU_DEP_3)
	v_add3_u32 v1, v1, v2, v18
	v_mul_i32_i24_e32 v2, v109, v17
	v_mul_i32_i24_e32 v18, v110, v25
	v_add3_u32 v1, v1, v46, v80
	v_mul_i32_i24_e32 v46, v111, v141
	v_mul_i32_i24_e32 v80, v117, v174
	s_delay_alu instid0(VALU_DEP_3) | instskip(SKIP_1) | instid1(VALU_DEP_3)
	v_add3_u32 v1, v1, v2, v18
	v_mul_i32_i24_e32 v2, v113, v10
	v_add3_u32 v80, v83, v80, v81
	v_mul_i32_i24_e32 v18, v114, v6
	s_delay_alu instid0(VALU_DEP_4) | instskip(SKIP_2) | instid1(VALU_DEP_1)
	v_add3_u32 v3, v1, v46, v3
	v_mul_i32_i24_e32 v1, v112, v180
	v_mul_i32_i24_e32 v46, v115, v139
	v_add3_u32 v1, v80, v46, v1
	s_delay_alu instid0(VALU_DEP_1) | instskip(SKIP_2) | instid1(VALU_DEP_2)
	v_add3_u32 v18, v1, v2, v18
	v_mad_u64_u32 v[1:2], null, v3, v159, v[0:1]
	v_mov_b32_e32 v159, v35
	v_cvt_f32_i32_e32 v0, v1
	s_delay_alu instid0(VALU_DEP_4) | instskip(NEXT) | instid1(VALU_DEP_1)
	v_cvt_f32_i32_e32 v1, v18
	v_mul_f32_e32 v1, v5, v1
	s_delay_alu instid0(VALU_DEP_1)
	v_fma_mix_f32 v0, v126, v0, -v1 op_sel_hi:[1,0,0]
	scratch_load_b32 v1, off, off offset:40 ; 4-byte Folded Reload
	s_waitcnt vmcnt(0)
	v_fmac_f32_e32 v1, v4, v0
	scratch_store_b32 off, v1, off offset:40 ; 4-byte Folded Spill
	ds_load_2addr_b32 v[3:4], v125 offset0:192 offset1:224
	ds_load_b128 v[83:86], v124 offset:6144
	v_mov_b32_e32 v65, v193
	v_add_nc_u32_e32 v125, 4, v125
	s_waitcnt lgkmcnt(0)
	v_bfe_i32 v18, v83, 0, 8
	v_bfe_i32 v46, v83, 8, 8
	v_bfe_i32 v80, v83, 16, 8
	v_ashrrev_i32_e32 v81, 24, v83
	v_bfe_i32 v87, v84, 0, 8
	v_bfe_i32 v88, v84, 8, 8
	v_bfe_i32 v89, v84, 16, 8
	v_ashrrev_i32_e32 v90, 24, v84
	;; [unrolled: 4-line block ×4, first 2 shown]
	ds_load_b128 v[83:86], v124 offset:6160
	v_mov_b32_e32 v201, v69
	v_mul_i32_i24_e32 v1, v80, v198
	v_mul_i32_i24_e32 v2, v81, v199
	;; [unrolled: 1-line block ×4, first 2 shown]
	v_mov_b32_e32 v69, v198
	v_mov_b32_e32 v198, v250
	s_waitcnt lgkmcnt(0)
	v_bfe_i32 v99, v83, 0, 8
	v_bfe_i32 v100, v83, 8, 8
	v_bfe_i32 v101, v83, 16, 8
	v_ashrrev_i32_e32 v83, 24, v83
	v_bfe_i32 v102, v84, 0, 8
	v_bfe_i32 v103, v84, 8, 8
	v_bfe_i32 v104, v84, 16, 8
	v_ashrrev_i32_e32 v84, 24, v84
	;; [unrolled: 4-line block ×4, first 2 shown]
	v_add_nc_u32_e32 v0, v84, v83
	v_mul_i32_i24_e32 v152, v84, v74
	s_delay_alu instid0(VALU_DEP_2) | instskip(SKIP_1) | instid1(VALU_DEP_1)
	v_add3_u32 v113, v0, v85, v86
	v_add_nc_u32_e32 v0, v104, v101
	v_add3_u32 v114, v0, v109, v112
	v_add_nc_u32_e32 v0, v103, v100
	s_delay_alu instid0(VALU_DEP_1) | instskip(SKIP_1) | instid1(VALU_DEP_1)
	v_add3_u32 v115, v0, v108, v111
	v_add_nc_u32_e32 v0, v102, v99
	v_add3_u32 v116, v0, v107, v110
	v_add_nc_u32_e32 v0, v90, v81
	s_delay_alu instid0(VALU_DEP_1) | instskip(SKIP_1) | instid1(VALU_DEP_1)
	v_add3_u32 v117, v0, v94, v98
	v_add_nc_u32_e32 v0, v89, v80
	v_add3_u32 v118, v0, v93, v97
	v_add_nc_u32_e32 v0, v88, v46
	s_delay_alu instid0(VALU_DEP_2) | instskip(NEXT) | instid1(VALU_DEP_2)
	v_mul_i32_i24_e32 v153, v118, v121
	v_add3_u32 v123, v0, v92, v96
	v_add_nc_u32_e32 v0, v87, v18
	s_delay_alu instid0(VALU_DEP_2) | instskip(NEXT) | instid1(VALU_DEP_2)
	v_mul_i32_i24_e32 v154, v123, v55
	v_add3_u32 v128, v0, v91, v95
	v_mul_i32_i24_e32 v0, v18, v193
	v_mov_b32_e32 v193, v249
	s_delay_alu instid0(VALU_DEP_3) | instskip(NEXT) | instid1(VALU_DEP_3)
	v_mul_i32_i24_e32 v156, v128, v195
	v_mad_i32_i24 v0, v46, v24, v0
	s_delay_alu instid0(VALU_DEP_2) | instskip(NEXT) | instid1(VALU_DEP_2)
	v_mad_i32_i24 v156, v117, v39, v156
	v_add3_u32 v0, v0, v1, v2
	v_mul_i32_i24_e32 v1, v87, v60
	v_mul_i32_i24_e32 v2, v88, v62
	s_delay_alu instid0(VALU_DEP_4) | instskip(SKIP_2) | instid1(VALU_DEP_4)
	v_add3_u32 v153, v156, v153, v154
	v_mul_i32_i24_e32 v156, v128, v151
	v_mul_i32_i24_e32 v154, v123, v229
	v_add3_u32 v0, v0, v1, v2
	v_mul_i32_i24_e32 v1, v91, v249
	v_mul_i32_i24_e32 v2, v92, v250
	v_mov_b32_e32 v249, v251
	v_mad_i32_i24 v156, v117, v14, v156
	v_add3_u32 v0, v0, v134, v150
	v_mul_i32_i24_e32 v134, v93, v67
	v_mul_i32_i24_e32 v150, v94, v205
	v_dual_mov_b32 v251, v44 :: v_dual_mov_b32 v250, v43
	s_delay_alu instid0(VALU_DEP_4) | instskip(SKIP_2) | instid1(VALU_DEP_3)
	v_add3_u32 v0, v0, v1, v2
	v_mul_i32_i24_e32 v1, v95, v61
	v_mul_i32_i24_e32 v2, v96, v66
	v_add3_u32 v0, v0, v134, v150
	v_mul_i32_i24_e32 v134, v97, v70
	v_mul_i32_i24_e32 v150, v98, v71
	s_delay_alu instid0(VALU_DEP_3) | instskip(SKIP_2) | instid1(VALU_DEP_3)
	v_add3_u32 v0, v0, v1, v2
	v_mul_i32_i24_e32 v1, v99, v192
	v_mul_i32_i24_e32 v2, v101, v120
	v_add3_u32 v0, v0, v134, v150
	v_mul_i32_i24_e32 v134, v83, v76
	s_delay_alu instid0(VALU_DEP_4) | instskip(SKIP_1) | instid1(VALU_DEP_4)
	v_mad_i32_i24 v1, v100, v218, v1
	v_mul_i32_i24_e32 v150, v104, v77
	v_mul_lo_u32 v0, v0, v217
	s_delay_alu instid0(VALU_DEP_3) | instskip(SKIP_2) | instid1(VALU_DEP_1)
	v_add3_u32 v1, v1, v2, v134
	v_mul_i32_i24_e32 v2, v102, v240
	v_mul_i32_i24_e32 v134, v103, v122
	v_add3_u32 v1, v1, v2, v134
	v_mul_i32_i24_e32 v2, v107, v119
	v_mul_i32_i24_e32 v134, v108, v75
	s_delay_alu instid0(VALU_DEP_3) | instskip(SKIP_2) | instid1(VALU_DEP_3)
	v_add3_u32 v1, v1, v150, v152
	v_mul_i32_i24_e32 v150, v109, v73
	v_mul_i32_i24_e32 v152, v85, v243
	v_add3_u32 v1, v1, v2, v134
	v_mul_i32_i24_e32 v2, v110, v72
	v_mul_i32_i24_e32 v134, v111, v242
	s_delay_alu instid0(VALU_DEP_3) | instskip(SKIP_2) | instid1(VALU_DEP_3)
	v_add3_u32 v1, v1, v150, v152
	v_mul_i32_i24_e32 v150, v112, v244
	v_mul_i32_i24_e32 v152, v86, v255
	v_add3_u32 v1, v1, v2, v134
	v_mul_i32_i24_e32 v2, v114, v224
	s_delay_alu instid0(VALU_DEP_2) | instskip(SKIP_3) | instid1(VALU_DEP_2)
	v_add3_u32 v134, v1, v150, v152
	v_mul_i32_i24_e32 v1, v113, v239
	v_mul_i32_i24_e32 v152, v116, v56
	v_mul_i32_i24_e32 v150, v115, v221
	v_add3_u32 v1, v153, v152, v1
	v_mul_i32_i24_e32 v152, v84, v158
	v_mul_i32_i24_e32 v153, v118, v155
	s_delay_alu instid0(VALU_DEP_3)
	v_add3_u32 v150, v1, v2, v150
	v_mad_u64_u32 v[1:2], null, v134, v225, v[0:1]
	v_mul_i32_i24_e32 v2, v81, v79
	v_mul_i32_i24_e32 v134, v89, v236
	v_add3_u32 v153, v156, v153, v154
	v_mul_i32_i24_e32 v156, v128, v132
	v_mul_i32_i24_e32 v154, v123, v204
	v_cvt_f32_i32_e32 v0, v1
	v_cvt_f32_i32_e32 v1, v150
	v_mul_i32_i24_e32 v150, v90, v238
	v_mad_i32_i24 v156, v117, v133, v156
	s_delay_alu instid0(VALU_DEP_3) | instskip(NEXT) | instid1(VALU_DEP_1)
	v_mul_f32_e32 v1, v227, v1
	v_fma_mix_f32 v0, v182, v0, -v1 op_sel_hi:[1,0,0]
	v_mul_i32_i24_e32 v1, v80, v232
	s_delay_alu instid0(VALU_DEP_2) | instskip(SKIP_1) | instid1(VALU_DEP_1)
	v_fmac_f32_e32 v249, v3, v0
	v_mul_i32_i24_e32 v0, v18, v231
	v_mad_i32_i24 v0, v46, v228, v0
	s_delay_alu instid0(VALU_DEP_1) | instskip(SKIP_2) | instid1(VALU_DEP_1)
	v_add3_u32 v0, v0, v1, v2
	v_mul_i32_i24_e32 v1, v87, v233
	v_mul_i32_i24_e32 v2, v88, v234
	v_add3_u32 v0, v0, v1, v2
	v_mul_i32_i24_e32 v1, v91, v237
	v_mul_i32_i24_e32 v2, v92, v245
	s_delay_alu instid0(VALU_DEP_3) | instskip(SKIP_2) | instid1(VALU_DEP_3)
	v_add3_u32 v0, v0, v134, v150
	v_mul_i32_i24_e32 v134, v93, v202
	v_mul_i32_i24_e32 v150, v94, v147
	v_add3_u32 v0, v0, v1, v2
	v_mul_i32_i24_e32 v1, v95, v78
	v_mul_i32_i24_e32 v2, v96, v207
	s_delay_alu instid0(VALU_DEP_3) | instskip(SKIP_2) | instid1(VALU_DEP_3)
	v_add3_u32 v0, v0, v134, v150
	v_mul_i32_i24_e32 v134, v97, v211
	v_mul_i32_i24_e32 v150, v98, v206
	v_add3_u32 v0, v0, v1, v2
	v_mul_i32_i24_e32 v1, v99, v148
	v_mul_i32_i24_e32 v2, v101, v149
	s_delay_alu instid0(VALU_DEP_3) | instskip(SKIP_1) | instid1(VALU_DEP_4)
	v_add3_u32 v0, v0, v134, v150
	v_mul_i32_i24_e32 v134, v83, v157
	v_mad_i32_i24 v1, v100, v203, v1
	v_mul_i32_i24_e32 v150, v104, v47
	s_delay_alu instid0(VALU_DEP_4) | instskip(NEXT) | instid1(VALU_DEP_3)
	v_mul_lo_u32 v0, v0, v223
	v_add3_u32 v1, v1, v2, v134
	v_mul_i32_i24_e32 v2, v102, v185
	v_mul_i32_i24_e32 v134, v103, v45
	s_delay_alu instid0(VALU_DEP_1) | instskip(SKIP_2) | instid1(VALU_DEP_3)
	v_add3_u32 v1, v1, v2, v134
	v_mul_i32_i24_e32 v2, v107, v49
	v_mul_i32_i24_e32 v134, v108, v50
	v_add3_u32 v1, v1, v150, v152
	v_mul_i32_i24_e32 v150, v109, v51
	v_mul_i32_i24_e32 v152, v85, v161
	s_delay_alu instid0(VALU_DEP_3) | instskip(SKIP_2) | instid1(VALU_DEP_3)
	v_add3_u32 v1, v1, v2, v134
	v_mul_i32_i24_e32 v2, v110, v48
	v_mul_i32_i24_e32 v134, v111, v52
	v_add3_u32 v1, v1, v150, v152
	v_mul_i32_i24_e32 v150, v112, v53
	v_mul_i32_i24_e32 v152, v86, v54
	s_delay_alu instid0(VALU_DEP_3) | instskip(SKIP_1) | instid1(VALU_DEP_2)
	v_add3_u32 v1, v1, v2, v134
	v_mul_i32_i24_e32 v2, v114, v169
	v_add3_u32 v134, v1, v150, v152
	v_mul_i32_i24_e32 v1, v113, v184
	v_mul_i32_i24_e32 v152, v116, v226
	;; [unrolled: 1-line block ×3, first 2 shown]
	s_delay_alu instid0(VALU_DEP_2) | instskip(SKIP_2) | instid1(VALU_DEP_3)
	v_add3_u32 v1, v153, v152, v1
	v_mul_i32_i24_e32 v153, v118, v246
	v_mul_i32_i24_e32 v152, v84, v29
	v_add3_u32 v150, v1, v2, v150
	v_mad_u64_u32 v[1:2], null, v134, v15, v[0:1]
	s_delay_alu instid0(VALU_DEP_4)
	v_add3_u32 v153, v156, v153, v154
	scratch_load_b32 v154, off, off offset:84 ; 4-byte Folded Reload
	v_mul_i32_i24_e32 v2, v81, v191
	v_mul_i32_i24_e32 v134, v89, v38
	v_mov_b32_e32 v156, v136
	v_cvt_f32_i32_e32 v0, v1
	v_cvt_f32_i32_e32 v1, v150
	v_mul_i32_i24_e32 v150, v90, v196
	s_delay_alu instid0(VALU_DEP_2) | instskip(NEXT) | instid1(VALU_DEP_1)
	v_mul_f32_e32 v1, v19, v1
	v_fma_mix_f32 v0, v138, v0, -v1 op_sel_hi:[1,0,0]
	scratch_load_b32 v1, off, off offset:36 ; 4-byte Folded Reload
	s_waitcnt vmcnt(0)
	v_fmac_f32_e32 v1, v3, v0
	v_mul_i32_i24_e32 v0, v18, v188
	scratch_store_b32 off, v1, off offset:36 ; 4-byte Folded Spill
	v_mul_i32_i24_e32 v1, v80, v189
	v_mad_i32_i24 v0, v46, v247, v0
	s_delay_alu instid0(VALU_DEP_1) | instskip(SKIP_2) | instid1(VALU_DEP_1)
	v_add3_u32 v0, v0, v1, v2
	v_mul_i32_i24_e32 v1, v87, v63
	v_mul_i32_i24_e32 v2, v88, v35
	v_add3_u32 v0, v0, v1, v2
	v_mul_i32_i24_e32 v1, v91, v40
	v_mul_i32_i24_e32 v2, v92, v82
	s_delay_alu instid0(VALU_DEP_3) | instskip(SKIP_2) | instid1(VALU_DEP_3)
	v_add3_u32 v0, v0, v134, v150
	v_mul_i32_i24_e32 v134, v93, v43
	v_mul_i32_i24_e32 v150, v94, v200
	v_add3_u32 v0, v0, v1, v2
	v_mul_i32_i24_e32 v1, v95, v44
	v_mul_i32_i24_e32 v2, v96, v20
	s_delay_alu instid0(VALU_DEP_3) | instskip(SKIP_2) | instid1(VALU_DEP_3)
	v_add3_u32 v0, v0, v134, v150
	v_mul_i32_i24_e32 v134, v97, v21
	v_mul_i32_i24_e32 v150, v98, v241
	v_add3_u32 v0, v0, v1, v2
	v_mul_i32_i24_e32 v1, v99, v210
	v_mul_i32_i24_e32 v2, v101, v213
	s_delay_alu instid0(VALU_DEP_3) | instskip(SKIP_1) | instid1(VALU_DEP_4)
	v_add3_u32 v0, v0, v134, v150
	v_mul_i32_i24_e32 v134, v83, v28
	v_mad_i32_i24 v1, v100, v209, v1
	v_mul_i32_i24_e32 v150, v104, v214
	s_delay_alu instid0(VALU_DEP_4) | instskip(NEXT) | instid1(VALU_DEP_3)
	v_mul_lo_u32 v0, v0, v208
	v_add3_u32 v1, v1, v2, v134
	v_mul_i32_i24_e32 v2, v102, v201
	v_mul_i32_i24_e32 v134, v103, v212
	s_delay_alu instid0(VALU_DEP_1) | instskip(SKIP_2) | instid1(VALU_DEP_3)
	v_add3_u32 v1, v1, v2, v134
	v_mul_i32_i24_e32 v2, v107, v26
	v_mul_i32_i24_e32 v134, v108, v68
	v_add3_u32 v1, v1, v150, v152
	v_mul_i32_i24_e32 v150, v109, v222
	v_mul_i32_i24_e32 v152, v85, v145
	s_delay_alu instid0(VALU_DEP_3) | instskip(SKIP_2) | instid1(VALU_DEP_3)
	v_add3_u32 v1, v1, v2, v134
	v_mul_i32_i24_e32 v2, v110, v42
	v_mul_i32_i24_e32 v134, v111, v146
	v_add3_u32 v1, v1, v150, v152
	v_mul_i32_i24_e32 v150, v112, v144
	v_mul_i32_i24_e32 v152, v86, v143
	s_delay_alu instid0(VALU_DEP_3) | instskip(SKIP_1) | instid1(VALU_DEP_2)
	v_add3_u32 v1, v1, v2, v134
	v_mul_i32_i24_e32 v2, v114, v197
	v_add3_u32 v134, v1, v150, v152
	v_mul_i32_i24_e32 v1, v113, v57
	v_mul_i32_i24_e32 v152, v116, v183
	;; [unrolled: 1-line block ×3, first 2 shown]
	s_delay_alu instid0(VALU_DEP_2)
	v_add3_u32 v1, v153, v152, v1
	scratch_load_b32 v153, off, off offset:76 ; 4-byte Folded Reload
	v_add3_u32 v150, v1, v2, v150
	v_mad_u64_u32 v[1:2], null, v134, v235, v[0:1]
	scratch_load_b32 v134, off, off offset:16 ; 4-byte Folded Reload
	v_mul_i32_i24_e32 v2, v81, v168
	v_mul_i32_i24_e32 v81, v118, v174
	v_cvt_f32_i32_e32 v0, v1
	v_cvt_f32_i32_e32 v1, v150
	scratch_load_b32 v150, off, off offset:72 ; 4-byte Folded Reload
	v_mul_f32_e32 v1, v162, v1
	s_delay_alu instid0(VALU_DEP_1)
	v_fma_mix_f32 v0, v131, v0, -v1 op_sel_hi:[1,0,0]
	v_mul_i32_i24_e32 v1, v80, v164
	v_mul_i32_i24_e32 v80, v84, v13
	;; [unrolled: 1-line block ×3, first 2 shown]
	scratch_load_b32 v128, off, off offset:12 ; 4-byte Folded Reload
	v_mov_b32_e32 v17, v5
	v_mov_b32_e32 v5, v247
	;; [unrolled: 1-line block ×3, first 2 shown]
	v_mad_i32_i24 v84, v117, v160, v84
	s_waitcnt vmcnt(2)
	v_fmac_f32_e32 v134, v3, v0
	v_mul_i32_i24_e32 v0, v18, v105
	v_mul_i32_i24_e32 v18, v89, v129
	s_delay_alu instid0(VALU_DEP_2) | instskip(SKIP_1) | instid1(VALU_DEP_2)
	v_mad_i32_i24 v0, v46, v163, v0
	v_mul_i32_i24_e32 v46, v90, v170
	v_add3_u32 v0, v0, v1, v2
	v_mul_i32_i24_e32 v1, v87, v166
	v_mul_i32_i24_e32 v2, v88, v106
	s_delay_alu instid0(VALU_DEP_1) | instskip(SKIP_2) | instid1(VALU_DEP_3)
	v_add3_u32 v0, v0, v1, v2
	v_mul_i32_i24_e32 v1, v91, v127
	v_mul_i32_i24_e32 v2, v92, v135
	v_add3_u32 v0, v0, v18, v46
	v_mul_i32_i24_e32 v18, v93, v137
	v_mul_i32_i24_e32 v46, v94, v172
	s_delay_alu instid0(VALU_DEP_3) | instskip(SKIP_2) | instid1(VALU_DEP_3)
	v_add3_u32 v0, v0, v1, v2
	v_mul_i32_i24_e32 v1, v95, v171
	v_mul_i32_i24_e32 v2, v96, v173
	v_add3_u32 v0, v0, v18, v46
	v_mul_i32_i24_e32 v18, v97, v175
	v_mul_i32_i24_e32 v46, v98, v176
	s_delay_alu instid0(VALU_DEP_3) | instskip(SKIP_2) | instid1(VALU_DEP_3)
	v_add3_u32 v0, v0, v1, v2
	v_mul_i32_i24_e32 v1, v99, v8
	v_mul_i32_i24_e32 v2, v101, v178
	v_add3_u32 v0, v0, v18, v46
	v_mul_i32_i24_e32 v18, v83, v179
	s_delay_alu instid0(VALU_DEP_4)
	v_mad_i32_i24 v1, v100, v7, v1
	v_mul_i32_i24_e32 v46, v104, v11
	v_mul_i32_i24_e32 v83, v123, v167
	v_mul_lo_u32 v0, v0, v177
	ds_load_b128 v[98:101], v124 offset:7184
	v_add3_u32 v1, v1, v2, v18
	v_mul_i32_i24_e32 v2, v102, v181
	v_mul_i32_i24_e32 v18, v103, v9
	v_add3_u32 v81, v84, v81, v83
	s_delay_alu instid0(VALU_DEP_2) | instskip(SKIP_3) | instid1(VALU_DEP_4)
	v_add3_u32 v1, v1, v2, v18
	v_mul_i32_i24_e32 v2, v107, v12
	v_mul_i32_i24_e32 v18, v108, v16
	v_dual_mov_b32 v108, v27 :: v_dual_mov_b32 v107, v17
	v_add3_u32 v1, v1, v46, v80
	v_mul_i32_i24_e32 v46, v109, v186
	v_mul_i32_i24_e32 v80, v85, v142
	s_delay_alu instid0(VALU_DEP_3)
	v_add3_u32 v1, v1, v2, v18
	v_mul_i32_i24_e32 v2, v110, v254
	v_mul_i32_i24_e32 v18, v111, v25
	s_waitcnt lgkmcnt(0)
	v_ashrrev_i32_e32 v111, 24, v99
	v_bfe_i32 v110, v99, 16, 8
	v_add3_u32 v1, v1, v46, v80
	v_mul_i32_i24_e32 v46, v112, v141
	v_mul_i32_i24_e32 v80, v86, v140
	v_ashrrev_i32_e32 v117, 24, v101
	v_bfe_i32 v112, v98, 0, 8
	v_add3_u32 v1, v1, v2, v18
	v_mul_i32_i24_e32 v2, v114, v10
	v_bfe_i32 v123, v98, 8, 8
	v_bfe_i32 v114, v100, 16, 8
	;; [unrolled: 1-line block ×3, first 2 shown]
	v_add3_u32 v18, v1, v46, v80
	v_mul_i32_i24_e32 v1, v113, v180
	v_mul_i32_i24_e32 v80, v116, v139
	;; [unrolled: 1-line block ×3, first 2 shown]
	v_ashrrev_i32_e32 v116, 24, v98
	v_bfe_i32 v113, v98, 16, 8
	v_bfe_i32 v98, v101, 16, 8
	v_add3_u32 v1, v81, v80, v1
	v_bfe_i32 v97, v101, 8, 8
	v_bfe_i32 v96, v101, 0, 8
	v_mul_i32_i24_e32 v34, v112, v192
	v_mul_i32_i24_e32 v35, v113, v120
	v_add3_u32 v46, v1, v2, v46
	v_mad_u64_u32 v[1:2], null, v18, v27, v[0:1]
	v_ashrrev_i32_e32 v18, 24, v100
	v_mul_i32_i24_e32 v41, v116, v76
	v_mad_i32_i24 v27, v123, v218, v34
	v_mul_i32_i24_e32 v38, v110, v77
	v_mul_i32_i24_e32 v40, v111, v74
	v_cvt_f32_i32_e32 v0, v1
	v_cvt_f32_i32_e32 v1, v46
	v_add3_u32 v27, v27, v35, v41
	s_delay_alu instid0(VALU_DEP_2) | instskip(SKIP_1) | instid1(VALU_DEP_2)
	v_mul_f32_e32 v1, v17, v1
	v_mul_i32_i24_e32 v17, v109, v50
	v_fma_mix_f32 v0, v126, v0, -v1 op_sel_hi:[1,0,0]
	s_waitcnt vmcnt(0)
	s_delay_alu instid0(VALU_DEP_1)
	v_fmac_f32_e32 v128, v3, v0
	ds_load_b128 v[0:3], v124 offset:7168
	v_add_nc_u32_e32 v124, 32, v124
	s_waitcnt lgkmcnt(0)
	v_bfe_i32 v84, v2, 0, 8
	v_bfe_i32 v85, v2, 8, 8
	;; [unrolled: 1-line block ×3, first 2 shown]
	v_ashrrev_i32_e32 v87, 24, v2
	v_bfe_i32 v81, v3, 0, 8
	v_bfe_i32 v46, v3, 8, 8
	;; [unrolled: 1-line block ×3, first 2 shown]
	v_ashrrev_i32_e32 v83, 24, v3
	v_add_nc_u32_e32 v3, v111, v116
	v_bfe_i32 v89, v1, 0, 8
	v_bfe_i32 v90, v1, 8, 8
	;; [unrolled: 1-line block ×3, first 2 shown]
	v_ashrrev_i32_e32 v92, 24, v1
	v_bfe_i32 v1, v99, 8, 8
	v_add3_u32 v115, v3, v18, v117
	v_add_nc_u32_e32 v3, v110, v113
	v_bfe_i32 v93, v0, 0, 8
	v_bfe_i32 v88, v0, 8, 8
	;; [unrolled: 1-line block ×3, first 2 shown]
	v_ashrrev_i32_e32 v95, 24, v0
	v_bfe_i32 v0, v99, 0, 8
	v_add3_u32 v118, v3, v114, v98
	v_add_nc_u32_e32 v3, v1, v123
	v_bfe_i32 v99, v100, 0, 8
	v_mul_i32_i24_e32 v63, v94, v69
	v_mul_i32_i24_e32 v60, v89, v60
	;; [unrolled: 1-line block ×3, first 2 shown]
	v_add3_u32 v100, v3, v109, v97
	v_add_nc_u32_e32 v3, v0, v112
	v_mul_i32_i24_e32 v34, v0, v240
	v_mul_i32_i24_e32 v35, v1, v122
	s_delay_alu instid0(VALU_DEP_3) | instskip(SKIP_1) | instid1(VALU_DEP_3)
	v_add3_u32 v101, v3, v99, v96
	v_add_nc_u32_e32 v3, v92, v95
	v_add3_u32 v27, v27, v34, v35
	v_mul_i32_i24_e32 v34, v99, v119
	v_mul_i32_i24_e32 v35, v109, v75
	s_delay_alu instid0(VALU_DEP_4) | instskip(SKIP_4) | instid1(VALU_DEP_4)
	v_add3_u32 v80, v3, v87, v83
	v_add_nc_u32_e32 v3, v91, v94
	v_add3_u32 v27, v27, v38, v40
	v_mul_i32_i24_e32 v38, v114, v73
	v_mul_i32_i24_e32 v40, v18, v243
	v_add3_u32 v102, v3, v86, v2
	v_add_nc_u32_e32 v3, v90, v88
	v_add3_u32 v27, v27, v34, v35
	v_mul_i32_i24_e32 v34, v96, v72
	v_mul_i32_i24_e32 v35, v97, v242
	;; [unrolled: 1-line block ×3, first 2 shown]
	v_add3_u32 v103, v3, v85, v46
	v_add_nc_u32_e32 v3, v89, v93
	v_add3_u32 v27, v27, v38, v40
	v_mul_i32_i24_e32 v38, v98, v244
	v_mul_i32_i24_e32 v40, v117, v255
	;; [unrolled: 1-line block ×3, first 2 shown]
	v_add3_u32 v104, v3, v84, v81
	v_mul_i32_i24_e32 v3, v93, v65
	v_mul_i32_i24_e32 v65, v95, v199
	v_add3_u32 v27, v27, v34, v35
	v_mul_i32_i24_e32 v34, v115, v239
	v_mul_i32_i24_e32 v44, v104, v195
	v_mad_i32_i24 v3, v88, v24, v3
	v_mul_i32_i24_e32 v35, v118, v224
	v_add3_u32 v27, v27, v38, v40
	v_mul_i32_i24_e32 v40, v101, v56
	v_mad_i32_i24 v44, v80, v39, v44
	v_add3_u32 v3, v3, v63, v65
	v_mul_i32_i24_e32 v63, v90, v62
	v_mul_i32_i24_e32 v65, v91, v64
	;; [unrolled: 1-line block ×3, first 2 shown]
	v_add3_u32 v41, v44, v41, v43
	v_mul_i32_i24_e32 v24, v114, v51
	v_add3_u32 v3, v3, v60, v63
	v_mul_i32_i24_e32 v60, v84, v193
	v_mul_i32_i24_e32 v63, v85, v198
	v_add3_u32 v34, v41, v40, v34
	v_mul_i32_i24_e32 v40, v111, v158
	v_add3_u32 v3, v3, v65, v69
	v_mul_i32_i24_e32 v65, v86, v67
	v_mul_i32_i24_e32 v69, v87, v205
	scratch_load_b32 v67, off, off offset:48 ; 4-byte Folded Reload
	v_add3_u32 v38, v34, v35, v38
	v_add3_u32 v3, v3, v60, v63
	v_mul_i32_i24_e32 v60, v81, v61
	v_mul_i32_i24_e32 v63, v46, v66
	scratch_load_b32 v66, off, off offset:44 ; 4-byte Folded Reload
	v_mul_i32_i24_e32 v41, v104, v151
	v_add3_u32 v3, v3, v65, v69
	v_mul_i32_i24_e32 v65, v2, v70
	v_mul_i32_i24_e32 v69, v83, v71
	s_delay_alu instid0(VALU_DEP_4) | instskip(NEXT) | instid1(VALU_DEP_4)
	v_mad_i32_i24 v41, v80, v14, v41
	v_add3_u32 v3, v3, v60, v63
	s_delay_alu instid0(VALU_DEP_1)
	v_add3_u32 v3, v3, v65, v69
	s_clause 0x3
	scratch_load_b32 v69, off, off offset:52
	scratch_load_b32 v44, off, off offset:4
	;; [unrolled: 1-line block ×4, first 2 shown]
	v_mul_lo_u32 v3, v3, v217
	s_delay_alu instid0(VALU_DEP_1) | instskip(SKIP_3) | instid1(VALU_DEP_3)
	v_mad_u64_u32 v[34:35], null, v27, v225, v[3:4]
	v_cvt_f32_i32_e32 v27, v38
	v_mul_i32_i24_e32 v35, v91, v236
	v_mul_i32_i24_e32 v38, v92, v238
	v_mul_f32_e32 v27, v227, v27
	v_cvt_f32_i32_e32 v3, v34
	v_mul_i32_i24_e32 v34, v95, v79
	s_delay_alu instid0(VALU_DEP_2) | instskip(SKIP_2) | instid1(VALU_DEP_2)
	v_fma_mix_f32 v3, v182, v3, -v27 op_sel_hi:[1,0,0]
	v_mul_i32_i24_e32 v27, v94, v232
	s_waitcnt vmcnt(1)
	v_fmac_f32_e32 v43, v4, v3
	v_mul_i32_i24_e32 v3, v93, v231
	s_delay_alu instid0(VALU_DEP_1) | instskip(NEXT) | instid1(VALU_DEP_1)
	v_mad_i32_i24 v3, v88, v228, v3
	v_add3_u32 v3, v3, v27, v34
	v_mul_i32_i24_e32 v27, v89, v233
	v_mul_i32_i24_e32 v34, v90, v234
	s_delay_alu instid0(VALU_DEP_1) | instskip(SKIP_2) | instid1(VALU_DEP_3)
	v_add3_u32 v3, v3, v27, v34
	v_mul_i32_i24_e32 v27, v84, v237
	v_mul_i32_i24_e32 v34, v85, v245
	v_add3_u32 v3, v3, v35, v38
	v_mul_i32_i24_e32 v35, v86, v202
	v_mul_i32_i24_e32 v38, v87, v147
	s_delay_alu instid0(VALU_DEP_3) | instskip(SKIP_2) | instid1(VALU_DEP_3)
	v_add3_u32 v3, v3, v27, v34
	v_mul_i32_i24_e32 v27, v81, v78
	v_mul_i32_i24_e32 v34, v46, v207
	v_add3_u32 v3, v3, v35, v38
	v_mul_i32_i24_e32 v35, v2, v211
	v_mul_i32_i24_e32 v38, v83, v206
	s_delay_alu instid0(VALU_DEP_3) | instskip(SKIP_2) | instid1(VALU_DEP_3)
	v_add3_u32 v3, v3, v27, v34
	v_mul_i32_i24_e32 v27, v112, v148
	v_mul_i32_i24_e32 v34, v113, v149
	v_add3_u32 v3, v3, v35, v38
	v_mul_i32_i24_e32 v35, v116, v157
	s_delay_alu instid0(VALU_DEP_4) | instskip(SKIP_1) | instid1(VALU_DEP_4)
	v_mad_i32_i24 v27, v123, v203, v27
	v_mul_i32_i24_e32 v38, v110, v47
	v_mul_lo_u32 v3, v3, v223
	s_delay_alu instid0(VALU_DEP_3) | instskip(SKIP_2) | instid1(VALU_DEP_1)
	v_add3_u32 v27, v27, v34, v35
	v_mul_i32_i24_e32 v34, v0, v185
	v_mul_i32_i24_e32 v35, v1, v45
	v_add3_u32 v27, v27, v34, v35
	v_mul_i32_i24_e32 v34, v99, v49
	v_mul_i32_i24_e32 v35, v18, v161
	s_delay_alu instid0(VALU_DEP_3) | instskip(SKIP_2) | instid1(VALU_DEP_3)
	v_add3_u32 v27, v27, v38, v40
	v_mul_i32_i24_e32 v38, v102, v155
	v_mul_i32_i24_e32 v40, v103, v229
	v_add3_u32 v17, v27, v34, v17
	v_mul_i32_i24_e32 v27, v97, v52
	v_mul_i32_i24_e32 v34, v98, v53
	s_delay_alu instid0(VALU_DEP_4)
	v_add3_u32 v38, v41, v38, v40
	v_mul_i32_i24_e32 v41, v104, v132
	v_add3_u32 v17, v17, v24, v35
	v_mul_i32_i24_e32 v24, v96, v48
	v_mul_i32_i24_e32 v35, v117, v54
	;; [unrolled: 1-line block ×3, first 2 shown]
	v_mad_i32_i24 v41, v80, v133, v41
	s_delay_alu instid0(VALU_DEP_4) | instskip(SKIP_2) | instid1(VALU_DEP_3)
	v_add3_u32 v17, v17, v24, v27
	v_mul_i32_i24_e32 v24, v115, v184
	v_mul_i32_i24_e32 v27, v118, v169
	v_add3_u32 v17, v17, v34, v35
	v_mul_i32_i24_e32 v35, v101, v226
	v_mul_i32_i24_e32 v34, v100, v165
	s_delay_alu instid0(VALU_DEP_2) | instskip(SKIP_1) | instid1(VALU_DEP_2)
	v_add3_u32 v24, v38, v35, v24
	v_mul_i32_i24_e32 v38, v102, v246
	v_add3_u32 v24, v24, v27, v34
	v_mad_u64_u32 v[34:35], null, v17, v15, v[3:4]
	v_mul_i32_i24_e32 v27, v91, v247
	v_mul_i32_i24_e32 v35, v111, v29
	s_delay_alu instid0(VALU_DEP_4) | instskip(SKIP_3) | instid1(VALU_DEP_4)
	v_cvt_f32_i32_e32 v17, v24
	v_mul_i32_i24_e32 v24, v95, v191
	v_add3_u32 v38, v41, v38, v40
	v_cvt_f32_i32_e32 v3, v34
	v_mul_f32_e32 v17, v19, v17
	v_mul_i32_i24_e32 v34, v92, v196
	s_delay_alu instid0(VALU_DEP_2) | instskip(SKIP_1) | instid1(VALU_DEP_2)
	v_fma_mix_f32 v3, v138, v3, -v17 op_sel_hi:[1,0,0]
	v_mul_i32_i24_e32 v17, v94, v189
	v_fmac_f32_e32 v44, v4, v3
	v_mul_i32_i24_e32 v3, v93, v188
	s_delay_alu instid0(VALU_DEP_1) | instskip(SKIP_1) | instid1(VALU_DEP_2)
	v_mad_i32_i24 v3, v88, v5, v3
	v_mul_i32_i24_e32 v5, v87, v172
	v_add3_u32 v3, v3, v17, v24
	v_mul_i32_i24_e32 v17, v89, v252
	v_mul_i32_i24_e32 v24, v90, v159
	s_delay_alu instid0(VALU_DEP_1) | instskip(SKIP_2) | instid1(VALU_DEP_3)
	v_add3_u32 v3, v3, v17, v24
	v_mul_i32_i24_e32 v17, v84, v248
	v_mul_i32_i24_e32 v24, v85, v82
	v_add3_u32 v3, v3, v27, v34
	v_mul_i32_i24_e32 v27, v86, v250
	v_mul_i32_i24_e32 v34, v87, v200
	s_delay_alu instid0(VALU_DEP_3) | instskip(SKIP_2) | instid1(VALU_DEP_3)
	v_add3_u32 v3, v3, v17, v24
	v_mul_i32_i24_e32 v17, v81, v251
	v_mul_i32_i24_e32 v24, v46, v20
	v_add3_u32 v3, v3, v27, v34
	v_mul_i32_i24_e32 v27, v2, v21
	v_mul_i32_i24_e32 v34, v83, v241
	scratch_load_b32 v21, off, off offset:88 ; 4-byte Folded Reload
	v_mul_i32_i24_e32 v2, v2, v175
	v_add3_u32 v3, v3, v17, v24
	v_mul_i32_i24_e32 v17, v112, v210
	v_mul_i32_i24_e32 v24, v113, v213
	s_delay_alu instid0(VALU_DEP_3) | instskip(SKIP_1) | instid1(VALU_DEP_4)
	v_add3_u32 v3, v3, v27, v34
	v_mul_i32_i24_e32 v27, v116, v28
	v_mad_i32_i24 v17, v123, v209, v17
	v_mul_i32_i24_e32 v34, v110, v214
	s_delay_alu instid0(VALU_DEP_4) | instskip(NEXT) | instid1(VALU_DEP_3)
	v_mul_lo_u32 v3, v3, v208
	v_add3_u32 v17, v17, v24, v27
	v_mul_i32_i24_e32 v24, v0, v201
	v_mul_i32_i24_e32 v27, v1, v212
	;; [unrolled: 1-line block ×4, first 2 shown]
	s_delay_alu instid0(VALU_DEP_3) | instskip(SKIP_2) | instid1(VALU_DEP_3)
	v_add3_u32 v17, v17, v24, v27
	v_mul_i32_i24_e32 v24, v99, v26
	v_mul_i32_i24_e32 v27, v109, v68
	v_add3_u32 v17, v17, v34, v35
	v_mul_i32_i24_e32 v34, v114, v222
	v_mul_i32_i24_e32 v35, v18, v145
	s_delay_alu instid0(VALU_DEP_3) | instskip(SKIP_2) | instid1(VALU_DEP_3)
	v_add3_u32 v17, v17, v24, v27
	v_mul_i32_i24_e32 v24, v96, v42
	v_mul_i32_i24_e32 v27, v97, v146
	v_add3_u32 v17, v17, v34, v35
	v_mul_i32_i24_e32 v34, v98, v144
	v_mul_i32_i24_e32 v35, v117, v143
	s_delay_alu instid0(VALU_DEP_3) | instskip(SKIP_2) | instid1(VALU_DEP_3)
	v_add3_u32 v17, v17, v24, v27
	v_mul_i32_i24_e32 v24, v115, v57
	v_mul_i32_i24_e32 v27, v118, v197
	v_add3_u32 v17, v17, v34, v35
	v_mul_i32_i24_e32 v34, v100, v23
	scratch_load_b32 v23, off, off          ; 4-byte Folded Reload
	v_mul_i32_i24_e32 v35, v101, v183
	s_delay_alu instid0(VALU_DEP_1) | instskip(NEXT) | instid1(VALU_DEP_1)
	v_add3_u32 v24, v38, v35, v24
	v_add3_u32 v24, v24, v27, v34
	v_mad_u64_u32 v[34:35], null, v17, v235, v[3:4]
	v_mul_i32_i24_e32 v27, v91, v129
	s_delay_alu instid0(VALU_DEP_3) | instskip(SKIP_1) | instid1(VALU_DEP_4)
	v_cvt_f32_i32_e32 v17, v24
	v_mul_i32_i24_e32 v24, v95, v168
	v_cvt_f32_i32_e32 v3, v34
	s_delay_alu instid0(VALU_DEP_3) | instskip(SKIP_1) | instid1(VALU_DEP_2)
	v_mul_f32_e32 v17, v162, v17
	v_mul_i32_i24_e32 v34, v92, v170
	v_fma_mix_f32 v3, v131, v3, -v17 op_sel_hi:[1,0,0]
	v_mul_i32_i24_e32 v17, v94, v164
	s_waitcnt vmcnt(0)
	s_delay_alu instid0(VALU_DEP_2) | instskip(SKIP_1) | instid1(VALU_DEP_1)
	v_fmac_f32_e32 v23, v4, v3
	v_mul_i32_i24_e32 v3, v93, v105
	v_mad_i32_i24 v3, v88, v163, v3
	s_delay_alu instid0(VALU_DEP_1) | instskip(SKIP_2) | instid1(VALU_DEP_1)
	v_add3_u32 v3, v3, v17, v24
	v_mul_i32_i24_e32 v17, v89, v166
	v_mul_i32_i24_e32 v24, v90, v106
	v_add3_u32 v3, v3, v17, v24
	v_mul_i32_i24_e32 v17, v84, v127
	v_mul_i32_i24_e32 v24, v85, v135
	scratch_load_b32 v135, off, off offset:56 ; 4-byte Folded Reload
	v_add3_u32 v3, v3, v27, v34
	v_mul_i32_i24_e32 v27, v86, v137
	s_delay_alu instid0(VALU_DEP_2) | instskip(SKIP_2) | instid1(VALU_DEP_3)
	v_add3_u32 v3, v3, v17, v24
	v_mul_i32_i24_e32 v17, v46, v173
	v_mul_i32_i24_e32 v24, v83, v176
	v_add3_u32 v3, v3, v27, v5
	v_mul_i32_i24_e32 v5, v81, v171
	v_mul_i32_i24_e32 v27, v103, v167
	s_delay_alu instid0(VALU_DEP_2) | instskip(SKIP_2) | instid1(VALU_DEP_3)
	v_add3_u32 v3, v3, v5, v17
	v_mul_i32_i24_e32 v5, v113, v178
	v_mul_i32_i24_e32 v17, v116, v179
	v_add3_u32 v2, v3, v2, v24
	v_mul_i32_i24_e32 v24, v102, v174
	s_delay_alu instid0(VALU_DEP_2) | instskip(SKIP_3) | instid1(VALU_DEP_1)
	v_mul_lo_u32 v3, v2, v177
	v_mul_i32_i24_e32 v2, v112, v8
	scratch_load_b32 v177, off, off offset:80 ; 4-byte Folded Reload
	v_mad_i32_i24 v2, v123, v7, v2
	v_add3_u32 v2, v2, v5, v17
	v_mul_i32_i24_e32 v5, v110, v11
	v_mul_i32_i24_e32 v17, v111, v13
	s_delay_alu instid0(VALU_DEP_3) | instskip(SKIP_2) | instid1(VALU_DEP_3)
	v_add3_u32 v0, v2, v0, v1
	v_mul_i32_i24_e32 v1, v99, v12
	v_mul_i32_i24_e32 v2, v109, v16
	v_add3_u32 v0, v0, v5, v17
	v_mul_i32_i24_e32 v5, v114, v186
	v_mul_i32_i24_e32 v17, v18, v142
	;; [unrolled: 1-line block ×3, first 2 shown]
	s_delay_alu instid0(VALU_DEP_4) | instskip(SKIP_2) | instid1(VALU_DEP_3)
	v_add3_u32 v0, v0, v1, v2
	v_mul_i32_i24_e32 v1, v96, v254
	v_mul_i32_i24_e32 v2, v97, v25
	v_add3_u32 v0, v0, v5, v17
	v_mul_i32_i24_e32 v5, v98, v141
	scratch_load_b32 v141, off, off offset:68 ; 4-byte Folded Reload
	v_mul_i32_i24_e32 v17, v117, v140
	scratch_load_b32 v140, off, off offset:64 ; 4-byte Folded Reload
	v_add3_u32 v0, v0, v1, v2
	v_mul_i32_i24_e32 v1, v118, v10
	v_mul_i32_i24_e32 v2, v100, v6
	s_delay_alu instid0(VALU_DEP_3) | instskip(SKIP_2) | instid1(VALU_DEP_2)
	v_add3_u32 v0, v0, v5, v17
	v_mul_i32_i24_e32 v5, v104, v130
	v_mul_i32_i24_e32 v17, v115, v180
	v_mad_i32_i24 v5, v80, v160, v5
	s_delay_alu instid0(VALU_DEP_1) | instskip(NEXT) | instid1(VALU_DEP_1)
	v_add3_u32 v24, v5, v24, v27
	v_add3_u32 v5, v24, v18, v17
	v_mad_u64_u32 v[17:18], null, v0, v108, v[3:4]
	s_delay_alu instid0(VALU_DEP_2) | instskip(NEXT) | instid1(VALU_DEP_2)
	v_add3_u32 v1, v5, v1, v2
	v_cvt_f32_i32_e32 v0, v17
	s_delay_alu instid0(VALU_DEP_2) | instskip(NEXT) | instid1(VALU_DEP_1)
	v_cvt_f32_i32_e32 v1, v1
	v_mul_f32_e32 v1, v107, v1
	s_delay_alu instid0(VALU_DEP_1) | instskip(SKIP_1) | instid1(VALU_DEP_1)
	v_fma_mix_f32 v0, v126, v0, -v1 op_sel_hi:[1,0,0]
	s_waitcnt vmcnt(2)
	v_fmac_f32_e32 v177, v4, v0
	s_cbranch_scc1 .LBB127_12
; %bb.13:                               ;   in Loop: Header=BB127_8 Depth=2
	s_waitcnt vmcnt(0)
	s_waitcnt_vscnt null, 0x0
	s_barrier
	buffer_gl0_inv
	s_clause 0xd
	scratch_load_b32 v70, off, off offset:96
	scratch_load_b32 v71, off, off offset:100
	;; [unrolled: 1-line block ×14, first 2 shown]
	s_add_i32 s13, s13, 16
	v_dual_mov_b32 v6, v23 :: v_dual_mov_b32 v105, v128
	v_dual_mov_b32 v78, v44 :: v_dual_mov_b32 v127, v134
	;; [unrolled: 1-line block ×5, first 2 shown]
	v_mov_b32_e32 v16, v190
	v_mov_b32_e32 v214, v220
	;; [unrolled: 1-line block ×6, first 2 shown]
	s_cmp_eq_u32 s14, 4
	s_cselect_b32 s15, -1, 0
	s_delay_alu instid0(SALU_CYCLE_1)
	s_and_b32 vcc_lo, exec_lo, s15
	s_cbranch_vccz .LBB127_8
	s_branch .LBB127_5
.LBB127_14:
	s_clause 0x2
	scratch_load_b32 v1, off, off offset:416
	scratch_load_b32 v0, off, off offset:132
	;; [unrolled: 1-line block ×3, first 2 shown]
.LBB127_15:
	s_mov_b32 s0, exec_lo
	s_waitcnt vmcnt(0)
	v_cmpx_gt_u32_e64 s4, v2
	s_cbranch_execz .LBB127_66
; %bb.16:
	v_add_nc_u32_e32 v0, s10, v0
	v_mul_lo_u32 v17, v2, s6
	s_delay_alu instid0(VALU_DEP_2)
	v_cmp_gt_u32_e32 vcc_lo, s6, v0
	s_and_saveexec_b32 s1, vcc_lo
	s_cbranch_execz .LBB127_18
; %bb.17:
	s_delay_alu instid0(VALU_DEP_2) | instskip(NEXT) | instid1(VALU_DEP_1)
	v_dual_mov_b32 v3, 0 :: v_dual_add_nc_u32 v2, v0, v17
	v_lshlrev_b64 v[2:3], 2, v[2:3]
	s_waitcnt lgkmcnt(0)
	s_delay_alu instid0(VALU_DEP_1) | instskip(NEXT) | instid1(VALU_DEP_1)
	v_add_co_u32 v2, s0, s8, v2
	v_add_co_ci_u32_e64 v3, s0, s9, v3, s0
	global_store_b32 v[2:3], v194, off
.LBB127_18:
	s_or_b32 exec_lo, exec_lo, s1
	v_add_nc_u32_e32 v2, 32, v0
	s_delay_alu instid0(VALU_DEP_1) | instskip(NEXT) | instid1(VALU_DEP_1)
	v_cmp_gt_u32_e64 s0, s6, v2
	s_and_saveexec_b32 s2, s0
	s_cbranch_execz .LBB127_20
; %bb.19:
	v_dual_mov_b32 v4, 0 :: v_dual_add_nc_u32 v3, v2, v17
	s_delay_alu instid0(VALU_DEP_1) | instskip(SKIP_1) | instid1(VALU_DEP_1)
	v_lshlrev_b64 v[3:4], 2, v[3:4]
	s_waitcnt lgkmcnt(0)
	v_add_co_u32 v3, s1, s8, v3
	s_delay_alu instid0(VALU_DEP_1)
	v_add_co_ci_u32_e64 v4, s1, s9, v4, s1
	global_store_b32 v[3:4], v238, off
.LBB127_20:
	s_or_b32 exec_lo, exec_lo, s2
	v_add_nc_u32_e32 v3, 64, v0
	s_delay_alu instid0(VALU_DEP_1) | instskip(NEXT) | instid1(VALU_DEP_1)
	v_cmp_gt_u32_e64 s1, s6, v3
	s_and_saveexec_b32 s3, s1
	s_cbranch_execz .LBB127_22
; %bb.21:
	v_dual_mov_b32 v35, 0 :: v_dual_add_nc_u32 v34, v3, v17
	s_delay_alu instid0(VALU_DEP_1) | instskip(SKIP_1) | instid1(VALU_DEP_1)
	v_lshlrev_b64 v[34:35], 2, v[34:35]
	s_waitcnt lgkmcnt(0)
	v_add_co_u32 v34, s2, s8, v34
	s_delay_alu instid0(VALU_DEP_1)
	v_add_co_ci_u32_e64 v35, s2, s9, v35, s2
	global_store_b32 v[34:35], v234, off
.LBB127_22:
	;; [unrolled: 16-line block ×3, first 2 shown]
	s_or_b32 exec_lo, exec_lo, s5
	v_add3_u32 v17, v1, s7, 8
	s_delay_alu instid0(VALU_DEP_1) | instskip(NEXT) | instid1(VALU_DEP_1)
	v_cmp_gt_u32_e64 s3, s4, v17
	s_and_b32 exec_lo, exec_lo, s3
	s_cbranch_execz .LBB127_66
; %bb.25:
	v_mul_lo_u32 v17, v17, s6
	s_and_saveexec_b32 s5, vcc_lo
	s_cbranch_execnz .LBB127_67
; %bb.26:
	s_or_b32 exec_lo, exec_lo, s5
	s_and_saveexec_b32 s5, s0
	s_cbranch_execnz .LBB127_68
.LBB127_27:
	s_or_b32 exec_lo, exec_lo, s5
	s_and_saveexec_b32 s5, s1
	s_cbranch_execnz .LBB127_69
.LBB127_28:
	s_or_b32 exec_lo, exec_lo, s5
	s_and_saveexec_b32 s5, s2
	s_cbranch_execz .LBB127_30
.LBB127_29:
	v_dual_mov_b32 v18, 0 :: v_dual_add_nc_u32 v17, v17, v4
	s_delay_alu instid0(VALU_DEP_1) | instskip(SKIP_1) | instid1(VALU_DEP_1)
	v_lshlrev_b64 v[17:18], 2, v[17:18]
	s_waitcnt lgkmcnt(0)
	v_add_co_u32 v17, s3, s8, v17
	s_delay_alu instid0(VALU_DEP_1)
	v_add_co_ci_u32_e64 v18, s3, s9, v18, s3
	global_store_b32 v[17:18], v36, off
.LBB127_30:
	s_or_b32 exec_lo, exec_lo, s5
	v_add3_u32 v17, v1, s7, 16
	s_delay_alu instid0(VALU_DEP_1) | instskip(NEXT) | instid1(VALU_DEP_1)
	v_cmp_gt_u32_e64 s3, s4, v17
	s_and_b32 exec_lo, exec_lo, s3
	s_cbranch_execz .LBB127_66
; %bb.31:
	v_mul_lo_u32 v17, v17, s6
	s_and_saveexec_b32 s5, vcc_lo
	s_cbranch_execnz .LBB127_70
; %bb.32:
	s_or_b32 exec_lo, exec_lo, s5
	s_and_saveexec_b32 s5, s0
	s_cbranch_execnz .LBB127_71
.LBB127_33:
	s_or_b32 exec_lo, exec_lo, s5
	s_and_saveexec_b32 s5, s1
	s_cbranch_execnz .LBB127_72
.LBB127_34:
	s_or_b32 exec_lo, exec_lo, s5
	s_and_saveexec_b32 s5, s2
	s_cbranch_execz .LBB127_36
.LBB127_35:
	v_dual_mov_b32 v18, 0 :: v_dual_add_nc_u32 v17, v17, v4
	s_delay_alu instid0(VALU_DEP_1) | instskip(SKIP_1) | instid1(VALU_DEP_1)
	v_lshlrev_b64 v[17:18], 2, v[17:18]
	s_waitcnt lgkmcnt(0)
	v_add_co_u32 v17, s3, s8, v17
	s_delay_alu instid0(VALU_DEP_1)
	v_add_co_ci_u32_e64 v18, s3, s9, v18, s3
	global_store_b32 v[17:18], v31, off
.LBB127_36:
	s_or_b32 exec_lo, exec_lo, s5
	v_add3_u32 v17, v1, s7, 24
	s_delay_alu instid0(VALU_DEP_1) | instskip(NEXT) | instid1(VALU_DEP_1)
	v_cmp_gt_u32_e64 s3, s4, v17
	s_and_b32 exec_lo, exec_lo, s3
	s_cbranch_execz .LBB127_66
; %bb.37:
	v_mul_lo_u32 v17, v17, s6
	s_and_saveexec_b32 s5, vcc_lo
	s_cbranch_execnz .LBB127_73
; %bb.38:
	s_or_b32 exec_lo, exec_lo, s5
	s_and_saveexec_b32 s5, s0
	s_cbranch_execnz .LBB127_74
.LBB127_39:
	s_or_b32 exec_lo, exec_lo, s5
	s_and_saveexec_b32 s5, s1
	s_cbranch_execnz .LBB127_75
.LBB127_40:
	s_or_b32 exec_lo, exec_lo, s5
	s_and_saveexec_b32 s5, s2
	s_cbranch_execz .LBB127_42
.LBB127_41:
	v_dual_mov_b32 v18, 0 :: v_dual_add_nc_u32 v17, v17, v4
	s_delay_alu instid0(VALU_DEP_1) | instskip(SKIP_1) | instid1(VALU_DEP_1)
	v_lshlrev_b64 v[17:18], 2, v[17:18]
	s_waitcnt lgkmcnt(0)
	v_add_co_u32 v17, s3, s8, v17
	s_delay_alu instid0(VALU_DEP_1)
	v_add_co_ci_u32_e64 v18, s3, s9, v18, s3
	global_store_b32 v[17:18], v214, off
.LBB127_42:
	s_or_b32 exec_lo, exec_lo, s5
	v_add3_u32 v17, v1, s7, 32
	s_delay_alu instid0(VALU_DEP_1) | instskip(NEXT) | instid1(VALU_DEP_1)
	v_cmp_gt_u32_e64 s3, s4, v17
	s_and_b32 exec_lo, exec_lo, s3
	s_cbranch_execz .LBB127_66
; %bb.43:
	v_mul_lo_u32 v17, v17, s6
	s_and_saveexec_b32 s5, vcc_lo
	s_cbranch_execnz .LBB127_76
; %bb.44:
	s_or_b32 exec_lo, exec_lo, s5
	s_and_saveexec_b32 s5, s0
	s_cbranch_execnz .LBB127_77
.LBB127_45:
	s_or_b32 exec_lo, exec_lo, s5
	s_and_saveexec_b32 s5, s1
	s_cbranch_execnz .LBB127_78
.LBB127_46:
	s_or_b32 exec_lo, exec_lo, s5
	s_and_saveexec_b32 s5, s2
	s_cbranch_execz .LBB127_48
.LBB127_47:
	v_dual_mov_b32 v18, 0 :: v_dual_add_nc_u32 v17, v17, v4
	s_delay_alu instid0(VALU_DEP_1) | instskip(SKIP_1) | instid1(VALU_DEP_1)
	v_lshlrev_b64 v[17:18], 2, v[17:18]
	s_waitcnt lgkmcnt(0)
	v_add_co_u32 v17, s3, s8, v17
	s_delay_alu instid0(VALU_DEP_1)
	v_add_co_ci_u32_e64 v18, s3, s9, v18, s3
	global_store_b32 v[17:18], v191, off
.LBB127_48:
	s_or_b32 exec_lo, exec_lo, s5
	v_add3_u32 v17, v1, s7, 40
	s_delay_alu instid0(VALU_DEP_1) | instskip(NEXT) | instid1(VALU_DEP_1)
	v_cmp_gt_u32_e64 s3, s4, v17
	s_and_b32 exec_lo, exec_lo, s3
	s_cbranch_execz .LBB127_66
; %bb.49:
	v_mul_lo_u32 v17, v17, s6
	s_and_saveexec_b32 s5, vcc_lo
	s_cbranch_execnz .LBB127_79
; %bb.50:
	s_or_b32 exec_lo, exec_lo, s5
	s_and_saveexec_b32 s5, s0
	s_cbranch_execnz .LBB127_80
.LBB127_51:
	s_or_b32 exec_lo, exec_lo, s5
	s_and_saveexec_b32 s5, s1
	s_cbranch_execnz .LBB127_81
.LBB127_52:
	s_or_b32 exec_lo, exec_lo, s5
	s_and_saveexec_b32 s5, s2
	s_cbranch_execz .LBB127_54
.LBB127_53:
	v_dual_mov_b32 v15, 0 :: v_dual_add_nc_u32 v14, v17, v4
	s_delay_alu instid0(VALU_DEP_1) | instskip(SKIP_1) | instid1(VALU_DEP_1)
	v_lshlrev_b64 v[14:15], 2, v[14:15]
	s_waitcnt lgkmcnt(0)
	v_add_co_u32 v14, s3, s8, v14
	s_delay_alu instid0(VALU_DEP_1)
	v_add_co_ci_u32_e64 v15, s3, s9, v15, s3
	global_store_b32 v[14:15], v181, off
.LBB127_54:
	s_or_b32 exec_lo, exec_lo, s5
	v_add3_u32 v13, v1, s7, 48
	s_delay_alu instid0(VALU_DEP_1) | instskip(NEXT) | instid1(VALU_DEP_1)
	v_cmp_gt_u32_e64 s3, s4, v13
	s_and_b32 exec_lo, exec_lo, s3
	s_cbranch_execz .LBB127_66
; %bb.55:
	v_mul_lo_u32 v13, v13, s6
	s_and_saveexec_b32 s5, vcc_lo
	s_cbranch_execnz .LBB127_82
; %bb.56:
	s_or_b32 exec_lo, exec_lo, s5
	s_and_saveexec_b32 s5, s0
	s_cbranch_execnz .LBB127_83
.LBB127_57:
	s_or_b32 exec_lo, exec_lo, s5
	s_and_saveexec_b32 s5, s1
	s_cbranch_execnz .LBB127_84
.LBB127_58:
	s_or_b32 exec_lo, exec_lo, s5
	s_and_saveexec_b32 s5, s2
	s_cbranch_execz .LBB127_60
.LBB127_59:
	v_dual_mov_b32 v11, 0 :: v_dual_add_nc_u32 v10, v13, v4
	s_delay_alu instid0(VALU_DEP_1) | instskip(SKIP_1) | instid1(VALU_DEP_1)
	v_lshlrev_b64 v[10:11], 2, v[10:11]
	s_waitcnt lgkmcnt(0)
	v_add_co_u32 v10, s3, s8, v10
	s_delay_alu instid0(VALU_DEP_1)
	v_add_co_ci_u32_e64 v11, s3, s9, v11, s3
	global_store_b32 v[10:11], v105, off
.LBB127_60:
	s_or_b32 exec_lo, exec_lo, s5
	v_add3_u32 v1, v1, s7, 56
	s_delay_alu instid0(VALU_DEP_1) | instskip(NEXT) | instid1(VALU_DEP_1)
	v_cmp_gt_u32_e64 s3, s4, v1
	s_and_b32 exec_lo, exec_lo, s3
	s_cbranch_execz .LBB127_66
; %bb.61:
	v_mul_lo_u32 v1, v1, s6
	s_and_saveexec_b32 s3, vcc_lo
	s_cbranch_execnz .LBB127_85
; %bb.62:
	s_or_b32 exec_lo, exec_lo, s3
	s_and_saveexec_b32 s3, s0
	s_cbranch_execnz .LBB127_86
.LBB127_63:
	s_or_b32 exec_lo, exec_lo, s3
	s_and_saveexec_b32 s0, s1
	s_cbranch_execnz .LBB127_87
.LBB127_64:
	s_or_b32 exec_lo, exec_lo, s0
	s_delay_alu instid0(SALU_CYCLE_1)
	s_and_b32 exec_lo, exec_lo, s2
	s_cbranch_execz .LBB127_66
.LBB127_65:
	v_dual_mov_b32 v1, 0 :: v_dual_add_nc_u32 v0, v1, v4
	s_delay_alu instid0(VALU_DEP_1) | instskip(SKIP_1) | instid1(VALU_DEP_1)
	v_lshlrev_b64 v[0:1], 2, v[0:1]
	s_waitcnt lgkmcnt(0)
	v_add_co_u32 v0, vcc_lo, s8, v0
	s_delay_alu instid0(VALU_DEP_2)
	v_add_co_ci_u32_e32 v1, vcc_lo, s9, v1, vcc_lo
	global_store_b32 v[0:1], v177, off
.LBB127_66:
	s_endpgm
.LBB127_67:
	s_delay_alu instid0(VALU_DEP_1) | instskip(NEXT) | instid1(VALU_DEP_1)
	v_dual_mov_b32 v35, 0 :: v_dual_add_nc_u32 v34, v17, v0
	v_lshlrev_b64 v[34:35], 2, v[34:35]
	s_waitcnt lgkmcnt(0)
	s_delay_alu instid0(VALU_DEP_1) | instskip(NEXT) | instid1(VALU_DEP_1)
	v_add_co_u32 v34, s3, s8, v34
	v_add_co_ci_u32_e64 v35, s3, s9, v35, s3
	global_store_b32 v[34:35], v42, off
	s_or_b32 exec_lo, exec_lo, s5
	s_and_saveexec_b32 s5, s0
	s_cbranch_execz .LBB127_27
.LBB127_68:
	s_delay_alu instid0(VALU_DEP_1) | instskip(NEXT) | instid1(VALU_DEP_1)
	v_dual_mov_b32 v35, 0 :: v_dual_add_nc_u32 v34, v17, v2
	v_lshlrev_b64 v[34:35], 2, v[34:35]
	s_waitcnt lgkmcnt(0)
	s_delay_alu instid0(VALU_DEP_1) | instskip(NEXT) | instid1(VALU_DEP_1)
	v_add_co_u32 v34, s3, s8, v34
	v_add_co_ci_u32_e64 v35, s3, s9, v35, s3
	global_store_b32 v[34:35], v39, off
	s_or_b32 exec_lo, exec_lo, s5
	s_and_saveexec_b32 s5, s1
	s_cbranch_execz .LBB127_28
.LBB127_69:
	v_dual_mov_b32 v35, 0 :: v_dual_add_nc_u32 v34, v17, v3
	s_delay_alu instid0(VALU_DEP_1) | instskip(SKIP_1) | instid1(VALU_DEP_1)
	v_lshlrev_b64 v[34:35], 2, v[34:35]
	s_waitcnt lgkmcnt(0)
	v_add_co_u32 v34, s3, s8, v34
	s_delay_alu instid0(VALU_DEP_1)
	v_add_co_ci_u32_e64 v35, s3, s9, v35, s3
	global_store_b32 v[34:35], v37, off
	s_or_b32 exec_lo, exec_lo, s5
	s_and_saveexec_b32 s5, s2
	s_cbranch_execnz .LBB127_29
	s_branch .LBB127_30
.LBB127_70:
	s_delay_alu instid0(VALU_DEP_1) | instskip(NEXT) | instid1(VALU_DEP_1)
	v_dual_mov_b32 v35, 0 :: v_dual_add_nc_u32 v34, v17, v0
	v_lshlrev_b64 v[34:35], 2, v[34:35]
	s_waitcnt lgkmcnt(0)
	s_delay_alu instid0(VALU_DEP_1) | instskip(NEXT) | instid1(VALU_DEP_1)
	v_add_co_u32 v34, s3, s8, v34
	v_add_co_ci_u32_e64 v35, s3, s9, v35, s3
	global_store_b32 v[34:35], v33, off
	s_or_b32 exec_lo, exec_lo, s5
	s_and_saveexec_b32 s5, s0
	s_cbranch_execz .LBB127_33
.LBB127_71:
	s_delay_alu instid0(VALU_DEP_1) | instskip(NEXT) | instid1(VALU_DEP_1)
	v_dual_mov_b32 v34, 0 :: v_dual_add_nc_u32 v33, v17, v2
	v_lshlrev_b64 v[33:34], 2, v[33:34]
	s_waitcnt lgkmcnt(0)
	s_delay_alu instid0(VALU_DEP_1) | instskip(NEXT) | instid1(VALU_DEP_1)
	v_add_co_u32 v33, s3, s8, v33
	v_add_co_ci_u32_e64 v34, s3, s9, v34, s3
	global_store_b32 v[33:34], v215, off
	s_or_b32 exec_lo, exec_lo, s5
	s_and_saveexec_b32 s5, s1
	s_cbranch_execz .LBB127_34
.LBB127_72:
	v_dual_mov_b32 v5, v32 :: v_dual_add_nc_u32 v32, v17, v3
	v_mov_b32_e32 v33, 0
	s_delay_alu instid0(VALU_DEP_1) | instskip(SKIP_1) | instid1(VALU_DEP_1)
	v_lshlrev_b64 v[32:33], 2, v[32:33]
	s_waitcnt lgkmcnt(0)
	v_add_co_u32 v32, s3, s8, v32
	s_delay_alu instid0(VALU_DEP_1)
	v_add_co_ci_u32_e64 v33, s3, s9, v33, s3
	global_store_b32 v[32:33], v5, off
	s_or_b32 exec_lo, exec_lo, s5
	s_and_saveexec_b32 s5, s2
	s_cbranch_execnz .LBB127_35
	s_branch .LBB127_36
.LBB127_73:
	s_delay_alu instid0(VALU_DEP_1) | instskip(SKIP_1) | instid1(VALU_DEP_1)
	v_dual_mov_b32 v5, v30 :: v_dual_add_nc_u32 v30, v17, v0
	v_mov_b32_e32 v31, 0
	v_lshlrev_b64 v[30:31], 2, v[30:31]
	s_waitcnt lgkmcnt(0)
	s_delay_alu instid0(VALU_DEP_1) | instskip(NEXT) | instid1(VALU_DEP_1)
	v_add_co_u32 v30, s3, s8, v30
	v_add_co_ci_u32_e64 v31, s3, s9, v31, s3
	global_store_b32 v[30:31], v5, off
	s_or_b32 exec_lo, exec_lo, s5
	s_and_saveexec_b32 s5, s0
	s_cbranch_execz .LBB127_39
.LBB127_74:
	s_delay_alu instid0(VALU_DEP_1) | instskip(NEXT) | instid1(VALU_DEP_1)
	v_dual_mov_b32 v30, 0 :: v_dual_add_nc_u32 v29, v17, v2
	v_lshlrev_b64 v[29:30], 2, v[29:30]
	s_waitcnt lgkmcnt(0)
	s_delay_alu instid0(VALU_DEP_1) | instskip(NEXT) | instid1(VALU_DEP_1)
	v_add_co_u32 v29, s3, s8, v29
	v_add_co_ci_u32_e64 v30, s3, s9, v30, s3
	global_store_b32 v[29:30], v28, off
	s_or_b32 exec_lo, exec_lo, s5
	s_and_saveexec_b32 s5, s1
	s_cbranch_execz .LBB127_40
.LBB127_75:
	v_dual_mov_b32 v28, 0 :: v_dual_add_nc_u32 v27, v17, v3
	s_delay_alu instid0(VALU_DEP_1) | instskip(SKIP_1) | instid1(VALU_DEP_1)
	v_lshlrev_b64 v[27:28], 2, v[27:28]
	s_waitcnt lgkmcnt(0)
	v_add_co_u32 v27, s3, s8, v27
	s_delay_alu instid0(VALU_DEP_1)
	v_add_co_ci_u32_e64 v28, s3, s9, v28, s3
	global_store_b32 v[27:28], v26, off
	s_or_b32 exec_lo, exec_lo, s5
	s_and_saveexec_b32 s5, s2
	s_cbranch_execnz .LBB127_41
	s_branch .LBB127_42
.LBB127_76:
	s_delay_alu instid0(VALU_DEP_1) | instskip(NEXT) | instid1(VALU_DEP_1)
	v_dual_mov_b32 v25, 0 :: v_dual_add_nc_u32 v24, v17, v0
	v_lshlrev_b64 v[24:25], 2, v[24:25]
	s_waitcnt lgkmcnt(0)
	s_delay_alu instid0(VALU_DEP_1) | instskip(NEXT) | instid1(VALU_DEP_1)
	v_add_co_u32 v24, s3, s8, v24
	v_add_co_ci_u32_e64 v25, s3, s9, v25, s3
	global_store_b32 v[24:25], v203, off
	s_or_b32 exec_lo, exec_lo, s5
	s_and_saveexec_b32 s5, s0
	s_cbranch_execz .LBB127_45
.LBB127_77:
	s_delay_alu instid0(VALU_DEP_1) | instskip(NEXT) | instid1(VALU_DEP_1)
	v_dual_mov_b32 v24, 0 :: v_dual_add_nc_u32 v23, v17, v2
	v_lshlrev_b64 v[23:24], 2, v[23:24]
	s_waitcnt lgkmcnt(0)
	s_delay_alu instid0(VALU_DEP_1) | instskip(NEXT) | instid1(VALU_DEP_1)
	v_add_co_u32 v23, s3, s8, v23
	v_add_co_ci_u32_e64 v24, s3, s9, v24, s3
	global_store_b32 v[23:24], v22, off
	s_or_b32 exec_lo, exec_lo, s5
	s_and_saveexec_b32 s5, s1
	s_cbranch_execz .LBB127_46
.LBB127_78:
	v_dual_mov_b32 v23, 0 :: v_dual_add_nc_u32 v22, v17, v3
	s_delay_alu instid0(VALU_DEP_1) | instskip(SKIP_1) | instid1(VALU_DEP_1)
	v_lshlrev_b64 v[22:23], 2, v[22:23]
	s_waitcnt lgkmcnt(0)
	v_add_co_u32 v22, s3, s8, v22
	s_delay_alu instid0(VALU_DEP_1)
	v_add_co_ci_u32_e64 v23, s3, s9, v23, s3
	global_store_b32 v[22:23], v197, off
	s_or_b32 exec_lo, exec_lo, s5
	s_and_saveexec_b32 s5, s2
	s_cbranch_execnz .LBB127_47
	s_branch .LBB127_48
.LBB127_79:
	s_delay_alu instid0(VALU_DEP_1) | instskip(NEXT) | instid1(VALU_DEP_1)
	v_dual_mov_b32 v19, 0 :: v_dual_add_nc_u32 v18, v17, v0
	v_lshlrev_b64 v[18:19], 2, v[18:19]
	s_waitcnt lgkmcnt(0)
	s_delay_alu instid0(VALU_DEP_1) | instskip(NEXT) | instid1(VALU_DEP_1)
	v_add_co_u32 v18, s3, s8, v18
	v_add_co_ci_u32_e64 v19, s3, s9, v19, s3
	global_store_b32 v[18:19], v16, off
	s_or_b32 exec_lo, exec_lo, s5
	s_and_saveexec_b32 s5, s0
	s_cbranch_execz .LBB127_51
.LBB127_80:
	s_delay_alu instid0(VALU_DEP_1) | instskip(NEXT) | instid1(VALU_DEP_1)
	v_dual_mov_b32 v19, 0 :: v_dual_add_nc_u32 v18, v17, v2
	v_lshlrev_b64 v[18:19], 2, v[18:19]
	s_waitcnt lgkmcnt(0)
	s_delay_alu instid0(VALU_DEP_1) | instskip(NEXT) | instid1(VALU_DEP_1)
	v_add_co_u32 v18, s3, s8, v18
	v_add_co_ci_u32_e64 v19, s3, s9, v19, s3
	global_store_b32 v[18:19], v15, off
	s_or_b32 exec_lo, exec_lo, s5
	s_and_saveexec_b32 s5, s1
	s_cbranch_execz .LBB127_52
.LBB127_81:
	v_dual_mov_b32 v16, 0 :: v_dual_add_nc_u32 v15, v17, v3
	s_delay_alu instid0(VALU_DEP_1) | instskip(SKIP_1) | instid1(VALU_DEP_1)
	v_lshlrev_b64 v[15:16], 2, v[15:16]
	s_waitcnt lgkmcnt(0)
	v_add_co_u32 v15, s3, s8, v15
	s_delay_alu instid0(VALU_DEP_1)
	v_add_co_ci_u32_e64 v16, s3, s9, v16, s3
	global_store_b32 v[15:16], v14, off
	s_or_b32 exec_lo, exec_lo, s5
	s_and_saveexec_b32 s5, s2
	s_cbranch_execnz .LBB127_53
	s_branch .LBB127_54
.LBB127_82:
	s_delay_alu instid0(VALU_DEP_1) | instskip(NEXT) | instid1(VALU_DEP_1)
	v_dual_mov_b32 v15, 0 :: v_dual_add_nc_u32 v14, v13, v0
	v_lshlrev_b64 v[14:15], 2, v[14:15]
	s_waitcnt lgkmcnt(0)
	s_delay_alu instid0(VALU_DEP_1) | instskip(NEXT) | instid1(VALU_DEP_1)
	v_add_co_u32 v14, s3, s8, v14
	v_add_co_ci_u32_e64 v15, s3, s9, v15, s3
	global_store_b32 v[14:15], v12, off
	s_or_b32 exec_lo, exec_lo, s5
	s_and_saveexec_b32 s5, s0
	s_cbranch_execz .LBB127_57
.LBB127_83:
	s_delay_alu instid0(VALU_DEP_1) | instskip(NEXT) | instid1(VALU_DEP_1)
	v_dual_mov_b32 v15, 0 :: v_dual_add_nc_u32 v14, v13, v2
	v_lshlrev_b64 v[14:15], 2, v[14:15]
	s_waitcnt lgkmcnt(0)
	s_delay_alu instid0(VALU_DEP_1) | instskip(NEXT) | instid1(VALU_DEP_1)
	v_add_co_u32 v14, s3, s8, v14
	v_add_co_ci_u32_e64 v15, s3, s9, v15, s3
	global_store_b32 v[14:15], v11, off
	s_or_b32 exec_lo, exec_lo, s5
	s_and_saveexec_b32 s5, s1
	s_cbranch_execz .LBB127_58
.LBB127_84:
	v_dual_mov_b32 v12, 0 :: v_dual_add_nc_u32 v11, v13, v3
	s_delay_alu instid0(VALU_DEP_1) | instskip(SKIP_1) | instid1(VALU_DEP_1)
	v_lshlrev_b64 v[11:12], 2, v[11:12]
	s_waitcnt lgkmcnt(0)
	v_add_co_u32 v11, s3, s8, v11
	s_delay_alu instid0(VALU_DEP_1)
	v_add_co_ci_u32_e64 v12, s3, s9, v12, s3
	global_store_b32 v[11:12], v127, off
	s_or_b32 exec_lo, exec_lo, s5
	s_and_saveexec_b32 s5, s2
	s_cbranch_execnz .LBB127_59
	s_branch .LBB127_60
.LBB127_85:
	s_delay_alu instid0(VALU_DEP_1) | instskip(NEXT) | instid1(VALU_DEP_1)
	v_dual_mov_b32 v10, 0 :: v_dual_add_nc_u32 v9, v1, v0
	v_lshlrev_b64 v[9:10], 2, v[9:10]
	s_waitcnt lgkmcnt(0)
	s_delay_alu instid0(VALU_DEP_1) | instskip(NEXT) | instid1(VALU_DEP_2)
	v_add_co_u32 v9, vcc_lo, s8, v9
	v_add_co_ci_u32_e32 v10, vcc_lo, s9, v10, vcc_lo
	global_store_b32 v[9:10], v82, off
	s_or_b32 exec_lo, exec_lo, s3
	s_and_saveexec_b32 s3, s0
	s_cbranch_execz .LBB127_63
.LBB127_86:
	s_delay_alu instid0(VALU_DEP_1) | instskip(NEXT) | instid1(VALU_DEP_1)
	v_dual_mov_b32 v9, 0 :: v_dual_add_nc_u32 v8, v1, v2
	v_lshlrev_b64 v[8:9], 2, v[8:9]
	s_waitcnt lgkmcnt(0)
	s_delay_alu instid0(VALU_DEP_1) | instskip(NEXT) | instid1(VALU_DEP_2)
	v_add_co_u32 v8, vcc_lo, s8, v8
	v_add_co_ci_u32_e32 v9, vcc_lo, s9, v9, vcc_lo
	global_store_b32 v[8:9], v78, off
	s_or_b32 exec_lo, exec_lo, s3
	s_and_saveexec_b32 s0, s1
	s_cbranch_execz .LBB127_64
.LBB127_87:
	v_dual_mov_b32 v3, 0 :: v_dual_add_nc_u32 v2, v1, v3
	s_delay_alu instid0(VALU_DEP_1) | instskip(SKIP_1) | instid1(VALU_DEP_1)
	v_lshlrev_b64 v[2:3], 2, v[2:3]
	s_waitcnt lgkmcnt(0)
	v_add_co_u32 v2, vcc_lo, s8, v2
	s_delay_alu instid0(VALU_DEP_2) | instskip(SKIP_2) | instid1(SALU_CYCLE_1)
	v_add_co_ci_u32_e32 v3, vcc_lo, s9, v3, vcc_lo
	global_store_b32 v[2:3], v6, off
	s_or_b32 exec_lo, exec_lo, s0
	s_and_b32 exec_lo, exec_lo, s2
	s_cbranch_execnz .LBB127_65
	s_branch .LBB127_66
	.section	.rodata,"a",@progbits
	.p2align	6, 0x0
	.amdhsa_kernel _ZL12mul_mat_q2_KIfLb0EEvPKvS1_PT_iiiii
		.amdhsa_group_segment_fixed_size 31392
		.amdhsa_private_segment_fixed_size 428
		.amdhsa_kernarg_size 44
		.amdhsa_user_sgpr_count 14
		.amdhsa_user_sgpr_dispatch_ptr 0
		.amdhsa_user_sgpr_queue_ptr 0
		.amdhsa_user_sgpr_kernarg_segment_ptr 1
		.amdhsa_user_sgpr_dispatch_id 0
		.amdhsa_user_sgpr_private_segment_size 0
		.amdhsa_wavefront_size32 1
		.amdhsa_uses_dynamic_stack 0
		.amdhsa_enable_private_segment 1
		.amdhsa_system_sgpr_workgroup_id_x 1
		.amdhsa_system_sgpr_workgroup_id_y 1
		.amdhsa_system_sgpr_workgroup_id_z 0
		.amdhsa_system_sgpr_workgroup_info 0
		.amdhsa_system_vgpr_workitem_id 1
		.amdhsa_next_free_vgpr 256
		.amdhsa_next_free_sgpr 22
		.amdhsa_reserve_vcc 1
		.amdhsa_float_round_mode_32 0
		.amdhsa_float_round_mode_16_64 0
		.amdhsa_float_denorm_mode_32 3
		.amdhsa_float_denorm_mode_16_64 3
		.amdhsa_dx10_clamp 1
		.amdhsa_ieee_mode 1
		.amdhsa_fp16_overflow 0
		.amdhsa_workgroup_processor_mode 1
		.amdhsa_memory_ordered 1
		.amdhsa_forward_progress 0
		.amdhsa_shared_vgpr_count 0
		.amdhsa_exception_fp_ieee_invalid_op 0
		.amdhsa_exception_fp_denorm_src 0
		.amdhsa_exception_fp_ieee_div_zero 0
		.amdhsa_exception_fp_ieee_overflow 0
		.amdhsa_exception_fp_ieee_underflow 0
		.amdhsa_exception_fp_ieee_inexact 0
		.amdhsa_exception_int_div_zero 0
	.end_amdhsa_kernel
	.section	.text._ZL12mul_mat_q2_KIfLb0EEvPKvS1_PT_iiiii,"axG",@progbits,_ZL12mul_mat_q2_KIfLb0EEvPKvS1_PT_iiiii,comdat
.Lfunc_end127:
	.size	_ZL12mul_mat_q2_KIfLb0EEvPKvS1_PT_iiiii, .Lfunc_end127-_ZL12mul_mat_q2_KIfLb0EEvPKvS1_PT_iiiii
                                        ; -- End function
	.section	.AMDGPU.csdata,"",@progbits
; Kernel info:
; codeLenInByte = 43992
; NumSgprs: 24
; NumVgprs: 256
; ScratchSize: 428
; MemoryBound: 0
; FloatMode: 240
; IeeeMode: 1
; LDSByteSize: 31392 bytes/workgroup (compile time only)
; SGPRBlocks: 2
; VGPRBlocks: 31
; NumSGPRsForWavesPerEU: 24
; NumVGPRsForWavesPerEU: 256
; Occupancy: 5
; WaveLimiterHint : 0
; COMPUTE_PGM_RSRC2:SCRATCH_EN: 1
; COMPUTE_PGM_RSRC2:USER_SGPR: 14
; COMPUTE_PGM_RSRC2:TRAP_HANDLER: 0
; COMPUTE_PGM_RSRC2:TGID_X_EN: 1
; COMPUTE_PGM_RSRC2:TGID_Y_EN: 1
; COMPUTE_PGM_RSRC2:TGID_Z_EN: 0
; COMPUTE_PGM_RSRC2:TIDIG_COMP_CNT: 1
	.section	.text._ZL12mul_mat_q2_KIfLb1EEvPKvS1_PT_iiiii,"axG",@progbits,_ZL12mul_mat_q2_KIfLb1EEvPKvS1_PT_iiiii,comdat
	.globl	_ZL12mul_mat_q2_KIfLb1EEvPKvS1_PT_iiiii ; -- Begin function _ZL12mul_mat_q2_KIfLb1EEvPKvS1_PT_iiiii
	.p2align	8
	.type	_ZL12mul_mat_q2_KIfLb1EEvPKvS1_PT_iiiii,@function
_ZL12mul_mat_q2_KIfLb1EEvPKvS1_PT_iiiii: ; @_ZL12mul_mat_q2_KIfLb1EEvPKvS1_PT_iiiii
; %bb.0:
	s_clause 0x1
	s_load_b128 s[4:7], s[0:1], 0x18
	s_load_b32 s10, s[0:1], 0x28
	v_bfe_u32 v1, v0, 10, 10
	s_lshl_b32 s11, s15, 6
	scratch_store_b32 off, v1, off offset:468 ; 4-byte Folded Spill
	v_and_b32_e32 v1, 0x3ff, v0
	scratch_store_b32 off, v1, off offset:120 ; 4-byte Folded Spill
	s_waitcnt lgkmcnt(0)
	s_cmpk_gt_i32 s4, 0xff
	s_cbranch_scc1 .LBB128_2
; %bb.1:
	v_bfe_u32 v1, v0, 10, 10
	v_and_b32_e32 v0, 0x3ff, v0
	s_mov_b32 s2, 0
	s_mov_b32 s3, 0
	s_delay_alu instid0(VALU_DEP_2)
	v_add_nc_u32_e32 v2, s11, v1
	s_branch .LBB128_3
.LBB128_2:
	s_mov_b32 s2, -1
                                        ; implicit-def: $sgpr3
                                        ; implicit-def: $vgpr1
                                        ; implicit-def: $vgpr0
                                        ; implicit-def: $vgpr2
.LBB128_3:
	s_load_b64 s[8:9], s[0:1], 0x10
	v_dual_mov_b32 v179, s3 :: v_dual_mov_b32 v104, s3
	v_dual_mov_b32 v199, s3 :: v_dual_mov_b32 v44, s3
	;; [unrolled: 1-line block ×15, first 2 shown]
	v_mov_b32_e32 v77, s3
	v_mov_b32_e32 v55, s3
	s_and_not1_b32 vcc_lo, exec_lo, s2
	s_lshl_b32 s12, s14, 7
	s_cbranch_vccnz .LBB128_15
; %bb.4:
	s_clause 0x1
	scratch_load_b32 v38, off, off offset:120
	scratch_load_b32 v37, off, off offset:468
	s_load_b128 s[0:3], s[0:1], 0x0
	s_ashr_i32 s13, s4, 31
	s_ashr_i32 s14, s7, 31
	s_lshr_b32 s13, s13, 24
	v_mov_b32_e32 v204, 0
	s_add_i32 s4, s4, s13
	s_lshr_b32 s13, s14, 27
	s_ashr_i32 s4, s4, 8
	s_add_i32 s7, s7, s13
	s_mul_i32 s13, s4, s12
	s_ashr_i32 s7, s7, 5
	s_mul_i32 s14, s13, 0x54
	s_mul_hi_i32 s13, s13, 0x54
	v_dual_mov_b32 v55, 0 :: v_dual_mov_b32 v44, 0
	v_dual_mov_b32 v77, 0 :: v_dual_mov_b32 v68, 0
	;; [unrolled: 1-line block ×3, first 2 shown]
	v_mov_b32_e32 v63, 0
	s_waitcnt lgkmcnt(0)
	s_add_u32 s0, s0, s14
	s_addc_u32 s1, s1, s13
	s_not_b32 s13, s12
	v_mov_b32_e32 v48, 0
	s_add_i32 s5, s13, s5
	s_add_i32 s13, s6, -1
	v_dual_mov_b32 v62, 0 :: v_dual_mov_b32 v127, 0
	v_dual_mov_b32 v104, 0 :: v_dual_mov_b32 v179, 0
	;; [unrolled: 1-line block ×5, first 2 shown]
	v_mov_b32_e32 v238, 0
	v_mov_b32_e32 v52, 0
	v_dual_mov_b32 v66, 0 :: v_dual_mov_b32 v253, 0
	v_mov_b32_e32 v65, 0
	v_mov_b32_e32 v59, 0
	s_waitcnt vmcnt(1)
	v_dual_mov_b32 v221, 0 :: v_dual_lshlrev_b32 v0, 2, v38
	s_waitcnt vmcnt(0)
	v_min_i32_e32 v1, s5, v37
	v_add_nc_u32_e32 v19, 8, v37
	v_add_nc_u32_e32 v11, 0x70, v37
	;; [unrolled: 1-line block ×3, first 2 shown]
	v_and_b32_e32 v2, 60, v0
	v_mul_lo_u32 v4, v1, s4
	v_add_nc_u32_e32 v21, 24, v37
	v_min_i32_e32 v28, s5, v11
	v_min_i32_e32 v3, s5, v20
	scratch_store_b32 off, v2, off offset:212 ; 4-byte Folded Spill
	v_min_i32_e32 v2, s5, v19
	v_add_nc_u32_e32 v22, 32, v37
	v_mul_lo_u32 v18, v28, s4
	scratch_store_b32 off, v4, off offset:216 ; 4-byte Folded Spill
	v_mad_u64_u32 v[4:5], null, 0x84, v1, v[0:1]
	v_mul_lo_u32 v1, v2, s4
	v_add_nc_u32_e32 v23, 40, v37
	v_and_b32_e32 v33, 1, v38
	v_add_nc_u32_e32 v17, s11, v37
	v_add_nc_u32_e32 v24, 48, v37
	;; [unrolled: 1-line block ×3, first 2 shown]
	scratch_store_b64 off, v[4:5], off offset:220 ; 8-byte Folded Spill
	v_lshlrev_b32_e32 v26, 4, v37
	v_mad_u64_u32 v[4:5], null, 0x84, v2, v[0:1]
	scratch_store_b32 off, v1, off offset:228 ; 4-byte Folded Spill
	v_mul_lo_u32 v1, v3, s4
	v_add_nc_u32_e32 v9, 24, v17
	v_add_nc_u32_e32 v6, 8, v17
	;; [unrolled: 1-line block ×4, first 2 shown]
	scratch_store_b64 off, v[4:5], off offset:232 ; 8-byte Folded Spill
	v_cvt_f64_u32_e32 v[9:10], v9
	v_add_nc_u32_e32 v14, 40, v17
	scratch_store_b32 off, v1, off offset:240 ; 4-byte Folded Spill
	v_min_i32_e32 v1, s5, v21
	v_add_nc_u32_e32 v16, 48, v17
	scratch_store_b32 off, v17, off offset:472 ; 4-byte Folded Spill
	v_cvt_f64_u32_e32 v[7:8], v7
	v_lshrrev_b32_e32 v31, 3, v38
	v_mad_u64_u32 v[4:5], null, 0x84, v3, v[0:1]
	v_mul_lo_u32 v2, v1, s4
	v_add_nc_u32_e32 v29, 0x78, v37
	s_delay_alu instid0(VALU_DEP_4)
	v_lshl_add_u32 v31, v37, 2, v31
	scratch_store_b32 off, v33, off offset:388 ; 4-byte Folded Spill
	v_and_b32_e32 v40, 12, v0
	v_lshrrev_b32_e32 v39, 4, v38
	scratch_store_b64 off, v[4:5], off offset:244 ; 8-byte Folded Spill
	v_mad_u64_u32 v[3:4], null, 0x84, v1, v[0:1]
	scratch_store_b32 off, v2, off offset:252 ; 4-byte Folded Spill
	v_min_i32_e32 v2, s5, v22
	v_min_i32_e32 v1, s5, v23
	;; [unrolled: 1-line block ×3, first 2 shown]
	v_add_nc_u32_e32 v36, 64, v31
	v_mul_u32_u24_e32 v57, 0x84, v38
	scratch_store_b64 off, v[3:4], off offset:256 ; 8-byte Folded Spill
	v_mul_lo_u32 v3, v2, s4
	v_lshlrev_b32_e32 v58, 5, v38
	v_min_i32_e32 v36, s5, v36
	s_clause 0x1
	scratch_store_b32 off, v39, off offset:208
	scratch_store_b32 off, v3, off offset:264
	v_mad_u64_u32 v[3:4], null, 0x84, v2, v[0:1]
	v_mul_lo_u32 v2, v1, s4
	scratch_store_b64 off, v[3:4], off offset:268 ; 8-byte Folded Spill
	v_mad_u64_u32 v[3:4], null, 0x84, v1, v[0:1]
	scratch_store_b32 off, v2, off offset:276 ; 4-byte Folded Spill
	v_min_i32_e32 v2, s5, v24
	v_add_nc_u32_e32 v1, 64, v37
	scratch_store_b64 off, v[3:4], off offset:280 ; 8-byte Folded Spill
	v_mul_lo_u32 v3, v2, s4
	v_mad_u64_u32 v[4:5], null, 0x84, v2, v[0:1]
	v_min_i32_e32 v1, s5, v1
	v_add_nc_u32_e32 v2, 0x48, v37
	s_clause 0x1
	scratch_store_b32 off, v3, off offset:288
	scratch_store_b64 off, v[4:5], off offset:292
	v_min_i32_e32 v3, s5, v25
	v_min_i32_e32 v2, s5, v2
	s_delay_alu instid0(VALU_DEP_2)
	v_mul_lo_u32 v4, v3, s4
	scratch_store_b32 off, v4, off offset:300 ; 4-byte Folded Spill
	v_mad_u64_u32 v[4:5], null, 0x84, v3, v[0:1]
	v_mul_lo_u32 v3, v1, s4
	scratch_store_b64 off, v[4:5], off offset:304 ; 8-byte Folded Spill
	v_mad_u64_u32 v[4:5], null, 0x84, v1, v[0:1]
	scratch_store_b32 off, v3, off offset:312 ; 4-byte Folded Spill
	v_add_nc_u32_e32 v1, 0x58, v37
	v_add_nc_u32_e32 v3, 0x50, v37
	scratch_store_b64 off, v[4:5], off offset:316 ; 8-byte Folded Spill
	v_mul_lo_u32 v4, v2, s4
	v_min_i32_e32 v3, s5, v3
	scratch_store_b32 off, v4, off offset:324 ; 4-byte Folded Spill
	v_mad_u64_u32 v[4:5], null, 0x84, v2, v[0:1]
	v_min_i32_e32 v1, s5, v1
	v_add_nc_u32_e32 v2, 0x60, v37
	scratch_store_b64 off, v[4:5], off offset:328 ; 8-byte Folded Spill
	v_mul_lo_u32 v4, v3, s4
	v_min_i32_e32 v2, s5, v2
	scratch_store_b32 off, v4, off offset:336 ; 4-byte Folded Spill
	v_mad_u64_u32 v[4:5], null, 0x84, v3, v[0:1]
	v_mul_lo_u32 v3, v1, s4
	scratch_store_b64 off, v[4:5], off offset:340 ; 8-byte Folded Spill
	v_mad_u64_u32 v[4:5], null, 0x84, v1, v[0:1]
	scratch_store_b32 off, v3, off offset:348 ; 4-byte Folded Spill
	v_lshrrev_b32_e32 v1, 1, v38
	v_add_nc_u32_e32 v3, 0x68, v37
	scratch_store_b64 off, v[4:5], off offset:352 ; 8-byte Folded Spill
	v_mul_lo_u32 v4, v2, s4
	v_min_i32_e32 v3, s5, v3
	scratch_store_b32 off, v4, off offset:360 ; 4-byte Folded Spill
	v_mad_u64_u32 v[4:5], null, 0x84, v2, v[0:1]
	v_add_nc_u32_e32 v1, v1, v26
	v_mul_lo_u32 v2, v3, s4
	scratch_store_b64 off, v[4:5], off offset:364 ; 8-byte Folded Spill
	v_mad_u64_u32 v[4:5], null, 0x84, v3, v[0:1]
	s_clause 0x1
	scratch_store_b32 off, v2, off offset:372
	scratch_store_b64 off, v[4:5], off offset:376
	v_and_b32_e32 v5, 0x7f, v1
	v_cvt_f64_i32_e32 v[1:2], s13
	v_cvt_f64_u32_e32 v[3:4], v17
	v_add_nc_u32_e32 v17, 56, v17
	s_delay_alu instid0(VALU_DEP_4) | instskip(SKIP_1) | instid1(VALU_DEP_2)
	v_min_i32_e32 v27, s5, v5
	v_cvt_f64_u32_e32 v[5:6], v6
	v_ashrrev_i32_e32 v12, 31, v27
	s_delay_alu instid0(VALU_DEP_1) | instskip(SKIP_2) | instid1(VALU_DEP_3)
	v_lshrrev_b32_e32 v15, 28, v12
	v_cvt_f64_u32_e32 v[11:12], v13
	v_cvt_f64_u32_e32 v[13:14], v14
	v_add_nc_u32_e32 v30, v27, v15
	v_cvt_f64_u32_e32 v[15:16], v16
	s_delay_alu instid0(VALU_DEP_2)
	v_ashrrev_i32_e32 v30, 4, v30
	v_mad_u64_u32 v[34:35], null, 0x84, v28, v[0:1]
	v_min_f64 v[3:4], v[3:4], v[1:2]
	scratch_store_b32 off, v18, off offset:384 ; 4-byte Folded Spill
	v_cvt_f64_u32_e32 v[17:18], v17
	v_min_f64 v[9:10], v[9:10], v[1:2]
	v_mul_lo_u32 v28, v29, s4
	v_min_f64 v[5:6], v[5:6], v[1:2]
	scratch_store_b64 off, v[34:35], off offset:392 ; 8-byte Folded Spill
	v_min_f64 v[7:8], v[7:8], v[1:2]
	v_min_f64 v[11:12], v[11:12], v[1:2]
	;; [unrolled: 1-line block ×4, first 2 shown]
	v_cvt_i32_f64_e32 v4, v[3:4]
	v_mul_lo_u32 v3, v36, s4
	scratch_store_b32 off, v28, off offset:400 ; 4-byte Folded Spill
	v_lshlrev_b32_e32 v28, 2, v30
	v_lshlrev_b32_e32 v30, 2, v33
	v_mad_u64_u32 v[33:34], null, 0x84, v29, v[0:1]
	v_min_f64 v[1:2], v[17:18], v[1:2]
	v_mul_lo_u32 v29, v27, s4
	s_delay_alu instid0(VALU_DEP_4)
	v_add3_u32 v28, v28, v30, 0x7280
	v_add_nc_u32_e32 v30, 32, v31
	v_cvt_i32_f64_e32 v9, v[9:10]
	v_ashrrev_i32_e32 v18, 31, v36
	scratch_store_b64 off, v[33:34], off offset:404 ; 8-byte Folded Spill
	v_and_b32_e32 v33, 7, v38
	v_min_i32_e32 v30, s5, v30
	v_cvt_i32_f64_e32 v5, v[5:6]
	v_lshrrev_b32_e32 v18, 30, v18
	scratch_store_b32 off, v3, off offset:432 ; 4-byte Folded Spill
	v_cmp_lt_u32_e32 vcc_lo, 3, v33
	v_lshlrev_b32_e32 v33, 2, v33
	v_cvt_i32_f64_e32 v7, v[7:8]
	v_add_nc_u32_e32 v18, v36, v18
	v_cvt_i32_f64_e32 v11, v[11:12]
	v_cndmask_b32_e64 v35, 0, 1, vcc_lo
	scratch_store_b32 off, v29, off offset:412 ; 4-byte Folded Spill
	v_min_i32_e32 v29, s5, v31
	v_add_nc_u32_e32 v31, 0x60, v31
	v_and_b32_e32 v18, -4, v18
	v_and_b32_e32 v0, 28, v0
	v_cvt_i32_f64_e32 v13, v[13:14]
	v_ashrrev_i32_e32 v34, 31, v29
	v_min_i32_e32 v31, s5, v31
	v_add3_u32 v6, v18, v33, 0x6200
	v_lshrrev_b32_e32 v18, 2, v38
	v_cvt_i32_f64_e32 v14, v[15:16]
	v_lshrrev_b32_e32 v34, 30, v34
	v_mul_lo_u32 v10, v31, s4
	scratch_store_b32 off, v35, off offset:416 ; 4-byte Folded Spill
	v_ashrrev_i32_e32 v35, 31, v30
	v_and_b32_e32 v15, 31, v38
	v_add_nc_u32_e32 v34, v29, v34
	v_lshlrev_b32_e32 v8, 5, v36
	v_lshlrev_b32_e32 v27, 3, v27
	v_lshrrev_b32_e32 v35, 30, v35
	scratch_store_b32 off, v10, off offset:436 ; 4-byte Folded Spill
	v_and_b32_e32 v17, -4, v34
	v_cvt_i32_f64_e32 v1, v[1:2]
	v_lshl_add_u32 v10, v37, 3, v18
	v_add_nc_u32_e32 v34, v30, v35
	v_mul_lo_u32 v35, v29, s4
	v_lshlrev_b32_e32 v18, 5, v31
	v_lshlrev_b32_e32 v15, 2, v15
	v_and_b32_e32 v10, 63, v10
	v_add3_u32 v17, v17, v33, 0x6200
	v_and_b32_e32 v34, -4, v34
	v_lshlrev_b32_e32 v29, 5, v29
	scratch_store_b32 off, v35, off offset:424 ; 4-byte Folded Spill
	v_ashrrev_i32_e32 v35, 31, v31
	v_or_b32_e32 v2, s11, v10
	v_add3_u32 v34, v34, v33, 0x6200
	s_delay_alu instid0(VALU_DEP_3) | instskip(NEXT) | instid1(VALU_DEP_1)
	v_lshrrev_b32_e32 v35, 30, v35
	v_add_nc_u32_e32 v3, v31, v35
	v_add_co_u32 v35, s5, s2, v0
	s_delay_alu instid0(VALU_DEP_1) | instskip(NEXT) | instid1(VALU_DEP_3)
	v_add_co_ci_u32_e64 v36, null, s3, 0, s5
	v_and_b32_e32 v3, -4, v3
	v_min_i32_e32 v0, s13, v2
	v_lshlrev_b32_e32 v31, 7, v37
	v_mov_b32_e32 v37, 0
	s_movk_i32 s5, 0x1080
	v_add3_u32 v12, v3, v33, 0x6200
	v_and_b32_e32 v3, 3, v38
	v_mad_u32_u24 v136, 0x84, v38, s5
	s_movk_i32 s5, 0x2100
	v_mov_b32_e32 v33, 0
	v_mad_u32_u24 v144, 0x84, v38, s5
	v_lshlrev_b32_e32 v16, 2, v3
	v_mul_lo_u32 v1, s7, v1
	scratch_store_b64 off, v[35:36], off offset:124 ; 8-byte Folded Spill
	v_mad_u64_u32 v[35:36], null, v0, s7, v[3:4]
	v_lshl_or_b32 v2, v10, 4, v16
	v_or_b32_e32 v10, v31, v15
	v_mul_lo_u32 v3, s7, v5
	v_add_nc_u32_e32 v5, 0x60, v38
	scratch_store_b32 off, v1, off offset:192 ; 4-byte Folded Spill
	v_add_nc_u32_e32 v0, 0x76a0, v2
	v_mul_lo_u32 v2, s7, v4
	v_add_nc_u32_e32 v1, 32, v38
	s_movk_i32 s5, 0x3180
	v_and_b32_e32 v61, 0x1fc, v5
	scratch_store_b32 off, v0, off offset:132 ; 4-byte Folded Spill
	v_lshl_or_b32 v0, v19, 7, v15
	v_lshrrev_b32_e32 v4, 2, v1
	v_mad_u32_u24 v152, 0x84, v38, s5
	scratch_store_b32 off, v2, off offset:136 ; 4-byte Folded Spill
	v_add_nc_u32_e32 v2, 0x4200, v10
	v_add_nc_u32_e32 v0, 0x4200, v0
	s_mov_b32 s5, 0
	scratch_store_b32 off, v2, off offset:140 ; 4-byte Folded Spill
	v_lshl_or_b32 v2, v20, 7, v15
	s_delay_alu instid0(VALU_DEP_1)
	v_add_nc_u32_e32 v2, 0x4200, v2
	scratch_store_b32 off, v3, off offset:144 ; 4-byte Folded Spill
	v_mul_lo_u32 v3, s7, v7
	scratch_store_b32 off, v0, off offset:148 ; 4-byte Folded Spill
	v_lshl_or_b32 v0, v21, 7, v15
	v_lshrrev_b32_e32 v7, 2, v5
	s_delay_alu instid0(VALU_DEP_2)
	v_add_nc_u32_e32 v0, 0x4200, v0
	scratch_store_b32 off, v3, off offset:152 ; 4-byte Folded Spill
	v_mul_lo_u32 v3, s7, v9
	scratch_store_b32 off, v2, off offset:156 ; 4-byte Folded Spill
	v_lshl_or_b32 v2, v22, 7, v15
	v_add_nc_u32_e32 v22, 0x6e08, v61
	s_delay_alu instid0(VALU_DEP_2) | instskip(SKIP_4) | instid1(VALU_DEP_1)
	v_add_nc_u32_e32 v2, 0x4200, v2
	scratch_store_b32 off, v3, off offset:160 ; 4-byte Folded Spill
	v_mul_lo_u32 v3, s7, v11
	scratch_store_b32 off, v0, off offset:164 ; 4-byte Folded Spill
	v_lshl_or_b32 v0, v23, 7, v15
	v_add_nc_u32_e32 v0, 0x4200, v0
	scratch_store_b32 off, v3, off offset:168 ; 4-byte Folded Spill
	v_mul_lo_u32 v3, s7, v13
	scratch_store_b32 off, v2, off offset:172 ; 4-byte Folded Spill
	v_lshl_or_b32 v2, v24, 7, v15
	s_delay_alu instid0(VALU_DEP_1)
	v_add_nc_u32_e32 v2, 0x4200, v2
	scratch_store_b32 off, v3, off offset:176 ; 4-byte Folded Spill
	v_mul_lo_u32 v3, s7, v14
	scratch_store_b32 off, v0, off offset:180 ; 4-byte Folded Spill
	v_lshl_or_b32 v0, v25, 7, v15
	scratch_store_b32 off, v2, off offset:188 ; 4-byte Folded Spill
	v_dual_mov_b32 v25, 0 :: v_dual_lshlrev_b32 v2, 2, v39
	v_add_nc_u32_e32 v0, 0x4200, v0
	scratch_store_b32 off, v3, off offset:184 ; 4-byte Folded Spill
	v_lshlrev_b32_e32 v3, 3, v38
	scratch_store_b32 off, v0, off offset:196 ; 4-byte Folded Spill
	v_add_nc_u32_e32 v0, 64, v38
	v_add3_u32 v60, v2, v3, 0x7280
	v_and_b32_e32 v2, 0x7c, v4
	v_lshlrev_b32_e32 v3, 3, v1
	s_delay_alu instid0(VALU_DEP_4) | instskip(SKIP_1) | instid1(VALU_DEP_3)
	v_lshrrev_b32_e32 v4, 2, v0
	v_and_b32_e32 v32, 0x1fc, v0
	v_add3_u32 v137, v3, v2, 0x7280
	v_lshlrev_b32_e32 v3, 3, v0
	s_delay_alu instid0(VALU_DEP_4)
	v_and_b32_e32 v2, 0x7c, v4
	v_add_nc_u32_e32 v0, 0x4200, v31
	v_and_b32_e32 v4, 0x7c, v7
	v_lshlrev_b32_e32 v7, 3, v5
	v_add_nc_u32_e32 v23, 0x6a08, v32
	v_add3_u32 v145, v3, v2, 0x7280
	v_add_nc_u32_e32 v2, 0x76a0, v26
	scratch_store_b32 off, v0, off offset:204 ; 4-byte Folded Spill
	v_add_nc_u32_e32 v0, v28, v27
	v_add3_u32 v154, v7, v4, 0x7280
	v_mov_b32_e32 v27, 0
	s_clause 0x1
	scratch_store_b32 off, v2, off offset:200
	scratch_store_b32 off, v40, off offset:420
	v_mul_lo_u32 v40, v30, s4
	v_lshlrev_b32_e32 v30, 5, v30
	scratch_store_b32 off, v0, off offset:448 ; 4-byte Folded Spill
	v_add_nc_u32_e32 v0, v17, v29
	scratch_store_b64 off, v[35:36], off offset:440 ; 8-byte Folded Spill
	v_and_b32_e32 v36, 0x1fc, v1
	v_dual_mov_b32 v38, 0 :: v_dual_and_b32 v35, 0xfc, v38
	s_clause 0x1
	scratch_store_b32 off, v0, off offset:452
	scratch_store_b32 off, v40, off offset:428
	v_add_nc_u32_e32 v0, v34, v30
	v_mov_b32_e32 v40, 0
	v_add_nc_u32_e32 v24, 0x6608, v36
	v_add_nc_u32_e32 v26, 0x6208, v35
	scratch_store_b32 off, v0, off offset:456 ; 4-byte Folded Spill
	v_add_nc_u32_e32 v0, v6, v8
	scratch_store_b32 off, v0, off offset:460 ; 4-byte Folded Spill
	v_add_nc_u32_e32 v0, v12, v18
	s_clause 0x11
	scratch_store_b32 off, v0, off offset:464
	scratch_store_b32 off, v57, off offset:20
	;; [unrolled: 1-line block ×18, first 2 shown]
	s_branch .LBB128_6
.LBB128_5:                              ;   in Loop: Header=BB128_6 Depth=1
	s_add_i32 s5, s5, 2
	s_delay_alu instid0(SALU_CYCLE_1)
	s_cmp_ge_i32 s5, s4
	s_cbranch_scc1 .LBB128_14
.LBB128_6:                              ; =>This Loop Header: Depth=1
                                        ;     Child Loop BB128_8 Depth 2
                                        ;       Child Loop BB128_10 Depth 3
                                        ;       Child Loop BB128_12 Depth 3
	s_clause 0x4
	scratch_load_b32 v2, off, off offset:208
	scratch_load_b32 v4, off, off offset:216
	;; [unrolled: 1-line block ×5, first 2 shown]
	s_mul_i32 s7, s5, 0x54
	s_mul_hi_u32 s13, s5, 0x54
	s_add_u32 s14, s0, s7
	s_addc_u32 s15, s1, s13
	s_lshl_b32 s7, s5, 3
	s_mov_b32 s13, 0
	s_clause 0x3
	scratch_load_b32 v6, off, off offset:228
	scratch_load_b32 v10, off, off offset:252
	;; [unrolled: 1-line block ×4, first 2 shown]
	s_waitcnt vmcnt(8)
	v_mad_u64_u32 v[0:1], null, 0x54, v2, s[14:15]
	scratch_load_b32 v2, off, off offset:212 ; 4-byte Folded Reload
	s_waitcnt vmcnt(0)
	v_add_co_u32 v0, vcc_lo, v0, v2
	v_add_co_ci_u32_e32 v1, vcc_lo, 0, v1, vcc_lo
	s_delay_alu instid0(VALU_DEP_2) | instskip(NEXT) | instid1(VALU_DEP_2)
	v_add_co_u32 v0, vcc_lo, v0, 16
	v_add_co_ci_u32_e32 v1, vcc_lo, 0, v1, vcc_lo
	s_delay_alu instid0(VALU_DEP_1)
	v_mad_i64_i32 v[2:3], null, 0x54, v4, v[0:1]
	v_mad_i64_i32 v[4:5], null, 0x54, v6, v[0:1]
	;; [unrolled: 1-line block ×8, first 2 shown]
	s_clause 0x7
	global_load_b32 v20, v[2:3], off
	global_load_b32 v39, v[4:5], off
	;; [unrolled: 1-line block ×8, first 2 shown]
	s_clause 0x8
	scratch_load_b32 v4, off, off offset:312
	scratch_load_b32 v6, off, off offset:324
	;; [unrolled: 1-line block ×9, first 2 shown]
	s_waitcnt vmcnt(8)
	v_mad_i64_i32 v[2:3], null, 0x54, v4, v[0:1]
	s_waitcnt vmcnt(7)
	v_mad_i64_i32 v[4:5], null, 0x54, v6, v[0:1]
	;; [unrolled: 2-line block ×5, first 2 shown]
	s_waitcnt vmcnt(0)
	v_mad_u64_u32 v[12:13], null, 0x54, v14, s[14:15]
	v_mad_i64_i32 v[14:15], null, 0x54, v16, v[0:1]
	v_mad_i64_i32 v[16:17], null, 0x54, v18, v[0:1]
	;; [unrolled: 1-line block ×3, first 2 shown]
	scratch_load_b32 v21, off, off offset:420 ; 4-byte Folded Reload
	s_mov_b32 s14, 0
	s_waitcnt vmcnt(0)
	v_add_co_u32 v12, vcc_lo, v12, v21
	scratch_load_b32 v21, off, off offset:400 ; 4-byte Folded Reload
	v_add_co_ci_u32_e32 v13, vcc_lo, 0, v13, vcc_lo
	s_waitcnt vmcnt(0)
	v_mad_i64_i32 v[29:30], null, 0x54, v21, v[0:1]
	scratch_load_b32 v21, off, off offset:388 ; 4-byte Folded Reload
	s_waitcnt vmcnt(0)
	v_mad_u64_u32 v[0:1], null, 0x54, v21, v[18:19]
	scratch_load_b32 v21, off, off offset:424 ; 4-byte Folded Reload
	s_waitcnt vmcnt(0)
	v_mad_i64_i32 v[18:19], null, 0x54, v21, v[12:13]
	scratch_load_b32 v21, off, off offset:428 ; 4-byte Folded Reload
	s_waitcnt vmcnt(0)
	v_mad_i64_i32 v[41:42], null, 0x54, v21, v[12:13]
	;; [unrolled: 3-line block ×4, first 2 shown]
	s_clause 0xc
	global_load_b32 v2, v[2:3], off
	global_load_b32 v3, v[4:5], off
	;; [unrolled: 1-line block ×8, first 2 shown]
	global_load_b32 v0, v[0:1], off offset:80
	global_load_b32 v1, v[18:19], off
	global_load_b32 v10, v[41:42], off
	;; [unrolled: 1-line block ×4, first 2 shown]
	scratch_load_b64 v[13:14], off, off offset:440 ; 8-byte Folded Reload
	s_waitcnt vmcnt(0)
	v_add_nc_u32_e32 v13, s7, v13
	scratch_store_b32 off, v13, off offset:116 ; 4-byte Folded Spill
	scratch_load_b64 v[13:14], off, off offset:220 ; 8-byte Folded Reload
	s_waitcnt vmcnt(0)
	ds_store_b32 v13, v20
	scratch_load_b64 v[13:14], off, off offset:232 ; 8-byte Folded Reload
	s_waitcnt vmcnt(0)
	ds_store_b32 v13, v39
	;; [unrolled: 3-line block ×16, first 2 shown]
	scratch_load_b32 v2, off, off offset:448 ; 4-byte Folded Reload
	s_waitcnt vmcnt(0)
	ds_store_b32 v2, v0
	scratch_load_b32 v0, off, off offset:452 ; 4-byte Folded Reload
	s_waitcnt vmcnt(0)
	ds_store_b32 v0, v1
	scratch_load_b32 v0, off, off offset:456 ; 4-byte Folded Reload
	s_waitcnt vmcnt(0)
	ds_store_b32 v0, v10
	scratch_load_b32 v0, off, off offset:460 ; 4-byte Folded Reload
	s_waitcnt vmcnt(0)
	ds_store_b32 v0, v11
	scratch_load_b32 v0, off, off offset:464 ; 4-byte Folded Reload
	s_waitcnt vmcnt(0)
	ds_store_b32 v0, v12
	s_branch .LBB128_8
.LBB128_7:                              ;   in Loop: Header=BB128_8 Depth=2
                                        ; implicit-def: $sgpr14
                                        ; implicit-def: $sgpr13
	s_cbranch_execnz .LBB128_5
.LBB128_8:                              ;   Parent Loop BB128_6 Depth=1
                                        ; =>  This Loop Header: Depth=2
                                        ;       Child Loop BB128_10 Depth 3
                                        ;       Child Loop BB128_12 Depth 3
	s_lshr_b32 s15, s14, 1
	s_delay_alu instid0(SALU_CYCLE_1) | instskip(NEXT) | instid1(SALU_CYCLE_1)
	s_or_b32 s15, s15, s5
	s_cmp_lt_i32 s15, s4
	s_cbranch_scc0 .LBB128_7
; %bb.9:                                ;   in Loop: Header=BB128_8 Depth=2
	scratch_load_b32 v0, off, off offset:120 ; 4-byte Folded Reload
	s_or_b32 s16, s14, 1
	s_lshl_b32 s17, s14, 3
	s_mov_b32 s18, 0
	s_lshl_b32 s15, s16, 3
	scratch_load_b64 v[19:20], off, off offset:124 ; 8-byte Folded Reload
	s_waitcnt vmcnt(1)
	v_lshl_add_u32 v0, s14, 5, v0
	s_delay_alu instid0(VALU_DEP_1) | instskip(NEXT) | instid1(VALU_DEP_1)
	v_lshrrev_b32_e32 v0, 3, v0
	v_add_nc_u32_e32 v12, s7, v0
	scratch_load_b32 v0, off, off offset:116 ; 4-byte Folded Reload
	s_waitcnt vmcnt(0)
	v_lshl_add_u32 v13, s14, 2, v0
	scratch_load_b32 v0, off, off offset:136 ; 4-byte Folded Reload
	s_waitcnt vmcnt(0)
	v_add_nc_u32_e32 v2, v12, v0
	scratch_load_b32 v0, off, off offset:144 ; 4-byte Folded Reload
	s_waitcnt vmcnt(0)
	v_add_nc_u32_e32 v4, v12, v0
	;; [unrolled: 3-line block ×7, first 2 shown]
	v_mad_i64_i32 v[0:1], null, v2, 36, v[19:20]
	v_mad_i64_i32 v[2:3], null, v4, 36, v[19:20]
	;; [unrolled: 1-line block ×5, first 2 shown]
	v_mad_u64_u32 v[10:11], null, v13, 36, s[2:3]
	scratch_load_b32 v13, off, off offset:192 ; 4-byte Folded Reload
	s_waitcnt vmcnt(0)
	v_add_nc_u32_e32 v18, v12, v13
	v_mad_i64_i32 v[12:13], null, v14, 36, v[19:20]
	v_mad_i64_i32 v[14:15], null, v16, 36, v[19:20]
	s_delay_alu instid0(VALU_DEP_3)
	v_mad_i64_i32 v[16:17], null, v18, 36, v[19:20]
	s_clause 0x8
	global_load_b32 v10, v[10:11], off
	global_load_b32 v2, v[2:3], off offset:4
	global_load_b32 v3, v[4:5], off offset:4
	;; [unrolled: 1-line block ×8, first 2 shown]
	s_clause 0x2
	scratch_load_b32 v124, off, off offset:204
	scratch_load_b32 v125, off, off offset:200
	;; [unrolled: 1-line block ×3, first 2 shown]
	s_waitcnt vmcnt(11)
	v_cvt_f32_f16_e32 v1, v10
	s_waitcnt vmcnt(0)
	ds_store_b32 v9, v2
	scratch_load_b32 v2, off, off offset:156 ; 4-byte Folded Reload
	s_waitcnt vmcnt(0)
	ds_store_b32 v2, v3
	scratch_load_b32 v2, off, off offset:164 ; 4-byte Folded Reload
	s_waitcnt vmcnt(0)
	ds_store_b32 v2, v4
	scratch_load_b32 v2, off, off offset:172 ; 4-byte Folded Reload
	s_waitcnt vmcnt(0)
	ds_store_b32 v2, v5
	scratch_load_b32 v2, off, off offset:180 ; 4-byte Folded Reload
	s_waitcnt vmcnt(0)
	ds_store_b32 v2, v6
	scratch_load_b32 v2, off, off offset:188 ; 4-byte Folded Reload
	s_waitcnt vmcnt(0)
	ds_store_b32 v2, v7
	scratch_load_b32 v2, off, off offset:196 ; 4-byte Folded Reload
	s_waitcnt vmcnt(0)
	ds_store_b32 v2, v8
	scratch_load_b32 v2, off, off offset:140 ; 4-byte Folded Reload
	s_waitcnt vmcnt(0)
	ds_store_b32 v2, v0
	scratch_load_b32 v0, off, off offset:132 ; 4-byte Folded Reload
	s_waitcnt vmcnt(0)
	ds_store_b32 v0, v1
	s_waitcnt lgkmcnt(0)
	s_waitcnt_vscnt null, 0x0
	s_barrier
	buffer_gl0_inv
.LBB128_10:                             ;   Parent Loop BB128_6 Depth=1
                                        ;     Parent Loop BB128_8 Depth=2
                                        ; =>    This Inner Loop Header: Depth=3
	s_clause 0x4
	scratch_store_b32 off, v127, off offset:16
	scratch_store_b32 off, v104, off offset:12
	;; [unrolled: 1-line block ×4, first 2 shown]
	scratch_store_b32 off, v25, off
	ds_load_2addr_b32 v[19:20], v125 offset1:32
	ds_load_b128 v[0:3], v124
	ds_load_b128 v[4:7], v124 offset:16
	s_add_i32 s21, s13, s18
	v_add_nc_u32_e32 v126, s18, v58
	s_and_b32 s20, s21, 0x3ffffff8
	s_lshr_b32 s21, s21, 2
	s_lshl_b32 s20, s20, 2
	s_and_b32 s21, s21, 0x3ffffffc
	s_and_b32 s19, s17, -16
	s_add_i32 s17, s17, 2
	s_waitcnt lgkmcnt(1)
	v_bfe_i32 v84, v0, 0, 8
	s_waitcnt lgkmcnt(0)
	v_ashrrev_i32_e32 v103, 24, v4
	v_ashrrev_i32_e32 v110, 24, v5
	v_bfe_i32 v85, v0, 8, 8
	v_bfe_i32 v86, v0, 16, 8
	v_ashrrev_i32_e32 v87, 24, v0
	v_bfe_i32 v102, v4, 16, 8
	v_bfe_i32 v109, v5, 16, 8
	v_ashrrev_i32_e32 v114, 24, v6
	v_ashrrev_i32_e32 v123, 24, v7
	v_add_nc_u32_e32 v0, v110, v103
	v_bfe_i32 v101, v4, 8, 8
	v_bfe_i32 v108, v5, 8, 8
	;; [unrolled: 1-line block ×4, first 2 shown]
	v_add3_u32 v15, v0, v114, v123
	v_add_nc_u32_e32 v0, v109, v102
	v_bfe_i32 v100, v4, 0, 8
	v_bfe_i32 v13, v5, 0, 8
	;; [unrolled: 1-line block ×4, first 2 shown]
	v_add3_u32 v16, v0, v113, v117
	v_add_nc_u32_e32 v0, v108, v101
	v_ashrrev_i32_e32 v91, 24, v1
	v_bfe_i32 v111, v6, 0, 8
	v_bfe_i32 v115, v7, 0, 8
	;; [unrolled: 1-line block ×3, first 2 shown]
	v_add3_u32 v17, v0, v112, v116
	v_add_nc_u32_e32 v0, v13, v100
	v_ashrrev_i32_e32 v95, 24, v2
	v_ashrrev_i32_e32 v99, 24, v3
	v_bfe_i32 v89, v1, 8, 8
	v_bfe_i32 v94, v2, 16, 8
	v_add3_u32 v14, v0, v111, v115
	v_add_nc_u32_e32 v0, v91, v87
	v_bfe_i32 v98, v3, 16, 8
	v_bfe_i32 v88, v1, 0, 8
	;; [unrolled: 1-line block ×4, first 2 shown]
	v_add3_u32 v18, v0, v95, v99
	v_add_nc_u32_e32 v0, v90, v86
	v_bfe_i32 v92, v2, 0, 8
	v_bfe_i32 v96, v3, 0, 8
	v_add_nc_u32_e32 v2, s20, v57
	s_delay_alu instid0(VALU_DEP_4) | instskip(SKIP_1) | instid1(VALU_DEP_1)
	v_add3_u32 v127, v0, v94, v98
	v_add_nc_u32_e32 v0, v89, v85
	v_add3_u32 v128, v0, v93, v97
	v_add_nc_u32_e32 v0, v88, v84
	s_delay_alu instid0(VALU_DEP_1)
	v_add3_u32 v104, v0, v92, v96
	ds_load_2addr_b32 v[0:1], v2 offset1:1
	s_waitcnt lgkmcnt(0)
	v_ashrrev_i32_e32 v4, s18, v0
	v_ashrrev_i32_e32 v11, s18, v1
	ds_load_2addr_b32 v[0:1], v2 offset0:2 offset1:3
	v_and_b32_e32 v5, 3, v4
	v_bfe_u32 v3, v4, 8, 2
	v_and_b32_e32 v7, 3, v11
	v_bfe_u32 v8, v11, 8, 2
	v_bfe_u32 v10, v11, 16, 2
	;; [unrolled: 1-line block ×3, first 2 shown]
	v_mul_i32_i24_e32 v46, v3, v85
	v_bfe_u32 v6, v4, 16, 2
	v_bfe_u32 v9, v4, 24, 2
	v_mul_i32_i24_e32 v61, v10, v90
	v_mul_i32_i24_e32 v69, v12, v91
	s_delay_alu instid0(VALU_DEP_4) | instskip(NEXT) | instid1(VALU_DEP_4)
	v_mul_i32_i24_e32 v47, v6, v86
	v_mul_i32_i24_e32 v4, v9, v87
	s_waitcnt lgkmcnt(0)
	v_ashrrev_i32_e32 v29, s18, v0
	v_ashrrev_i32_e32 v30, s18, v1
	ds_load_2addr_b32 v[0:1], v2 offset0:4 offset1:5
	v_and_b32_e32 v11, 3, v29
	v_and_b32_e32 v53, 3, v30
	v_bfe_u32 v39, v29, 8, 2
	v_bfe_u32 v51, v29, 16, 2
	;; [unrolled: 1-line block ×3, first 2 shown]
	v_mul_i32_i24_e32 v71, v11, v92
	v_mul_i32_i24_e32 v75, v53, v96
	;; [unrolled: 1-line block ×4, first 2 shown]
	v_bfe_u32 v56, v30, 8, 2
	v_mul_i32_i24_e32 v29, v54, v95
	v_bfe_u32 v57, v30, 16, 2
	v_bfe_u32 v58, v30, 24, 2
	s_delay_alu instid0(VALU_DEP_4) | instskip(NEXT) | instid1(VALU_DEP_3)
	v_mul_i32_i24_e32 v76, v56, v97
	v_mul_i32_i24_e32 v78, v57, v98
	s_waitcnt lgkmcnt(0)
	v_ashrrev_i32_e32 v41, s18, v0
	v_ashrrev_i32_e32 v42, s18, v1
	ds_load_2addr_b32 v[0:1], v2 offset0:6 offset1:7
	v_mul_i32_i24_e32 v30, v58, v99
	v_bfe_u32 v79, v42, 24, 2
	s_waitcnt lgkmcnt(0)
	v_ashrrev_i32_e32 v43, s18, v0
	scratch_load_b32 v0, off, off offset:96 ; 4-byte Folded Reload
	v_ashrrev_i32_e32 v45, s18, v1
	v_add_nc_u32_e32 v1, s21, v60
	v_mul_i32_i24_e32 v60, v8, v89
	v_bfe_u32 v80, v43, 8, 2
	v_bfe_u32 v81, v43, 16, 2
	v_and_b32_e32 v118, 3, v45
	v_bfe_u32 v119, v43, 24, 2
	v_bfe_u32 v120, v45, 8, 2
	v_mul_i32_i24_e32 v131, v80, v112
	v_mul_i32_i24_e32 v132, v81, v113
	;; [unrolled: 1-line block ×3, first 2 shown]
	v_bfe_u32 v121, v45, 16, 2
	v_mul_i32_i24_e32 v134, v120, v116
	v_bfe_u32 v122, v45, 24, 2
	s_delay_alu instid0(VALU_DEP_3) | instskip(NEXT) | instid1(VALU_DEP_2)
	v_mul_i32_i24_e32 v135, v121, v117
	v_mul_i32_i24_e32 v45, v122, v123
	s_waitcnt vmcnt(0)
	v_add3_u32 v0, v0, s19, v126
	ds_load_b32 v182, v1
	ds_load_u16 v0, v0 offset:25088
	scratch_load_b32 v21, off, off offset:92 ; 4-byte Folded Reload
	s_waitcnt lgkmcnt(0)
	v_bfe_u32 v195, v0, 4, 4
	v_lshrrev_b16 v1, 8, v0
	s_delay_alu instid0(VALU_DEP_2) | instskip(NEXT) | instid1(VALU_DEP_1)
	v_mul_lo_u32 v2, 0x1010101, v195
	v_bfe_i32 v49, v2, 8, 8
	v_bfe_i32 v50, v2, 16, 8
	v_lshrrev_b32_e32 v201, 24, v2
	v_mul_i32_i24_e32 v2, v5, v84
	s_delay_alu instid0(VALU_DEP_1) | instskip(NEXT) | instid1(VALU_DEP_1)
	v_mad_i32_i24 v2, v7, v88, v2
	v_add3_u32 v2, v2, v71, v46
	v_bfe_u32 v71, v41, 16, 2
	s_delay_alu instid0(VALU_DEP_2) | instskip(NEXT) | instid1(VALU_DEP_2)
	v_add3_u32 v2, v2, v47, v4
	v_mul_i32_i24_e32 v82, v71, v102
	s_delay_alu instid0(VALU_DEP_2) | instskip(SKIP_2) | instid1(VALU_DEP_3)
	v_add3_u32 v2, v2, v75, v60
	v_bfe_u32 v75, v41, 24, 2
	v_and_b32_e32 v60, 15, v0
	v_add3_u32 v2, v2, v61, v69
	v_and_b32_e32 v69, 3, v41
	v_bfe_u32 v61, v41, 8, 2
	v_mul_i32_i24_e32 v41, v75, v103
	s_delay_alu instid0(VALU_DEP_4) | instskip(NEXT) | instid1(VALU_DEP_4)
	v_add3_u32 v2, v2, v72, v73
	v_mul_i32_i24_e32 v46, v69, v100
	v_and_b32_e32 v72, 3, v42
	v_mul_i32_i24_e32 v47, v61, v101
	v_bfe_u32 v73, v42, 8, 2
	v_add3_u32 v2, v2, v29, v76
	v_and_b32_e32 v29, 0xffff, v1
	v_mad_i32_i24 v46, v72, v13, v46
	v_bfe_u32 v76, v42, 16, 2
	v_mul_i32_i24_e32 v83, v73, v108
	v_add3_u32 v2, v2, v78, v30
	v_and_b32_e32 v78, 3, v43
	v_lshrrev_b32_e32 v0, 4, v29
	v_mul_i32_i24_e32 v129, v76, v109
	v_mul_i32_i24_e32 v42, v79, v110
	v_mul_lo_u32 v30, v2, v60
	v_mul_i32_i24_e32 v130, v78, v111
	v_mul_lo_u32 v4, 0x1010101, v0
	v_mul_i32_i24_e32 v43, v119, v114
	v_and_b32_e32 v29, 15, v29
	s_delay_alu instid0(VALU_DEP_4) | instskip(SKIP_2) | instid1(VALU_DEP_3)
	v_add3_u32 v46, v46, v130, v47
	v_mul_i32_i24_e32 v47, v127, v50
	v_bfe_i32 v1, v4, 8, 8
	v_add3_u32 v41, v46, v82, v41
	v_bfe_i32 v2, v4, 16, 8
	v_lshrrev_b32_e32 v4, 24, v4
	v_mul_i32_i24_e32 v46, v18, v201
	v_mul_i32_i24_e32 v82, v128, v49
	v_add3_u32 v41, v41, v133, v83
	v_mul_i32_i24_e32 v83, v195, v104
	s_delay_alu instid0(VALU_DEP_2) | instskip(NEXT) | instid1(VALU_DEP_2)
	v_add3_u32 v41, v41, v129, v42
	v_mad_i32_i24 v83, v0, v14, v83
	v_mul_i32_i24_e32 v42, v15, v4
	s_delay_alu instid0(VALU_DEP_3) | instskip(NEXT) | instid1(VALU_DEP_3)
	v_add3_u32 v41, v41, v131, v132
	v_add3_u32 v46, v83, v46, v47
	s_delay_alu instid0(VALU_DEP_2) | instskip(SKIP_1) | instid1(VALU_DEP_3)
	v_add3_u32 v41, v41, v43, v134
	v_mul_i32_i24_e32 v43, v16, v2
	v_add3_u32 v42, v46, v82, v42
	s_delay_alu instid0(VALU_DEP_3) | instskip(SKIP_1) | instid1(VALU_DEP_1)
	v_add3_u32 v41, v41, v135, v45
	v_mul_i32_i24_e32 v45, v17, v1
	v_add3_u32 v45, v42, v43, v45
	s_delay_alu instid0(VALU_DEP_3) | instskip(SKIP_1) | instid1(VALU_DEP_1)
	v_mad_u64_u32 v[42:43], null, v41, v29, v[30:31]
	v_lshrrev_b32_e32 v30, 16, v182
	v_cvt_f32_f16_e32 v41, v30
	s_delay_alu instid0(VALU_DEP_3) | instskip(SKIP_1) | instid1(VALU_DEP_1)
	v_cvt_f32_i32_e32 v30, v42
	v_cvt_f32_i32_e32 v42, v45
	v_mul_f32_e32 v42, v41, v42
	s_delay_alu instid0(VALU_DEP_1) | instskip(NEXT) | instid1(VALU_DEP_1)
	v_fma_mix_f32 v30, v182, v30, -v42 op_sel_hi:[1,0,0]
	v_fmac_f32_e32 v204, v19, v30
	v_add_nc_u32_e32 v30, s20, v136
	ds_load_2addr_b32 v[42:43], v30 offset1:1
	s_waitcnt lgkmcnt(0)
	v_ashrrev_i32_e32 v45, s18, v42
	v_ashrrev_i32_e32 v47, s18, v43
	ds_load_2addr_b32 v[42:43], v30 offset0:2 offset1:3
	v_and_b32_e32 v224, 3, v45
	v_bfe_u32 v46, v45, 8, 2
	v_and_b32_e32 v226, 3, v47
	v_bfe_u32 v225, v45, 16, 2
	v_bfe_u32 v228, v45, 24, 2
	;; [unrolled: 1-line block ×3, first 2 shown]
	v_mul_i32_i24_e32 v133, v46, v85
	v_bfe_u32 v229, v47, 16, 2
	v_mul_i32_i24_e32 v134, v225, v86
	v_mul_i32_i24_e32 v45, v228, v87
	;; [unrolled: 1-line block ×3, first 2 shown]
	v_bfe_u32 v231, v47, 24, 2
	v_mul_i32_i24_e32 v136, v229, v90
	s_delay_alu instid0(VALU_DEP_2)
	v_mul_i32_i24_e32 v47, v231, v91
	s_waitcnt lgkmcnt(0)
	v_ashrrev_i32_e32 v82, s18, v42
	v_ashrrev_i32_e32 v83, s18, v43
	ds_load_2addr_b32 v[42:43], v30 offset0:4 offset1:5
	v_and_b32_e32 v230, 3, v82
	v_and_b32_e32 v234, 3, v83
	v_bfe_u32 v232, v82, 8, 2
	v_bfe_u32 v233, v82, 16, 2
	;; [unrolled: 1-line block ×4, first 2 shown]
	v_mul_i32_i24_e32 v141, v234, v96
	v_mul_i32_i24_e32 v139, v232, v93
	;; [unrolled: 1-line block ×5, first 2 shown]
	v_bfe_u32 v236, v83, 16, 2
	v_bfe_u32 v237, v83, 24, 2
	s_delay_alu instid0(VALU_DEP_2)
	v_mul_i32_i24_e32 v143, v236, v98
	s_waitcnt lgkmcnt(0)
	v_ashrrev_i32_e32 v129, s18, v42
	v_ashrrev_i32_e32 v130, s18, v43
	ds_load_2addr_b32 v[42:43], v30 offset0:6 offset1:7
	v_mul_i32_i24_e32 v83, v237, v99
	v_and_b32_e32 v70, 3, v129
	v_bfe_u32 v240, v129, 8, 2
	v_and_b32_e32 v242, 3, v130
	v_bfe_u32 v241, v129, 16, 2
	v_bfe_u32 v244, v129, 24, 2
	;; [unrolled: 1-line block ×5, first 2 shown]
	s_delay_alu instid0(VALU_DEP_4) | instskip(NEXT) | instid1(VALU_DEP_2)
	v_mul_i32_i24_e32 v129, v244, v103
	v_mul_i32_i24_e32 v130, v247, v110
	s_waitcnt lgkmcnt(0)
	v_ashrrev_i32_e32 v131, s18, v42
	v_add_nc_u32_e32 v42, s21, v137
	v_ashrrev_i32_e32 v132, s18, v43
	v_mul_i32_i24_e32 v137, v230, v92
	s_delay_alu instid0(VALU_DEP_4) | instskip(SKIP_1) | instid1(VALU_DEP_4)
	v_and_b32_e32 v246, 3, v131
	v_bfe_u32 v248, v131, 8, 2
	v_and_b32_e32 v250, 3, v132
	v_bfe_u32 v249, v131, 16, 2
	v_bfe_u32 v251, v131, 24, 2
	;; [unrolled: 1-line block ×5, first 2 shown]
	s_delay_alu instid0(VALU_DEP_4) | instskip(NEXT) | instid1(VALU_DEP_2)
	v_mul_i32_i24_e32 v131, v251, v114
	v_mul_i32_i24_e32 v132, v74, v123
	s_waitcnt vmcnt(0)
	v_add3_u32 v30, v21, s19, v126
	ds_load_b32 v138, v42
	ds_load_u16 v30, v30 offset:26112
	scratch_load_b32 v21, off, off offset:88 ; 4-byte Folded Reload
	s_waitcnt lgkmcnt(0)
	v_bfe_u32 v151, v30, 4, 4
	v_lshrrev_b16 v42, 8, v30
	v_and_b32_e32 v239, 15, v30
	s_delay_alu instid0(VALU_DEP_3) | instskip(NEXT) | instid1(VALU_DEP_1)
	v_mul_lo_u32 v43, 0x1010101, v151
	v_bfe_i32 v222, v43, 8, 8
	v_bfe_i32 v223, v43, 16, 8
	v_lshrrev_b32_e32 v155, 24, v43
	v_mul_i32_i24_e32 v43, v224, v84
	s_delay_alu instid0(VALU_DEP_1) | instskip(NEXT) | instid1(VALU_DEP_1)
	v_mad_i32_i24 v43, v226, v88, v43
	v_add3_u32 v43, v43, v137, v133
	v_mul_i32_i24_e32 v133, v240, v101
	v_mul_i32_i24_e32 v137, v246, v111
	s_delay_alu instid0(VALU_DEP_3) | instskip(SKIP_1) | instid1(VALU_DEP_2)
	v_add3_u32 v43, v43, v134, v45
	v_mul_i32_i24_e32 v134, v241, v102
	v_add3_u32 v43, v43, v141, v135
	v_mul_i32_i24_e32 v135, v243, v108
	v_mul_i32_i24_e32 v141, v250, v115
	s_delay_alu instid0(VALU_DEP_3) | instskip(SKIP_1) | instid1(VALU_DEP_2)
	v_add3_u32 v43, v43, v136, v47
	v_mul_i32_i24_e32 v136, v245, v109
	v_add3_u32 v43, v43, v139, v140
	v_mul_i32_i24_e32 v139, v248, v112
	v_mul_i32_i24_e32 v140, v249, v113
	s_delay_alu instid0(VALU_DEP_3) | instskip(SKIP_2) | instid1(VALU_DEP_3)
	v_add3_u32 v43, v43, v82, v142
	v_and_b32_e32 v82, 0xffff, v42
	v_mul_i32_i24_e32 v142, v252, v116
	v_add3_u32 v43, v43, v143, v83
	v_mul_i32_i24_e32 v83, v70, v100
	s_delay_alu instid0(VALU_DEP_4)
	v_lshrrev_b32_e32 v42, 4, v82
	v_mul_i32_i24_e32 v143, v254, v117
	v_and_b32_e32 v25, 15, v82
	v_mul_lo_u32 v30, v43, v239
	v_mad_i32_i24 v83, v242, v13, v83
	v_mul_lo_u32 v47, 0x1010101, v42
	s_delay_alu instid0(VALU_DEP_2) | instskip(SKIP_1) | instid1(VALU_DEP_3)
	v_add3_u32 v83, v83, v137, v133
	v_mul_i32_i24_e32 v133, v127, v223
	v_bfe_i32 v43, v47, 8, 8
	s_delay_alu instid0(VALU_DEP_3) | instskip(SKIP_3) | instid1(VALU_DEP_4)
	v_add3_u32 v83, v83, v134, v129
	v_bfe_i32 v45, v47, 16, 8
	v_lshrrev_b32_e32 v47, 24, v47
	v_mul_i32_i24_e32 v134, v128, v222
	v_add3_u32 v83, v83, v141, v135
	v_mul_i32_i24_e32 v135, v151, v104
	s_delay_alu instid0(VALU_DEP_2) | instskip(NEXT) | instid1(VALU_DEP_2)
	v_add3_u32 v83, v83, v136, v130
	v_mad_i32_i24 v135, v42, v14, v135
	v_mul_i32_i24_e32 v130, v16, v45
	s_delay_alu instid0(VALU_DEP_3) | instskip(NEXT) | instid1(VALU_DEP_1)
	v_add3_u32 v83, v83, v139, v140
	v_add3_u32 v83, v83, v131, v142
	v_mul_i32_i24_e32 v131, v17, v43
	s_delay_alu instid0(VALU_DEP_2) | instskip(SKIP_2) | instid1(VALU_DEP_2)
	v_add3_u32 v129, v83, v143, v132
	v_mul_i32_i24_e32 v132, v18, v155
	v_mul_i32_i24_e32 v83, v15, v47
	v_add3_u32 v132, v135, v132, v133
	s_delay_alu instid0(VALU_DEP_1) | instskip(NEXT) | instid1(VALU_DEP_1)
	v_add3_u32 v83, v132, v134, v83
	v_add3_u32 v130, v83, v130, v131
	v_mad_u64_u32 v[82:83], null, v129, v25, v[30:31]
	v_lshrrev_b32_e32 v30, 16, v138
	v_add_nc_u32_e32 v131, s21, v145
	s_delay_alu instid0(VALU_DEP_2) | instskip(NEXT) | instid1(VALU_DEP_4)
	v_cvt_f32_f16_e64 v180, v30
	v_cvt_f32_i32_e32 v30, v82
	v_cvt_f32_i32_e32 v82, v130
	s_delay_alu instid0(VALU_DEP_1) | instskip(NEXT) | instid1(VALU_DEP_1)
	v_mul_f32_e32 v82, v180, v82
	v_fma_mix_f32 v30, v138, v30, -v82 op_sel_hi:[1,0,0]
	s_delay_alu instid0(VALU_DEP_1)
	v_dual_fmac_f32 v77, v19, v30 :: v_dual_add_nc_u32 v30, s20, v144
	ds_load_2addr_b32 v[82:83], v30 offset1:1
	s_waitcnt lgkmcnt(0)
	v_ashrrev_i32_e32 v129, s18, v82
	v_ashrrev_i32_e32 v130, s18, v83
	ds_load_2addr_b32 v[82:83], v30 offset0:2 offset1:3
	v_and_b32_e32 v187, 3, v129
	v_bfe_u32 v185, v129, 8, 2
	v_and_b32_e32 v189, 3, v130
	v_bfe_u32 v188, v129, 16, 2
	v_bfe_u32 v191, v129, 24, 2
	v_mul_i32_i24_e32 v140, v187, v84
	v_mul_i32_i24_e32 v141, v185, v85
	v_bfe_u32 v190, v130, 8, 2
	v_mul_i32_i24_e32 v142, v188, v86
	v_mul_i32_i24_e32 v129, v191, v87
	v_mad_i32_i24 v140, v189, v88, v140
	v_bfe_u32 v192, v130, 16, 2
	v_mul_i32_i24_e32 v143, v190, v89
	v_bfe_u32 v194, v130, 24, 2
	s_delay_alu instid0(VALU_DEP_3)
	v_mul_i32_i24_e32 v144, v192, v90
	s_waitcnt lgkmcnt(0)
	v_ashrrev_i32_e32 v134, s18, v82
	v_ashrrev_i32_e32 v135, s18, v83
	ds_load_2addr_b32 v[82:83], v30 offset0:4 offset1:5
	v_mul_i32_i24_e32 v130, v194, v91
	v_and_b32_e32 v193, 3, v134
	v_and_b32_e32 v198, 3, v135
	v_bfe_u32 v196, v134, 8, 2
	v_bfe_u32 v197, v134, 16, 2
	;; [unrolled: 1-line block ×3, first 2 shown]
	v_mul_i32_i24_e32 v145, v193, v92
	v_mul_i32_i24_e32 v148, v198, v96
	;; [unrolled: 1-line block ×4, first 2 shown]
	v_bfe_u32 v200, v135, 8, 2
	v_add3_u32 v140, v140, v145, v141
	v_mul_i32_i24_e32 v134, v32, v95
	v_bfe_u32 v202, v135, 16, 2
	v_bfe_u32 v203, v135, 24, 2
	v_mul_i32_i24_e32 v149, v200, v97
	v_add3_u32 v129, v140, v142, v129
	s_waitcnt lgkmcnt(0)
	v_ashrrev_i32_e32 v136, s18, v82
	v_ashrrev_i32_e32 v137, s18, v83
	ds_load_2addr_b32 v[82:83], v30 offset0:6 offset1:7
	v_add3_u32 v129, v129, v148, v143
	v_mul_i32_i24_e32 v150, v202, v98
	v_mul_i32_i24_e32 v135, v203, v99
	v_and_b32_e32 v206, 3, v136
	v_bfe_u32 v35, v136, 8, 2
	v_add3_u32 v129, v129, v144, v130
	v_and_b32_e32 v208, 3, v137
	v_bfe_u32 v207, v136, 16, 2
	v_bfe_u32 v36, v136, 24, 2
	;; [unrolled: 1-line block ×3, first 2 shown]
	v_add3_u32 v129, v129, v146, v147
	v_bfe_u32 v211, v137, 16, 2
	v_bfe_u32 v213, v137, 24, 2
	v_mul_i32_i24_e32 v136, v36, v103
	s_delay_alu instid0(VALU_DEP_4)
	v_add3_u32 v129, v129, v134, v149
	v_mul_i32_i24_e32 v134, v35, v101
	v_mul_i32_i24_e32 v140, v211, v109
	;; [unrolled: 1-line block ×3, first 2 shown]
	s_waitcnt lgkmcnt(0)
	v_ashrrev_i32_e32 v82, s18, v82
	v_add3_u32 v129, v129, v150, v135
	v_ashrrev_i32_e32 v83, s18, v83
	v_mul_i32_i24_e32 v135, v207, v102
	s_delay_alu instid0(VALU_DEP_4) | instskip(SKIP_1) | instid1(VALU_DEP_4)
	v_and_b32_e32 v212, 3, v82
	v_bfe_u32 v214, v82, 8, 2
	v_and_b32_e32 v216, 3, v83
	v_bfe_u32 v215, v82, 16, 2
	v_bfe_u32 v217, v82, 24, 2
	v_mul_i32_i24_e32 v141, v212, v111
	v_mul_i32_i24_e32 v142, v214, v112
	;; [unrolled: 1-line block ×4, first 2 shown]
	v_bfe_u32 v218, v83, 8, 2
	v_mul_i32_i24_e32 v82, v217, v114
	v_bfe_u32 v219, v83, 16, 2
	v_bfe_u32 v220, v83, 24, 2
	s_delay_alu instid0(VALU_DEP_4) | instskip(NEXT) | instid1(VALU_DEP_3)
	v_mul_i32_i24_e32 v145, v218, v116
	v_mul_i32_i24_e32 v146, v219, v117
	s_delay_alu instid0(VALU_DEP_3)
	v_mul_i32_i24_e32 v83, v220, v123
	s_waitcnt vmcnt(0)
	v_add3_u32 v30, v21, s19, v126
	ds_load_b32 v131, v131
	ds_load_u16 v30, v30 offset:27136
	scratch_load_b32 v21, off, off offset:84 ; 4-byte Folded Reload
	s_waitcnt lgkmcnt(0)
	v_lshrrev_b16 v139, 8, v30
	v_and_b32_e32 v34, 15, v30
	v_bfe_u32 v132, v30, 4, 4
	s_delay_alu instid0(VALU_DEP_2) | instskip(NEXT) | instid1(VALU_DEP_4)
	v_mul_lo_u32 v30, v129, v34
	v_and_b32_e32 v129, 0xffff, v139
	v_mul_i32_i24_e32 v139, v209, v108
	s_delay_alu instid0(VALU_DEP_4) | instskip(NEXT) | instid1(VALU_DEP_3)
	v_mul_lo_u32 v133, 0x1010101, v132
	v_lshrrev_b32_e32 v183, 4, v129
	s_delay_alu instid0(VALU_DEP_1) | instskip(NEXT) | instid1(VALU_DEP_3)
	v_mul_lo_u32 v130, 0x1010101, v183
	v_bfe_i32 v178, v133, 16, 8
	v_lshrrev_b32_e32 v166, 24, v133
	v_bfe_i32 v177, v133, 8, 8
	s_delay_alu instid0(VALU_DEP_4) | instskip(SKIP_3) | instid1(VALU_DEP_1)
	v_bfe_i32 v28, v130, 8, 8
	v_bfe_i32 v31, v130, 16, 8
	v_lshrrev_b32_e32 v186, 24, v130
	v_mul_i32_i24_e32 v130, v206, v100
	v_mad_i32_i24 v130, v208, v13, v130
	s_delay_alu instid0(VALU_DEP_1) | instskip(SKIP_1) | instid1(VALU_DEP_2)
	v_add3_u32 v130, v130, v141, v134
	v_mul_i32_i24_e32 v134, v17, v28
	v_add3_u32 v130, v130, v135, v136
	v_mul_i32_i24_e32 v135, v18, v166
	v_mul_i32_i24_e32 v136, v127, v178
	s_delay_alu instid0(VALU_DEP_3) | instskip(SKIP_1) | instid1(VALU_DEP_2)
	v_add3_u32 v130, v130, v144, v139
	v_mul_i32_i24_e32 v139, v132, v104
	v_add3_u32 v130, v130, v140, v137
	s_delay_alu instid0(VALU_DEP_2) | instskip(SKIP_1) | instid1(VALU_DEP_3)
	v_mad_i32_i24 v139, v183, v14, v139
	v_mul_i32_i24_e32 v137, v128, v177
	v_add3_u32 v130, v130, v142, v143
	s_delay_alu instid0(VALU_DEP_3) | instskip(SKIP_1) | instid1(VALU_DEP_3)
	v_add3_u32 v135, v139, v135, v136
	v_and_b32_e32 v136, 15, v129
	v_add3_u32 v82, v130, v82, v145
	s_delay_alu instid0(VALU_DEP_1) | instskip(SKIP_2) | instid1(VALU_DEP_2)
	v_add3_u32 v130, v82, v146, v83
	v_mul_i32_i24_e32 v82, v15, v186
	v_mul_i32_i24_e32 v83, v16, v31
	v_add3_u32 v82, v135, v137, v82
	s_delay_alu instid0(VALU_DEP_1) | instskip(SKIP_2) | instid1(VALU_DEP_1)
	v_add3_u32 v134, v82, v83, v134
	v_mad_u64_u32 v[82:83], null, v130, v136, v[30:31]
	v_lshrrev_b32_e32 v30, 16, v131
	v_cvt_f32_f16_e64 v137, v30
	s_delay_alu instid0(VALU_DEP_3) | instskip(SKIP_1) | instid1(VALU_DEP_1)
	v_cvt_f32_i32_e32 v30, v82
	v_cvt_f32_i32_e32 v82, v134
	v_mul_f32_e32 v82, v137, v82
	s_delay_alu instid0(VALU_DEP_1) | instskip(NEXT) | instid1(VALU_DEP_1)
	v_fma_mix_f32 v30, v131, v30, -v82 op_sel_hi:[1,0,0]
	v_dual_fmac_f32 v255, v19, v30 :: v_dual_add_nc_u32 v30, s20, v152
	ds_load_2addr_b32 v[82:83], v30 offset1:1
	s_waitcnt lgkmcnt(0)
	v_ashrrev_i32_e32 v139, s18, v82
	v_ashrrev_i32_e32 v140, s18, v83
	ds_load_2addr_b32 v[82:83], v30 offset0:2 offset1:3
	v_and_b32_e32 v144, 3, v139
	v_bfe_u32 v22, v139, 8, 2
	v_and_b32_e32 v23, 3, v140
	v_bfe_u32 v145, v139, 16, 2
	v_bfe_u32 v148, v139, 24, 2
	v_mul_i32_i24_e32 v84, v144, v84
	v_mul_i32_i24_e32 v85, v22, v85
	v_bfe_u32 v147, v140, 8, 2
	v_mul_i32_i24_e32 v86, v145, v86
	v_mul_i32_i24_e32 v87, v148, v87
	v_mad_i32_i24 v84, v23, v88, v84
	v_bfe_u32 v149, v140, 16, 2
	v_mul_i32_i24_e32 v89, v147, v89
	v_bfe_u32 v146, v140, 24, 2
	s_delay_alu instid0(VALU_DEP_3)
	v_mul_i32_i24_e32 v90, v149, v90
	s_waitcnt lgkmcnt(0)
	v_ashrrev_i32_e32 v141, s18, v82
	v_ashrrev_i32_e32 v143, s18, v83
	ds_load_2addr_b32 v[82:83], v30 offset0:4 offset1:5
	v_mul_i32_i24_e32 v91, v146, v91
	v_and_b32_e32 v150, 3, v141
	v_bfe_u32 v142, v141, 8, 2
	v_bfe_u32 v140, v141, 16, 2
	;; [unrolled: 1-line block ×4, first 2 shown]
	v_mul_i32_i24_e32 v92, v150, v92
	v_mul_i32_i24_e32 v93, v142, v93
	;; [unrolled: 1-line block ×5, first 2 shown]
	v_add3_u32 v84, v84, v92, v85
	v_bfe_u32 v134, v143, 16, 2
	v_bfe_u32 v159, v143, 24, 2
	s_delay_alu instid0(VALU_DEP_3) | instskip(NEXT) | instid1(VALU_DEP_3)
	v_add3_u32 v84, v84, v86, v87
	v_mul_i32_i24_e32 v98, v134, v98
	s_waitcnt lgkmcnt(0)
	v_ashrrev_i32_e32 v165, s18, v82
	v_ashrrev_i32_e32 v169, s18, v83
	ds_load_2addr_b32 v[82:83], v30 offset0:6 offset1:7
	v_mul_i32_i24_e32 v99, v159, v99
	v_and_b32_e32 v161, 3, v165
	v_bfe_u32 v133, v165, 16, 2
	v_bfe_u32 v164, v169, 8, 2
	;; [unrolled: 1-line block ×4, first 2 shown]
	s_delay_alu instid0(VALU_DEP_4) | instskip(SKIP_4) | instid1(VALU_DEP_2)
	v_mul_i32_i24_e32 v87, v133, v102
	s_waitcnt lgkmcnt(0)
	v_ashrrev_i32_e32 v82, s18, v82
	v_ashrrev_i32_e32 v83, s18, v83
	s_add_i32 s18, s18, 2
	v_bfe_u32 v170, v82, 8, 2
	s_delay_alu instid0(VALU_DEP_2)
	v_and_b32_e32 v172, 3, v83
	v_bfe_u32 v171, v82, 16, 2
	v_bfe_u32 v173, v82, 24, 2
	v_bfe_u32 v174, v83, 8, 2
	v_bfe_u32 v175, v83, 16, 2
	v_bfe_u32 v176, v83, 24, 2
	s_delay_alu instid0(VALU_DEP_1)
	v_mul_i32_i24_e32 v83, v176, v123
	s_waitcnt vmcnt(0)
	v_add3_u32 v30, v21, s19, v126
	v_add_nc_u32_e32 v126, s21, v154
	v_and_b32_e32 v154, 3, v143
	ds_load_b32 v126, v126
	ds_load_u16 v30, v30 offset:28160
	v_mul_i32_i24_e32 v96, v154, v96
	s_add_i32 s19, s13, s18
	s_delay_alu instid0(SALU_CYCLE_1) | instskip(NEXT) | instid1(VALU_DEP_1)
	s_cmp_lt_u32 s19, s15
	v_add3_u32 v84, v84, v96, v89
	v_mul_i32_i24_e32 v89, v164, v108
	v_mul_i32_i24_e32 v96, v174, v116
	s_delay_alu instid0(VALU_DEP_3) | instskip(SKIP_2) | instid1(VALU_DEP_3)
	v_add3_u32 v84, v84, v90, v91
	v_mul_i32_i24_e32 v90, v167, v109
	v_mul_i32_i24_e32 v91, v168, v110
	v_add3_u32 v84, v84, v93, v94
	v_mul_i32_i24_e32 v93, v170, v112
	v_mul_i32_i24_e32 v94, v171, v113
	s_waitcnt lgkmcnt(0)
	v_lshrrev_b16 v162, 8, v30
	v_add3_u32 v84, v84, v95, v97
	v_and_b32_e32 v160, 15, v30
	v_bfe_u32 v130, v30, 4, 4
	v_mul_i32_i24_e32 v95, v172, v115
	v_mul_i32_i24_e32 v97, v175, v117
	v_add3_u32 v84, v84, v98, v99
	s_delay_alu instid0(VALU_DEP_4) | instskip(NEXT) | instid1(VALU_DEP_2)
	v_mul_lo_u32 v129, 0x1010101, v130
	v_mul_lo_u32 v30, v84, v160
	v_and_b32_e32 v84, 0xffff, v162
	v_bfe_u32 v162, v165, 8, 2
	s_delay_alu instid0(VALU_DEP_4) | instskip(NEXT) | instid1(VALU_DEP_3)
	v_bfe_i32 v24, v129, 8, 8
	v_lshrrev_b32_e32 v139, 4, v84
	v_bfe_i32 v181, v129, 16, 8
	v_lshrrev_b32_e32 v163, 24, v129
	v_bfe_u32 v129, v165, 24, 2
	v_and_b32_e32 v165, 3, v169
	v_mul_lo_u32 v85, 0x1010101, v139
	v_and_b32_e32 v169, 3, v82
	v_mul_i32_i24_e32 v86, v162, v101
	v_mul_i32_i24_e32 v88, v129, v103
	;; [unrolled: 1-line block ×3, first 2 shown]
	v_and_b32_e32 v158, 15, v84
	v_mul_i32_i24_e32 v92, v169, v111
	v_bfe_i32 v26, v85, 8, 8
	v_bfe_i32 v141, v85, 16, 8
	v_lshrrev_b32_e32 v143, 24, v85
	v_mul_i32_i24_e32 v85, v161, v100
	s_delay_alu instid0(VALU_DEP_1) | instskip(SKIP_1) | instid1(VALU_DEP_2)
	v_mad_i32_i24 v13, v165, v13, v85
	v_mul_i32_i24_e32 v85, v130, v104
	v_add3_u32 v13, v13, v92, v86
	s_delay_alu instid0(VALU_DEP_2) | instskip(NEXT) | instid1(VALU_DEP_2)
	v_mad_i32_i24 v14, v139, v14, v85
	v_add3_u32 v13, v13, v87, v88
	s_delay_alu instid0(VALU_DEP_1) | instskip(NEXT) | instid1(VALU_DEP_1)
	v_add3_u32 v13, v13, v95, v89
	v_add3_u32 v13, v13, v90, v91
	s_delay_alu instid0(VALU_DEP_1) | instskip(NEXT) | instid1(VALU_DEP_1)
	v_add3_u32 v13, v13, v93, v94
	v_add3_u32 v13, v13, v82, v96
	s_delay_alu instid0(VALU_DEP_1)
	v_add3_u32 v82, v13, v97, v83
	v_mul_i32_i24_e32 v13, v15, v143
	v_mul_i32_i24_e32 v15, v16, v141
	v_mul_i32_i24_e32 v16, v17, v26
	v_mul_i32_i24_e32 v17, v18, v163
	v_mul_i32_i24_e32 v18, v127, v181
	v_mul_i32_i24_e32 v83, v128, v24
	s_delay_alu instid0(VALU_DEP_2) | instskip(NEXT) | instid1(VALU_DEP_1)
	v_add3_u32 v14, v14, v17, v18
	v_add3_u32 v13, v14, v83, v13
	s_delay_alu instid0(VALU_DEP_1) | instskip(SKIP_2) | instid1(VALU_DEP_1)
	v_add3_u32 v15, v13, v15, v16
	v_mad_u64_u32 v[13:14], null, v82, v158, v[30:31]
	v_lshrrev_b32_e32 v14, 16, v126
	v_cvt_f32_f16_e64 v157, v14
	s_delay_alu instid0(VALU_DEP_4) | instskip(NEXT) | instid1(VALU_DEP_4)
	v_cvt_f32_i32_e32 v14, v15
	v_cvt_f32_i32_e32 v13, v13
	s_delay_alu instid0(VALU_DEP_2) | instskip(NEXT) | instid1(VALU_DEP_1)
	v_mul_f32_e32 v14, v157, v14
	v_fma_mix_f32 v13, v126, v13, -v14 op_sel_hi:[1,0,0]
	s_delay_alu instid0(VALU_DEP_1)
	v_fmac_f32_e32 v253, v19, v13
	ds_load_b128 v[13:16], v124 offset:1024
	s_waitcnt lgkmcnt(0)
	v_bfe_i32 v17, v13, 0, 8
	v_bfe_i32 v18, v13, 8, 8
	v_bfe_i32 v19, v13, 16, 8
	v_ashrrev_i32_e32 v30, 24, v13
	v_bfe_i32 v82, v14, 0, 8
	v_bfe_i32 v83, v14, 8, 8
	v_bfe_i32 v84, v14, 16, 8
	v_ashrrev_i32_e32 v85, 24, v14
	;; [unrolled: 4-line block ×4, first 2 shown]
	ds_load_b128 v[13:16], v124 offset:1040
	v_mul_i32_i24_e32 v106, v84, v10
	v_mul_i32_i24_e32 v107, v85, v12
	s_waitcnt lgkmcnt(0)
	v_ashrrev_i32_e32 v97, 24, v13
	v_ashrrev_i32_e32 v101, 24, v14
	v_bfe_i32 v94, v13, 0, 8
	v_bfe_i32 v95, v13, 8, 8
	v_bfe_i32 v96, v13, 16, 8
	v_bfe_i32 v100, v14, 16, 8
	v_ashrrev_i32_e32 v108, 24, v15
	v_bfe_i32 v109, v16, 0, 8
	v_bfe_i32 v110, v16, 8, 8
	;; [unrolled: 1-line block ×3, first 2 shown]
	v_ashrrev_i32_e32 v16, 24, v16
	v_add_nc_u32_e32 v13, v101, v97
	v_bfe_i32 v99, v14, 8, 8
	v_bfe_i32 v104, v15, 16, 8
	;; [unrolled: 1-line block ×4, first 2 shown]
	v_add3_u32 v112, v13, v108, v16
	v_add_nc_u32_e32 v13, v100, v96
	v_bfe_i32 v102, v15, 0, 8
	v_mul_i32_i24_e32 v14, v19, v6
	v_mul_i32_i24_e32 v15, v30, v9
	;; [unrolled: 1-line block ×3, first 2 shown]
	v_add3_u32 v113, v13, v104, v111
	v_add_nc_u32_e32 v13, v99, v95
	s_delay_alu instid0(VALU_DEP_1) | instskip(SKIP_1) | instid1(VALU_DEP_1)
	v_add3_u32 v114, v13, v103, v110
	v_add_nc_u32_e32 v13, v98, v94
	v_add3_u32 v115, v13, v102, v109
	v_add_nc_u32_e32 v13, v85, v30
	s_delay_alu instid0(VALU_DEP_1) | instskip(SKIP_1) | instid1(VALU_DEP_1)
	v_add3_u32 v116, v13, v89, v93
	v_add_nc_u32_e32 v13, v84, v19
	v_add3_u32 v117, v13, v88, v92
	v_add_nc_u32_e32 v13, v83, v18
	s_delay_alu instid0(VALU_DEP_2) | instskip(NEXT) | instid1(VALU_DEP_2)
	v_mul_i32_i24_e32 v152, v117, v50
	v_add3_u32 v123, v13, v87, v91
	v_add_nc_u32_e32 v13, v82, v17
	s_delay_alu instid0(VALU_DEP_2) | instskip(NEXT) | instid1(VALU_DEP_2)
	v_mul_i32_i24_e32 v153, v123, v49
	v_add3_u32 v105, v13, v86, v90
	v_mul_i32_i24_e32 v13, v17, v5
	s_delay_alu instid0(VALU_DEP_2) | instskip(NEXT) | instid1(VALU_DEP_2)
	v_mul_i32_i24_e32 v127, v105, v195
	v_mad_i32_i24 v13, v18, v3, v13
	s_delay_alu instid0(VALU_DEP_2) | instskip(NEXT) | instid1(VALU_DEP_2)
	v_mad_i32_i24 v127, v116, v201, v127
	v_add3_u32 v13, v13, v14, v15
	v_mul_i32_i24_e32 v14, v82, v7
	v_mul_i32_i24_e32 v15, v83, v8
	s_delay_alu instid0(VALU_DEP_4) | instskip(SKIP_2) | instid1(VALU_DEP_4)
	v_add3_u32 v127, v127, v152, v153
	v_mul_i32_i24_e32 v153, v105, v151
	v_mul_i32_i24_e32 v152, v123, v222
	v_add3_u32 v13, v13, v14, v15
	v_mul_i32_i24_e32 v14, v86, v11
	v_mul_i32_i24_e32 v15, v87, v39
	v_mad_i32_i24 v153, v116, v155, v153
	s_delay_alu instid0(VALU_DEP_4) | instskip(SKIP_2) | instid1(VALU_DEP_3)
	v_add3_u32 v13, v13, v106, v107
	v_mul_i32_i24_e32 v106, v88, v51
	v_mul_i32_i24_e32 v107, v89, v54
	v_add3_u32 v13, v13, v14, v15
	v_mul_i32_i24_e32 v14, v90, v53
	v_mul_i32_i24_e32 v15, v91, v56
	s_delay_alu instid0(VALU_DEP_3) | instskip(SKIP_2) | instid1(VALU_DEP_3)
	v_add3_u32 v13, v13, v106, v107
	v_mul_i32_i24_e32 v106, v92, v57
	v_mul_i32_i24_e32 v107, v93, v58
	v_add3_u32 v13, v13, v14, v15
	v_mul_i32_i24_e32 v14, v94, v69
	v_mul_i32_i24_e32 v15, v96, v71
	s_delay_alu instid0(VALU_DEP_3) | instskip(SKIP_1) | instid1(VALU_DEP_4)
	v_add3_u32 v13, v13, v106, v107
	v_mul_i32_i24_e32 v106, v97, v75
	v_mad_i32_i24 v14, v95, v61, v14
	v_mul_i32_i24_e32 v107, v100, v76
	s_delay_alu instid0(VALU_DEP_4) | instskip(NEXT) | instid1(VALU_DEP_3)
	v_mul_lo_u32 v13, v13, v60
	v_add3_u32 v14, v14, v15, v106
	v_mul_i32_i24_e32 v15, v98, v72
	v_mul_i32_i24_e32 v106, v99, v73
	s_delay_alu instid0(VALU_DEP_1) | instskip(SKIP_2) | instid1(VALU_DEP_3)
	v_add3_u32 v14, v14, v15, v106
	v_mul_i32_i24_e32 v15, v102, v78
	v_mul_i32_i24_e32 v106, v104, v81
	v_add3_u32 v14, v14, v107, v21
	v_mul_i32_i24_e32 v21, v103, v80
	v_mul_i32_i24_e32 v107, v108, v119
	s_delay_alu instid0(VALU_DEP_2) | instskip(SKIP_2) | instid1(VALU_DEP_3)
	v_add3_u32 v14, v14, v15, v21
	v_mul_i32_i24_e32 v15, v109, v118
	v_mul_i32_i24_e32 v21, v110, v120
	v_add3_u32 v14, v14, v106, v107
	v_mul_i32_i24_e32 v106, v111, v121
	v_mul_i32_i24_e32 v107, v16, v122
	s_delay_alu instid0(VALU_DEP_3) | instskip(SKIP_1) | instid1(VALU_DEP_2)
	v_add3_u32 v14, v14, v15, v21
	v_mul_i32_i24_e32 v15, v113, v2
	v_add3_u32 v21, v14, v106, v107
	v_mul_i32_i24_e32 v14, v112, v4
	v_mul_i32_i24_e32 v107, v115, v0
	;; [unrolled: 1-line block ×3, first 2 shown]
	s_delay_alu instid0(VALU_DEP_2) | instskip(SKIP_2) | instid1(VALU_DEP_3)
	v_add3_u32 v14, v127, v107, v14
	v_mul_i32_i24_e32 v107, v101, v247
	v_mul_i32_i24_e32 v127, v117, v223
	v_add3_u32 v106, v14, v15, v106
	v_mad_u64_u32 v[14:15], null, v21, v29, v[13:14]
	v_mul_i32_i24_e32 v15, v30, v228
	v_mul_i32_i24_e32 v21, v84, v229
	v_add3_u32 v127, v153, v127, v152
	v_mul_i32_i24_e32 v153, v105, v132
	v_mul_i32_i24_e32 v152, v123, v177
	v_cvt_f32_i32_e32 v13, v14
	v_cvt_f32_i32_e32 v14, v106
	v_mul_i32_i24_e32 v106, v85, v231
	v_mad_i32_i24 v153, v116, v166, v153
	s_delay_alu instid0(VALU_DEP_3) | instskip(NEXT) | instid1(VALU_DEP_1)
	v_mul_f32_e32 v14, v41, v14
	v_fma_mix_f32 v13, v182, v13, -v14 op_sel_hi:[1,0,0]
	v_mul_i32_i24_e32 v14, v19, v225
	s_delay_alu instid0(VALU_DEP_2) | instskip(SKIP_1) | instid1(VALU_DEP_1)
	v_fmac_f32_e32 v68, v20, v13
	v_mul_i32_i24_e32 v13, v17, v224
	v_mad_i32_i24 v13, v18, v46, v13
	s_delay_alu instid0(VALU_DEP_1) | instskip(SKIP_2) | instid1(VALU_DEP_1)
	v_add3_u32 v13, v13, v14, v15
	v_mul_i32_i24_e32 v14, v82, v226
	v_mul_i32_i24_e32 v15, v83, v227
	v_add3_u32 v13, v13, v14, v15
	v_mul_i32_i24_e32 v14, v86, v230
	v_mul_i32_i24_e32 v15, v87, v232
	s_delay_alu instid0(VALU_DEP_3) | instskip(SKIP_2) | instid1(VALU_DEP_3)
	v_add3_u32 v13, v13, v21, v106
	v_mul_i32_i24_e32 v21, v88, v233
	v_mul_i32_i24_e32 v106, v89, v235
	v_add3_u32 v13, v13, v14, v15
	v_mul_i32_i24_e32 v14, v90, v234
	v_mul_i32_i24_e32 v15, v91, v67
	s_delay_alu instid0(VALU_DEP_3) | instskip(SKIP_2) | instid1(VALU_DEP_3)
	v_add3_u32 v13, v13, v21, v106
	v_mul_i32_i24_e32 v21, v92, v236
	v_mul_i32_i24_e32 v106, v93, v237
	v_add3_u32 v13, v13, v14, v15
	v_mul_i32_i24_e32 v14, v94, v70
	v_mul_i32_i24_e32 v15, v96, v241
	s_delay_alu instid0(VALU_DEP_3) | instskip(SKIP_1) | instid1(VALU_DEP_4)
	v_add3_u32 v13, v13, v21, v106
	v_mul_i32_i24_e32 v21, v97, v244
	v_mad_i32_i24 v14, v95, v240, v14
	v_mul_i32_i24_e32 v106, v100, v245
	s_delay_alu instid0(VALU_DEP_4) | instskip(NEXT) | instid1(VALU_DEP_3)
	v_mul_lo_u32 v13, v13, v239
	v_add3_u32 v14, v14, v15, v21
	v_mul_i32_i24_e32 v15, v98, v242
	v_mul_i32_i24_e32 v21, v99, v243
	s_delay_alu instid0(VALU_DEP_1) | instskip(SKIP_2) | instid1(VALU_DEP_3)
	v_add3_u32 v14, v14, v15, v21
	v_mul_i32_i24_e32 v15, v102, v246
	v_mul_i32_i24_e32 v21, v103, v248
	v_add3_u32 v14, v14, v106, v107
	v_mul_i32_i24_e32 v106, v104, v249
	v_mul_i32_i24_e32 v107, v108, v251
	s_delay_alu instid0(VALU_DEP_3) | instskip(SKIP_2) | instid1(VALU_DEP_3)
	v_add3_u32 v14, v14, v15, v21
	v_mul_i32_i24_e32 v15, v109, v250
	v_mul_i32_i24_e32 v21, v110, v252
	v_add3_u32 v14, v14, v106, v107
	v_mul_i32_i24_e32 v106, v111, v254
	v_mul_i32_i24_e32 v107, v16, v74
	s_delay_alu instid0(VALU_DEP_3) | instskip(SKIP_1) | instid1(VALU_DEP_2)
	v_add3_u32 v14, v14, v15, v21
	v_mul_i32_i24_e32 v15, v113, v45
	v_add3_u32 v21, v14, v106, v107
	v_mul_i32_i24_e32 v14, v112, v47
	v_mul_i32_i24_e32 v107, v115, v42
	;; [unrolled: 1-line block ×3, first 2 shown]
	s_delay_alu instid0(VALU_DEP_2) | instskip(SKIP_2) | instid1(VALU_DEP_3)
	v_add3_u32 v14, v127, v107, v14
	v_mul_i32_i24_e32 v107, v101, v213
	v_mul_i32_i24_e32 v127, v117, v178
	v_add3_u32 v106, v14, v15, v106
	v_mad_u64_u32 v[14:15], null, v21, v25, v[13:14]
	v_mul_i32_i24_e32 v15, v30, v191
	v_mul_i32_i24_e32 v21, v84, v192
	v_add3_u32 v127, v153, v127, v152
	s_delay_alu instid0(VALU_DEP_4) | instskip(SKIP_2) | instid1(VALU_DEP_2)
	v_cvt_f32_i32_e32 v13, v14
	v_cvt_f32_i32_e32 v14, v106
	v_mul_i32_i24_e32 v106, v85, v194
	v_mul_f32_e32 v14, v180, v14
	s_delay_alu instid0(VALU_DEP_1) | instskip(SKIP_1) | instid1(VALU_DEP_2)
	v_fma_mix_f32 v13, v138, v13, -v14 op_sel_hi:[1,0,0]
	v_mul_i32_i24_e32 v14, v19, v188
	v_fmac_f32_e32 v238, v20, v13
	v_mul_i32_i24_e32 v13, v17, v187
	s_delay_alu instid0(VALU_DEP_1) | instskip(NEXT) | instid1(VALU_DEP_1)
	v_mad_i32_i24 v13, v18, v185, v13
	v_add3_u32 v13, v13, v14, v15
	v_mul_i32_i24_e32 v14, v82, v189
	v_mul_i32_i24_e32 v15, v83, v190
	s_delay_alu instid0(VALU_DEP_1) | instskip(SKIP_2) | instid1(VALU_DEP_3)
	v_add3_u32 v13, v13, v14, v15
	v_mul_i32_i24_e32 v14, v86, v193
	v_mul_i32_i24_e32 v15, v87, v196
	v_add3_u32 v13, v13, v21, v106
	v_mul_i32_i24_e32 v21, v88, v197
	v_mul_i32_i24_e32 v106, v89, v32
	s_delay_alu instid0(VALU_DEP_3) | instskip(SKIP_2) | instid1(VALU_DEP_3)
	v_add3_u32 v13, v13, v14, v15
	v_mul_i32_i24_e32 v14, v90, v198
	v_mul_i32_i24_e32 v15, v91, v200
	v_add3_u32 v13, v13, v21, v106
	v_mul_i32_i24_e32 v21, v92, v202
	v_mul_i32_i24_e32 v106, v93, v203
	s_delay_alu instid0(VALU_DEP_3) | instskip(SKIP_2) | instid1(VALU_DEP_3)
	v_add3_u32 v13, v13, v14, v15
	v_mul_i32_i24_e32 v14, v94, v206
	v_mul_i32_i24_e32 v15, v96, v207
	v_add3_u32 v13, v13, v21, v106
	v_mul_i32_i24_e32 v21, v97, v36
	s_delay_alu instid0(VALU_DEP_4) | instskip(SKIP_1) | instid1(VALU_DEP_4)
	v_mad_i32_i24 v14, v95, v35, v14
	v_mul_i32_i24_e32 v106, v100, v211
	v_mul_lo_u32 v13, v13, v34
	s_delay_alu instid0(VALU_DEP_3) | instskip(SKIP_2) | instid1(VALU_DEP_1)
	v_add3_u32 v14, v14, v15, v21
	v_mul_i32_i24_e32 v15, v98, v208
	v_mul_i32_i24_e32 v21, v99, v209
	v_add3_u32 v14, v14, v15, v21
	v_mul_i32_i24_e32 v15, v102, v212
	v_mul_i32_i24_e32 v21, v103, v214
	s_delay_alu instid0(VALU_DEP_3) | instskip(SKIP_2) | instid1(VALU_DEP_3)
	v_add3_u32 v14, v14, v106, v107
	v_mul_i32_i24_e32 v106, v104, v215
	v_mul_i32_i24_e32 v107, v108, v217
	v_add3_u32 v14, v14, v15, v21
	v_mul_i32_i24_e32 v15, v109, v216
	v_mul_i32_i24_e32 v21, v110, v218
	s_delay_alu instid0(VALU_DEP_3) | instskip(SKIP_3) | instid1(VALU_DEP_4)
	v_add3_u32 v14, v14, v106, v107
	v_mul_i32_i24_e32 v106, v111, v219
	v_mul_i32_i24_e32 v107, v16, v220
	;; [unrolled: 1-line block ×3, first 2 shown]
	v_add3_u32 v14, v14, v15, v21
	v_mul_i32_i24_e32 v15, v113, v31
	s_delay_alu instid0(VALU_DEP_2) | instskip(SKIP_3) | instid1(VALU_DEP_2)
	v_add3_u32 v21, v14, v106, v107
	v_mul_i32_i24_e32 v14, v112, v186
	v_mul_i32_i24_e32 v107, v115, v183
	;; [unrolled: 1-line block ×3, first 2 shown]
	v_add3_u32 v14, v127, v107, v14
	s_delay_alu instid0(VALU_DEP_1) | instskip(SKIP_4) | instid1(VALU_DEP_4)
	v_add3_u32 v106, v14, v15, v106
	v_mad_u64_u32 v[14:15], null, v21, v136, v[13:14]
	v_mul_i32_i24_e32 v15, v30, v148
	v_mul_i32_i24_e32 v30, v105, v130
	;; [unrolled: 1-line block ×3, first 2 shown]
	v_cvt_f32_i32_e32 v13, v14
	v_cvt_f32_i32_e32 v14, v106
	s_delay_alu instid0(VALU_DEP_4) | instskip(NEXT) | instid1(VALU_DEP_2)
	v_mad_i32_i24 v30, v116, v163, v30
	v_mul_f32_e32 v14, v137, v14
	s_delay_alu instid0(VALU_DEP_1) | instskip(SKIP_2) | instid1(VALU_DEP_3)
	v_fma_mix_f32 v13, v131, v13, -v14 op_sel_hi:[1,0,0]
	v_mul_i32_i24_e32 v14, v19, v145
	v_mul_i32_i24_e32 v19, v101, v168
	v_fmac_f32_e32 v66, v20, v13
	v_mul_i32_i24_e32 v13, v17, v144
	v_mul_i32_i24_e32 v17, v84, v149
	s_delay_alu instid0(VALU_DEP_2) | instskip(SKIP_1) | instid1(VALU_DEP_2)
	v_mad_i32_i24 v13, v18, v22, v13
	v_mul_i32_i24_e32 v18, v85, v146
	v_add3_u32 v13, v13, v14, v15
	v_mul_i32_i24_e32 v14, v82, v23
	v_mul_i32_i24_e32 v15, v83, v147
	s_delay_alu instid0(VALU_DEP_1) | instskip(SKIP_2) | instid1(VALU_DEP_3)
	v_add3_u32 v13, v13, v14, v15
	v_mul_i32_i24_e32 v14, v86, v150
	v_mul_i32_i24_e32 v15, v87, v142
	v_add3_u32 v13, v13, v17, v18
	v_mul_i32_i24_e32 v17, v88, v140
	v_mul_i32_i24_e32 v18, v89, v135
	s_delay_alu instid0(VALU_DEP_3) | instskip(SKIP_2) | instid1(VALU_DEP_3)
	v_add3_u32 v13, v13, v14, v15
	v_mul_i32_i24_e32 v14, v90, v154
	v_mul_i32_i24_e32 v15, v91, v156
	v_add3_u32 v13, v13, v17, v18
	v_mul_i32_i24_e32 v17, v92, v134
	v_mul_i32_i24_e32 v18, v93, v159
	s_delay_alu instid0(VALU_DEP_3) | instskip(SKIP_2) | instid1(VALU_DEP_3)
	v_add3_u32 v13, v13, v14, v15
	v_mul_i32_i24_e32 v14, v94, v161
	v_mul_i32_i24_e32 v15, v96, v133
	v_add3_u32 v13, v13, v17, v18
	v_mul_i32_i24_e32 v17, v97, v129
	s_delay_alu instid0(VALU_DEP_4) | instskip(SKIP_1) | instid1(VALU_DEP_4)
	v_mad_i32_i24 v14, v95, v162, v14
	v_mul_i32_i24_e32 v18, v100, v167
	v_mul_lo_u32 v13, v13, v160
	s_delay_alu instid0(VALU_DEP_3) | instskip(SKIP_2) | instid1(VALU_DEP_1)
	v_add3_u32 v14, v14, v15, v17
	v_mul_i32_i24_e32 v15, v98, v165
	v_mul_i32_i24_e32 v17, v99, v164
	v_add3_u32 v14, v14, v15, v17
	v_mul_i32_i24_e32 v15, v102, v169
	v_mul_i32_i24_e32 v17, v103, v170
	s_delay_alu instid0(VALU_DEP_3) | instskip(SKIP_2) | instid1(VALU_DEP_3)
	v_add3_u32 v14, v14, v18, v19
	v_mul_i32_i24_e32 v18, v104, v171
	v_mul_i32_i24_e32 v19, v108, v173
	v_add3_u32 v14, v14, v15, v17
	v_mul_i32_i24_e32 v15, v109, v172
	v_mul_i32_i24_e32 v17, v110, v174
	s_delay_alu instid0(VALU_DEP_3) | instskip(SKIP_2) | instid1(VALU_DEP_3)
	v_add3_u32 v14, v14, v18, v19
	v_mul_i32_i24_e32 v18, v111, v175
	v_mul_i32_i24_e32 v19, v117, v181
	v_add3_u32 v14, v14, v15, v17
	v_mul_i32_i24_e32 v15, v113, v141
	s_delay_alu instid0(VALU_DEP_3) | instskip(SKIP_1) | instid1(VALU_DEP_4)
	v_add3_u32 v19, v30, v19, v21
	v_mul_i32_i24_e32 v17, v114, v26
	v_add3_u32 v16, v14, v18, v16
	v_mul_i32_i24_e32 v14, v112, v143
	v_mul_i32_i24_e32 v18, v115, v139
	s_delay_alu instid0(VALU_DEP_1) | instskip(NEXT) | instid1(VALU_DEP_1)
	v_add3_u32 v14, v19, v18, v14
	v_add3_u32 v17, v14, v15, v17
	v_mad_u64_u32 v[14:15], null, v16, v158, v[13:14]
	s_delay_alu instid0(VALU_DEP_1) | instskip(NEXT) | instid1(VALU_DEP_3)
	v_cvt_f32_i32_e32 v13, v14
	v_cvt_f32_i32_e32 v14, v17
	s_delay_alu instid0(VALU_DEP_1) | instskip(NEXT) | instid1(VALU_DEP_1)
	v_mul_f32_e32 v14, v157, v14
	v_fma_mix_f32 v13, v126, v13, -v14 op_sel_hi:[1,0,0]
	s_delay_alu instid0(VALU_DEP_1)
	v_fmac_f32_e32 v65, v20, v13
	ds_load_2addr_b32 v[19:20], v125 offset0:64 offset1:96
	ds_load_b128 v[13:16], v124 offset:2048
	s_waitcnt lgkmcnt(0)
	v_bfe_i32 v17, v13, 0, 8
	v_bfe_i32 v18, v13, 8, 8
	v_bfe_i32 v21, v13, 16, 8
	v_ashrrev_i32_e32 v30, 24, v13
	v_bfe_i32 v82, v14, 0, 8
	v_bfe_i32 v83, v14, 8, 8
	v_bfe_i32 v84, v14, 16, 8
	v_ashrrev_i32_e32 v85, 24, v14
	;; [unrolled: 4-line block ×4, first 2 shown]
	ds_load_b128 v[13:16], v124 offset:2064
	v_mul_i32_i24_e32 v117, v84, v10
	v_mul_i32_i24_e32 v123, v85, v12
	s_waitcnt lgkmcnt(0)
	v_ashrrev_i32_e32 v97, 24, v13
	v_ashrrev_i32_e32 v101, 24, v14
	v_bfe_i32 v94, v13, 0, 8
	v_bfe_i32 v95, v13, 8, 8
	;; [unrolled: 1-line block ×4, first 2 shown]
	v_ashrrev_i32_e32 v105, 24, v15
	v_bfe_i32 v106, v16, 0, 8
	v_bfe_i32 v107, v16, 8, 8
	;; [unrolled: 1-line block ×3, first 2 shown]
	v_ashrrev_i32_e32 v16, 24, v16
	v_add_nc_u32_e32 v13, v101, v97
	v_bfe_i32 v99, v14, 8, 8
	v_bfe_i32 v104, v15, 16, 8
	;; [unrolled: 1-line block ×4, first 2 shown]
	v_add3_u32 v109, v13, v105, v16
	v_add_nc_u32_e32 v13, v100, v96
	v_bfe_i32 v102, v15, 0, 8
	v_mul_i32_i24_e32 v14, v21, v6
	v_mul_i32_i24_e32 v15, v30, v9
	;; [unrolled: 1-line block ×3, first 2 shown]
	v_add3_u32 v110, v13, v104, v108
	v_add_nc_u32_e32 v13, v99, v95
	s_delay_alu instid0(VALU_DEP_1) | instskip(SKIP_1) | instid1(VALU_DEP_1)
	v_add3_u32 v111, v13, v103, v107
	v_add_nc_u32_e32 v13, v98, v94
	v_add3_u32 v112, v13, v102, v106
	v_add_nc_u32_e32 v13, v85, v30
	s_delay_alu instid0(VALU_DEP_1) | instskip(SKIP_1) | instid1(VALU_DEP_1)
	v_add3_u32 v113, v13, v89, v93
	v_add_nc_u32_e32 v13, v84, v21
	v_add3_u32 v114, v13, v88, v92
	v_add_nc_u32_e32 v13, v83, v18
	s_delay_alu instid0(VALU_DEP_2) | instskip(NEXT) | instid1(VALU_DEP_2)
	v_mul_i32_i24_e32 v152, v114, v50
	v_add3_u32 v115, v13, v87, v91
	v_add_nc_u32_e32 v13, v82, v17
	s_delay_alu instid0(VALU_DEP_2) | instskip(NEXT) | instid1(VALU_DEP_2)
	v_mul_i32_i24_e32 v153, v115, v49
	v_add3_u32 v116, v13, v86, v90
	v_mul_i32_i24_e32 v13, v17, v5
	s_delay_alu instid0(VALU_DEP_2) | instskip(NEXT) | instid1(VALU_DEP_2)
	v_mul_i32_i24_e32 v128, v116, v195
	v_mad_i32_i24 v13, v18, v3, v13
	s_delay_alu instid0(VALU_DEP_2) | instskip(NEXT) | instid1(VALU_DEP_2)
	v_mad_i32_i24 v128, v113, v201, v128
	v_add3_u32 v13, v13, v14, v15
	v_mul_i32_i24_e32 v14, v82, v7
	v_mul_i32_i24_e32 v15, v83, v8
	s_delay_alu instid0(VALU_DEP_4) | instskip(SKIP_2) | instid1(VALU_DEP_4)
	v_add3_u32 v128, v128, v152, v153
	v_mul_i32_i24_e32 v153, v116, v151
	v_mul_i32_i24_e32 v152, v115, v222
	v_add3_u32 v13, v13, v14, v15
	v_mul_i32_i24_e32 v14, v86, v11
	v_mul_i32_i24_e32 v15, v87, v39
	v_mad_i32_i24 v153, v113, v155, v153
	s_delay_alu instid0(VALU_DEP_4) | instskip(SKIP_2) | instid1(VALU_DEP_3)
	v_add3_u32 v13, v13, v117, v123
	v_mul_i32_i24_e32 v117, v88, v51
	v_mul_i32_i24_e32 v123, v89, v54
	v_add3_u32 v13, v13, v14, v15
	v_mul_i32_i24_e32 v14, v90, v53
	v_mul_i32_i24_e32 v15, v91, v56
	s_delay_alu instid0(VALU_DEP_3) | instskip(SKIP_2) | instid1(VALU_DEP_3)
	v_add3_u32 v13, v13, v117, v123
	v_mul_i32_i24_e32 v117, v92, v57
	v_mul_i32_i24_e32 v123, v93, v58
	v_add3_u32 v13, v13, v14, v15
	v_mul_i32_i24_e32 v14, v94, v69
	v_mul_i32_i24_e32 v15, v96, v71
	s_delay_alu instid0(VALU_DEP_3) | instskip(SKIP_1) | instid1(VALU_DEP_4)
	v_add3_u32 v13, v13, v117, v123
	v_mul_i32_i24_e32 v117, v97, v75
	v_mad_i32_i24 v14, v95, v61, v14
	v_mul_i32_i24_e32 v123, v100, v76
	s_delay_alu instid0(VALU_DEP_4) | instskip(NEXT) | instid1(VALU_DEP_3)
	v_mul_lo_u32 v13, v13, v60
	v_add3_u32 v14, v14, v15, v117
	v_mul_i32_i24_e32 v15, v98, v72
	v_mul_i32_i24_e32 v117, v99, v73
	s_delay_alu instid0(VALU_DEP_1) | instskip(SKIP_2) | instid1(VALU_DEP_3)
	v_add3_u32 v14, v14, v15, v117
	v_mul_i32_i24_e32 v15, v102, v78
	v_mul_i32_i24_e32 v117, v103, v80
	v_add3_u32 v14, v14, v123, v127
	v_mul_i32_i24_e32 v123, v104, v81
	v_mul_i32_i24_e32 v127, v105, v119
	s_delay_alu instid0(VALU_DEP_3) | instskip(SKIP_2) | instid1(VALU_DEP_3)
	v_add3_u32 v14, v14, v15, v117
	v_mul_i32_i24_e32 v15, v106, v118
	v_mul_i32_i24_e32 v117, v107, v120
	v_add3_u32 v14, v14, v123, v127
	v_mul_i32_i24_e32 v123, v108, v121
	v_mul_i32_i24_e32 v127, v16, v122
	s_delay_alu instid0(VALU_DEP_3) | instskip(SKIP_1) | instid1(VALU_DEP_2)
	v_add3_u32 v14, v14, v15, v117
	v_mul_i32_i24_e32 v15, v110, v2
	v_add3_u32 v117, v14, v123, v127
	v_mul_i32_i24_e32 v14, v109, v4
	v_mul_i32_i24_e32 v127, v112, v0
	;; [unrolled: 1-line block ×3, first 2 shown]
	s_delay_alu instid0(VALU_DEP_2) | instskip(SKIP_2) | instid1(VALU_DEP_3)
	v_add3_u32 v14, v128, v127, v14
	v_mul_i32_i24_e32 v127, v101, v247
	v_mul_i32_i24_e32 v128, v114, v223
	v_add3_u32 v123, v14, v15, v123
	v_mad_u64_u32 v[14:15], null, v117, v29, v[13:14]
	v_mul_i32_i24_e32 v15, v30, v228
	v_mul_i32_i24_e32 v117, v84, v229
	v_add3_u32 v128, v153, v128, v152
	v_mul_i32_i24_e32 v153, v116, v132
	v_mul_i32_i24_e32 v152, v115, v177
	v_cvt_f32_i32_e32 v13, v14
	v_cvt_f32_i32_e32 v14, v123
	v_mul_i32_i24_e32 v123, v85, v231
	v_mad_i32_i24 v153, v113, v166, v153
	s_delay_alu instid0(VALU_DEP_3) | instskip(NEXT) | instid1(VALU_DEP_1)
	v_mul_f32_e32 v14, v41, v14
	v_fma_mix_f32 v13, v182, v13, -v14 op_sel_hi:[1,0,0]
	v_mul_i32_i24_e32 v14, v21, v225
	s_delay_alu instid0(VALU_DEP_2) | instskip(SKIP_1) | instid1(VALU_DEP_1)
	v_fmac_f32_e32 v64, v19, v13
	v_mul_i32_i24_e32 v13, v17, v224
	v_mad_i32_i24 v13, v18, v46, v13
	s_delay_alu instid0(VALU_DEP_1) | instskip(SKIP_2) | instid1(VALU_DEP_1)
	v_add3_u32 v13, v13, v14, v15
	v_mul_i32_i24_e32 v14, v82, v226
	v_mul_i32_i24_e32 v15, v83, v227
	v_add3_u32 v13, v13, v14, v15
	v_mul_i32_i24_e32 v14, v86, v230
	v_mul_i32_i24_e32 v15, v87, v232
	s_delay_alu instid0(VALU_DEP_3) | instskip(SKIP_2) | instid1(VALU_DEP_3)
	v_add3_u32 v13, v13, v117, v123
	v_mul_i32_i24_e32 v117, v88, v233
	v_mul_i32_i24_e32 v123, v89, v235
	v_add3_u32 v13, v13, v14, v15
	v_mul_i32_i24_e32 v14, v90, v234
	v_mul_i32_i24_e32 v15, v91, v67
	s_delay_alu instid0(VALU_DEP_3) | instskip(SKIP_2) | instid1(VALU_DEP_3)
	v_add3_u32 v13, v13, v117, v123
	v_mul_i32_i24_e32 v117, v92, v236
	v_mul_i32_i24_e32 v123, v93, v237
	v_add3_u32 v13, v13, v14, v15
	v_mul_i32_i24_e32 v14, v94, v70
	v_mul_i32_i24_e32 v15, v96, v241
	s_delay_alu instid0(VALU_DEP_3) | instskip(SKIP_1) | instid1(VALU_DEP_4)
	v_add3_u32 v13, v13, v117, v123
	v_mul_i32_i24_e32 v117, v97, v244
	v_mad_i32_i24 v14, v95, v240, v14
	v_mul_i32_i24_e32 v123, v100, v245
	s_delay_alu instid0(VALU_DEP_4) | instskip(NEXT) | instid1(VALU_DEP_3)
	v_mul_lo_u32 v13, v13, v239
	v_add3_u32 v14, v14, v15, v117
	v_mul_i32_i24_e32 v15, v98, v242
	v_mul_i32_i24_e32 v117, v99, v243
	s_delay_alu instid0(VALU_DEP_1) | instskip(SKIP_2) | instid1(VALU_DEP_3)
	v_add3_u32 v14, v14, v15, v117
	v_mul_i32_i24_e32 v15, v102, v246
	v_mul_i32_i24_e32 v117, v103, v248
	v_add3_u32 v14, v14, v123, v127
	v_mul_i32_i24_e32 v123, v104, v249
	v_mul_i32_i24_e32 v127, v105, v251
	s_delay_alu instid0(VALU_DEP_3) | instskip(SKIP_2) | instid1(VALU_DEP_3)
	v_add3_u32 v14, v14, v15, v117
	v_mul_i32_i24_e32 v15, v106, v250
	v_mul_i32_i24_e32 v117, v107, v252
	v_add3_u32 v14, v14, v123, v127
	v_mul_i32_i24_e32 v123, v108, v254
	v_mul_i32_i24_e32 v127, v16, v74
	s_delay_alu instid0(VALU_DEP_3) | instskip(SKIP_1) | instid1(VALU_DEP_2)
	v_add3_u32 v14, v14, v15, v117
	v_mul_i32_i24_e32 v15, v110, v45
	v_add3_u32 v117, v14, v123, v127
	v_mul_i32_i24_e32 v14, v109, v47
	v_mul_i32_i24_e32 v127, v112, v42
	;; [unrolled: 1-line block ×3, first 2 shown]
	s_delay_alu instid0(VALU_DEP_2) | instskip(SKIP_2) | instid1(VALU_DEP_3)
	v_add3_u32 v14, v128, v127, v14
	v_mul_i32_i24_e32 v127, v101, v213
	v_mul_i32_i24_e32 v128, v114, v178
	v_add3_u32 v123, v14, v15, v123
	v_mad_u64_u32 v[14:15], null, v117, v25, v[13:14]
	v_mul_i32_i24_e32 v15, v30, v191
	v_mul_i32_i24_e32 v117, v84, v192
	v_add3_u32 v128, v153, v128, v152
	s_delay_alu instid0(VALU_DEP_4) | instskip(SKIP_2) | instid1(VALU_DEP_2)
	v_cvt_f32_i32_e32 v13, v14
	v_cvt_f32_i32_e32 v14, v123
	v_mul_i32_i24_e32 v123, v85, v194
	v_mul_f32_e32 v14, v180, v14
	s_delay_alu instid0(VALU_DEP_1) | instskip(SKIP_1) | instid1(VALU_DEP_2)
	v_fma_mix_f32 v13, v138, v13, -v14 op_sel_hi:[1,0,0]
	v_mul_i32_i24_e32 v14, v21, v188
	v_fmac_f32_e32 v63, v19, v13
	v_mul_i32_i24_e32 v13, v17, v187
	s_delay_alu instid0(VALU_DEP_1) | instskip(NEXT) | instid1(VALU_DEP_1)
	v_mad_i32_i24 v13, v18, v185, v13
	v_add3_u32 v13, v13, v14, v15
	v_mul_i32_i24_e32 v14, v82, v189
	v_mul_i32_i24_e32 v15, v83, v190
	s_delay_alu instid0(VALU_DEP_1) | instskip(SKIP_2) | instid1(VALU_DEP_3)
	v_add3_u32 v13, v13, v14, v15
	v_mul_i32_i24_e32 v14, v86, v193
	v_mul_i32_i24_e32 v15, v87, v196
	v_add3_u32 v13, v13, v117, v123
	v_mul_i32_i24_e32 v117, v88, v197
	v_mul_i32_i24_e32 v123, v89, v32
	s_delay_alu instid0(VALU_DEP_3) | instskip(SKIP_2) | instid1(VALU_DEP_3)
	v_add3_u32 v13, v13, v14, v15
	v_mul_i32_i24_e32 v14, v90, v198
	v_mul_i32_i24_e32 v15, v91, v200
	v_add3_u32 v13, v13, v117, v123
	v_mul_i32_i24_e32 v117, v92, v202
	v_mul_i32_i24_e32 v123, v93, v203
	s_delay_alu instid0(VALU_DEP_3) | instskip(SKIP_2) | instid1(VALU_DEP_3)
	v_add3_u32 v13, v13, v14, v15
	v_mul_i32_i24_e32 v14, v94, v206
	v_mul_i32_i24_e32 v15, v96, v207
	v_add3_u32 v13, v13, v117, v123
	v_mul_i32_i24_e32 v117, v97, v36
	s_delay_alu instid0(VALU_DEP_4) | instskip(SKIP_1) | instid1(VALU_DEP_4)
	v_mad_i32_i24 v14, v95, v35, v14
	v_mul_i32_i24_e32 v123, v100, v211
	v_mul_lo_u32 v13, v13, v34
	s_delay_alu instid0(VALU_DEP_3) | instskip(SKIP_2) | instid1(VALU_DEP_1)
	v_add3_u32 v14, v14, v15, v117
	v_mul_i32_i24_e32 v15, v98, v208
	v_mul_i32_i24_e32 v117, v99, v209
	v_add3_u32 v14, v14, v15, v117
	v_mul_i32_i24_e32 v15, v102, v212
	v_mul_i32_i24_e32 v117, v103, v214
	s_delay_alu instid0(VALU_DEP_3) | instskip(SKIP_2) | instid1(VALU_DEP_3)
	v_add3_u32 v14, v14, v123, v127
	v_mul_i32_i24_e32 v123, v104, v215
	v_mul_i32_i24_e32 v127, v105, v217
	v_add3_u32 v14, v14, v15, v117
	v_mul_i32_i24_e32 v15, v106, v216
	v_mul_i32_i24_e32 v117, v107, v218
	s_delay_alu instid0(VALU_DEP_3) | instskip(SKIP_3) | instid1(VALU_DEP_4)
	v_add3_u32 v14, v14, v123, v127
	v_mul_i32_i24_e32 v123, v108, v219
	v_mul_i32_i24_e32 v127, v16, v220
	;; [unrolled: 1-line block ×3, first 2 shown]
	v_add3_u32 v14, v14, v15, v117
	v_mul_i32_i24_e32 v15, v110, v31
	s_delay_alu instid0(VALU_DEP_2) | instskip(SKIP_3) | instid1(VALU_DEP_2)
	v_add3_u32 v117, v14, v123, v127
	v_mul_i32_i24_e32 v14, v109, v186
	v_mul_i32_i24_e32 v127, v112, v183
	;; [unrolled: 1-line block ×3, first 2 shown]
	v_add3_u32 v14, v128, v127, v14
	s_delay_alu instid0(VALU_DEP_1) | instskip(SKIP_3) | instid1(VALU_DEP_3)
	v_add3_u32 v123, v14, v15, v123
	v_mad_u64_u32 v[14:15], null, v117, v136, v[13:14]
	v_mul_i32_i24_e32 v15, v30, v148
	v_mul_i32_i24_e32 v30, v115, v24
	v_cvt_f32_i32_e32 v13, v14
	v_cvt_f32_i32_e32 v14, v123
	s_delay_alu instid0(VALU_DEP_1) | instskip(NEXT) | instid1(VALU_DEP_1)
	v_mul_f32_e32 v14, v137, v14
	v_fma_mix_f32 v13, v131, v13, -v14 op_sel_hi:[1,0,0]
	v_mul_i32_i24_e32 v14, v21, v145
	v_mul_i32_i24_e32 v21, v101, v168
	s_delay_alu instid0(VALU_DEP_3) | instskip(SKIP_2) | instid1(VALU_DEP_2)
	v_fmac_f32_e32 v62, v19, v13
	v_mul_i32_i24_e32 v13, v17, v144
	v_mul_i32_i24_e32 v17, v84, v149
	v_mad_i32_i24 v13, v18, v22, v13
	v_mul_i32_i24_e32 v18, v85, v146
	s_delay_alu instid0(VALU_DEP_2) | instskip(SKIP_3) | instid1(VALU_DEP_2)
	v_add3_u32 v13, v13, v14, v15
	v_mul_i32_i24_e32 v14, v82, v23
	v_mul_i32_i24_e32 v15, v83, v147
	;; [unrolled: 1-line block ×3, first 2 shown]
	v_add3_u32 v13, v13, v14, v15
	v_mul_i32_i24_e32 v14, v86, v150
	v_mul_i32_i24_e32 v15, v87, v142
	s_delay_alu instid0(VALU_DEP_4) | instskip(NEXT) | instid1(VALU_DEP_4)
	v_mad_i32_i24 v82, v113, v163, v82
	v_add3_u32 v13, v13, v17, v18
	v_mul_i32_i24_e32 v17, v88, v140
	v_mul_i32_i24_e32 v18, v89, v135
	s_delay_alu instid0(VALU_DEP_3) | instskip(SKIP_2) | instid1(VALU_DEP_3)
	v_add3_u32 v13, v13, v14, v15
	v_mul_i32_i24_e32 v14, v90, v154
	v_mul_i32_i24_e32 v15, v91, v156
	v_add3_u32 v13, v13, v17, v18
	v_mul_i32_i24_e32 v17, v92, v134
	v_mul_i32_i24_e32 v18, v93, v159
	s_delay_alu instid0(VALU_DEP_3) | instskip(SKIP_2) | instid1(VALU_DEP_3)
	v_add3_u32 v13, v13, v14, v15
	v_mul_i32_i24_e32 v14, v94, v161
	v_mul_i32_i24_e32 v15, v96, v133
	v_add3_u32 v13, v13, v17, v18
	v_mul_i32_i24_e32 v17, v97, v129
	s_delay_alu instid0(VALU_DEP_4) | instskip(SKIP_1) | instid1(VALU_DEP_4)
	v_mad_i32_i24 v14, v95, v162, v14
	v_mul_i32_i24_e32 v18, v100, v167
	v_mul_lo_u32 v13, v13, v160
	s_delay_alu instid0(VALU_DEP_3) | instskip(SKIP_2) | instid1(VALU_DEP_1)
	v_add3_u32 v14, v14, v15, v17
	v_mul_i32_i24_e32 v15, v98, v165
	v_mul_i32_i24_e32 v17, v99, v164
	v_add3_u32 v14, v14, v15, v17
	v_mul_i32_i24_e32 v15, v102, v169
	v_mul_i32_i24_e32 v17, v103, v170
	s_delay_alu instid0(VALU_DEP_3) | instskip(SKIP_2) | instid1(VALU_DEP_3)
	v_add3_u32 v14, v14, v18, v21
	v_mul_i32_i24_e32 v18, v104, v171
	v_mul_i32_i24_e32 v21, v105, v173
	v_add3_u32 v14, v14, v15, v17
	v_mul_i32_i24_e32 v15, v106, v172
	v_mul_i32_i24_e32 v17, v107, v174
	s_delay_alu instid0(VALU_DEP_3) | instskip(SKIP_2) | instid1(VALU_DEP_3)
	v_add3_u32 v14, v14, v18, v21
	v_mul_i32_i24_e32 v18, v108, v175
	v_mul_i32_i24_e32 v21, v114, v181
	v_add3_u32 v14, v14, v15, v17
	v_mul_i32_i24_e32 v15, v110, v141
	s_delay_alu instid0(VALU_DEP_3) | instskip(SKIP_1) | instid1(VALU_DEP_4)
	v_add3_u32 v21, v82, v21, v30
	v_mul_i32_i24_e32 v17, v111, v26
	v_add3_u32 v16, v14, v18, v16
	v_mul_i32_i24_e32 v14, v109, v143
	v_mul_i32_i24_e32 v18, v112, v139
	s_delay_alu instid0(VALU_DEP_1) | instskip(NEXT) | instid1(VALU_DEP_1)
	v_add3_u32 v14, v21, v18, v14
	v_add3_u32 v17, v14, v15, v17
	v_mad_u64_u32 v[14:15], null, v16, v158, v[13:14]
	s_delay_alu instid0(VALU_DEP_1) | instskip(NEXT) | instid1(VALU_DEP_3)
	v_cvt_f32_i32_e32 v13, v14
	v_cvt_f32_i32_e32 v14, v17
	s_delay_alu instid0(VALU_DEP_1) | instskip(NEXT) | instid1(VALU_DEP_1)
	v_mul_f32_e32 v14, v157, v14
	v_fma_mix_f32 v13, v126, v13, -v14 op_sel_hi:[1,0,0]
	s_delay_alu instid0(VALU_DEP_1)
	v_fmac_f32_e32 v59, v19, v13
	ds_load_b128 v[13:16], v124 offset:3072
	s_waitcnt lgkmcnt(0)
	v_bfe_i32 v17, v13, 0, 8
	v_bfe_i32 v18, v13, 8, 8
	v_bfe_i32 v19, v13, 16, 8
	v_ashrrev_i32_e32 v21, 24, v13
	v_bfe_i32 v30, v14, 0, 8
	v_bfe_i32 v82, v14, 8, 8
	v_bfe_i32 v83, v14, 16, 8
	v_ashrrev_i32_e32 v84, 24, v14
	;; [unrolled: 4-line block ×4, first 2 shown]
	ds_load_b128 v[13:16], v124 offset:3088
	v_mul_i32_i24_e32 v116, v83, v10
	v_mul_i32_i24_e32 v117, v84, v12
	s_waitcnt lgkmcnt(0)
	v_ashrrev_i32_e32 v96, 24, v13
	v_ashrrev_i32_e32 v100, 24, v14
	v_bfe_i32 v93, v13, 0, 8
	v_bfe_i32 v94, v13, 8, 8
	;; [unrolled: 1-line block ×4, first 2 shown]
	v_ashrrev_i32_e32 v104, 24, v15
	v_bfe_i32 v105, v16, 0, 8
	v_bfe_i32 v106, v16, 8, 8
	;; [unrolled: 1-line block ×3, first 2 shown]
	v_ashrrev_i32_e32 v16, 24, v16
	v_add_nc_u32_e32 v13, v100, v96
	v_bfe_i32 v98, v14, 8, 8
	v_bfe_i32 v103, v15, 16, 8
	;; [unrolled: 1-line block ×4, first 2 shown]
	v_add3_u32 v108, v13, v104, v16
	v_add_nc_u32_e32 v13, v99, v95
	v_bfe_i32 v101, v15, 0, 8
	v_mul_i32_i24_e32 v14, v19, v6
	v_mul_i32_i24_e32 v15, v21, v9
	;; [unrolled: 1-line block ×3, first 2 shown]
	v_add3_u32 v109, v13, v103, v107
	v_add_nc_u32_e32 v13, v98, v94
	s_delay_alu instid0(VALU_DEP_1) | instskip(SKIP_1) | instid1(VALU_DEP_1)
	v_add3_u32 v110, v13, v102, v106
	v_add_nc_u32_e32 v13, v97, v93
	v_add3_u32 v111, v13, v101, v105
	v_add_nc_u32_e32 v13, v84, v21
	s_delay_alu instid0(VALU_DEP_1) | instskip(SKIP_1) | instid1(VALU_DEP_1)
	v_add3_u32 v112, v13, v88, v92
	v_add_nc_u32_e32 v13, v83, v19
	v_add3_u32 v113, v13, v87, v91
	v_add_nc_u32_e32 v13, v82, v18
	s_delay_alu instid0(VALU_DEP_2) | instskip(NEXT) | instid1(VALU_DEP_2)
	v_mul_i32_i24_e32 v127, v113, v50
	v_add3_u32 v114, v13, v86, v90
	v_add_nc_u32_e32 v13, v30, v17
	s_delay_alu instid0(VALU_DEP_2) | instskip(NEXT) | instid1(VALU_DEP_2)
	v_mul_i32_i24_e32 v128, v114, v49
	v_add3_u32 v115, v13, v85, v89
	v_mul_i32_i24_e32 v13, v17, v5
	s_delay_alu instid0(VALU_DEP_2) | instskip(NEXT) | instid1(VALU_DEP_2)
	v_mul_i32_i24_e32 v152, v115, v195
	v_mad_i32_i24 v13, v18, v3, v13
	s_delay_alu instid0(VALU_DEP_2) | instskip(NEXT) | instid1(VALU_DEP_2)
	v_mad_i32_i24 v152, v112, v201, v152
	v_add3_u32 v13, v13, v14, v15
	v_mul_i32_i24_e32 v14, v30, v7
	v_mul_i32_i24_e32 v15, v82, v8
	s_delay_alu instid0(VALU_DEP_4) | instskip(SKIP_2) | instid1(VALU_DEP_4)
	v_add3_u32 v127, v152, v127, v128
	v_mul_i32_i24_e32 v152, v115, v151
	v_mul_i32_i24_e32 v128, v114, v222
	v_add3_u32 v13, v13, v14, v15
	v_mul_i32_i24_e32 v14, v85, v11
	v_mul_i32_i24_e32 v15, v86, v39
	v_mad_i32_i24 v152, v112, v155, v152
	s_delay_alu instid0(VALU_DEP_4) | instskip(SKIP_2) | instid1(VALU_DEP_3)
	v_add3_u32 v13, v13, v116, v117
	v_mul_i32_i24_e32 v116, v87, v51
	v_mul_i32_i24_e32 v117, v88, v54
	v_add3_u32 v13, v13, v14, v15
	v_mul_i32_i24_e32 v14, v89, v53
	v_mul_i32_i24_e32 v15, v90, v56
	s_delay_alu instid0(VALU_DEP_3) | instskip(SKIP_2) | instid1(VALU_DEP_3)
	v_add3_u32 v13, v13, v116, v117
	v_mul_i32_i24_e32 v116, v91, v57
	v_mul_i32_i24_e32 v117, v92, v58
	v_add3_u32 v13, v13, v14, v15
	v_mul_i32_i24_e32 v14, v93, v69
	v_mul_i32_i24_e32 v15, v95, v71
	s_delay_alu instid0(VALU_DEP_3) | instskip(SKIP_1) | instid1(VALU_DEP_4)
	v_add3_u32 v13, v13, v116, v117
	v_mul_i32_i24_e32 v116, v96, v75
	v_mad_i32_i24 v14, v94, v61, v14
	v_mul_i32_i24_e32 v117, v99, v76
	s_delay_alu instid0(VALU_DEP_4) | instskip(NEXT) | instid1(VALU_DEP_3)
	v_mul_lo_u32 v13, v13, v60
	v_add3_u32 v14, v14, v15, v116
	v_mul_i32_i24_e32 v15, v97, v72
	v_mul_i32_i24_e32 v116, v98, v73
	s_delay_alu instid0(VALU_DEP_1) | instskip(SKIP_2) | instid1(VALU_DEP_3)
	v_add3_u32 v14, v14, v15, v116
	v_mul_i32_i24_e32 v15, v101, v78
	v_mul_i32_i24_e32 v116, v102, v80
	v_add3_u32 v14, v14, v117, v123
	v_mul_i32_i24_e32 v117, v103, v81
	v_mul_i32_i24_e32 v123, v104, v119
	s_delay_alu instid0(VALU_DEP_3) | instskip(SKIP_2) | instid1(VALU_DEP_3)
	v_add3_u32 v14, v14, v15, v116
	v_mul_i32_i24_e32 v15, v105, v118
	v_mul_i32_i24_e32 v116, v106, v120
	v_add3_u32 v14, v14, v117, v123
	v_mul_i32_i24_e32 v117, v107, v121
	v_mul_i32_i24_e32 v123, v16, v122
	s_delay_alu instid0(VALU_DEP_3) | instskip(SKIP_1) | instid1(VALU_DEP_2)
	v_add3_u32 v14, v14, v15, v116
	v_mul_i32_i24_e32 v15, v109, v2
	v_add3_u32 v116, v14, v117, v123
	v_mul_i32_i24_e32 v14, v108, v4
	v_mul_i32_i24_e32 v123, v111, v0
	;; [unrolled: 1-line block ×3, first 2 shown]
	s_delay_alu instid0(VALU_DEP_2) | instskip(SKIP_2) | instid1(VALU_DEP_3)
	v_add3_u32 v14, v127, v123, v14
	v_mul_i32_i24_e32 v123, v100, v247
	v_mul_i32_i24_e32 v127, v113, v223
	v_add3_u32 v117, v14, v15, v117
	v_mad_u64_u32 v[14:15], null, v116, v29, v[13:14]
	v_mul_i32_i24_e32 v15, v21, v228
	v_mul_i32_i24_e32 v116, v83, v229
	v_add3_u32 v127, v152, v127, v128
	v_mul_i32_i24_e32 v152, v115, v132
	v_mul_i32_i24_e32 v128, v114, v177
	v_cvt_f32_i32_e32 v13, v14
	v_cvt_f32_i32_e32 v14, v117
	v_mul_i32_i24_e32 v117, v84, v231
	v_mad_i32_i24 v152, v112, v166, v152
	s_delay_alu instid0(VALU_DEP_3) | instskip(NEXT) | instid1(VALU_DEP_1)
	v_mul_f32_e32 v14, v41, v14
	v_fma_mix_f32 v13, v182, v13, -v14 op_sel_hi:[1,0,0]
	v_mul_i32_i24_e32 v14, v19, v225
	s_delay_alu instid0(VALU_DEP_2) | instskip(SKIP_1) | instid1(VALU_DEP_1)
	v_fmac_f32_e32 v55, v20, v13
	v_mul_i32_i24_e32 v13, v17, v224
	v_mad_i32_i24 v13, v18, v46, v13
	s_delay_alu instid0(VALU_DEP_1) | instskip(SKIP_2) | instid1(VALU_DEP_1)
	v_add3_u32 v13, v13, v14, v15
	v_mul_i32_i24_e32 v14, v30, v226
	v_mul_i32_i24_e32 v15, v82, v227
	v_add3_u32 v13, v13, v14, v15
	v_mul_i32_i24_e32 v14, v85, v230
	v_mul_i32_i24_e32 v15, v86, v232
	s_delay_alu instid0(VALU_DEP_3) | instskip(SKIP_2) | instid1(VALU_DEP_3)
	v_add3_u32 v13, v13, v116, v117
	v_mul_i32_i24_e32 v116, v87, v233
	v_mul_i32_i24_e32 v117, v88, v235
	v_add3_u32 v13, v13, v14, v15
	v_mul_i32_i24_e32 v14, v89, v234
	v_mul_i32_i24_e32 v15, v90, v67
	s_delay_alu instid0(VALU_DEP_3) | instskip(SKIP_2) | instid1(VALU_DEP_3)
	v_add3_u32 v13, v13, v116, v117
	v_mul_i32_i24_e32 v116, v91, v236
	v_mul_i32_i24_e32 v117, v92, v237
	v_add3_u32 v13, v13, v14, v15
	v_mul_i32_i24_e32 v14, v93, v70
	v_mul_i32_i24_e32 v15, v95, v241
	s_delay_alu instid0(VALU_DEP_3) | instskip(SKIP_1) | instid1(VALU_DEP_4)
	v_add3_u32 v13, v13, v116, v117
	v_mul_i32_i24_e32 v116, v96, v244
	v_mad_i32_i24 v14, v94, v240, v14
	v_mul_i32_i24_e32 v117, v99, v245
	s_delay_alu instid0(VALU_DEP_4) | instskip(NEXT) | instid1(VALU_DEP_3)
	v_mul_lo_u32 v13, v13, v239
	v_add3_u32 v14, v14, v15, v116
	v_mul_i32_i24_e32 v15, v97, v242
	v_mul_i32_i24_e32 v116, v98, v243
	s_delay_alu instid0(VALU_DEP_1) | instskip(SKIP_2) | instid1(VALU_DEP_3)
	v_add3_u32 v14, v14, v15, v116
	v_mul_i32_i24_e32 v15, v101, v246
	v_mul_i32_i24_e32 v116, v102, v248
	v_add3_u32 v14, v14, v117, v123
	v_mul_i32_i24_e32 v117, v103, v249
	v_mul_i32_i24_e32 v123, v104, v251
	s_delay_alu instid0(VALU_DEP_3) | instskip(SKIP_2) | instid1(VALU_DEP_3)
	v_add3_u32 v14, v14, v15, v116
	v_mul_i32_i24_e32 v15, v105, v250
	v_mul_i32_i24_e32 v116, v106, v252
	v_add3_u32 v14, v14, v117, v123
	v_mul_i32_i24_e32 v117, v107, v254
	v_mul_i32_i24_e32 v123, v16, v74
	s_delay_alu instid0(VALU_DEP_3) | instskip(SKIP_1) | instid1(VALU_DEP_2)
	v_add3_u32 v14, v14, v15, v116
	v_mul_i32_i24_e32 v15, v109, v45
	v_add3_u32 v116, v14, v117, v123
	v_mul_i32_i24_e32 v14, v108, v47
	v_mul_i32_i24_e32 v123, v111, v42
	;; [unrolled: 1-line block ×3, first 2 shown]
	s_delay_alu instid0(VALU_DEP_2) | instskip(SKIP_2) | instid1(VALU_DEP_3)
	v_add3_u32 v14, v127, v123, v14
	v_mul_i32_i24_e32 v123, v100, v213
	v_mul_i32_i24_e32 v127, v113, v178
	v_add3_u32 v117, v14, v15, v117
	v_mad_u64_u32 v[14:15], null, v116, v25, v[13:14]
	v_mul_i32_i24_e32 v15, v21, v191
	v_mul_i32_i24_e32 v116, v83, v192
	v_add3_u32 v127, v152, v127, v128
	s_delay_alu instid0(VALU_DEP_4) | instskip(SKIP_2) | instid1(VALU_DEP_2)
	v_cvt_f32_i32_e32 v13, v14
	v_cvt_f32_i32_e32 v14, v117
	v_mul_i32_i24_e32 v117, v84, v194
	v_mul_f32_e32 v14, v180, v14
	s_delay_alu instid0(VALU_DEP_1) | instskip(SKIP_1) | instid1(VALU_DEP_2)
	v_fma_mix_f32 v13, v138, v13, -v14 op_sel_hi:[1,0,0]
	v_mul_i32_i24_e32 v14, v19, v188
	v_fmac_f32_e32 v52, v20, v13
	v_mul_i32_i24_e32 v13, v17, v187
	s_delay_alu instid0(VALU_DEP_1) | instskip(NEXT) | instid1(VALU_DEP_1)
	v_mad_i32_i24 v13, v18, v185, v13
	v_add3_u32 v13, v13, v14, v15
	v_mul_i32_i24_e32 v14, v30, v189
	v_mul_i32_i24_e32 v15, v82, v190
	s_delay_alu instid0(VALU_DEP_1) | instskip(SKIP_2) | instid1(VALU_DEP_3)
	v_add3_u32 v13, v13, v14, v15
	v_mul_i32_i24_e32 v14, v85, v193
	v_mul_i32_i24_e32 v15, v86, v196
	v_add3_u32 v13, v13, v116, v117
	v_mul_i32_i24_e32 v116, v87, v197
	v_mul_i32_i24_e32 v117, v88, v32
	s_delay_alu instid0(VALU_DEP_3) | instskip(SKIP_2) | instid1(VALU_DEP_3)
	v_add3_u32 v13, v13, v14, v15
	v_mul_i32_i24_e32 v14, v89, v198
	v_mul_i32_i24_e32 v15, v90, v200
	v_add3_u32 v13, v13, v116, v117
	v_mul_i32_i24_e32 v116, v91, v202
	v_mul_i32_i24_e32 v117, v92, v203
	s_delay_alu instid0(VALU_DEP_3) | instskip(SKIP_2) | instid1(VALU_DEP_3)
	v_add3_u32 v13, v13, v14, v15
	v_mul_i32_i24_e32 v14, v93, v206
	v_mul_i32_i24_e32 v15, v95, v207
	v_add3_u32 v13, v13, v116, v117
	v_mul_i32_i24_e32 v116, v96, v36
	s_delay_alu instid0(VALU_DEP_4) | instskip(SKIP_1) | instid1(VALU_DEP_4)
	v_mad_i32_i24 v14, v94, v35, v14
	v_mul_i32_i24_e32 v117, v99, v211
	v_mul_lo_u32 v13, v13, v34
	s_delay_alu instid0(VALU_DEP_3) | instskip(SKIP_2) | instid1(VALU_DEP_1)
	v_add3_u32 v14, v14, v15, v116
	v_mul_i32_i24_e32 v15, v97, v208
	v_mul_i32_i24_e32 v116, v98, v209
	v_add3_u32 v14, v14, v15, v116
	v_mul_i32_i24_e32 v15, v101, v212
	v_mul_i32_i24_e32 v116, v102, v214
	s_delay_alu instid0(VALU_DEP_3) | instskip(SKIP_2) | instid1(VALU_DEP_3)
	v_add3_u32 v14, v14, v117, v123
	v_mul_i32_i24_e32 v117, v103, v215
	v_mul_i32_i24_e32 v123, v104, v217
	v_add3_u32 v14, v14, v15, v116
	v_mul_i32_i24_e32 v15, v105, v216
	v_mul_i32_i24_e32 v116, v106, v218
	s_delay_alu instid0(VALU_DEP_3) | instskip(SKIP_3) | instid1(VALU_DEP_4)
	v_add3_u32 v14, v14, v117, v123
	v_mul_i32_i24_e32 v117, v107, v219
	v_mul_i32_i24_e32 v123, v16, v220
	;; [unrolled: 1-line block ×3, first 2 shown]
	v_add3_u32 v14, v14, v15, v116
	v_mul_i32_i24_e32 v15, v109, v31
	s_delay_alu instid0(VALU_DEP_2) | instskip(SKIP_3) | instid1(VALU_DEP_2)
	v_add3_u32 v116, v14, v117, v123
	v_mul_i32_i24_e32 v14, v108, v186
	v_mul_i32_i24_e32 v123, v111, v183
	;; [unrolled: 1-line block ×3, first 2 shown]
	v_add3_u32 v14, v127, v123, v14
	s_delay_alu instid0(VALU_DEP_1) | instskip(SKIP_3) | instid1(VALU_DEP_3)
	v_add3_u32 v117, v14, v15, v117
	v_mad_u64_u32 v[14:15], null, v116, v136, v[13:14]
	v_mul_i32_i24_e32 v15, v21, v148
	v_mul_i32_i24_e32 v21, v114, v24
	v_cvt_f32_i32_e32 v13, v14
	v_cvt_f32_i32_e32 v14, v117
	s_delay_alu instid0(VALU_DEP_1) | instskip(NEXT) | instid1(VALU_DEP_1)
	v_mul_f32_e32 v14, v137, v14
	v_fma_mix_f32 v13, v131, v13, -v14 op_sel_hi:[1,0,0]
	v_mul_i32_i24_e32 v14, v19, v145
	v_mul_i32_i24_e32 v19, v100, v168
	s_delay_alu instid0(VALU_DEP_3) | instskip(SKIP_2) | instid1(VALU_DEP_2)
	v_fmac_f32_e32 v48, v20, v13
	v_mul_i32_i24_e32 v13, v17, v144
	v_mul_i32_i24_e32 v17, v83, v149
	v_mad_i32_i24 v13, v18, v22, v13
	v_mul_i32_i24_e32 v18, v84, v146
	s_delay_alu instid0(VALU_DEP_2) | instskip(SKIP_3) | instid1(VALU_DEP_2)
	v_add3_u32 v13, v13, v14, v15
	v_mul_i32_i24_e32 v14, v30, v23
	v_mul_i32_i24_e32 v15, v82, v147
	;; [unrolled: 1-line block ×3, first 2 shown]
	v_add3_u32 v13, v13, v14, v15
	v_mul_i32_i24_e32 v14, v85, v150
	v_mul_i32_i24_e32 v15, v86, v142
	s_delay_alu instid0(VALU_DEP_4) | instskip(NEXT) | instid1(VALU_DEP_4)
	v_mad_i32_i24 v30, v112, v163, v30
	v_add3_u32 v13, v13, v17, v18
	v_mul_i32_i24_e32 v17, v87, v140
	v_mul_i32_i24_e32 v18, v88, v135
	s_delay_alu instid0(VALU_DEP_3) | instskip(SKIP_2) | instid1(VALU_DEP_3)
	v_add3_u32 v13, v13, v14, v15
	v_mul_i32_i24_e32 v14, v89, v154
	v_mul_i32_i24_e32 v15, v90, v156
	v_add3_u32 v13, v13, v17, v18
	v_mul_i32_i24_e32 v17, v91, v134
	v_mul_i32_i24_e32 v18, v92, v159
	s_delay_alu instid0(VALU_DEP_3) | instskip(SKIP_2) | instid1(VALU_DEP_3)
	v_add3_u32 v13, v13, v14, v15
	v_mul_i32_i24_e32 v14, v93, v161
	v_mul_i32_i24_e32 v15, v95, v133
	v_add3_u32 v13, v13, v17, v18
	v_mul_i32_i24_e32 v17, v96, v129
	s_delay_alu instid0(VALU_DEP_4) | instskip(SKIP_1) | instid1(VALU_DEP_4)
	v_mad_i32_i24 v14, v94, v162, v14
	v_mul_i32_i24_e32 v18, v99, v167
	v_mul_lo_u32 v13, v13, v160
	s_delay_alu instid0(VALU_DEP_3) | instskip(SKIP_2) | instid1(VALU_DEP_1)
	v_add3_u32 v14, v14, v15, v17
	v_mul_i32_i24_e32 v15, v97, v165
	v_mul_i32_i24_e32 v17, v98, v164
	v_add3_u32 v14, v14, v15, v17
	v_mul_i32_i24_e32 v15, v101, v169
	v_mul_i32_i24_e32 v17, v102, v170
	s_delay_alu instid0(VALU_DEP_3) | instskip(SKIP_2) | instid1(VALU_DEP_3)
	v_add3_u32 v14, v14, v18, v19
	v_mul_i32_i24_e32 v18, v103, v171
	v_mul_i32_i24_e32 v19, v104, v173
	v_add3_u32 v14, v14, v15, v17
	v_mul_i32_i24_e32 v15, v105, v172
	v_mul_i32_i24_e32 v17, v106, v174
	s_delay_alu instid0(VALU_DEP_3) | instskip(SKIP_2) | instid1(VALU_DEP_3)
	v_add3_u32 v14, v14, v18, v19
	v_mul_i32_i24_e32 v18, v107, v175
	v_mul_i32_i24_e32 v19, v113, v181
	v_add3_u32 v14, v14, v15, v17
	v_mul_i32_i24_e32 v15, v109, v141
	s_delay_alu instid0(VALU_DEP_3) | instskip(SKIP_1) | instid1(VALU_DEP_4)
	v_add3_u32 v19, v30, v19, v21
	v_mul_i32_i24_e32 v17, v110, v26
	v_add3_u32 v16, v14, v18, v16
	v_mul_i32_i24_e32 v14, v108, v143
	v_mul_i32_i24_e32 v18, v111, v139
	s_delay_alu instid0(VALU_DEP_1) | instskip(NEXT) | instid1(VALU_DEP_1)
	v_add3_u32 v14, v19, v18, v14
	v_add3_u32 v17, v14, v15, v17
	v_mad_u64_u32 v[14:15], null, v16, v158, v[13:14]
	s_delay_alu instid0(VALU_DEP_1) | instskip(NEXT) | instid1(VALU_DEP_3)
	v_cvt_f32_i32_e32 v13, v14
	v_cvt_f32_i32_e32 v14, v17
	s_delay_alu instid0(VALU_DEP_1) | instskip(NEXT) | instid1(VALU_DEP_1)
	v_mul_f32_e32 v14, v157, v14
	v_fma_mix_f32 v13, v126, v13, -v14 op_sel_hi:[1,0,0]
	s_delay_alu instid0(VALU_DEP_1)
	v_fmac_f32_e32 v44, v20, v13
	ds_load_2addr_b32 v[19:20], v125 offset0:128 offset1:160
	ds_load_b128 v[13:16], v124 offset:4096
	s_waitcnt lgkmcnt(0)
	v_bfe_i32 v17, v13, 0, 8
	v_bfe_i32 v18, v13, 8, 8
	v_bfe_i32 v21, v13, 16, 8
	v_ashrrev_i32_e32 v30, 24, v13
	v_bfe_i32 v82, v14, 0, 8
	v_bfe_i32 v83, v14, 8, 8
	v_bfe_i32 v84, v14, 16, 8
	v_ashrrev_i32_e32 v85, 24, v14
	;; [unrolled: 4-line block ×4, first 2 shown]
	ds_load_b128 v[13:16], v124 offset:4112
	v_mul_i32_i24_e32 v117, v84, v10
	v_mul_i32_i24_e32 v123, v85, v12
	s_waitcnt lgkmcnt(0)
	v_ashrrev_i32_e32 v97, 24, v13
	v_ashrrev_i32_e32 v101, 24, v14
	v_bfe_i32 v94, v13, 0, 8
	v_bfe_i32 v95, v13, 8, 8
	;; [unrolled: 1-line block ×4, first 2 shown]
	v_ashrrev_i32_e32 v105, 24, v15
	v_bfe_i32 v106, v16, 0, 8
	v_bfe_i32 v107, v16, 8, 8
	;; [unrolled: 1-line block ×3, first 2 shown]
	v_ashrrev_i32_e32 v16, 24, v16
	v_add_nc_u32_e32 v13, v101, v97
	v_bfe_i32 v99, v14, 8, 8
	v_bfe_i32 v104, v15, 16, 8
	;; [unrolled: 1-line block ×4, first 2 shown]
	v_add3_u32 v109, v13, v105, v16
	v_add_nc_u32_e32 v13, v100, v96
	v_bfe_i32 v102, v15, 0, 8
	v_mul_i32_i24_e32 v14, v21, v6
	v_mul_i32_i24_e32 v15, v30, v9
	;; [unrolled: 1-line block ×3, first 2 shown]
	v_add3_u32 v110, v13, v104, v108
	v_add_nc_u32_e32 v13, v99, v95
	s_delay_alu instid0(VALU_DEP_1) | instskip(SKIP_1) | instid1(VALU_DEP_1)
	v_add3_u32 v111, v13, v103, v107
	v_add_nc_u32_e32 v13, v98, v94
	v_add3_u32 v112, v13, v102, v106
	v_add_nc_u32_e32 v13, v85, v30
	s_delay_alu instid0(VALU_DEP_1) | instskip(SKIP_1) | instid1(VALU_DEP_1)
	v_add3_u32 v113, v13, v89, v93
	v_add_nc_u32_e32 v13, v84, v21
	v_add3_u32 v114, v13, v88, v92
	v_add_nc_u32_e32 v13, v83, v18
	s_delay_alu instid0(VALU_DEP_2) | instskip(NEXT) | instid1(VALU_DEP_2)
	v_mul_i32_i24_e32 v128, v114, v50
	v_add3_u32 v115, v13, v87, v91
	v_add_nc_u32_e32 v13, v82, v17
	s_delay_alu instid0(VALU_DEP_2) | instskip(NEXT) | instid1(VALU_DEP_2)
	v_mul_i32_i24_e32 v152, v115, v49
	v_add3_u32 v116, v13, v86, v90
	v_mul_i32_i24_e32 v13, v17, v5
	s_delay_alu instid0(VALU_DEP_2) | instskip(NEXT) | instid1(VALU_DEP_2)
	v_mul_i32_i24_e32 v153, v116, v195
	v_mad_i32_i24 v13, v18, v3, v13
	s_delay_alu instid0(VALU_DEP_2) | instskip(NEXT) | instid1(VALU_DEP_2)
	v_mad_i32_i24 v153, v113, v201, v153
	v_add3_u32 v13, v13, v14, v15
	v_mul_i32_i24_e32 v14, v82, v7
	v_mul_i32_i24_e32 v15, v83, v8
	s_delay_alu instid0(VALU_DEP_4) | instskip(SKIP_2) | instid1(VALU_DEP_4)
	v_add3_u32 v128, v153, v128, v152
	v_mul_i32_i24_e32 v153, v116, v151
	v_mul_i32_i24_e32 v152, v115, v222
	v_add3_u32 v13, v13, v14, v15
	v_mul_i32_i24_e32 v14, v86, v11
	v_mul_i32_i24_e32 v15, v87, v39
	v_mad_i32_i24 v153, v113, v155, v153
	s_delay_alu instid0(VALU_DEP_4) | instskip(SKIP_2) | instid1(VALU_DEP_3)
	v_add3_u32 v13, v13, v117, v123
	v_mul_i32_i24_e32 v117, v88, v51
	v_mul_i32_i24_e32 v123, v89, v54
	v_add3_u32 v13, v13, v14, v15
	v_mul_i32_i24_e32 v14, v90, v53
	v_mul_i32_i24_e32 v15, v91, v56
	s_delay_alu instid0(VALU_DEP_3) | instskip(SKIP_2) | instid1(VALU_DEP_3)
	v_add3_u32 v13, v13, v117, v123
	v_mul_i32_i24_e32 v117, v92, v57
	v_mul_i32_i24_e32 v123, v93, v58
	v_add3_u32 v13, v13, v14, v15
	v_mul_i32_i24_e32 v14, v94, v69
	v_mul_i32_i24_e32 v15, v96, v71
	s_delay_alu instid0(VALU_DEP_3) | instskip(SKIP_1) | instid1(VALU_DEP_4)
	v_add3_u32 v13, v13, v117, v123
	v_mul_i32_i24_e32 v117, v97, v75
	v_mad_i32_i24 v14, v95, v61, v14
	v_mul_i32_i24_e32 v123, v100, v76
	s_delay_alu instid0(VALU_DEP_4) | instskip(NEXT) | instid1(VALU_DEP_3)
	v_mul_lo_u32 v13, v13, v60
	v_add3_u32 v14, v14, v15, v117
	v_mul_i32_i24_e32 v15, v98, v72
	v_mul_i32_i24_e32 v117, v99, v73
	s_delay_alu instid0(VALU_DEP_1) | instskip(SKIP_2) | instid1(VALU_DEP_3)
	v_add3_u32 v14, v14, v15, v117
	v_mul_i32_i24_e32 v15, v102, v78
	v_mul_i32_i24_e32 v117, v103, v80
	v_add3_u32 v14, v14, v123, v127
	v_mul_i32_i24_e32 v123, v104, v81
	v_mul_i32_i24_e32 v127, v105, v119
	s_delay_alu instid0(VALU_DEP_3) | instskip(SKIP_2) | instid1(VALU_DEP_3)
	v_add3_u32 v14, v14, v15, v117
	v_mul_i32_i24_e32 v15, v106, v118
	v_mul_i32_i24_e32 v117, v107, v120
	v_add3_u32 v14, v14, v123, v127
	v_mul_i32_i24_e32 v123, v108, v121
	v_mul_i32_i24_e32 v127, v16, v122
	s_delay_alu instid0(VALU_DEP_3) | instskip(SKIP_1) | instid1(VALU_DEP_2)
	v_add3_u32 v14, v14, v15, v117
	v_mul_i32_i24_e32 v15, v110, v2
	v_add3_u32 v117, v14, v123, v127
	v_mul_i32_i24_e32 v14, v109, v4
	v_mul_i32_i24_e32 v127, v112, v0
	;; [unrolled: 1-line block ×3, first 2 shown]
	s_delay_alu instid0(VALU_DEP_2) | instskip(SKIP_2) | instid1(VALU_DEP_3)
	v_add3_u32 v14, v128, v127, v14
	v_mul_i32_i24_e32 v127, v101, v247
	v_mul_i32_i24_e32 v128, v114, v223
	v_add3_u32 v123, v14, v15, v123
	v_mad_u64_u32 v[14:15], null, v117, v29, v[13:14]
	v_mul_i32_i24_e32 v15, v30, v228
	v_mul_i32_i24_e32 v117, v84, v229
	v_add3_u32 v128, v153, v128, v152
	v_mul_i32_i24_e32 v153, v116, v132
	v_mul_i32_i24_e32 v152, v115, v177
	v_cvt_f32_i32_e32 v13, v14
	v_cvt_f32_i32_e32 v14, v123
	v_mul_i32_i24_e32 v123, v85, v231
	v_mad_i32_i24 v153, v113, v166, v153
	s_delay_alu instid0(VALU_DEP_3) | instskip(NEXT) | instid1(VALU_DEP_1)
	v_mul_f32_e32 v14, v41, v14
	v_fma_mix_f32 v13, v182, v13, -v14 op_sel_hi:[1,0,0]
	v_mul_i32_i24_e32 v14, v21, v225
	s_delay_alu instid0(VALU_DEP_2) | instskip(SKIP_1) | instid1(VALU_DEP_1)
	v_fmac_f32_e32 v40, v19, v13
	v_mul_i32_i24_e32 v13, v17, v224
	v_mad_i32_i24 v13, v18, v46, v13
	s_delay_alu instid0(VALU_DEP_1) | instskip(SKIP_2) | instid1(VALU_DEP_1)
	v_add3_u32 v13, v13, v14, v15
	v_mul_i32_i24_e32 v14, v82, v226
	v_mul_i32_i24_e32 v15, v83, v227
	v_add3_u32 v13, v13, v14, v15
	v_mul_i32_i24_e32 v14, v86, v230
	v_mul_i32_i24_e32 v15, v87, v232
	s_delay_alu instid0(VALU_DEP_3) | instskip(SKIP_2) | instid1(VALU_DEP_3)
	v_add3_u32 v13, v13, v117, v123
	v_mul_i32_i24_e32 v117, v88, v233
	v_mul_i32_i24_e32 v123, v89, v235
	v_add3_u32 v13, v13, v14, v15
	v_mul_i32_i24_e32 v14, v90, v234
	v_mul_i32_i24_e32 v15, v91, v67
	s_delay_alu instid0(VALU_DEP_3) | instskip(SKIP_2) | instid1(VALU_DEP_3)
	v_add3_u32 v13, v13, v117, v123
	v_mul_i32_i24_e32 v117, v92, v236
	v_mul_i32_i24_e32 v123, v93, v237
	v_add3_u32 v13, v13, v14, v15
	v_mul_i32_i24_e32 v14, v94, v70
	v_mul_i32_i24_e32 v15, v96, v241
	s_delay_alu instid0(VALU_DEP_3) | instskip(SKIP_1) | instid1(VALU_DEP_4)
	v_add3_u32 v13, v13, v117, v123
	v_mul_i32_i24_e32 v117, v97, v244
	v_mad_i32_i24 v14, v95, v240, v14
	v_mul_i32_i24_e32 v123, v100, v245
	s_delay_alu instid0(VALU_DEP_4) | instskip(NEXT) | instid1(VALU_DEP_3)
	v_mul_lo_u32 v13, v13, v239
	v_add3_u32 v14, v14, v15, v117
	v_mul_i32_i24_e32 v15, v98, v242
	v_mul_i32_i24_e32 v117, v99, v243
	s_delay_alu instid0(VALU_DEP_1) | instskip(SKIP_2) | instid1(VALU_DEP_3)
	v_add3_u32 v14, v14, v15, v117
	v_mul_i32_i24_e32 v15, v102, v246
	v_mul_i32_i24_e32 v117, v103, v248
	v_add3_u32 v14, v14, v123, v127
	v_mul_i32_i24_e32 v123, v104, v249
	v_mul_i32_i24_e32 v127, v105, v251
	s_delay_alu instid0(VALU_DEP_3) | instskip(SKIP_2) | instid1(VALU_DEP_3)
	v_add3_u32 v14, v14, v15, v117
	v_mul_i32_i24_e32 v15, v106, v250
	v_mul_i32_i24_e32 v117, v107, v252
	v_add3_u32 v14, v14, v123, v127
	v_mul_i32_i24_e32 v123, v108, v254
	v_mul_i32_i24_e32 v127, v16, v74
	s_delay_alu instid0(VALU_DEP_3) | instskip(SKIP_1) | instid1(VALU_DEP_2)
	v_add3_u32 v14, v14, v15, v117
	v_mul_i32_i24_e32 v15, v110, v45
	v_add3_u32 v117, v14, v123, v127
	v_mul_i32_i24_e32 v14, v109, v47
	v_mul_i32_i24_e32 v127, v112, v42
	v_mul_i32_i24_e32 v123, v111, v43
	s_delay_alu instid0(VALU_DEP_2) | instskip(SKIP_2) | instid1(VALU_DEP_3)
	v_add3_u32 v14, v128, v127, v14
	v_mul_i32_i24_e32 v127, v101, v213
	v_mul_i32_i24_e32 v128, v114, v178
	v_add3_u32 v123, v14, v15, v123
	v_mad_u64_u32 v[14:15], null, v117, v25, v[13:14]
	v_mul_i32_i24_e32 v15, v30, v191
	v_mul_i32_i24_e32 v117, v84, v192
	v_add3_u32 v128, v153, v128, v152
	s_delay_alu instid0(VALU_DEP_4) | instskip(SKIP_2) | instid1(VALU_DEP_2)
	v_cvt_f32_i32_e32 v13, v14
	v_cvt_f32_i32_e32 v14, v123
	v_mul_i32_i24_e32 v123, v85, v194
	v_mul_f32_e32 v14, v180, v14
	s_delay_alu instid0(VALU_DEP_1) | instskip(SKIP_1) | instid1(VALU_DEP_2)
	v_fma_mix_f32 v13, v138, v13, -v14 op_sel_hi:[1,0,0]
	v_mul_i32_i24_e32 v14, v21, v188
	v_fmac_f32_e32 v38, v19, v13
	v_mul_i32_i24_e32 v13, v17, v187
	s_delay_alu instid0(VALU_DEP_1) | instskip(NEXT) | instid1(VALU_DEP_1)
	v_mad_i32_i24 v13, v18, v185, v13
	v_add3_u32 v13, v13, v14, v15
	v_mul_i32_i24_e32 v14, v82, v189
	v_mul_i32_i24_e32 v15, v83, v190
	s_delay_alu instid0(VALU_DEP_1) | instskip(SKIP_2) | instid1(VALU_DEP_3)
	v_add3_u32 v13, v13, v14, v15
	v_mul_i32_i24_e32 v14, v86, v193
	v_mul_i32_i24_e32 v15, v87, v196
	v_add3_u32 v13, v13, v117, v123
	v_mul_i32_i24_e32 v117, v88, v197
	v_mul_i32_i24_e32 v123, v89, v32
	s_delay_alu instid0(VALU_DEP_3) | instskip(SKIP_2) | instid1(VALU_DEP_3)
	v_add3_u32 v13, v13, v14, v15
	v_mul_i32_i24_e32 v14, v90, v198
	v_mul_i32_i24_e32 v15, v91, v200
	v_add3_u32 v13, v13, v117, v123
	v_mul_i32_i24_e32 v117, v92, v202
	v_mul_i32_i24_e32 v123, v93, v203
	s_delay_alu instid0(VALU_DEP_3) | instskip(SKIP_2) | instid1(VALU_DEP_3)
	v_add3_u32 v13, v13, v14, v15
	v_mul_i32_i24_e32 v14, v94, v206
	v_mul_i32_i24_e32 v15, v96, v207
	v_add3_u32 v13, v13, v117, v123
	v_mul_i32_i24_e32 v117, v97, v36
	s_delay_alu instid0(VALU_DEP_4) | instskip(SKIP_1) | instid1(VALU_DEP_4)
	v_mad_i32_i24 v14, v95, v35, v14
	v_mul_i32_i24_e32 v123, v100, v211
	v_mul_lo_u32 v13, v13, v34
	s_delay_alu instid0(VALU_DEP_3) | instskip(SKIP_2) | instid1(VALU_DEP_1)
	v_add3_u32 v14, v14, v15, v117
	v_mul_i32_i24_e32 v15, v98, v208
	v_mul_i32_i24_e32 v117, v99, v209
	v_add3_u32 v14, v14, v15, v117
	v_mul_i32_i24_e32 v15, v102, v212
	v_mul_i32_i24_e32 v117, v103, v214
	s_delay_alu instid0(VALU_DEP_3) | instskip(SKIP_2) | instid1(VALU_DEP_3)
	v_add3_u32 v14, v14, v123, v127
	v_mul_i32_i24_e32 v123, v104, v215
	v_mul_i32_i24_e32 v127, v105, v217
	v_add3_u32 v14, v14, v15, v117
	v_mul_i32_i24_e32 v15, v106, v216
	v_mul_i32_i24_e32 v117, v107, v218
	s_delay_alu instid0(VALU_DEP_3) | instskip(SKIP_3) | instid1(VALU_DEP_4)
	v_add3_u32 v14, v14, v123, v127
	v_mul_i32_i24_e32 v123, v108, v219
	v_mul_i32_i24_e32 v127, v16, v220
	v_mul_i32_i24_e32 v16, v16, v176
	v_add3_u32 v14, v14, v15, v117
	v_mul_i32_i24_e32 v15, v110, v31
	s_delay_alu instid0(VALU_DEP_2) | instskip(SKIP_3) | instid1(VALU_DEP_2)
	v_add3_u32 v117, v14, v123, v127
	v_mul_i32_i24_e32 v14, v109, v186
	v_mul_i32_i24_e32 v127, v112, v183
	;; [unrolled: 1-line block ×3, first 2 shown]
	v_add3_u32 v14, v128, v127, v14
	s_delay_alu instid0(VALU_DEP_1) | instskip(SKIP_3) | instid1(VALU_DEP_3)
	v_add3_u32 v123, v14, v15, v123
	v_mad_u64_u32 v[14:15], null, v117, v136, v[13:14]
	v_mul_i32_i24_e32 v15, v30, v148
	v_mul_i32_i24_e32 v30, v115, v24
	v_cvt_f32_i32_e32 v13, v14
	v_cvt_f32_i32_e32 v14, v123
	s_delay_alu instid0(VALU_DEP_1) | instskip(NEXT) | instid1(VALU_DEP_1)
	v_mul_f32_e32 v14, v137, v14
	v_fma_mix_f32 v13, v131, v13, -v14 op_sel_hi:[1,0,0]
	v_mul_i32_i24_e32 v14, v21, v145
	v_mul_i32_i24_e32 v21, v101, v168
	s_delay_alu instid0(VALU_DEP_3) | instskip(SKIP_2) | instid1(VALU_DEP_2)
	v_fmac_f32_e32 v37, v19, v13
	v_mul_i32_i24_e32 v13, v17, v144
	v_mul_i32_i24_e32 v17, v84, v149
	v_mad_i32_i24 v13, v18, v22, v13
	v_mul_i32_i24_e32 v18, v85, v146
	s_delay_alu instid0(VALU_DEP_2) | instskip(SKIP_3) | instid1(VALU_DEP_2)
	v_add3_u32 v13, v13, v14, v15
	v_mul_i32_i24_e32 v14, v82, v23
	v_mul_i32_i24_e32 v15, v83, v147
	;; [unrolled: 1-line block ×3, first 2 shown]
	v_add3_u32 v13, v13, v14, v15
	v_mul_i32_i24_e32 v14, v86, v150
	v_mul_i32_i24_e32 v15, v87, v142
	s_delay_alu instid0(VALU_DEP_4) | instskip(NEXT) | instid1(VALU_DEP_4)
	v_mad_i32_i24 v82, v113, v163, v82
	v_add3_u32 v13, v13, v17, v18
	v_mul_i32_i24_e32 v17, v88, v140
	v_mul_i32_i24_e32 v18, v89, v135
	s_delay_alu instid0(VALU_DEP_3) | instskip(SKIP_2) | instid1(VALU_DEP_3)
	v_add3_u32 v13, v13, v14, v15
	v_mul_i32_i24_e32 v14, v90, v154
	v_mul_i32_i24_e32 v15, v91, v156
	v_add3_u32 v13, v13, v17, v18
	v_mul_i32_i24_e32 v17, v92, v134
	v_mul_i32_i24_e32 v18, v93, v159
	s_delay_alu instid0(VALU_DEP_3) | instskip(SKIP_2) | instid1(VALU_DEP_3)
	v_add3_u32 v13, v13, v14, v15
	v_mul_i32_i24_e32 v14, v94, v161
	v_mul_i32_i24_e32 v15, v96, v133
	v_add3_u32 v13, v13, v17, v18
	v_mul_i32_i24_e32 v17, v97, v129
	s_delay_alu instid0(VALU_DEP_4) | instskip(SKIP_1) | instid1(VALU_DEP_4)
	v_mad_i32_i24 v14, v95, v162, v14
	v_mul_i32_i24_e32 v18, v100, v167
	v_mul_lo_u32 v13, v13, v160
	s_delay_alu instid0(VALU_DEP_3) | instskip(SKIP_2) | instid1(VALU_DEP_1)
	v_add3_u32 v14, v14, v15, v17
	v_mul_i32_i24_e32 v15, v98, v165
	v_mul_i32_i24_e32 v17, v99, v164
	v_add3_u32 v14, v14, v15, v17
	v_mul_i32_i24_e32 v15, v102, v169
	v_mul_i32_i24_e32 v17, v103, v170
	s_delay_alu instid0(VALU_DEP_3) | instskip(SKIP_2) | instid1(VALU_DEP_3)
	v_add3_u32 v14, v14, v18, v21
	v_mul_i32_i24_e32 v18, v104, v171
	v_mul_i32_i24_e32 v21, v105, v173
	v_add3_u32 v14, v14, v15, v17
	v_mul_i32_i24_e32 v15, v106, v172
	v_mul_i32_i24_e32 v17, v107, v174
	s_delay_alu instid0(VALU_DEP_3) | instskip(SKIP_2) | instid1(VALU_DEP_3)
	v_add3_u32 v14, v14, v18, v21
	v_mul_i32_i24_e32 v18, v108, v175
	v_mul_i32_i24_e32 v21, v114, v181
	v_add3_u32 v14, v14, v15, v17
	v_mul_i32_i24_e32 v15, v110, v141
	s_delay_alu instid0(VALU_DEP_3) | instskip(SKIP_1) | instid1(VALU_DEP_4)
	v_add3_u32 v21, v82, v21, v30
	v_mul_i32_i24_e32 v17, v111, v26
	v_add3_u32 v16, v14, v18, v16
	v_mul_i32_i24_e32 v14, v109, v143
	v_mul_i32_i24_e32 v18, v112, v139
	s_delay_alu instid0(VALU_DEP_1) | instskip(NEXT) | instid1(VALU_DEP_1)
	v_add3_u32 v14, v21, v18, v14
	v_add3_u32 v17, v14, v15, v17
	v_mad_u64_u32 v[14:15], null, v16, v158, v[13:14]
	s_delay_alu instid0(VALU_DEP_1) | instskip(NEXT) | instid1(VALU_DEP_3)
	v_cvt_f32_i32_e32 v13, v14
	v_cvt_f32_i32_e32 v14, v17
	s_delay_alu instid0(VALU_DEP_1) | instskip(NEXT) | instid1(VALU_DEP_1)
	v_mul_f32_e32 v14, v157, v14
	v_fma_mix_f32 v13, v126, v13, -v14 op_sel_hi:[1,0,0]
	s_delay_alu instid0(VALU_DEP_1)
	v_fmac_f32_e32 v221, v19, v13
	ds_load_b128 v[13:16], v124 offset:5120
	s_waitcnt lgkmcnt(0)
	v_bfe_i32 v17, v13, 0, 8
	v_bfe_i32 v18, v13, 8, 8
	v_bfe_i32 v19, v13, 16, 8
	v_ashrrev_i32_e32 v21, 24, v13
	v_bfe_i32 v30, v14, 0, 8
	v_bfe_i32 v82, v14, 8, 8
	v_bfe_i32 v83, v14, 16, 8
	v_ashrrev_i32_e32 v84, 24, v14
	;; [unrolled: 4-line block ×4, first 2 shown]
	ds_load_b128 v[13:16], v124 offset:5136
	v_mul_i32_i24_e32 v116, v83, v10
	v_mul_i32_i24_e32 v117, v84, v12
	s_waitcnt lgkmcnt(0)
	v_ashrrev_i32_e32 v96, 24, v13
	v_ashrrev_i32_e32 v100, 24, v14
	v_bfe_i32 v93, v13, 0, 8
	v_bfe_i32 v94, v13, 8, 8
	;; [unrolled: 1-line block ×4, first 2 shown]
	v_ashrrev_i32_e32 v104, 24, v15
	v_bfe_i32 v105, v16, 0, 8
	v_bfe_i32 v106, v16, 8, 8
	;; [unrolled: 1-line block ×3, first 2 shown]
	v_ashrrev_i32_e32 v16, 24, v16
	v_add_nc_u32_e32 v13, v100, v96
	v_bfe_i32 v98, v14, 8, 8
	v_bfe_i32 v103, v15, 16, 8
	;; [unrolled: 1-line block ×4, first 2 shown]
	v_add3_u32 v108, v13, v104, v16
	v_add_nc_u32_e32 v13, v99, v95
	v_bfe_i32 v101, v15, 0, 8
	v_mul_i32_i24_e32 v14, v19, v6
	v_mul_i32_i24_e32 v15, v21, v9
	;; [unrolled: 1-line block ×3, first 2 shown]
	v_add3_u32 v109, v13, v103, v107
	v_add_nc_u32_e32 v13, v98, v94
	s_delay_alu instid0(VALU_DEP_1) | instskip(SKIP_1) | instid1(VALU_DEP_1)
	v_add3_u32 v110, v13, v102, v106
	v_add_nc_u32_e32 v13, v97, v93
	v_add3_u32 v111, v13, v101, v105
	v_add_nc_u32_e32 v13, v84, v21
	s_delay_alu instid0(VALU_DEP_1) | instskip(SKIP_1) | instid1(VALU_DEP_1)
	v_add3_u32 v112, v13, v88, v92
	v_add_nc_u32_e32 v13, v83, v19
	v_add3_u32 v113, v13, v87, v91
	v_add_nc_u32_e32 v13, v82, v18
	s_delay_alu instid0(VALU_DEP_2) | instskip(NEXT) | instid1(VALU_DEP_2)
	v_mul_i32_i24_e32 v127, v113, v50
	v_add3_u32 v114, v13, v86, v90
	v_add_nc_u32_e32 v13, v30, v17
	s_delay_alu instid0(VALU_DEP_2) | instskip(NEXT) | instid1(VALU_DEP_2)
	v_mul_i32_i24_e32 v128, v114, v49
	v_add3_u32 v115, v13, v85, v89
	v_mul_i32_i24_e32 v13, v17, v5
	s_delay_alu instid0(VALU_DEP_2) | instskip(NEXT) | instid1(VALU_DEP_2)
	v_mul_i32_i24_e32 v152, v115, v195
	v_mad_i32_i24 v13, v18, v3, v13
	s_delay_alu instid0(VALU_DEP_2) | instskip(NEXT) | instid1(VALU_DEP_2)
	v_mad_i32_i24 v152, v112, v201, v152
	v_add3_u32 v13, v13, v14, v15
	v_mul_i32_i24_e32 v14, v30, v7
	v_mul_i32_i24_e32 v15, v82, v8
	s_delay_alu instid0(VALU_DEP_4) | instskip(SKIP_2) | instid1(VALU_DEP_4)
	v_add3_u32 v127, v152, v127, v128
	v_mul_i32_i24_e32 v152, v115, v151
	v_mul_i32_i24_e32 v128, v114, v222
	v_add3_u32 v13, v13, v14, v15
	v_mul_i32_i24_e32 v14, v85, v11
	v_mul_i32_i24_e32 v15, v86, v39
	v_mad_i32_i24 v152, v112, v155, v152
	s_delay_alu instid0(VALU_DEP_4) | instskip(SKIP_2) | instid1(VALU_DEP_3)
	v_add3_u32 v13, v13, v116, v117
	v_mul_i32_i24_e32 v116, v87, v51
	v_mul_i32_i24_e32 v117, v88, v54
	v_add3_u32 v13, v13, v14, v15
	v_mul_i32_i24_e32 v14, v89, v53
	v_mul_i32_i24_e32 v15, v90, v56
	s_delay_alu instid0(VALU_DEP_3) | instskip(SKIP_2) | instid1(VALU_DEP_3)
	v_add3_u32 v13, v13, v116, v117
	v_mul_i32_i24_e32 v116, v91, v57
	v_mul_i32_i24_e32 v117, v92, v58
	v_add3_u32 v13, v13, v14, v15
	v_mul_i32_i24_e32 v14, v93, v69
	v_mul_i32_i24_e32 v15, v95, v71
	s_delay_alu instid0(VALU_DEP_3) | instskip(SKIP_1) | instid1(VALU_DEP_4)
	v_add3_u32 v13, v13, v116, v117
	v_mul_i32_i24_e32 v116, v96, v75
	v_mad_i32_i24 v14, v94, v61, v14
	v_mul_i32_i24_e32 v117, v99, v76
	s_delay_alu instid0(VALU_DEP_4) | instskip(NEXT) | instid1(VALU_DEP_3)
	v_mul_lo_u32 v13, v13, v60
	v_add3_u32 v14, v14, v15, v116
	v_mul_i32_i24_e32 v15, v97, v72
	v_mul_i32_i24_e32 v116, v98, v73
	s_delay_alu instid0(VALU_DEP_1) | instskip(SKIP_2) | instid1(VALU_DEP_3)
	v_add3_u32 v14, v14, v15, v116
	v_mul_i32_i24_e32 v15, v101, v78
	v_mul_i32_i24_e32 v116, v102, v80
	v_add3_u32 v14, v14, v117, v123
	v_mul_i32_i24_e32 v117, v103, v81
	v_mul_i32_i24_e32 v123, v104, v119
	s_delay_alu instid0(VALU_DEP_3) | instskip(SKIP_2) | instid1(VALU_DEP_3)
	v_add3_u32 v14, v14, v15, v116
	v_mul_i32_i24_e32 v15, v105, v118
	v_mul_i32_i24_e32 v116, v106, v120
	v_add3_u32 v14, v14, v117, v123
	v_mul_i32_i24_e32 v117, v107, v121
	v_mul_i32_i24_e32 v123, v16, v122
	s_delay_alu instid0(VALU_DEP_3) | instskip(SKIP_1) | instid1(VALU_DEP_2)
	v_add3_u32 v14, v14, v15, v116
	v_mul_i32_i24_e32 v15, v109, v2
	v_add3_u32 v116, v14, v117, v123
	v_mul_i32_i24_e32 v14, v108, v4
	v_mul_i32_i24_e32 v123, v111, v0
	;; [unrolled: 1-line block ×3, first 2 shown]
	s_delay_alu instid0(VALU_DEP_2) | instskip(SKIP_2) | instid1(VALU_DEP_3)
	v_add3_u32 v14, v127, v123, v14
	v_mul_i32_i24_e32 v123, v100, v247
	v_mul_i32_i24_e32 v127, v113, v223
	v_add3_u32 v117, v14, v15, v117
	v_mad_u64_u32 v[14:15], null, v116, v29, v[13:14]
	v_mul_i32_i24_e32 v15, v21, v228
	v_mul_i32_i24_e32 v116, v83, v229
	v_add3_u32 v127, v152, v127, v128
	v_mul_i32_i24_e32 v152, v115, v132
	v_mul_i32_i24_e32 v128, v114, v177
	v_cvt_f32_i32_e32 v13, v14
	v_cvt_f32_i32_e32 v14, v117
	v_mul_i32_i24_e32 v117, v84, v231
	v_mad_i32_i24 v152, v112, v166, v152
	s_delay_alu instid0(VALU_DEP_3) | instskip(NEXT) | instid1(VALU_DEP_1)
	v_mul_f32_e32 v14, v41, v14
	v_fma_mix_f32 v13, v182, v13, -v14 op_sel_hi:[1,0,0]
	v_mul_i32_i24_e32 v14, v19, v225
	s_delay_alu instid0(VALU_DEP_2) | instskip(SKIP_1) | instid1(VALU_DEP_1)
	v_fmac_f32_e32 v210, v20, v13
	v_mul_i32_i24_e32 v13, v17, v224
	v_mad_i32_i24 v13, v18, v46, v13
	s_delay_alu instid0(VALU_DEP_1) | instskip(SKIP_2) | instid1(VALU_DEP_1)
	v_add3_u32 v13, v13, v14, v15
	v_mul_i32_i24_e32 v14, v30, v226
	v_mul_i32_i24_e32 v15, v82, v227
	v_add3_u32 v13, v13, v14, v15
	v_mul_i32_i24_e32 v14, v85, v230
	v_mul_i32_i24_e32 v15, v86, v232
	s_delay_alu instid0(VALU_DEP_3) | instskip(SKIP_2) | instid1(VALU_DEP_3)
	v_add3_u32 v13, v13, v116, v117
	v_mul_i32_i24_e32 v116, v87, v233
	v_mul_i32_i24_e32 v117, v88, v235
	v_add3_u32 v13, v13, v14, v15
	v_mul_i32_i24_e32 v14, v89, v234
	v_mul_i32_i24_e32 v15, v90, v67
	s_delay_alu instid0(VALU_DEP_3) | instskip(SKIP_2) | instid1(VALU_DEP_3)
	v_add3_u32 v13, v13, v116, v117
	v_mul_i32_i24_e32 v116, v91, v236
	v_mul_i32_i24_e32 v117, v92, v237
	v_add3_u32 v13, v13, v14, v15
	v_mul_i32_i24_e32 v14, v93, v70
	v_mul_i32_i24_e32 v15, v95, v241
	s_delay_alu instid0(VALU_DEP_3) | instskip(SKIP_1) | instid1(VALU_DEP_4)
	v_add3_u32 v13, v13, v116, v117
	v_mul_i32_i24_e32 v116, v96, v244
	v_mad_i32_i24 v14, v94, v240, v14
	v_mul_i32_i24_e32 v117, v99, v245
	s_delay_alu instid0(VALU_DEP_4) | instskip(NEXT) | instid1(VALU_DEP_3)
	v_mul_lo_u32 v13, v13, v239
	v_add3_u32 v14, v14, v15, v116
	v_mul_i32_i24_e32 v15, v97, v242
	v_mul_i32_i24_e32 v116, v98, v243
	s_delay_alu instid0(VALU_DEP_1) | instskip(SKIP_2) | instid1(VALU_DEP_3)
	v_add3_u32 v14, v14, v15, v116
	v_mul_i32_i24_e32 v15, v101, v246
	v_mul_i32_i24_e32 v116, v102, v248
	v_add3_u32 v14, v14, v117, v123
	v_mul_i32_i24_e32 v117, v103, v249
	v_mul_i32_i24_e32 v123, v104, v251
	s_delay_alu instid0(VALU_DEP_3) | instskip(SKIP_2) | instid1(VALU_DEP_3)
	v_add3_u32 v14, v14, v15, v116
	v_mul_i32_i24_e32 v15, v105, v250
	v_mul_i32_i24_e32 v116, v106, v252
	v_add3_u32 v14, v14, v117, v123
	v_mul_i32_i24_e32 v117, v107, v254
	v_mul_i32_i24_e32 v123, v16, v74
	s_delay_alu instid0(VALU_DEP_3) | instskip(SKIP_1) | instid1(VALU_DEP_2)
	v_add3_u32 v14, v14, v15, v116
	v_mul_i32_i24_e32 v15, v109, v45
	v_add3_u32 v116, v14, v117, v123
	v_mul_i32_i24_e32 v14, v108, v47
	v_mul_i32_i24_e32 v123, v111, v42
	;; [unrolled: 1-line block ×3, first 2 shown]
	s_delay_alu instid0(VALU_DEP_2) | instskip(SKIP_2) | instid1(VALU_DEP_3)
	v_add3_u32 v14, v127, v123, v14
	v_mul_i32_i24_e32 v123, v100, v213
	v_mul_i32_i24_e32 v127, v113, v178
	v_add3_u32 v117, v14, v15, v117
	v_mad_u64_u32 v[14:15], null, v116, v25, v[13:14]
	v_mul_i32_i24_e32 v15, v21, v191
	v_mul_i32_i24_e32 v116, v83, v192
	v_add3_u32 v127, v152, v127, v128
	s_delay_alu instid0(VALU_DEP_4) | instskip(SKIP_2) | instid1(VALU_DEP_2)
	v_cvt_f32_i32_e32 v13, v14
	v_cvt_f32_i32_e32 v14, v117
	v_mul_i32_i24_e32 v117, v84, v194
	v_mul_f32_e32 v14, v180, v14
	s_delay_alu instid0(VALU_DEP_1) | instskip(SKIP_1) | instid1(VALU_DEP_2)
	v_fma_mix_f32 v13, v138, v13, -v14 op_sel_hi:[1,0,0]
	v_mul_i32_i24_e32 v14, v19, v188
	v_fmac_f32_e32 v205, v20, v13
	v_mul_i32_i24_e32 v13, v17, v187
	s_delay_alu instid0(VALU_DEP_1) | instskip(NEXT) | instid1(VALU_DEP_1)
	v_mad_i32_i24 v13, v18, v185, v13
	v_add3_u32 v13, v13, v14, v15
	v_mul_i32_i24_e32 v14, v30, v189
	v_mul_i32_i24_e32 v15, v82, v190
	s_delay_alu instid0(VALU_DEP_1) | instskip(SKIP_2) | instid1(VALU_DEP_3)
	v_add3_u32 v13, v13, v14, v15
	v_mul_i32_i24_e32 v14, v85, v193
	v_mul_i32_i24_e32 v15, v86, v196
	v_add3_u32 v13, v13, v116, v117
	v_mul_i32_i24_e32 v116, v87, v197
	v_mul_i32_i24_e32 v117, v88, v32
	s_delay_alu instid0(VALU_DEP_3) | instskip(SKIP_2) | instid1(VALU_DEP_3)
	v_add3_u32 v13, v13, v14, v15
	v_mul_i32_i24_e32 v14, v89, v198
	v_mul_i32_i24_e32 v15, v90, v200
	v_add3_u32 v13, v13, v116, v117
	v_mul_i32_i24_e32 v116, v91, v202
	v_mul_i32_i24_e32 v117, v92, v203
	s_delay_alu instid0(VALU_DEP_3) | instskip(SKIP_2) | instid1(VALU_DEP_3)
	v_add3_u32 v13, v13, v14, v15
	v_mul_i32_i24_e32 v14, v93, v206
	v_mul_i32_i24_e32 v15, v95, v207
	v_add3_u32 v13, v13, v116, v117
	v_mul_i32_i24_e32 v116, v96, v36
	s_delay_alu instid0(VALU_DEP_4) | instskip(SKIP_1) | instid1(VALU_DEP_4)
	v_mad_i32_i24 v14, v94, v35, v14
	v_mul_i32_i24_e32 v117, v99, v211
	v_mul_lo_u32 v13, v13, v34
	s_delay_alu instid0(VALU_DEP_3) | instskip(SKIP_2) | instid1(VALU_DEP_1)
	v_add3_u32 v14, v14, v15, v116
	v_mul_i32_i24_e32 v15, v97, v208
	v_mul_i32_i24_e32 v116, v98, v209
	v_add3_u32 v14, v14, v15, v116
	v_mul_i32_i24_e32 v15, v101, v212
	v_mul_i32_i24_e32 v116, v102, v214
	s_delay_alu instid0(VALU_DEP_3) | instskip(SKIP_2) | instid1(VALU_DEP_3)
	v_add3_u32 v14, v14, v117, v123
	v_mul_i32_i24_e32 v117, v103, v215
	v_mul_i32_i24_e32 v123, v104, v217
	v_add3_u32 v14, v14, v15, v116
	v_mul_i32_i24_e32 v15, v105, v216
	v_mul_i32_i24_e32 v116, v106, v218
	s_delay_alu instid0(VALU_DEP_3) | instskip(SKIP_3) | instid1(VALU_DEP_4)
	v_add3_u32 v14, v14, v117, v123
	v_mul_i32_i24_e32 v117, v107, v219
	v_mul_i32_i24_e32 v123, v16, v220
	;; [unrolled: 1-line block ×3, first 2 shown]
	v_add3_u32 v14, v14, v15, v116
	v_mul_i32_i24_e32 v15, v109, v31
	s_delay_alu instid0(VALU_DEP_2) | instskip(SKIP_3) | instid1(VALU_DEP_2)
	v_add3_u32 v116, v14, v117, v123
	v_mul_i32_i24_e32 v14, v108, v186
	v_mul_i32_i24_e32 v123, v111, v183
	;; [unrolled: 1-line block ×3, first 2 shown]
	v_add3_u32 v14, v127, v123, v14
	s_delay_alu instid0(VALU_DEP_1) | instskip(SKIP_3) | instid1(VALU_DEP_3)
	v_add3_u32 v117, v14, v15, v117
	v_mad_u64_u32 v[14:15], null, v116, v136, v[13:14]
	v_mul_i32_i24_e32 v15, v21, v148
	v_mul_i32_i24_e32 v21, v114, v24
	v_cvt_f32_i32_e32 v13, v14
	v_cvt_f32_i32_e32 v14, v117
	s_delay_alu instid0(VALU_DEP_1) | instskip(NEXT) | instid1(VALU_DEP_1)
	v_mul_f32_e32 v14, v137, v14
	v_fma_mix_f32 v13, v131, v13, -v14 op_sel_hi:[1,0,0]
	v_mul_i32_i24_e32 v14, v19, v145
	v_mul_i32_i24_e32 v19, v100, v168
	s_delay_alu instid0(VALU_DEP_3) | instskip(SKIP_2) | instid1(VALU_DEP_2)
	v_fmac_f32_e32 v33, v20, v13
	v_mul_i32_i24_e32 v13, v17, v144
	v_mul_i32_i24_e32 v17, v83, v149
	v_mad_i32_i24 v13, v18, v22, v13
	v_mul_i32_i24_e32 v18, v84, v146
	s_delay_alu instid0(VALU_DEP_2) | instskip(SKIP_3) | instid1(VALU_DEP_2)
	v_add3_u32 v13, v13, v14, v15
	v_mul_i32_i24_e32 v14, v30, v23
	v_mul_i32_i24_e32 v15, v82, v147
	;; [unrolled: 1-line block ×3, first 2 shown]
	v_add3_u32 v13, v13, v14, v15
	v_mul_i32_i24_e32 v14, v85, v150
	v_mul_i32_i24_e32 v15, v86, v142
	s_delay_alu instid0(VALU_DEP_4) | instskip(NEXT) | instid1(VALU_DEP_4)
	v_mad_i32_i24 v30, v112, v163, v30
	v_add3_u32 v13, v13, v17, v18
	v_mul_i32_i24_e32 v17, v87, v140
	v_mul_i32_i24_e32 v18, v88, v135
	s_delay_alu instid0(VALU_DEP_3) | instskip(SKIP_2) | instid1(VALU_DEP_3)
	v_add3_u32 v13, v13, v14, v15
	v_mul_i32_i24_e32 v14, v89, v154
	v_mul_i32_i24_e32 v15, v90, v156
	v_add3_u32 v13, v13, v17, v18
	v_mul_i32_i24_e32 v17, v91, v134
	v_mul_i32_i24_e32 v18, v92, v159
	s_delay_alu instid0(VALU_DEP_3) | instskip(SKIP_2) | instid1(VALU_DEP_3)
	v_add3_u32 v13, v13, v14, v15
	v_mul_i32_i24_e32 v14, v93, v161
	v_mul_i32_i24_e32 v15, v95, v133
	v_add3_u32 v13, v13, v17, v18
	v_mul_i32_i24_e32 v17, v96, v129
	s_delay_alu instid0(VALU_DEP_4) | instskip(SKIP_1) | instid1(VALU_DEP_4)
	v_mad_i32_i24 v14, v94, v162, v14
	v_mul_i32_i24_e32 v18, v99, v167
	v_mul_lo_u32 v13, v13, v160
	s_delay_alu instid0(VALU_DEP_3) | instskip(SKIP_2) | instid1(VALU_DEP_1)
	v_add3_u32 v14, v14, v15, v17
	v_mul_i32_i24_e32 v15, v97, v165
	v_mul_i32_i24_e32 v17, v98, v164
	v_add3_u32 v14, v14, v15, v17
	v_mul_i32_i24_e32 v15, v101, v169
	v_mul_i32_i24_e32 v17, v102, v170
	s_delay_alu instid0(VALU_DEP_3) | instskip(SKIP_2) | instid1(VALU_DEP_3)
	v_add3_u32 v14, v14, v18, v19
	v_mul_i32_i24_e32 v18, v103, v171
	v_mul_i32_i24_e32 v19, v104, v173
	v_add3_u32 v14, v14, v15, v17
	v_mul_i32_i24_e32 v15, v105, v172
	v_mul_i32_i24_e32 v17, v106, v174
	s_delay_alu instid0(VALU_DEP_3) | instskip(SKIP_2) | instid1(VALU_DEP_3)
	v_add3_u32 v14, v14, v18, v19
	v_mul_i32_i24_e32 v18, v107, v175
	v_mul_i32_i24_e32 v19, v113, v181
	v_add3_u32 v14, v14, v15, v17
	v_mul_i32_i24_e32 v15, v109, v141
	s_delay_alu instid0(VALU_DEP_3) | instskip(SKIP_1) | instid1(VALU_DEP_4)
	v_add3_u32 v19, v30, v19, v21
	v_mul_i32_i24_e32 v17, v110, v26
	v_add3_u32 v16, v14, v18, v16
	v_mul_i32_i24_e32 v14, v108, v143
	v_mul_i32_i24_e32 v18, v111, v139
	s_delay_alu instid0(VALU_DEP_1) | instskip(NEXT) | instid1(VALU_DEP_1)
	v_add3_u32 v14, v19, v18, v14
	v_add3_u32 v17, v14, v15, v17
	v_mad_u64_u32 v[14:15], null, v16, v158, v[13:14]
	s_delay_alu instid0(VALU_DEP_1) | instskip(NEXT) | instid1(VALU_DEP_3)
	v_cvt_f32_i32_e32 v13, v14
	v_cvt_f32_i32_e32 v14, v17
	s_delay_alu instid0(VALU_DEP_1) | instskip(NEXT) | instid1(VALU_DEP_1)
	v_mul_f32_e32 v14, v157, v14
	v_fma_mix_f32 v13, v126, v13, -v14 op_sel_hi:[1,0,0]
	s_delay_alu instid0(VALU_DEP_1)
	v_fmac_f32_e32 v199, v20, v13
	ds_load_2addr_b32 v[19:20], v125 offset0:192 offset1:224
	ds_load_b128 v[13:16], v124 offset:6144
	v_add_nc_u32_e32 v125, 4, v125
	s_waitcnt lgkmcnt(0)
	v_bfe_i32 v17, v13, 0, 8
	v_bfe_i32 v18, v13, 8, 8
	v_bfe_i32 v21, v13, 16, 8
	v_ashrrev_i32_e32 v30, 24, v13
	v_bfe_i32 v82, v14, 0, 8
	v_bfe_i32 v83, v14, 8, 8
	v_bfe_i32 v84, v14, 16, 8
	v_ashrrev_i32_e32 v85, 24, v14
	v_bfe_i32 v86, v15, 0, 8
	v_bfe_i32 v87, v15, 8, 8
	v_bfe_i32 v88, v15, 16, 8
	v_ashrrev_i32_e32 v89, 24, v15
	v_bfe_i32 v90, v16, 0, 8
	v_bfe_i32 v91, v16, 8, 8
	v_bfe_i32 v92, v16, 16, 8
	v_ashrrev_i32_e32 v93, 24, v16
	ds_load_b128 v[13:16], v124 offset:6160
	v_mul_i32_i24_e32 v117, v84, v10
	v_mul_i32_i24_e32 v123, v85, v12
	s_waitcnt lgkmcnt(0)
	v_ashrrev_i32_e32 v97, 24, v13
	v_ashrrev_i32_e32 v101, 24, v14
	v_bfe_i32 v94, v13, 0, 8
	v_bfe_i32 v95, v13, 8, 8
	;; [unrolled: 1-line block ×4, first 2 shown]
	v_ashrrev_i32_e32 v105, 24, v15
	v_bfe_i32 v106, v16, 0, 8
	v_bfe_i32 v107, v16, 8, 8
	;; [unrolled: 1-line block ×3, first 2 shown]
	v_ashrrev_i32_e32 v16, 24, v16
	v_add_nc_u32_e32 v13, v101, v97
	v_bfe_i32 v99, v14, 8, 8
	v_bfe_i32 v104, v15, 16, 8
	;; [unrolled: 1-line block ×4, first 2 shown]
	v_add3_u32 v109, v13, v105, v16
	v_add_nc_u32_e32 v13, v100, v96
	v_bfe_i32 v102, v15, 0, 8
	v_mul_i32_i24_e32 v14, v21, v6
	v_mul_i32_i24_e32 v15, v30, v9
	;; [unrolled: 1-line block ×3, first 2 shown]
	v_add3_u32 v110, v13, v104, v108
	v_add_nc_u32_e32 v13, v99, v95
	s_delay_alu instid0(VALU_DEP_1) | instskip(SKIP_1) | instid1(VALU_DEP_1)
	v_add3_u32 v111, v13, v103, v107
	v_add_nc_u32_e32 v13, v98, v94
	v_add3_u32 v112, v13, v102, v106
	v_add_nc_u32_e32 v13, v85, v30
	s_delay_alu instid0(VALU_DEP_1) | instskip(SKIP_1) | instid1(VALU_DEP_1)
	v_add3_u32 v113, v13, v89, v93
	v_add_nc_u32_e32 v13, v84, v21
	v_add3_u32 v114, v13, v88, v92
	v_add_nc_u32_e32 v13, v83, v18
	s_delay_alu instid0(VALU_DEP_2) | instskip(NEXT) | instid1(VALU_DEP_2)
	v_mul_i32_i24_e32 v128, v114, v50
	v_add3_u32 v115, v13, v87, v91
	v_add_nc_u32_e32 v13, v82, v17
	s_delay_alu instid0(VALU_DEP_2) | instskip(NEXT) | instid1(VALU_DEP_2)
	v_mul_i32_i24_e32 v152, v115, v49
	v_add3_u32 v116, v13, v86, v90
	v_mul_i32_i24_e32 v13, v17, v5
	s_delay_alu instid0(VALU_DEP_2) | instskip(NEXT) | instid1(VALU_DEP_2)
	v_mul_i32_i24_e32 v153, v116, v195
	v_mad_i32_i24 v13, v18, v3, v13
	s_delay_alu instid0(VALU_DEP_2) | instskip(NEXT) | instid1(VALU_DEP_2)
	v_mad_i32_i24 v153, v113, v201, v153
	v_add3_u32 v13, v13, v14, v15
	v_mul_i32_i24_e32 v14, v82, v7
	v_mul_i32_i24_e32 v15, v83, v8
	s_delay_alu instid0(VALU_DEP_4) | instskip(SKIP_2) | instid1(VALU_DEP_4)
	v_add3_u32 v128, v153, v128, v152
	v_mul_i32_i24_e32 v153, v116, v151
	v_mul_i32_i24_e32 v152, v115, v222
	v_add3_u32 v13, v13, v14, v15
	v_mul_i32_i24_e32 v14, v86, v11
	v_mul_i32_i24_e32 v15, v87, v39
	v_mad_i32_i24 v153, v113, v155, v153
	s_delay_alu instid0(VALU_DEP_4) | instskip(SKIP_2) | instid1(VALU_DEP_3)
	v_add3_u32 v13, v13, v117, v123
	v_mul_i32_i24_e32 v117, v88, v51
	v_mul_i32_i24_e32 v123, v89, v54
	v_add3_u32 v13, v13, v14, v15
	v_mul_i32_i24_e32 v14, v90, v53
	v_mul_i32_i24_e32 v15, v91, v56
	s_delay_alu instid0(VALU_DEP_3) | instskip(SKIP_2) | instid1(VALU_DEP_3)
	v_add3_u32 v13, v13, v117, v123
	v_mul_i32_i24_e32 v117, v92, v57
	v_mul_i32_i24_e32 v123, v93, v58
	v_add3_u32 v13, v13, v14, v15
	v_mul_i32_i24_e32 v14, v94, v69
	v_mul_i32_i24_e32 v15, v96, v71
	s_delay_alu instid0(VALU_DEP_3) | instskip(SKIP_1) | instid1(VALU_DEP_4)
	v_add3_u32 v13, v13, v117, v123
	v_mul_i32_i24_e32 v117, v97, v75
	v_mad_i32_i24 v14, v95, v61, v14
	v_mul_i32_i24_e32 v123, v100, v76
	s_delay_alu instid0(VALU_DEP_4) | instskip(NEXT) | instid1(VALU_DEP_3)
	v_mul_lo_u32 v13, v13, v60
	v_add3_u32 v14, v14, v15, v117
	v_mul_i32_i24_e32 v15, v98, v72
	v_mul_i32_i24_e32 v117, v99, v73
	s_delay_alu instid0(VALU_DEP_1) | instskip(SKIP_2) | instid1(VALU_DEP_3)
	v_add3_u32 v14, v14, v15, v117
	v_mul_i32_i24_e32 v15, v102, v78
	v_mul_i32_i24_e32 v117, v103, v80
	v_add3_u32 v14, v14, v123, v127
	v_mul_i32_i24_e32 v123, v104, v81
	v_mul_i32_i24_e32 v127, v105, v119
	s_delay_alu instid0(VALU_DEP_3) | instskip(SKIP_2) | instid1(VALU_DEP_3)
	v_add3_u32 v14, v14, v15, v117
	v_mul_i32_i24_e32 v15, v106, v118
	v_mul_i32_i24_e32 v117, v107, v120
	v_add3_u32 v14, v14, v123, v127
	v_mul_i32_i24_e32 v123, v108, v121
	v_mul_i32_i24_e32 v127, v16, v122
	s_delay_alu instid0(VALU_DEP_3) | instskip(SKIP_1) | instid1(VALU_DEP_2)
	v_add3_u32 v14, v14, v15, v117
	v_mul_i32_i24_e32 v15, v110, v2
	v_add3_u32 v117, v14, v123, v127
	v_mul_i32_i24_e32 v14, v109, v4
	v_mul_i32_i24_e32 v127, v112, v0
	v_mul_i32_i24_e32 v123, v111, v1
	s_delay_alu instid0(VALU_DEP_2) | instskip(SKIP_2) | instid1(VALU_DEP_3)
	v_add3_u32 v14, v128, v127, v14
	v_mul_i32_i24_e32 v127, v101, v247
	v_mul_i32_i24_e32 v128, v114, v223
	v_add3_u32 v123, v14, v15, v123
	v_mad_u64_u32 v[14:15], null, v117, v29, v[13:14]
	v_mul_i32_i24_e32 v15, v30, v228
	v_mul_i32_i24_e32 v117, v84, v229
	v_add3_u32 v128, v153, v128, v152
	v_mul_i32_i24_e32 v153, v116, v132
	v_mul_i32_i24_e32 v152, v115, v177
	v_cvt_f32_i32_e32 v13, v14
	v_cvt_f32_i32_e32 v14, v123
	v_mul_i32_i24_e32 v123, v85, v231
	v_mad_i32_i24 v153, v113, v166, v153
	s_delay_alu instid0(VALU_DEP_3) | instskip(NEXT) | instid1(VALU_DEP_1)
	v_mul_f32_e32 v14, v41, v14
	v_fma_mix_f32 v13, v182, v13, -v14 op_sel_hi:[1,0,0]
	v_mul_i32_i24_e32 v14, v21, v225
	s_delay_alu instid0(VALU_DEP_2) | instskip(SKIP_1) | instid1(VALU_DEP_1)
	v_fmac_f32_e32 v184, v19, v13
	v_mul_i32_i24_e32 v13, v17, v224
	v_mad_i32_i24 v13, v18, v46, v13
	s_delay_alu instid0(VALU_DEP_1) | instskip(SKIP_2) | instid1(VALU_DEP_1)
	v_add3_u32 v13, v13, v14, v15
	v_mul_i32_i24_e32 v14, v82, v226
	v_mul_i32_i24_e32 v15, v83, v227
	v_add3_u32 v13, v13, v14, v15
	v_mul_i32_i24_e32 v14, v86, v230
	v_mul_i32_i24_e32 v15, v87, v232
	s_delay_alu instid0(VALU_DEP_3) | instskip(SKIP_2) | instid1(VALU_DEP_3)
	v_add3_u32 v13, v13, v117, v123
	v_mul_i32_i24_e32 v117, v88, v233
	v_mul_i32_i24_e32 v123, v89, v235
	v_add3_u32 v13, v13, v14, v15
	v_mul_i32_i24_e32 v14, v90, v234
	v_mul_i32_i24_e32 v15, v91, v67
	s_delay_alu instid0(VALU_DEP_3) | instskip(SKIP_2) | instid1(VALU_DEP_3)
	v_add3_u32 v13, v13, v117, v123
	v_mul_i32_i24_e32 v117, v92, v236
	v_mul_i32_i24_e32 v123, v93, v237
	v_add3_u32 v13, v13, v14, v15
	v_mul_i32_i24_e32 v14, v94, v70
	v_mul_i32_i24_e32 v15, v96, v241
	s_delay_alu instid0(VALU_DEP_3) | instskip(SKIP_1) | instid1(VALU_DEP_4)
	v_add3_u32 v13, v13, v117, v123
	v_mul_i32_i24_e32 v117, v97, v244
	v_mad_i32_i24 v14, v95, v240, v14
	v_mul_i32_i24_e32 v123, v100, v245
	s_delay_alu instid0(VALU_DEP_4) | instskip(NEXT) | instid1(VALU_DEP_3)
	v_mul_lo_u32 v13, v13, v239
	v_add3_u32 v14, v14, v15, v117
	v_mul_i32_i24_e32 v15, v98, v242
	v_mul_i32_i24_e32 v117, v99, v243
	s_delay_alu instid0(VALU_DEP_1) | instskip(SKIP_2) | instid1(VALU_DEP_3)
	v_add3_u32 v14, v14, v15, v117
	v_mul_i32_i24_e32 v15, v102, v246
	v_mul_i32_i24_e32 v117, v103, v248
	v_add3_u32 v14, v14, v123, v127
	v_mul_i32_i24_e32 v123, v104, v249
	v_mul_i32_i24_e32 v127, v105, v251
	s_delay_alu instid0(VALU_DEP_3) | instskip(SKIP_2) | instid1(VALU_DEP_3)
	v_add3_u32 v14, v14, v15, v117
	v_mul_i32_i24_e32 v15, v106, v250
	v_mul_i32_i24_e32 v117, v107, v252
	v_add3_u32 v14, v14, v123, v127
	v_mul_i32_i24_e32 v123, v108, v254
	v_mul_i32_i24_e32 v127, v16, v74
	s_delay_alu instid0(VALU_DEP_3) | instskip(SKIP_1) | instid1(VALU_DEP_2)
	v_add3_u32 v14, v14, v15, v117
	v_mul_i32_i24_e32 v15, v110, v45
	v_add3_u32 v117, v14, v123, v127
	v_mul_i32_i24_e32 v14, v109, v47
	v_mul_i32_i24_e32 v127, v112, v42
	;; [unrolled: 1-line block ×3, first 2 shown]
	s_delay_alu instid0(VALU_DEP_2) | instskip(SKIP_2) | instid1(VALU_DEP_3)
	v_add3_u32 v14, v128, v127, v14
	v_mul_i32_i24_e32 v127, v101, v213
	v_mul_i32_i24_e32 v128, v114, v178
	v_add3_u32 v123, v14, v15, v123
	v_mad_u64_u32 v[14:15], null, v117, v25, v[13:14]
	v_mul_i32_i24_e32 v15, v30, v191
	v_mul_i32_i24_e32 v117, v84, v192
	v_add3_u32 v128, v153, v128, v152
	scratch_load_b32 v152, off, off offset:48 ; 4-byte Folded Reload
	v_cvt_f32_i32_e32 v13, v14
	v_cvt_f32_i32_e32 v14, v123
	v_mul_i32_i24_e32 v123, v85, v194
	s_delay_alu instid0(VALU_DEP_2) | instskip(NEXT) | instid1(VALU_DEP_1)
	v_mul_f32_e32 v14, v180, v14
	v_fma_mix_f32 v13, v138, v13, -v14 op_sel_hi:[1,0,0]
	v_mul_i32_i24_e32 v14, v21, v188
	s_delay_alu instid0(VALU_DEP_2) | instskip(SKIP_1) | instid1(VALU_DEP_1)
	v_fmac_f32_e32 v27, v19, v13
	v_mul_i32_i24_e32 v13, v17, v187
	v_mad_i32_i24 v13, v18, v185, v13
	s_delay_alu instid0(VALU_DEP_1) | instskip(SKIP_2) | instid1(VALU_DEP_1)
	v_add3_u32 v13, v13, v14, v15
	v_mul_i32_i24_e32 v14, v82, v189
	v_mul_i32_i24_e32 v15, v83, v190
	v_add3_u32 v13, v13, v14, v15
	v_mul_i32_i24_e32 v14, v86, v193
	v_mul_i32_i24_e32 v15, v87, v196
	s_delay_alu instid0(VALU_DEP_3) | instskip(SKIP_2) | instid1(VALU_DEP_3)
	v_add3_u32 v13, v13, v117, v123
	v_mul_i32_i24_e32 v117, v88, v197
	v_mul_i32_i24_e32 v123, v89, v32
	v_add3_u32 v13, v13, v14, v15
	v_mul_i32_i24_e32 v14, v90, v198
	v_mul_i32_i24_e32 v15, v91, v200
	s_delay_alu instid0(VALU_DEP_3) | instskip(SKIP_2) | instid1(VALU_DEP_3)
	v_add3_u32 v13, v13, v117, v123
	v_mul_i32_i24_e32 v117, v92, v202
	v_mul_i32_i24_e32 v123, v93, v203
	v_add3_u32 v13, v13, v14, v15
	v_mul_i32_i24_e32 v14, v94, v206
	v_mul_i32_i24_e32 v15, v96, v207
	s_delay_alu instid0(VALU_DEP_3) | instskip(SKIP_1) | instid1(VALU_DEP_4)
	v_add3_u32 v13, v13, v117, v123
	v_mul_i32_i24_e32 v117, v97, v36
	v_mad_i32_i24 v14, v95, v35, v14
	v_mul_i32_i24_e32 v123, v100, v211
	s_delay_alu instid0(VALU_DEP_4) | instskip(NEXT) | instid1(VALU_DEP_3)
	v_mul_lo_u32 v13, v13, v34
	v_add3_u32 v14, v14, v15, v117
	v_mul_i32_i24_e32 v15, v98, v208
	v_mul_i32_i24_e32 v117, v99, v209
	s_delay_alu instid0(VALU_DEP_1) | instskip(SKIP_2) | instid1(VALU_DEP_3)
	v_add3_u32 v14, v14, v15, v117
	v_mul_i32_i24_e32 v15, v102, v212
	v_mul_i32_i24_e32 v117, v103, v214
	v_add3_u32 v14, v14, v123, v127
	v_mul_i32_i24_e32 v123, v104, v215
	v_mul_i32_i24_e32 v127, v105, v217
	s_delay_alu instid0(VALU_DEP_3) | instskip(SKIP_2) | instid1(VALU_DEP_3)
	v_add3_u32 v14, v14, v15, v117
	v_mul_i32_i24_e32 v15, v106, v216
	v_mul_i32_i24_e32 v117, v107, v218
	v_add3_u32 v14, v14, v123, v127
	v_mul_i32_i24_e32 v123, v108, v219
	v_mul_i32_i24_e32 v127, v16, v220
	;; [unrolled: 1-line block ×3, first 2 shown]
	s_delay_alu instid0(VALU_DEP_4) | instskip(SKIP_1) | instid1(VALU_DEP_2)
	v_add3_u32 v14, v14, v15, v117
	v_mul_i32_i24_e32 v15, v110, v31
	v_add3_u32 v117, v14, v123, v127
	v_mul_i32_i24_e32 v14, v109, v186
	v_mul_i32_i24_e32 v127, v112, v183
	;; [unrolled: 1-line block ×3, first 2 shown]
	s_delay_alu instid0(VALU_DEP_2)
	v_add3_u32 v14, v128, v127, v14
	scratch_load_b32 v127, off, off offset:16 ; 4-byte Folded Reload
	v_add3_u32 v123, v14, v15, v123
	v_mad_u64_u32 v[14:15], null, v117, v136, v[13:14]
	v_mul_i32_i24_e32 v15, v30, v148
	v_mul_i32_i24_e32 v30, v115, v24
	s_delay_alu instid0(VALU_DEP_3) | instskip(SKIP_1) | instid1(VALU_DEP_1)
	v_cvt_f32_i32_e32 v13, v14
	v_cvt_f32_i32_e32 v14, v123
	v_mul_f32_e32 v14, v137, v14
	s_delay_alu instid0(VALU_DEP_1) | instskip(SKIP_3) | instid1(VALU_DEP_3)
	v_fma_mix_f32 v13, v131, v13, -v14 op_sel_hi:[1,0,0]
	v_mul_i32_i24_e32 v14, v21, v145
	v_mul_i32_i24_e32 v21, v101, v168
	s_waitcnt vmcnt(0)
	v_fmac_f32_e32 v127, v19, v13
	v_mul_i32_i24_e32 v13, v17, v144
	v_mul_i32_i24_e32 v17, v84, v149
	s_delay_alu instid0(VALU_DEP_2) | instskip(SKIP_1) | instid1(VALU_DEP_2)
	v_mad_i32_i24 v13, v18, v22, v13
	v_mul_i32_i24_e32 v18, v85, v146
	v_add3_u32 v13, v13, v14, v15
	v_mul_i32_i24_e32 v14, v82, v23
	v_mul_i32_i24_e32 v15, v83, v147
	;; [unrolled: 1-line block ×3, first 2 shown]
	s_delay_alu instid0(VALU_DEP_2) | instskip(SKIP_2) | instid1(VALU_DEP_4)
	v_add3_u32 v13, v13, v14, v15
	v_mul_i32_i24_e32 v14, v86, v150
	v_mul_i32_i24_e32 v15, v87, v142
	v_mad_i32_i24 v82, v113, v163, v82
	s_delay_alu instid0(VALU_DEP_4) | instskip(SKIP_2) | instid1(VALU_DEP_3)
	v_add3_u32 v13, v13, v17, v18
	v_mul_i32_i24_e32 v17, v88, v140
	v_mul_i32_i24_e32 v18, v89, v135
	v_add3_u32 v13, v13, v14, v15
	v_mul_i32_i24_e32 v14, v90, v154
	v_mul_i32_i24_e32 v15, v91, v156
	s_delay_alu instid0(VALU_DEP_3) | instskip(SKIP_2) | instid1(VALU_DEP_3)
	v_add3_u32 v13, v13, v17, v18
	v_mul_i32_i24_e32 v17, v92, v134
	v_mul_i32_i24_e32 v18, v93, v159
	v_add3_u32 v13, v13, v14, v15
	v_mul_i32_i24_e32 v14, v94, v161
	v_mul_i32_i24_e32 v15, v96, v133
	s_delay_alu instid0(VALU_DEP_3) | instskip(SKIP_1) | instid1(VALU_DEP_4)
	v_add3_u32 v13, v13, v17, v18
	v_mul_i32_i24_e32 v17, v97, v129
	v_mad_i32_i24 v14, v95, v162, v14
	v_mul_i32_i24_e32 v18, v100, v167
	s_delay_alu instid0(VALU_DEP_4) | instskip(NEXT) | instid1(VALU_DEP_3)
	v_mul_lo_u32 v13, v13, v160
	v_add3_u32 v14, v14, v15, v17
	v_mul_i32_i24_e32 v15, v98, v165
	v_mul_i32_i24_e32 v17, v99, v164
	ds_load_b128 v[97:100], v124 offset:7184
	v_add3_u32 v14, v14, v15, v17
	v_mul_i32_i24_e32 v15, v102, v169
	v_mul_i32_i24_e32 v17, v103, v170
	s_delay_alu instid0(VALU_DEP_3)
	v_add3_u32 v14, v14, v18, v21
	v_mul_i32_i24_e32 v18, v104, v171
	scratch_load_b32 v104, off, off offset:12 ; 4-byte Folded Reload
	v_mul_i32_i24_e32 v21, v105, v173
	v_add3_u32 v14, v14, v15, v17
	v_mul_i32_i24_e32 v15, v106, v172
	v_mul_i32_i24_e32 v17, v107, v174
	s_delay_alu instid0(VALU_DEP_3)
	v_add3_u32 v14, v14, v18, v21
	v_mul_i32_i24_e32 v18, v108, v175
	v_mul_i32_i24_e32 v21, v114, v181
	s_waitcnt lgkmcnt(0)
	v_bfe_i32 v123, v97, 8, 8
	v_ashrrev_i32_e32 v115, 24, v97
	v_add3_u32 v14, v14, v15, v17
	v_mul_i32_i24_e32 v15, v110, v141
	v_add3_u32 v21, v82, v21, v30
	v_mul_i32_i24_e32 v17, v111, v26
	v_bfe_i32 v111, v97, 0, 8
	v_add3_u32 v16, v14, v18, v16
	v_mul_i32_i24_e32 v14, v109, v143
	v_mul_i32_i24_e32 v18, v112, v139
	v_bfe_i32 v112, v97, 16, 8
	v_bfe_i32 v109, v98, 16, 8
	v_ashrrev_i32_e32 v110, 24, v98
	v_bfe_i32 v30, v99, 0, 8
	v_add3_u32 v14, v21, v18, v14
	v_ashrrev_i32_e32 v113, 24, v99
	v_ashrrev_i32_e32 v116, 24, v100
	v_bfe_i32 v108, v99, 16, 8
	v_bfe_i32 v97, v100, 16, 8
	v_add3_u32 v17, v14, v15, v17
	v_mad_u64_u32 v[14:15], null, v16, v158, v[13:14]
	v_bfe_i32 v95, v100, 0, 8
	v_bfe_i32 v96, v100, 8, 8
	s_delay_alu instid0(VALU_DEP_3) | instskip(SKIP_2) | instid1(VALU_DEP_2)
	v_cvt_f32_i32_e32 v13, v14
	v_cvt_f32_i32_e32 v14, v17
	v_bfe_i32 v17, v98, 8, 8
	v_mul_f32_e32 v14, v157, v14
	s_delay_alu instid0(VALU_DEP_1) | instskip(SKIP_1) | instid1(VALU_DEP_1)
	v_fma_mix_f32 v13, v126, v13, -v14 op_sel_hi:[1,0,0]
	s_waitcnt vmcnt(0)
	v_fmac_f32_e32 v104, v19, v13
	ds_load_b128 v[13:16], v124 offset:7168
	v_add_nc_u32_e32 v124, 32, v124
	s_waitcnt lgkmcnt(0)
	v_bfe_i32 v92, v13, 0, 8
	v_bfe_i32 v87, v13, 8, 8
	;; [unrolled: 1-line block ×3, first 2 shown]
	v_ashrrev_i32_e32 v94, 24, v13
	v_bfe_i32 v88, v14, 0, 8
	v_mul_i32_i24_e32 v5, v92, v5
	v_bfe_i32 v89, v14, 8, 8
	v_mul_i32_i24_e32 v6, v93, v6
	v_mul_i32_i24_e32 v9, v94, v9
	v_bfe_i32 v90, v14, 16, 8
	v_mad_i32_i24 v3, v87, v3, v5
	v_ashrrev_i32_e32 v91, 24, v14
	v_mul_i32_i24_e32 v5, v88, v7
	v_bfe_i32 v83, v15, 0, 8
	v_bfe_i32 v84, v15, 8, 8
	v_add3_u32 v3, v3, v6, v9
	v_mul_i32_i24_e32 v6, v89, v8
	v_mul_i32_i24_e32 v7, v90, v10
	;; [unrolled: 1-line block ×3, first 2 shown]
	v_bfe_i32 v85, v15, 16, 8
	v_ashrrev_i32_e32 v86, 24, v15
	v_add3_u32 v3, v3, v5, v6
	v_mul_i32_i24_e32 v5, v83, v11
	v_mul_i32_i24_e32 v6, v84, v39
	v_bfe_i32 v14, v16, 0, 8
	v_bfe_i32 v15, v16, 8, 8
	v_add3_u32 v3, v3, v7, v8
	v_mul_i32_i24_e32 v7, v85, v51
	v_mul_i32_i24_e32 v8, v86, v54
	v_bfe_i32 v18, v16, 16, 8
	v_ashrrev_i32_e32 v82, 24, v16
	v_add3_u32 v3, v3, v5, v6
	v_add_nc_u32_e32 v19, v90, v93
	v_mul_i32_i24_e32 v5, v14, v53
	v_mul_i32_i24_e32 v6, v15, v56
	v_bfe_i32 v16, v98, 0, 8
	v_add3_u32 v3, v3, v7, v8
	v_add3_u32 v101, v19, v85, v18
	v_add_nc_u32_e32 v19, v89, v87
	v_mul_i32_i24_e32 v7, v18, v57
	v_mul_i32_i24_e32 v8, v82, v58
	v_add3_u32 v3, v3, v5, v6
	v_mul_i32_i24_e32 v5, v112, v71
	v_add3_u32 v102, v19, v84, v15
	v_add_nc_u32_e32 v19, v88, v92
	v_mul_i32_i24_e32 v6, v115, v75
	v_add3_u32 v3, v3, v7, v8
	v_bfe_i32 v98, v99, 8, 8
	s_clause 0x1
	scratch_load_b32 v57, off, off offset:20
	scratch_load_b32 v58, off, off offset:24
	v_add3_u32 v103, v19, v83, v14
	v_mul_lo_u32 v19, v3, v60
	scratch_load_b32 v60, off, off offset:28 ; 4-byte Folded Reload
	v_mul_i32_i24_e32 v3, v111, v69
	v_mul_i32_i24_e32 v8, v110, v79
	scratch_load_b32 v79, off, off offset:4 ; 4-byte Folded Reload
	v_add_nc_u32_e32 v13, v110, v115
	v_mul_i32_i24_e32 v7, v109, v76
	v_mad_i32_i24 v3, v123, v61, v3
	s_delay_alu instid0(VALU_DEP_3) | instskip(SKIP_1) | instid1(VALU_DEP_3)
	v_add3_u32 v114, v13, v113, v116
	v_add_nc_u32_e32 v13, v109, v112
	v_add3_u32 v3, v3, v5, v6
	v_mul_i32_i24_e32 v5, v16, v72
	v_mul_i32_i24_e32 v6, v17, v73
	;; [unrolled: 1-line block ×3, first 2 shown]
	v_add3_u32 v117, v13, v108, v97
	v_add_nc_u32_e32 v13, v17, v123
	s_delay_alu instid0(VALU_DEP_4)
	v_add3_u32 v3, v3, v5, v6
	v_mul_i32_i24_e32 v6, v98, v80
	scratch_load_b32 v80, off, off offset:8 ; 4-byte Folded Reload
	v_mul_i32_i24_e32 v5, v30, v78
	v_add3_u32 v99, v13, v98, v96
	v_add3_u32 v3, v3, v7, v8
	v_mul_i32_i24_e32 v7, v108, v81
	v_mul_i32_i24_e32 v8, v113, v119
	v_add_nc_u32_e32 v13, v16, v111
	v_mul_i32_i24_e32 v2, v117, v2
	v_add3_u32 v3, v3, v5, v6
	v_mul_i32_i24_e32 v5, v95, v118
	v_mul_i32_i24_e32 v6, v96, v120
	v_add3_u32 v100, v13, v30, v95
	v_add_nc_u32_e32 v13, v91, v94
	v_add3_u32 v3, v3, v7, v8
	v_mul_i32_i24_e32 v7, v97, v121
	v_mul_i32_i24_e32 v8, v116, v122
	;; [unrolled: 1-line block ×3, first 2 shown]
	v_add3_u32 v13, v13, v86, v82
	v_add3_u32 v3, v3, v5, v6
	v_mul_i32_i24_e32 v5, v101, v50
	v_mul_i32_i24_e32 v6, v102, v49
	v_mul_i32_i24_e32 v1, v99, v1
	s_delay_alu instid0(VALU_DEP_4) | instskip(SKIP_2) | instid1(VALU_DEP_2)
	v_add3_u32 v3, v3, v7, v8
	v_mul_i32_i24_e32 v7, v103, v195
	v_mul_i32_i24_e32 v8, v103, v151
	v_mad_i32_i24 v7, v13, v201, v7
	s_delay_alu instid0(VALU_DEP_2) | instskip(NEXT) | instid1(VALU_DEP_2)
	v_mad_i32_i24 v8, v13, v155, v8
	v_add3_u32 v5, v7, v5, v6
	v_mul_i32_i24_e32 v6, v101, v223
	v_mul_i32_i24_e32 v7, v102, v222
	s_delay_alu instid0(VALU_DEP_3) | instskip(SKIP_2) | instid1(VALU_DEP_4)
	v_add3_u32 v0, v5, v0, v4
	v_mul_i32_i24_e32 v4, v91, v231
	v_mul_i32_i24_e32 v5, v110, v247
	v_add3_u32 v6, v8, v6, v7
	v_mul_i32_i24_e32 v8, v103, v132
	v_add3_u32 v2, v0, v2, v1
	v_mad_u64_u32 v[0:1], null, v3, v29, v[19:20]
	v_mul_i32_i24_e32 v3, v90, v229
	v_mul_i32_i24_e32 v7, v102, v177
	s_delay_alu instid0(VALU_DEP_4) | instskip(SKIP_3) | instid1(VALU_DEP_4)
	v_cvt_f32_i32_e32 v1, v2
	v_mul_i32_i24_e32 v2, v94, v228
	v_mad_i32_i24 v8, v13, v166, v8
	v_cvt_f32_i32_e32 v0, v0
	v_mul_f32_e32 v1, v41, v1
	s_delay_alu instid0(VALU_DEP_1) | instskip(SKIP_2) | instid1(VALU_DEP_2)
	v_fma_mix_f32 v0, v182, v0, -v1 op_sel_hi:[1,0,0]
	v_mul_i32_i24_e32 v1, v93, v225
	s_waitcnt vmcnt(0)
	v_fmac_f32_e32 v80, v20, v0
	v_mul_i32_i24_e32 v0, v92, v224
	s_delay_alu instid0(VALU_DEP_1) | instskip(NEXT) | instid1(VALU_DEP_1)
	v_mad_i32_i24 v0, v87, v46, v0
	v_add3_u32 v0, v0, v1, v2
	v_mul_i32_i24_e32 v1, v88, v226
	v_mul_i32_i24_e32 v2, v89, v227
	s_delay_alu instid0(VALU_DEP_1) | instskip(SKIP_2) | instid1(VALU_DEP_3)
	v_add3_u32 v0, v0, v1, v2
	v_mul_i32_i24_e32 v1, v83, v230
	v_mul_i32_i24_e32 v2, v84, v232
	v_add3_u32 v0, v0, v3, v4
	v_mul_i32_i24_e32 v3, v85, v233
	v_mul_i32_i24_e32 v4, v86, v235
	s_delay_alu instid0(VALU_DEP_3) | instskip(SKIP_2) | instid1(VALU_DEP_3)
	v_add3_u32 v0, v0, v1, v2
	v_mul_i32_i24_e32 v1, v14, v234
	v_mul_i32_i24_e32 v2, v15, v67
	v_add3_u32 v0, v0, v3, v4
	v_mul_i32_i24_e32 v3, v18, v236
	v_mul_i32_i24_e32 v4, v82, v237
	s_delay_alu instid0(VALU_DEP_3) | instskip(SKIP_2) | instid1(VALU_DEP_3)
	v_add3_u32 v0, v0, v1, v2
	v_mul_i32_i24_e32 v1, v111, v70
	v_mul_i32_i24_e32 v2, v112, v241
	v_add3_u32 v0, v0, v3, v4
	v_mul_i32_i24_e32 v3, v115, v244
	s_delay_alu instid0(VALU_DEP_4) | instskip(SKIP_1) | instid1(VALU_DEP_4)
	v_mad_i32_i24 v1, v123, v240, v1
	v_mul_i32_i24_e32 v4, v109, v245
	v_mul_lo_u32 v0, v0, v239
	s_delay_alu instid0(VALU_DEP_3) | instskip(SKIP_2) | instid1(VALU_DEP_1)
	v_add3_u32 v1, v1, v2, v3
	v_mul_i32_i24_e32 v2, v16, v242
	v_mul_i32_i24_e32 v3, v17, v243
	v_add3_u32 v1, v1, v2, v3
	v_mul_i32_i24_e32 v2, v30, v246
	v_mul_i32_i24_e32 v3, v98, v248
	s_delay_alu instid0(VALU_DEP_3) | instskip(SKIP_2) | instid1(VALU_DEP_3)
	v_add3_u32 v1, v1, v4, v5
	v_mul_i32_i24_e32 v4, v108, v249
	v_mul_i32_i24_e32 v5, v113, v251
	v_add3_u32 v1, v1, v2, v3
	v_mul_i32_i24_e32 v2, v95, v250
	v_mul_i32_i24_e32 v3, v96, v252
	s_delay_alu instid0(VALU_DEP_3) | instskip(SKIP_2) | instid1(VALU_DEP_3)
	v_add3_u32 v1, v1, v4, v5
	v_mul_i32_i24_e32 v4, v97, v254
	v_mul_i32_i24_e32 v5, v116, v74
	v_add3_u32 v1, v1, v2, v3
	v_mul_i32_i24_e32 v2, v117, v45
	s_delay_alu instid0(VALU_DEP_2) | instskip(SKIP_3) | instid1(VALU_DEP_2)
	v_add3_u32 v3, v1, v4, v5
	v_mul_i32_i24_e32 v1, v114, v47
	v_mul_i32_i24_e32 v5, v100, v42
	;; [unrolled: 1-line block ×3, first 2 shown]
	v_add3_u32 v1, v6, v5, v1
	v_mul_i32_i24_e32 v5, v110, v213
	v_mul_i32_i24_e32 v6, v101, v178
	s_delay_alu instid0(VALU_DEP_3)
	v_add3_u32 v4, v1, v2, v4
	v_mad_u64_u32 v[1:2], null, v3, v25, v[0:1]
	scratch_load_b32 v25, off, off          ; 4-byte Folded Reload
	v_mul_i32_i24_e32 v2, v94, v191
	v_mul_i32_i24_e32 v3, v90, v192
	v_add3_u32 v6, v8, v6, v7
	v_mul_i32_i24_e32 v7, v103, v130
	v_cvt_f32_i32_e32 v0, v1
	v_cvt_f32_i32_e32 v1, v4
	v_mul_i32_i24_e32 v4, v91, v194
	s_delay_alu instid0(VALU_DEP_4) | instskip(NEXT) | instid1(VALU_DEP_3)
	v_mad_i32_i24 v7, v13, v163, v7
	v_mul_f32_e32 v1, v180, v1
	s_delay_alu instid0(VALU_DEP_1) | instskip(SKIP_1) | instid1(VALU_DEP_2)
	v_fma_mix_f32 v0, v138, v0, -v1 op_sel_hi:[1,0,0]
	v_mul_i32_i24_e32 v1, v93, v188
	v_fmac_f32_e32 v79, v20, v0
	v_mul_i32_i24_e32 v0, v92, v187
	s_delay_alu instid0(VALU_DEP_1) | instskip(NEXT) | instid1(VALU_DEP_1)
	v_mad_i32_i24 v0, v87, v185, v0
	v_add3_u32 v0, v0, v1, v2
	v_mul_i32_i24_e32 v1, v88, v189
	v_mul_i32_i24_e32 v2, v89, v190
	s_delay_alu instid0(VALU_DEP_1) | instskip(SKIP_2) | instid1(VALU_DEP_3)
	v_add3_u32 v0, v0, v1, v2
	v_mul_i32_i24_e32 v1, v83, v193
	v_mul_i32_i24_e32 v2, v84, v196
	v_add3_u32 v0, v0, v3, v4
	v_mul_i32_i24_e32 v3, v85, v197
	v_mul_i32_i24_e32 v4, v86, v32
	s_delay_alu instid0(VALU_DEP_3) | instskip(SKIP_2) | instid1(VALU_DEP_3)
	v_add3_u32 v0, v0, v1, v2
	v_mul_i32_i24_e32 v1, v14, v198
	v_mul_i32_i24_e32 v2, v15, v200
	v_add3_u32 v0, v0, v3, v4
	v_mul_i32_i24_e32 v3, v18, v202
	v_mul_i32_i24_e32 v4, v82, v203
	s_delay_alu instid0(VALU_DEP_3) | instskip(SKIP_2) | instid1(VALU_DEP_3)
	v_add3_u32 v0, v0, v1, v2
	v_mul_i32_i24_e32 v1, v111, v206
	v_mul_i32_i24_e32 v2, v112, v207
	v_add3_u32 v0, v0, v3, v4
	v_mul_i32_i24_e32 v3, v115, v36
	s_delay_alu instid0(VALU_DEP_4) | instskip(SKIP_1) | instid1(VALU_DEP_4)
	v_mad_i32_i24 v1, v123, v35, v1
	v_mul_i32_i24_e32 v4, v109, v211
	v_mul_lo_u32 v0, v0, v34
	s_delay_alu instid0(VALU_DEP_3) | instskip(SKIP_2) | instid1(VALU_DEP_1)
	v_add3_u32 v1, v1, v2, v3
	v_mul_i32_i24_e32 v2, v16, v208
	v_mul_i32_i24_e32 v3, v17, v209
	v_add3_u32 v1, v1, v2, v3
	v_mul_i32_i24_e32 v2, v30, v212
	v_mul_i32_i24_e32 v3, v98, v214
	s_delay_alu instid0(VALU_DEP_3) | instskip(SKIP_2) | instid1(VALU_DEP_3)
	v_add3_u32 v1, v1, v4, v5
	v_mul_i32_i24_e32 v4, v108, v215
	v_mul_i32_i24_e32 v5, v113, v217
	v_add3_u32 v1, v1, v2, v3
	v_mul_i32_i24_e32 v2, v95, v216
	v_mul_i32_i24_e32 v3, v96, v218
	s_delay_alu instid0(VALU_DEP_3) | instskip(SKIP_2) | instid1(VALU_DEP_3)
	v_add3_u32 v1, v1, v4, v5
	v_mul_i32_i24_e32 v4, v97, v219
	v_mul_i32_i24_e32 v5, v116, v220
	v_add3_u32 v1, v1, v2, v3
	v_mul_i32_i24_e32 v2, v117, v31
	s_delay_alu instid0(VALU_DEP_2) | instskip(SKIP_3) | instid1(VALU_DEP_2)
	v_add3_u32 v3, v1, v4, v5
	v_mul_i32_i24_e32 v1, v114, v186
	v_mul_i32_i24_e32 v5, v100, v183
	;; [unrolled: 1-line block ×3, first 2 shown]
	v_add3_u32 v1, v6, v5, v1
	v_mul_i32_i24_e32 v5, v101, v181
	v_mul_i32_i24_e32 v6, v102, v24
	s_delay_alu instid0(VALU_DEP_3)
	v_add3_u32 v4, v1, v2, v4
	v_mad_u64_u32 v[1:2], null, v3, v136, v[0:1]
	v_mul_i32_i24_e32 v2, v94, v148
	v_mul_i32_i24_e32 v3, v90, v149
	scratch_load_b32 v136, off, off offset:32 ; 4-byte Folded Reload
	v_add3_u32 v5, v7, v5, v6
	v_cvt_f32_i32_e32 v0, v1
	v_cvt_f32_i32_e32 v1, v4
	v_mul_i32_i24_e32 v4, v91, v146
	s_delay_alu instid0(VALU_DEP_2)
	v_mul_f32_e32 v1, v137, v1
	scratch_load_b32 v137, off, off offset:36 ; 4-byte Folded Reload
	v_fma_mix_f32 v0, v131, v0, -v1 op_sel_hi:[1,0,0]
	v_mul_i32_i24_e32 v1, v93, v145
	scratch_load_b32 v145, off, off offset:44 ; 4-byte Folded Reload
	s_waitcnt vmcnt(3)
	v_fmac_f32_e32 v25, v20, v0
	v_mul_i32_i24_e32 v0, v92, v144
	scratch_load_b32 v144, off, off offset:40 ; 4-byte Folded Reload
	v_mad_i32_i24 v0, v87, v22, v0
	s_delay_alu instid0(VALU_DEP_1) | instskip(SKIP_2) | instid1(VALU_DEP_1)
	v_add3_u32 v0, v0, v1, v2
	v_mul_i32_i24_e32 v1, v88, v23
	v_mul_i32_i24_e32 v2, v89, v147
	v_add3_u32 v0, v0, v1, v2
	v_mul_i32_i24_e32 v1, v83, v150
	v_mul_i32_i24_e32 v2, v84, v142
	s_delay_alu instid0(VALU_DEP_3) | instskip(SKIP_2) | instid1(VALU_DEP_3)
	v_add3_u32 v0, v0, v3, v4
	v_mul_i32_i24_e32 v3, v85, v140
	v_mul_i32_i24_e32 v4, v86, v135
	v_add3_u32 v0, v0, v1, v2
	v_mul_i32_i24_e32 v1, v14, v154
	scratch_load_b32 v154, off, off offset:52 ; 4-byte Folded Reload
	v_mul_i32_i24_e32 v2, v15, v156
	v_add3_u32 v0, v0, v3, v4
	v_mul_i32_i24_e32 v3, v18, v134
	v_mul_i32_i24_e32 v4, v82, v159
	s_delay_alu instid0(VALU_DEP_3) | instskip(SKIP_2) | instid1(VALU_DEP_3)
	v_add3_u32 v0, v0, v1, v2
	v_mul_i32_i24_e32 v1, v112, v133
	v_mul_i32_i24_e32 v2, v115, v129
	v_add3_u32 v0, v0, v3, v4
	v_mul_i32_i24_e32 v3, v109, v167
	v_mul_i32_i24_e32 v4, v110, v168
	s_delay_alu instid0(VALU_DEP_3) | instskip(SKIP_1) | instid1(VALU_DEP_1)
	v_mul_lo_u32 v19, v0, v160
	v_mul_i32_i24_e32 v0, v111, v161
	v_mad_i32_i24 v0, v123, v162, v0
	s_delay_alu instid0(VALU_DEP_1) | instskip(SKIP_2) | instid1(VALU_DEP_1)
	v_add3_u32 v0, v0, v1, v2
	v_mul_i32_i24_e32 v1, v16, v165
	v_mul_i32_i24_e32 v2, v17, v164
	v_add3_u32 v0, v0, v1, v2
	v_mul_i32_i24_e32 v1, v30, v169
	v_mul_i32_i24_e32 v2, v98, v170
	s_delay_alu instid0(VALU_DEP_3) | instskip(SKIP_2) | instid1(VALU_DEP_3)
	v_add3_u32 v0, v0, v3, v4
	v_mul_i32_i24_e32 v3, v108, v171
	v_mul_i32_i24_e32 v4, v113, v173
	v_add3_u32 v0, v0, v1, v2
	v_mul_i32_i24_e32 v1, v95, v172
	v_mul_i32_i24_e32 v2, v96, v174
	s_delay_alu instid0(VALU_DEP_3) | instskip(SKIP_2) | instid1(VALU_DEP_3)
	v_add3_u32 v0, v0, v3, v4
	v_mul_i32_i24_e32 v3, v97, v175
	v_mul_i32_i24_e32 v4, v116, v176
	v_add3_u32 v0, v0, v1, v2
	v_mul_i32_i24_e32 v1, v117, v141
	v_mul_i32_i24_e32 v2, v99, v26
	s_delay_alu instid0(VALU_DEP_3) | instskip(SKIP_2) | instid1(VALU_DEP_1)
	v_add3_u32 v0, v0, v3, v4
	v_mul_i32_i24_e32 v3, v114, v143
	v_mul_i32_i24_e32 v4, v100, v139
	v_add3_u32 v3, v5, v4, v3
	s_delay_alu instid0(VALU_DEP_1) | instskip(SKIP_1) | instid1(VALU_DEP_2)
	v_add3_u32 v1, v3, v1, v2
	v_mad_u64_u32 v[2:3], null, v0, v158, v[19:20]
	v_cvt_f32_i32_e32 v1, v1
	s_delay_alu instid0(VALU_DEP_2) | instskip(NEXT) | instid1(VALU_DEP_2)
	v_cvt_f32_i32_e32 v0, v2
	v_mul_f32_e32 v1, v157, v1
	s_delay_alu instid0(VALU_DEP_1) | instskip(NEXT) | instid1(VALU_DEP_1)
	v_fma_mix_f32 v0, v126, v0, -v1 op_sel_hi:[1,0,0]
	v_fmac_f32_e32 v179, v20, v0
	s_cbranch_scc1 .LBB128_10
; %bb.11:                               ;   in Loop: Header=BB128_8 Depth=2
	scratch_load_b32 v0, off, off offset:120 ; 4-byte Folded Reload
	s_waitcnt vmcnt(0)
	s_waitcnt_vscnt null, 0x0
	s_barrier
	buffer_gl0_inv
	v_dual_mov_b32 v166, v104 :: v_dual_mov_b32 v239, v238
	v_dual_mov_b32 v194, v221 :: v_dual_mov_b32 v233, v64
	v_mov_b32_e32 v222, v37
	v_dual_mov_b32 v224, v40 :: v_dual_mov_b32 v31, v77
	v_mov_b32_e32 v228, v52
	v_mov_b32_e32 v230, v59
	;; [unrolled: 1-line block ×7, first 2 shown]
	s_add_i32 s14, s14, 2
	scratch_load_b64 v[19:20], off, off offset:124 ; 8-byte Folded Reload
	s_lshl_b32 s17, s14, 3
	v_mov_b32_e32 v169, v127
	v_mov_b32_e32 v197, v199
	;; [unrolled: 1-line block ×10, first 2 shown]
	v_lshl_add_u32 v0, s16, 5, v0
	s_delay_alu instid0(VALU_DEP_1) | instskip(NEXT) | instid1(VALU_DEP_1)
	v_lshrrev_b32_e32 v0, 3, v0
	v_add_nc_u32_e32 v12, s7, v0
	scratch_load_b32 v0, off, off offset:116 ; 4-byte Folded Reload
	s_waitcnt vmcnt(0)
	v_lshl_add_u32 v13, s16, 2, v0
	scratch_load_b32 v0, off, off offset:136 ; 4-byte Folded Reload
	s_mov_b32 s16, 0
	s_waitcnt vmcnt(0)
	v_add_nc_u32_e32 v2, v12, v0
	scratch_load_b32 v0, off, off offset:144 ; 4-byte Folded Reload
	s_waitcnt vmcnt(0)
	v_add_nc_u32_e32 v4, v12, v0
	scratch_load_b32 v0, off, off offset:152 ; 4-byte Folded Reload
	s_waitcnt vmcnt(0)
	v_add_nc_u32_e32 v6, v12, v0
	scratch_load_b32 v0, off, off offset:160 ; 4-byte Folded Reload
	s_waitcnt vmcnt(0)
	v_add_nc_u32_e32 v8, v12, v0
	scratch_load_b32 v0, off, off offset:168 ; 4-byte Folded Reload
	s_waitcnt vmcnt(0)
	v_add_nc_u32_e32 v10, v12, v0
	v_mad_i64_i32 v[0:1], null, v2, 36, v[19:20]
	v_mad_i64_i32 v[2:3], null, v4, 36, v[19:20]
	;; [unrolled: 1-line block ×5, first 2 shown]
	scratch_load_b32 v10, off, off offset:176 ; 4-byte Folded Reload
	s_waitcnt vmcnt(0)
	v_add_nc_u32_e32 v14, v12, v10
	scratch_load_b32 v10, off, off offset:184 ; 4-byte Folded Reload
	s_waitcnt vmcnt(0)
	v_add_nc_u32_e32 v16, v12, v10
	v_mad_u64_u32 v[10:11], null, v13, 36, s[2:3]
	scratch_load_b32 v13, off, off offset:192 ; 4-byte Folded Reload
	s_waitcnt vmcnt(0)
	v_add_nc_u32_e32 v18, v12, v13
	v_mad_i64_i32 v[12:13], null, v14, 36, v[19:20]
	v_mad_i64_i32 v[14:15], null, v16, 36, v[19:20]
	s_delay_alu instid0(VALU_DEP_3)
	v_mad_i64_i32 v[16:17], null, v18, 36, v[19:20]
	s_clause 0x8
	global_load_b32 v10, v[10:11], off
	global_load_b32 v2, v[2:3], off offset:4
	global_load_b32 v3, v[4:5], off offset:4
	;; [unrolled: 1-line block ×8, first 2 shown]
	s_clause 0x2
	scratch_load_b32 v124, off, off offset:204
	scratch_load_b32 v125, off, off offset:200
	;; [unrolled: 1-line block ×3, first 2 shown]
	s_waitcnt vmcnt(11)
	v_cvt_f32_f16_e32 v1, v10
	v_mov_b32_e32 v10, v79
	s_waitcnt vmcnt(0)
	ds_store_b32 v9, v2
	scratch_load_b32 v2, off, off offset:156 ; 4-byte Folded Reload
	v_mov_b32_e32 v9, v80
	s_waitcnt vmcnt(0)
	ds_store_b32 v2, v3
	scratch_load_b32 v2, off, off offset:164 ; 4-byte Folded Reload
	s_waitcnt vmcnt(0)
	ds_store_b32 v2, v4
	scratch_load_b32 v2, off, off offset:172 ; 4-byte Folded Reload
	;; [unrolled: 3-line block ×6, first 2 shown]
	v_mov_b32_e32 v8, v25
	s_waitcnt vmcnt(0)
	ds_store_b32 v2, v0
	scratch_load_b32 v0, off, off offset:132 ; 4-byte Folded Reload
	s_waitcnt vmcnt(0)
	ds_store_b32 v0, v1
	s_waitcnt lgkmcnt(0)
	s_barrier
	buffer_gl0_inv
	s_clause 0x1
	scratch_store_b32 off, v27, off offset:12
	scratch_store_b32 off, v184, off offset:16
.LBB128_12:                             ;   Parent Loop BB128_6 Depth=1
                                        ;     Parent Loop BB128_8 Depth=2
                                        ; =>    This Inner Loop Header: Depth=3
	s_clause 0x5
	scratch_store_b32 off, v10, off offset:4
	scratch_store_b32 off, v8, off
	scratch_store_b32 off, v9, off offset:8
	scratch_store_b32 off, v41, off offset:76
	;; [unrolled: 1-line block ×4, first 2 shown]
	ds_load_2addr_b32 v[19:20], v125 offset1:32
	ds_load_b128 v[0:3], v124
	ds_load_b128 v[4:7], v124 offset:16
	s_add_i32 s18, s13, s16
	v_add_nc_u32_e32 v104, s16, v58
	s_add_i32 s20, s18, 8
	s_and_b32 s18, s15, -16
	s_and_b32 s19, s20, 0x3ffffff8
	s_lshr_b32 s20, s20, 2
	s_lshl_b32 s19, s19, 2
	s_and_b32 s20, s20, 0x3ffffffc
	s_add_i32 s15, s15, 2
	v_mov_b32_e32 v209, v205
	s_waitcnt lgkmcnt(1)
	v_bfe_i32 v21, v0, 0, 8
	s_waitcnt lgkmcnt(0)
	v_ashrrev_i32_e32 v102, 24, v4
	v_ashrrev_i32_e32 v107, 24, v5
	v_bfe_i32 v84, v0, 8, 8
	v_bfe_i32 v85, v0, 16, 8
	v_ashrrev_i32_e32 v86, 24, v0
	v_bfe_i32 v101, v4, 16, 8
	v_bfe_i32 v106, v5, 16, 8
	v_ashrrev_i32_e32 v111, 24, v6
	v_ashrrev_i32_e32 v115, 24, v7
	v_add_nc_u32_e32 v0, v107, v102
	v_bfe_i32 v100, v4, 8, 8
	v_bfe_i32 v103, v5, 8, 8
	;; [unrolled: 1-line block ×4, first 2 shown]
	v_add3_u32 v15, v0, v111, v115
	v_add_nc_u32_e32 v0, v106, v101
	v_bfe_i32 v99, v4, 0, 8
	v_bfe_i32 v13, v5, 0, 8
	;; [unrolled: 1-line block ×4, first 2 shown]
	v_add3_u32 v16, v0, v110, v114
	v_add_nc_u32_e32 v0, v103, v100
	v_ashrrev_i32_e32 v90, 24, v1
	v_bfe_i32 v108, v6, 0, 8
	v_bfe_i32 v112, v7, 0, 8
	;; [unrolled: 1-line block ×3, first 2 shown]
	v_add3_u32 v17, v0, v109, v113
	v_add_nc_u32_e32 v0, v13, v99
	v_ashrrev_i32_e32 v94, 24, v2
	v_ashrrev_i32_e32 v98, 24, v3
	v_bfe_i32 v88, v1, 8, 8
	v_bfe_i32 v93, v2, 16, 8
	v_add3_u32 v14, v0, v108, v112
	v_add_nc_u32_e32 v0, v90, v86
	v_bfe_i32 v97, v3, 16, 8
	v_bfe_i32 v87, v1, 0, 8
	;; [unrolled: 1-line block ×4, first 2 shown]
	v_add3_u32 v18, v0, v94, v98
	v_add_nc_u32_e32 v0, v89, v85
	v_bfe_i32 v91, v2, 0, 8
	v_bfe_i32 v95, v3, 0, 8
	v_add_nc_u32_e32 v2, s19, v57
	s_delay_alu instid0(VALU_DEP_4) | instskip(SKIP_1) | instid1(VALU_DEP_1)
	v_add3_u32 v116, v0, v93, v97
	v_add_nc_u32_e32 v0, v88, v84
	v_add3_u32 v117, v0, v92, v96
	v_add_nc_u32_e32 v0, v87, v21
	s_delay_alu instid0(VALU_DEP_1)
	v_add3_u32 v123, v0, v91, v95
	ds_load_2addr_b32 v[0:1], v2 offset1:1
	s_waitcnt lgkmcnt(0)
	v_ashrrev_i32_e32 v3, s16, v0
	v_ashrrev_i32_e32 v4, s16, v1
	ds_load_2addr_b32 v[0:1], v2 offset0:2 offset1:3
	v_and_b32_e32 v58, 3, v3
	v_bfe_u32 v53, v3, 8, 2
	v_and_b32_e32 v73, 3, v4
	v_bfe_u32 v56, v3, 24, 2
	v_bfe_u32 v50, v4, 8, 2
	;; [unrolled: 1-line block ×3, first 2 shown]
	v_mul_i32_i24_e32 v10, v53, v84
	v_bfe_u32 v61, v4, 24, 2
	s_delay_alu instid0(VALU_DEP_4) | instskip(NEXT) | instid1(VALU_DEP_4)
	v_mul_i32_i24_e32 v29, v50, v88
	v_mul_i32_i24_e32 v30, v76, v89
	s_delay_alu instid0(VALU_DEP_3)
	v_mul_i32_i24_e32 v4, v61, v90
	s_waitcnt lgkmcnt(0)
	v_ashrrev_i32_e32 v5, s16, v0
	v_ashrrev_i32_e32 v6, s16, v1
	ds_load_2addr_b32 v[0:1], v2 offset0:4 offset1:5
	v_and_b32_e32 v75, 3, v5
	v_and_b32_e32 v118, 3, v6
	v_bfe_u32 v78, v5, 8, 2
	v_bfe_u32 v81, v5, 16, 2
	;; [unrolled: 1-line block ×3, first 2 shown]
	v_mul_i32_i24_e32 v39, v75, v91
	v_mul_i32_i24_e32 v43, v118, v95
	;; [unrolled: 1-line block ×4, first 2 shown]
	v_bfe_u32 v120, v6, 8, 2
	v_mul_i32_i24_e32 v5, v119, v94
	v_bfe_u32 v121, v6, 16, 2
	v_bfe_u32 v122, v6, 24, 2
	s_delay_alu instid0(VALU_DEP_4) | instskip(NEXT) | instid1(VALU_DEP_3)
	v_mul_i32_i24_e32 v45, v120, v96
	v_mul_i32_i24_e32 v46, v121, v97
	s_waitcnt lgkmcnt(0)
	v_ashrrev_i32_e32 v7, s16, v0
	v_ashrrev_i32_e32 v8, s16, v1
	ds_load_2addr_b32 v[0:1], v2 offset0:6 offset1:7
	v_mul_i32_i24_e32 v6, v122, v98
	v_and_b32_e32 v54, 3, v7
	v_bfe_u32 v69, v7, 16, 2
	v_bfe_u32 v72, v7, 24, 2
	;; [unrolled: 1-line block ×3, first 2 shown]
	s_delay_alu instid0(VALU_DEP_1)
	v_mul_i32_i24_e32 v82, v71, v107
	s_waitcnt lgkmcnt(0)
	v_ashrrev_i32_e32 v9, s16, v0
	scratch_load_b32 v0, off, off offset:112 ; 4-byte Folded Reload
	v_ashrrev_i32_e32 v12, s16, v1
	v_add_nc_u32_e32 v1, s20, v60
	v_bfe_u32 v60, v3, 16, 2
	v_mul_i32_i24_e32 v3, v56, v86
	v_bfe_u32 v163, v9, 16, 2
	v_and_b32_e32 v77, 3, v12
	v_bfe_u32 v165, v9, 24, 2
	v_mul_i32_i24_e32 v11, v60, v85
	v_bfe_u32 v147, v12, 8, 2
	v_mul_i32_i24_e32 v126, v163, v110
	v_mul_i32_i24_e32 v128, v77, v112
	;; [unrolled: 1-line block ×3, first 2 shown]
	v_bfe_u32 v79, v12, 16, 2
	v_mul_i32_i24_e32 v129, v147, v113
	v_bfe_u32 v57, v12, 24, 2
	s_delay_alu instid0(VALU_DEP_3) | instskip(NEXT) | instid1(VALU_DEP_2)
	v_mul_i32_i24_e32 v130, v79, v114
	v_mul_i32_i24_e32 v131, v57, v115
	s_waitcnt vmcnt(0)
	v_add3_u32 v0, v0, s18, v104
	ds_load_b32 v182, v1
	ds_load_u16 v0, v0
	s_waitcnt lgkmcnt(0)
	v_bfe_u32 v195, v0, 4, 4
	v_lshrrev_b16 v1, 8, v0
	s_delay_alu instid0(VALU_DEP_2) | instskip(NEXT) | instid1(VALU_DEP_1)
	v_mul_lo_u32 v2, 0x1010101, v195
	v_bfe_i32 v158, v2, 8, 8
	v_bfe_i32 v162, v2, 16, 8
	v_lshrrev_b32_e32 v40, 24, v2
	v_mul_i32_i24_e32 v2, v58, v21
	s_delay_alu instid0(VALU_DEP_1) | instskip(NEXT) | instid1(VALU_DEP_1)
	v_mad_i32_i24 v2, v73, v87, v2
	v_add3_u32 v2, v2, v39, v10
	v_bfe_u32 v10, v8, 16, 2
	s_delay_alu instid0(VALU_DEP_2) | instskip(NEXT) | instid1(VALU_DEP_2)
	v_add3_u32 v2, v2, v11, v3
	v_mul_i32_i24_e32 v47, v10, v106
	v_bfe_u32 v11, v9, 8, 2
	s_delay_alu instid0(VALU_DEP_3) | instskip(SKIP_1) | instid1(VALU_DEP_3)
	v_add3_u32 v2, v2, v43, v29
	v_mul_i32_i24_e32 v43, v69, v101
	v_mul_i32_i24_e32 v105, v11, v109
	s_delay_alu instid0(VALU_DEP_3) | instskip(SKIP_1) | instid1(VALU_DEP_2)
	v_add3_u32 v2, v2, v30, v4
	v_and_b32_e32 v4, 15, v0
	v_add3_u32 v2, v2, v41, v42
	v_mul_i32_i24_e32 v41, v54, v99
	s_delay_alu instid0(VALU_DEP_2) | instskip(SKIP_3) | instid1(VALU_DEP_4)
	v_add3_u32 v2, v2, v5, v45
	v_bfe_u32 v5, v7, 8, 2
	v_bfe_u32 v7, v8, 8, 2
	v_mul_i32_i24_e32 v45, v72, v102
	v_add3_u32 v2, v2, v46, v6
	s_delay_alu instid0(VALU_DEP_4) | instskip(NEXT) | instid1(VALU_DEP_4)
	v_mul_i32_i24_e32 v42, v5, v100
	v_mul_i32_i24_e32 v46, v7, v103
	s_delay_alu instid0(VALU_DEP_3) | instskip(SKIP_3) | instid1(VALU_DEP_3)
	v_mul_lo_u32 v29, v2, v4
	v_and_b32_e32 v2, 3, v8
	v_and_b32_e32 v8, 3, v9
	;; [unrolled: 1-line block ×3, first 2 shown]
	v_mad_i32_i24 v41, v2, v13, v41
	s_delay_alu instid0(VALU_DEP_3) | instskip(NEXT) | instid1(VALU_DEP_3)
	v_mul_i32_i24_e32 v83, v8, v108
	v_lshrrev_b32_e32 v51, 4, v30
	v_and_b32_e32 v44, 15, v30
                                        ; kill: def $vgpr30 killed $sgpr0 killed $exec
	s_delay_alu instid0(VALU_DEP_3) | instskip(NEXT) | instid1(VALU_DEP_3)
	v_add3_u32 v41, v41, v83, v42
	v_mul_lo_u32 v0, 0x1010101, v51
	v_mul_i32_i24_e32 v83, v195, v123
	s_delay_alu instid0(VALU_DEP_3) | instskip(NEXT) | instid1(VALU_DEP_2)
	v_add3_u32 v41, v41, v43, v45
	v_mad_i32_i24 v83, v51, v14, v83
	s_delay_alu instid0(VALU_DEP_4) | instskip(NEXT) | instid1(VALU_DEP_3)
	v_bfe_i32 v25, v0, 8, 8
	v_add3_u32 v41, v41, v128, v46
	v_bfe_i32 v6, v0, 16, 8
	v_lshrrev_b32_e32 v0, 24, v0
	v_mul_i32_i24_e32 v46, v18, v40
	v_mul_i32_i24_e32 v45, v17, v25
	v_add3_u32 v41, v41, v47, v82
	v_mul_i32_i24_e32 v47, v116, v162
	v_mul_i32_i24_e32 v82, v117, v158
	v_mul_i32_i24_e32 v42, v16, v6
	v_mov_b32_e32 v3, v25
	v_add3_u32 v41, v41, v105, v126
	v_add3_u32 v46, v83, v46, v47
	s_delay_alu instid0(VALU_DEP_3) | instskip(NEXT) | instid1(VALU_DEP_3)
	v_dual_mov_b32 v9, v0 :: v_dual_mov_b32 v80, v3
	v_add3_u32 v41, v41, v127, v129
	s_delay_alu instid0(VALU_DEP_1) | instskip(SKIP_1) | instid1(VALU_DEP_1)
	v_add3_u32 v43, v41, v130, v131
	v_mul_i32_i24_e32 v41, v15, v0
	v_add3_u32 v41, v46, v82, v41
	s_delay_alu instid0(VALU_DEP_1) | instskip(NEXT) | instid1(VALU_DEP_4)
	v_add3_u32 v45, v41, v42, v45
	v_mad_u64_u32 v[41:42], null, v43, v44, v[29:30]
	v_lshrrev_b32_e32 v29, 16, v182
	s_delay_alu instid0(VALU_DEP_3) | instskip(NEXT) | instid1(VALU_DEP_2)
	v_cvt_f32_i32_e32 v30, v45
	v_cvt_f32_f16_e32 v48, v29
	s_delay_alu instid0(VALU_DEP_4) | instskip(NEXT) | instid1(VALU_DEP_2)
	v_cvt_f32_i32_e32 v29, v41
	v_dual_mul_f32 v30, v48, v30 :: v_dual_add_nc_u32 v41, s19, v136
	s_delay_alu instid0(VALU_DEP_1) | instskip(NEXT) | instid1(VALU_DEP_1)
	v_fma_mix_f32 v29, v182, v29, -v30 op_sel_hi:[1,0,0]
	v_fmac_f32_e32 v204, v19, v29
	ds_load_2addr_b32 v[29:30], v41 offset1:1
	scratch_store_b32 off, v204, off offset:60 ; 4-byte Folded Spill
	s_waitcnt lgkmcnt(0)
	v_ashrrev_i32_e32 v42, s16, v29
	v_ashrrev_i32_e32 v43, s16, v30
	ds_load_2addr_b32 v[29:30], v41 offset0:2 offset1:3
	v_and_b32_e32 v63, 3, v42
	v_bfe_u32 v59, v42, 8, 2
	v_and_b32_e32 v65, 3, v43
	v_bfe_u32 v64, v42, 16, 2
	v_bfe_u32 v67, v42, 24, 2
	;; [unrolled: 1-line block ×3, first 2 shown]
	v_mul_i32_i24_e32 v126, v59, v84
	v_bfe_u32 v236, v43, 16, 2
	v_mul_i32_i24_e32 v127, v64, v85
	v_mul_i32_i24_e32 v42, v67, v86
	;; [unrolled: 1-line block ×3, first 2 shown]
	v_bfe_u32 v238, v43, 24, 2
	v_mul_i32_i24_e32 v129, v236, v89
	s_delay_alu instid0(VALU_DEP_2)
	v_mul_i32_i24_e32 v43, v238, v90
	s_waitcnt lgkmcnt(0)
	v_ashrrev_i32_e32 v45, s16, v29
	v_ashrrev_i32_e32 v46, s16, v30
	ds_load_2addr_b32 v[29:30], v41 offset0:4 offset1:5
	v_and_b32_e32 v237, 3, v45
	v_and_b32_e32 v241, 3, v46
	v_bfe_u32 v68, v45, 8, 2
	v_bfe_u32 v70, v45, 16, 2
	;; [unrolled: 1-line block ×3, first 2 shown]
	v_mul_i32_i24_e32 v130, v237, v91
	v_mul_i32_i24_e32 v133, v241, v95
	;; [unrolled: 1-line block ×4, first 2 shown]
	v_bfe_u32 v243, v46, 8, 2
	v_mul_i32_i24_e32 v45, v242, v94
	v_bfe_u32 v244, v46, 16, 2
	v_bfe_u32 v245, v46, 24, 2
	s_delay_alu instid0(VALU_DEP_4) | instskip(NEXT) | instid1(VALU_DEP_3)
	v_mul_i32_i24_e32 v134, v243, v96
	v_mul_i32_i24_e32 v135, v244, v97
	s_waitcnt lgkmcnt(0)
	v_ashrrev_i32_e32 v47, s16, v29
	v_ashrrev_i32_e32 v82, s16, v30
	ds_load_2addr_b32 v[29:30], v41 offset0:6 offset1:7
	v_mul_i32_i24_e32 v46, v245, v98
	v_and_b32_e32 v248, 3, v47
	v_bfe_u32 v247, v47, 8, 2
	v_and_b32_e32 v49, 3, v82
	v_bfe_u32 v249, v47, 16, 2
	v_bfe_u32 v252, v47, 24, 2
	;; [unrolled: 1-line block ×5, first 2 shown]
	s_delay_alu instid0(VALU_DEP_1)
	v_mul_i32_i24_e32 v82, v255, v107
	s_waitcnt lgkmcnt(0)
	v_ashrrev_i32_e32 v41, s16, v29
	scratch_load_b32 v29, off, off offset:108 ; 4-byte Folded Reload
	v_ashrrev_i32_e32 v83, s16, v30
	v_add_nc_u32_e32 v30, s20, v137
	v_and_b32_e32 v74, 3, v41
	v_bfe_u32 v148, v41, 8, 2
	s_delay_alu instid0(VALU_DEP_4) | instskip(SKIP_1) | instid1(VALU_DEP_2)
	v_and_b32_e32 v150, 3, v83
	v_bfe_u32 v47, v83, 24, 2
	v_mul_i32_i24_e32 v136, v150, v112
	s_waitcnt vmcnt(0)
	v_add3_u32 v29, v29, s18, v104
	ds_load_b32 v138, v30
	ds_load_u16 v29, v29
	s_waitcnt lgkmcnt(0)
	v_bfe_u32 v151, v29, 4, 4
	v_lshrrev_b16 v105, 8, v29
	v_and_b32_e32 v246, 15, v29
	s_delay_alu instid0(VALU_DEP_3) | instskip(NEXT) | instid1(VALU_DEP_3)
	v_mul_lo_u32 v30, 0x1010101, v151
	v_and_b32_e32 v105, 0xffff, v105
	s_delay_alu instid0(VALU_DEP_1) | instskip(NEXT) | instid1(VALU_DEP_3)
	v_lshrrev_b32_e32 v226, 4, v105
	v_bfe_i32 v52, v30, 8, 8
	v_bfe_i32 v55, v30, 16, 8
	v_lshrrev_b32_e32 v189, 24, v30
	v_mul_i32_i24_e32 v30, v63, v21
	v_mul_lo_u32 v29, 0x1010101, v226
	s_delay_alu instid0(VALU_DEP_2) | instskip(NEXT) | instid1(VALU_DEP_2)
	v_mad_i32_i24 v30, v65, v87, v30
	v_lshrrev_b32_e32 v26, 24, v29
	s_delay_alu instid0(VALU_DEP_2)
	v_add3_u32 v30, v30, v130, v126
	v_mul_i32_i24_e32 v126, v248, v99
	v_mul_i32_i24_e32 v130, v251, v103
	v_bfe_i32 v62, v29, 8, 8
	v_bfe_i32 v250, v29, 16, 8
	v_add3_u32 v30, v30, v127, v42
	v_mul_i32_i24_e32 v127, v247, v100
	v_mad_i32_i24 v126, v49, v13, v126
	v_bfe_u32 v42, v41, 24, 2
	v_mov_b32_e32 v0, v26
	v_add3_u32 v30, v30, v133, v128
	v_mul_i32_i24_e32 v128, v249, v101
	v_mul_i32_i24_e32 v133, v148, v109
	v_mov_b32_e32 v29, v194
	v_mov_b32_e32 v149, v0
	v_add3_u32 v30, v30, v129, v43
	v_mul_i32_i24_e32 v129, v252, v102
	v_bfe_u32 v43, v83, 8, 2
	s_delay_alu instid0(VALU_DEP_3) | instskip(SKIP_2) | instid1(VALU_DEP_4)
	v_add3_u32 v30, v30, v131, v132
	v_mul_i32_i24_e32 v132, v74, v108
	v_mul_i32_i24_e32 v131, v253, v106
	;; [unrolled: 1-line block ×3, first 2 shown]
	s_delay_alu instid0(VALU_DEP_4) | instskip(NEXT) | instid1(VALU_DEP_4)
	v_add3_u32 v30, v30, v45, v134
	v_add3_u32 v126, v126, v132, v127
	v_bfe_u32 v45, v83, 16, 2
	v_mul_i32_i24_e32 v83, v47, v115
	v_mul_i32_i24_e32 v127, v17, v62
	v_add3_u32 v30, v30, v135, v46
	v_add3_u32 v126, v126, v128, v129
	v_bfe_u32 v46, v41, 16, 2
	v_mul_i32_i24_e32 v135, v42, v111
	v_mul_i32_i24_e32 v139, v45, v114
	;; [unrolled: 1-line block ×3, first 2 shown]
	v_add3_u32 v126, v126, v136, v130
	v_mul_i32_i24_e32 v134, v46, v110
	v_mul_i32_i24_e32 v129, v116, v55
	;; [unrolled: 1-line block ×3, first 2 shown]
	v_mul_lo_u32 v30, v30, v246
	v_add3_u32 v82, v126, v131, v82
	v_mul_i32_i24_e32 v131, v151, v123
	v_dual_mov_b32 v41, v197 :: v_dual_and_b32 v190, 15, v105
	s_delay_alu instid0(VALU_DEP_3) | instskip(NEXT) | instid1(VALU_DEP_3)
	v_add3_u32 v82, v82, v133, v134
	v_mad_i32_i24 v131, v226, v14, v131
	s_delay_alu instid0(VALU_DEP_2) | instskip(NEXT) | instid1(VALU_DEP_2)
	v_add3_u32 v82, v82, v135, v137
	v_add3_u32 v128, v131, v128, v129
	s_delay_alu instid0(VALU_DEP_2) | instskip(SKIP_2) | instid1(VALU_DEP_2)
	v_add3_u32 v126, v82, v139, v83
	v_mul_i32_i24_e32 v82, v15, v26
	v_mul_i32_i24_e32 v83, v16, v250
	v_add3_u32 v82, v128, v130, v82
	s_delay_alu instid0(VALU_DEP_1) | instskip(SKIP_2) | instid1(VALU_DEP_1)
	v_add3_u32 v127, v82, v83, v127
	v_mad_u64_u32 v[82:83], null, v126, v190, v[30:31]
	v_lshrrev_b32_e32 v30, 16, v138
	v_cvt_f32_f16_e64 v191, v30
	s_delay_alu instid0(VALU_DEP_3) | instskip(SKIP_1) | instid1(VALU_DEP_1)
	v_cvt_f32_i32_e32 v30, v82
	v_cvt_f32_i32_e32 v82, v127
	v_dual_mul_f32 v82, v191, v82 :: v_dual_add_nc_u32 v131, s20, v145
	s_delay_alu instid0(VALU_DEP_1) | instskip(NEXT) | instid1(VALU_DEP_1)
	v_fma_mix_f32 v30, v138, v30, -v82 op_sel_hi:[1,0,0]
	v_dual_fmac_f32 v31, v19, v30 :: v_dual_add_nc_u32 v30, s19, v144
	scratch_store_b32 off, v31, off offset:64 ; 4-byte Folded Spill
	ds_load_2addr_b32 v[82:83], v30 offset1:1
	s_waitcnt lgkmcnt(0)
	v_ashrrev_i32_e32 v105, s16, v82
	v_ashrrev_i32_e32 v126, s16, v83
	ds_load_2addr_b32 v[82:83], v30 offset0:2 offset1:3
	v_and_b32_e32 v193, 3, v105
	v_bfe_u32 v192, v105, 8, 2
	v_and_b32_e32 v24, 3, v126
	v_bfe_u32 v196, v105, 16, 2
	v_bfe_u32 v199, v105, 24, 2
	v_mul_i32_i24_e32 v135, v193, v21
	v_mul_i32_i24_e32 v136, v192, v84
	v_bfe_u32 v25, v126, 8, 2
	v_mul_i32_i24_e32 v137, v196, v85
	v_mul_i32_i24_e32 v105, v199, v86
	v_mad_i32_i24 v135, v24, v87, v135
	v_bfe_u32 v26, v126, 16, 2
	v_mul_i32_i24_e32 v139, v25, v88
	v_bfe_u32 v32, v126, 24, 2
	v_mov_b32_e32 v33, v24
	v_mov_b32_e32 v1, v25
	v_mul_i32_i24_e32 v140, v26, v89
	s_waitcnt lgkmcnt(0)
	v_ashrrev_i32_e32 v127, s16, v82
	v_ashrrev_i32_e32 v128, s16, v83
	ds_load_2addr_b32 v[82:83], v30 offset0:4 offset1:5
	v_mul_i32_i24_e32 v126, v32, v90
	v_and_b32_e32 v27, 3, v127
	v_and_b32_e32 v31, 3, v128
	v_bfe_u32 v28, v127, 8, 2
	v_bfe_u32 v202, v127, 16, 2
	;; [unrolled: 1-line block ×3, first 2 shown]
	v_mul_i32_i24_e32 v141, v27, v91
	v_mul_i32_i24_e32 v144, v31, v95
	;; [unrolled: 1-line block ×4, first 2 shown]
	v_bfe_u32 v203, v128, 8, 2
	v_add3_u32 v135, v135, v141, v136
	v_mul_i32_i24_e32 v127, v204, v94
	v_bfe_u32 v34, v128, 16, 2
	v_bfe_u32 v210, v128, 24, 2
	v_mul_i32_i24_e32 v145, v203, v96
	v_add3_u32 v105, v135, v137, v105
	v_mov_b32_e32 v39, v28
	s_waitcnt lgkmcnt(0)
	v_ashrrev_i32_e32 v129, s16, v82
	v_ashrrev_i32_e32 v130, s16, v83
	ds_load_2addr_b32 v[82:83], v30 offset0:6 offset1:7
	scratch_load_b32 v30, off, off offset:104 ; 4-byte Folded Reload
	v_add3_u32 v105, v105, v144, v139
	v_mul_i32_i24_e32 v146, v34, v97
	v_mul_i32_i24_e32 v128, v210, v98
	v_and_b32_e32 v212, 3, v129
	v_bfe_u32 v211, v129, 8, 2
	v_add3_u32 v105, v105, v140, v126
	v_and_b32_e32 v38, 3, v130
	v_bfe_u32 v214, v129, 16, 2
	v_bfe_u32 v217, v129, 24, 2
	;; [unrolled: 1-line block ×3, first 2 shown]
	v_add3_u32 v105, v105, v142, v143
	v_bfe_u32 v218, v130, 16, 2
	v_bfe_u32 v220, v130, 24, 2
	v_mul_i32_i24_e32 v129, v217, v102
	s_delay_alu instid0(VALU_DEP_4)
	v_add3_u32 v105, v105, v127, v145
	v_mul_i32_i24_e32 v127, v211, v100
	v_mul_i32_i24_e32 v135, v218, v106
	s_waitcnt lgkmcnt(0)
	v_ashrrev_i32_e32 v82, s16, v82
	v_ashrrev_i32_e32 v83, s16, v83
	v_add3_u32 v105, v105, v146, v128
	v_mul_i32_i24_e32 v128, v214, v101
	v_mul_i32_i24_e32 v130, v220, v107
	v_and_b32_e32 v216, 3, v82
	v_and_b32_e32 v221, 3, v83
	v_bfe_u32 v219, v82, 8, 2
	v_bfe_u32 v37, v82, 16, 2
	;; [unrolled: 1-line block ×3, first 2 shown]
	v_mul_i32_i24_e32 v136, v216, v108
	v_mul_i32_i24_e32 v140, v221, v112
	;; [unrolled: 1-line block ×4, first 2 shown]
	v_bfe_u32 v146, v83, 8, 2
	v_mul_i32_i24_e32 v82, v145, v111
	v_bfe_u32 v144, v83, 16, 2
	v_bfe_u32 v143, v83, 24, 2
	s_delay_alu instid0(VALU_DEP_4) | instskip(NEXT) | instid1(VALU_DEP_3)
	v_mul_i32_i24_e32 v141, v146, v113
	v_mul_i32_i24_e32 v142, v144, v114
	s_delay_alu instid0(VALU_DEP_3)
	v_mul_i32_i24_e32 v83, v143, v115
	s_waitcnt vmcnt(0)
	v_add3_u32 v30, v30, s18, v104
	ds_load_b32 v131, v131
	ds_load_u16 v30, v30
	s_waitcnt lgkmcnt(0)
	v_lshrrev_b16 v134, 8, v30
	v_and_b32_e32 v36, 15, v30
	v_bfe_u32 v132, v30, 4, 4
	s_delay_alu instid0(VALU_DEP_2) | instskip(NEXT) | instid1(VALU_DEP_4)
	v_mul_lo_u32 v30, v105, v36
	v_and_b32_e32 v105, 0xffff, v134
	v_mul_i32_i24_e32 v134, v213, v103
	s_delay_alu instid0(VALU_DEP_4) | instskip(NEXT) | instid1(VALU_DEP_3)
	v_mul_lo_u32 v133, 0x1010101, v132
	v_lshrrev_b32_e32 v183, 4, v105
	s_delay_alu instid0(VALU_DEP_1) | instskip(NEXT) | instid1(VALU_DEP_3)
	v_mul_lo_u32 v126, 0x1010101, v183
	v_bfe_i32 v206, v133, 8, 8
	v_bfe_i32 v23, v133, 16, 8
	v_lshrrev_b32_e32 v133, 24, v133
	s_delay_alu instid0(VALU_DEP_4) | instskip(SKIP_3) | instid1(VALU_DEP_1)
	v_bfe_i32 v208, v126, 8, 8
	v_bfe_i32 v35, v126, 16, 8
	v_lshrrev_b32_e32 v215, 24, v126
	v_mul_i32_i24_e32 v126, v212, v99
	v_mad_i32_i24 v126, v38, v13, v126
	s_delay_alu instid0(VALU_DEP_1) | instskip(SKIP_2) | instid1(VALU_DEP_3)
	v_add3_u32 v126, v126, v136, v127
	v_mul_i32_i24_e32 v127, v17, v208
	v_and_b32_e32 v136, 15, v105
	v_add3_u32 v126, v126, v128, v129
	v_mul_i32_i24_e32 v128, v18, v133
	v_mul_i32_i24_e32 v129, v116, v23
	s_delay_alu instid0(VALU_DEP_3) | instskip(SKIP_1) | instid1(VALU_DEP_2)
	v_add3_u32 v126, v126, v140, v134
	v_mul_i32_i24_e32 v134, v132, v123
	v_add3_u32 v126, v126, v135, v130
	s_delay_alu instid0(VALU_DEP_2) | instskip(SKIP_1) | instid1(VALU_DEP_3)
	v_mad_i32_i24 v134, v183, v14, v134
	v_mul_i32_i24_e32 v130, v117, v206
	v_add3_u32 v126, v126, v137, v139
	s_delay_alu instid0(VALU_DEP_3) | instskip(NEXT) | instid1(VALU_DEP_2)
	v_add3_u32 v128, v134, v128, v129
	v_add3_u32 v82, v126, v82, v141
	s_delay_alu instid0(VALU_DEP_1) | instskip(SKIP_2) | instid1(VALU_DEP_2)
	v_add3_u32 v126, v82, v142, v83
	v_mul_i32_i24_e32 v82, v15, v215
	v_mul_i32_i24_e32 v83, v16, v35
	v_add3_u32 v82, v128, v130, v82
	s_delay_alu instid0(VALU_DEP_1) | instskip(SKIP_2) | instid1(VALU_DEP_1)
	v_add3_u32 v127, v82, v83, v127
	v_mad_u64_u32 v[82:83], null, v126, v136, v[30:31]
	v_lshrrev_b32_e32 v30, 16, v131
	v_cvt_f32_f16_e64 v137, v30
	s_delay_alu instid0(VALU_DEP_3) | instskip(SKIP_1) | instid1(VALU_DEP_1)
	v_cvt_f32_i32_e32 v30, v82
	v_cvt_f32_i32_e32 v82, v127
	v_mul_f32_e32 v82, v137, v82
	s_delay_alu instid0(VALU_DEP_1) | instskip(NEXT) | instid1(VALU_DEP_1)
	v_fma_mix_f32 v30, v131, v30, -v82 op_sel_hi:[1,0,0]
	v_fmac_f32_e32 v156, v19, v30
	v_add_nc_u32_e32 v30, s19, v152
	scratch_store_b32 off, v156, off offset:68 ; 4-byte Folded Spill
	ds_load_2addr_b32 v[82:83], v30 offset1:1
	s_waitcnt lgkmcnt(0)
	v_ashrrev_i32_e32 v105, s16, v82
	v_ashrrev_i32_e32 v127, s16, v83
	ds_load_2addr_b32 v[82:83], v30 offset0:2 offset1:3
	v_and_b32_e32 v185, 3, v105
	v_bfe_u32 v187, v105, 16, 2
	v_bfe_u32 v164, v105, 24, 2
	;; [unrolled: 1-line block ×4, first 2 shown]
	v_mul_i32_i24_e32 v141, v185, v21
	v_bfe_u32 v21, v105, 8, 2
	v_bfe_u32 v105, v127, 8, 2
	v_mul_i32_i24_e32 v85, v187, v85
	v_mul_i32_i24_e32 v86, v164, v86
	;; [unrolled: 1-line block ×6, first 2 shown]
	s_waitcnt lgkmcnt(0)
	v_ashrrev_i32_e32 v128, s16, v82
	v_ashrrev_i32_e32 v139, s16, v83
	ds_load_2addr_b32 v[82:83], v30 offset0:4 offset1:5
	v_bfe_u32 v135, v128, 8, 2
	v_and_b32_e32 v170, 3, v139
	v_bfe_u32 v142, v128, 16, 2
	v_bfe_u32 v172, v128, 24, 2
	;; [unrolled: 1-line block ×3, first 2 shown]
	v_mul_i32_i24_e32 v92, v135, v92
	v_mul_i32_i24_e32 v95, v170, v95
	;; [unrolled: 1-line block ×5, first 2 shown]
	v_bfe_u32 v174, v139, 16, 2
	v_bfe_u32 v175, v139, 24, 2
	s_delay_alu instid0(VALU_DEP_2) | instskip(NEXT) | instid1(VALU_DEP_2)
	v_mul_i32_i24_e32 v97, v174, v97
	v_mul_i32_i24_e32 v98, v175, v98
	s_waitcnt lgkmcnt(0)
	v_ashrrev_i32_e32 v152, s16, v82
	v_ashrrev_i32_e32 v153, s16, v83
	ds_load_2addr_b32 v[82:83], v30 offset0:6 offset1:7
	scratch_load_b32 v30, off, off offset:100 ; 4-byte Folded Reload
	v_and_b32_e32 v178, 3, v152
	v_bfe_u32 v177, v152, 8, 2
	v_and_b32_e32 v22, 3, v153
	v_bfe_u32 v207, v152, 16, 2
	v_bfe_u32 v180, v152, 24, 2
	;; [unrolled: 1-line block ×4, first 2 shown]
	s_delay_alu instid0(VALU_DEP_1) | instskip(SKIP_4) | instid1(VALU_DEP_2)
	v_mov_b32_e32 v194, v24
	s_waitcnt lgkmcnt(0)
	v_ashrrev_i32_e32 v82, s16, v82
	v_ashrrev_i32_e32 v83, s16, v83
	s_add_i32 s16, s16, 2
	v_and_b32_e32 v181, 3, v82
	s_delay_alu instid0(VALU_DEP_2) | instskip(SKIP_3) | instid1(VALU_DEP_1)
	v_and_b32_e32 v184, 3, v83
	v_bfe_u32 v198, v82, 8, 2
	v_bfe_u32 v200, v82, 16, 2
	v_bfe_u32 v201, v82, 24, 2
	v_mul_i32_i24_e32 v82, v201, v111
	s_waitcnt vmcnt(0)
	v_add3_u32 v30, v30, s18, v104
	v_add_nc_u32_e32 v104, s20, v154
	ds_load_b32 v126, v104
	ds_load_u16 v30, v30
	s_add_i32 s18, s13, s16
	s_delay_alu instid0(SALU_CYCLE_1) | instskip(NEXT) | instid1(SALU_CYCLE_1)
	s_add_i32 s18, s18, 8
	s_cmp_lt_u32 s18, s17
	s_waitcnt lgkmcnt(0)
	v_bfe_u32 v130, v30, 4, 4
	v_lshrrev_b16 v140, 8, v30
	v_and_b32_e32 v176, 15, v30
	s_delay_alu instid0(VALU_DEP_3) | instskip(NEXT) | instid1(VALU_DEP_1)
	v_mul_lo_u32 v104, 0x1010101, v130
	v_bfe_i32 v167, v104, 8, 8
	v_bfe_i32 v173, v104, 16, 8
	v_lshrrev_b32_e32 v161, 24, v104
	v_and_b32_e32 v104, 3, v127
	v_and_b32_e32 v127, 3, v128
	s_delay_alu instid0(VALU_DEP_2) | instskip(NEXT) | instid1(VALU_DEP_2)
	v_mad_i32_i24 v87, v104, v87, v141
	v_mul_i32_i24_e32 v91, v127, v91
	v_bfe_u32 v141, v83, 16, 2
	s_delay_alu instid0(VALU_DEP_2) | instskip(SKIP_1) | instid1(VALU_DEP_2)
	v_add3_u32 v84, v87, v91, v84
	v_mul_i32_i24_e32 v87, v207, v101
	v_add3_u32 v84, v84, v85, v86
	v_mul_i32_i24_e32 v86, v177, v100
	s_delay_alu instid0(VALU_DEP_2) | instskip(SKIP_2) | instid1(VALU_DEP_3)
	v_add3_u32 v84, v84, v95, v88
	v_mul_i32_i24_e32 v88, v180, v102
	v_mul_i32_i24_e32 v95, v184, v112
	v_add3_u32 v84, v84, v89, v90
	v_mul_i32_i24_e32 v89, v179, v103
	v_mul_i32_i24_e32 v90, v24, v106
	v_bfe_u32 v24, v153, 24, 2
	s_delay_alu instid0(VALU_DEP_4) | instskip(SKIP_2) | instid1(VALU_DEP_4)
	v_add3_u32 v84, v84, v92, v93
	v_mul_i32_i24_e32 v92, v181, v108
	v_mul_i32_i24_e32 v93, v198, v109
	;; [unrolled: 1-line block ×3, first 2 shown]
	v_mov_b32_e32 v197, v24
	v_add3_u32 v84, v84, v94, v96
	v_mul_i32_i24_e32 v94, v200, v110
	v_bfe_u32 v24, v83, 8, 2
	s_delay_alu instid0(VALU_DEP_3) | instskip(SKIP_1) | instid1(VALU_DEP_3)
	v_add3_u32 v84, v84, v97, v98
	v_mul_i32_i24_e32 v97, v141, v114
	v_mul_i32_i24_e32 v96, v24, v113
	s_delay_alu instid0(VALU_DEP_3) | instskip(SKIP_2) | instid1(VALU_DEP_2)
	v_mul_lo_u32 v30, v84, v176
	v_and_b32_e32 v84, 0xffff, v140
	v_bfe_u32 v140, v83, 24, 2
	v_lshrrev_b32_e32 v139, 4, v84
	s_delay_alu instid0(VALU_DEP_2) | instskip(SKIP_1) | instid1(VALU_DEP_3)
	v_mul_i32_i24_e32 v83, v140, v115
	v_and_b32_e32 v160, 15, v84
	v_mul_lo_u32 v85, 0x1010101, v139
	s_delay_alu instid0(VALU_DEP_1) | instskip(SKIP_3) | instid1(VALU_DEP_3)
	v_bfe_i32 v188, v85, 8, 8
	v_bfe_i32 v128, v85, 16, 8
	v_lshrrev_b32_e32 v186, 24, v85
	v_mul_i32_i24_e32 v85, v178, v99
	v_mov_b32_e32 v205, v128
	s_delay_alu instid0(VALU_DEP_2) | instskip(SKIP_1) | instid1(VALU_DEP_2)
	v_mad_i32_i24 v13, v22, v13, v85
	v_mul_i32_i24_e32 v85, v130, v123
	v_add3_u32 v13, v13, v92, v86
	s_delay_alu instid0(VALU_DEP_2) | instskip(NEXT) | instid1(VALU_DEP_2)
	v_mad_i32_i24 v14, v139, v14, v85
	v_add3_u32 v13, v13, v87, v88
	s_delay_alu instid0(VALU_DEP_1) | instskip(NEXT) | instid1(VALU_DEP_1)
	v_add3_u32 v13, v13, v95, v89
	v_add3_u32 v13, v13, v90, v91
	s_delay_alu instid0(VALU_DEP_1) | instskip(NEXT) | instid1(VALU_DEP_1)
	v_add3_u32 v13, v13, v93, v94
	v_add3_u32 v13, v13, v82, v96
	s_delay_alu instid0(VALU_DEP_1)
	v_add3_u32 v82, v13, v97, v83
	v_mul_i32_i24_e32 v13, v15, v186
	v_mul_i32_i24_e32 v15, v16, v128
	;; [unrolled: 1-line block ×6, first 2 shown]
	s_delay_alu instid0(VALU_DEP_2) | instskip(NEXT) | instid1(VALU_DEP_1)
	v_add3_u32 v14, v14, v17, v18
	v_add3_u32 v13, v14, v83, v13
	s_delay_alu instid0(VALU_DEP_1) | instskip(SKIP_2) | instid1(VALU_DEP_1)
	v_add3_u32 v15, v13, v15, v16
	v_mad_u64_u32 v[13:14], null, v82, v160, v[30:31]
	v_lshrrev_b32_e32 v14, 16, v126
	v_cvt_f32_f16_e64 v159, v14
	s_delay_alu instid0(VALU_DEP_4) | instskip(NEXT) | instid1(VALU_DEP_4)
	v_cvt_f32_i32_e32 v14, v15
	v_cvt_f32_i32_e32 v13, v13
	s_delay_alu instid0(VALU_DEP_2) | instskip(NEXT) | instid1(VALU_DEP_1)
	v_mul_f32_e32 v14, v159, v14
	v_fma_mix_f32 v13, v126, v13, -v14 op_sel_hi:[1,0,0]
	s_delay_alu instid0(VALU_DEP_1)
	v_fmac_f32_e32 v254, v19, v13
	ds_load_b128 v[13:16], v124 offset:1024
	s_waitcnt lgkmcnt(0)
	v_bfe_i32 v17, v13, 0, 8
	v_bfe_i32 v18, v13, 8, 8
	v_bfe_i32 v19, v13, 16, 8
	v_ashrrev_i32_e32 v30, 24, v13
	v_bfe_i32 v82, v14, 0, 8
	v_bfe_i32 v83, v14, 8, 8
	v_bfe_i32 v84, v14, 16, 8
	v_ashrrev_i32_e32 v85, 24, v14
	;; [unrolled: 4-line block ×4, first 2 shown]
	ds_load_b128 v[13:16], v124 offset:1040
	v_mul_i32_i24_e32 v152, v84, v76
	v_mul_i32_i24_e32 v153, v85, v61
	s_waitcnt lgkmcnt(0)
	v_ashrrev_i32_e32 v97, 24, v13
	v_ashrrev_i32_e32 v101, 24, v14
	v_bfe_i32 v94, v13, 0, 8
	v_bfe_i32 v95, v13, 8, 8
	;; [unrolled: 1-line block ×4, first 2 shown]
	v_ashrrev_i32_e32 v107, 24, v15
	v_bfe_i32 v108, v16, 0, 8
	v_bfe_i32 v109, v16, 8, 8
	;; [unrolled: 1-line block ×3, first 2 shown]
	v_ashrrev_i32_e32 v16, 24, v16
	v_add_nc_u32_e32 v13, v101, v97
	v_bfe_i32 v99, v14, 8, 8
	v_bfe_i32 v106, v15, 16, 8
	;; [unrolled: 1-line block ×4, first 2 shown]
	v_add3_u32 v111, v13, v107, v16
	v_add_nc_u32_e32 v13, v100, v96
	v_bfe_i32 v102, v15, 0, 8
	v_mul_i32_i24_e32 v14, v19, v60
	v_mul_i32_i24_e32 v15, v30, v56
	v_mul_i32_i24_e32 v154, v101, v71
	v_add3_u32 v112, v13, v106, v110
	v_add_nc_u32_e32 v13, v99, v95
	s_delay_alu instid0(VALU_DEP_1) | instskip(SKIP_1) | instid1(VALU_DEP_1)
	v_add3_u32 v113, v13, v103, v109
	v_add_nc_u32_e32 v13, v98, v94
	v_add3_u32 v114, v13, v102, v108
	v_add_nc_u32_e32 v13, v85, v30
	s_delay_alu instid0(VALU_DEP_1) | instskip(SKIP_1) | instid1(VALU_DEP_1)
	v_add3_u32 v115, v13, v89, v93
	v_add_nc_u32_e32 v13, v84, v19
	v_add3_u32 v116, v13, v88, v92
	v_add_nc_u32_e32 v13, v83, v18
	s_delay_alu instid0(VALU_DEP_2) | instskip(NEXT) | instid1(VALU_DEP_2)
	v_mul_i32_i24_e32 v155, v116, v162
	v_add3_u32 v117, v13, v87, v91
	v_add_nc_u32_e32 v13, v82, v17
	s_delay_alu instid0(VALU_DEP_2) | instskip(NEXT) | instid1(VALU_DEP_2)
	v_mul_i32_i24_e32 v156, v117, v158
	v_add3_u32 v123, v13, v86, v90
	v_mul_i32_i24_e32 v13, v17, v58
	s_delay_alu instid0(VALU_DEP_2) | instskip(NEXT) | instid1(VALU_DEP_2)
	v_mul_i32_i24_e32 v128, v123, v195
	v_mad_i32_i24 v13, v18, v53, v13
	s_delay_alu instid0(VALU_DEP_2) | instskip(NEXT) | instid1(VALU_DEP_2)
	v_mad_i32_i24 v128, v115, v40, v128
	v_add3_u32 v13, v13, v14, v15
	v_mul_i32_i24_e32 v14, v82, v73
	v_mul_i32_i24_e32 v15, v83, v50
	s_delay_alu instid0(VALU_DEP_4) | instskip(SKIP_2) | instid1(VALU_DEP_4)
	v_add3_u32 v128, v128, v155, v156
	v_mul_i32_i24_e32 v156, v123, v151
	v_mul_i32_i24_e32 v155, v117, v52
	v_add3_u32 v13, v13, v14, v15
	v_mul_i32_i24_e32 v14, v86, v75
	v_mul_i32_i24_e32 v15, v87, v78
	v_mad_i32_i24 v156, v115, v189, v156
	s_delay_alu instid0(VALU_DEP_4) | instskip(SKIP_2) | instid1(VALU_DEP_3)
	v_add3_u32 v13, v13, v152, v153
	v_mul_i32_i24_e32 v152, v88, v81
	v_mul_i32_i24_e32 v153, v89, v119
	v_add3_u32 v13, v13, v14, v15
	v_mul_i32_i24_e32 v14, v90, v118
	v_mul_i32_i24_e32 v15, v91, v120
	s_delay_alu instid0(VALU_DEP_3) | instskip(SKIP_2) | instid1(VALU_DEP_3)
	v_add3_u32 v13, v13, v152, v153
	v_mul_i32_i24_e32 v152, v92, v121
	v_mul_i32_i24_e32 v153, v93, v122
	v_add3_u32 v13, v13, v14, v15
	v_mul_i32_i24_e32 v14, v94, v54
	v_mul_i32_i24_e32 v15, v96, v69
	s_delay_alu instid0(VALU_DEP_3) | instskip(SKIP_1) | instid1(VALU_DEP_4)
	v_add3_u32 v13, v13, v152, v153
	v_mul_i32_i24_e32 v152, v97, v72
	v_mad_i32_i24 v14, v95, v5, v14
	v_mul_i32_i24_e32 v153, v100, v10
	s_delay_alu instid0(VALU_DEP_4) | instskip(NEXT) | instid1(VALU_DEP_3)
	v_mul_lo_u32 v13, v13, v4
	v_add3_u32 v14, v14, v15, v152
	v_mul_i32_i24_e32 v15, v98, v2
	v_mul_i32_i24_e32 v152, v99, v7
	s_delay_alu instid0(VALU_DEP_1) | instskip(SKIP_2) | instid1(VALU_DEP_3)
	v_add3_u32 v14, v14, v15, v152
	v_mul_i32_i24_e32 v15, v102, v8
	v_mul_i32_i24_e32 v152, v103, v11
	v_add3_u32 v14, v14, v153, v154
	v_mul_i32_i24_e32 v153, v106, v163
	v_mul_i32_i24_e32 v154, v107, v165
	s_delay_alu instid0(VALU_DEP_3) | instskip(SKIP_2) | instid1(VALU_DEP_3)
	v_add3_u32 v14, v14, v15, v152
	v_mul_i32_i24_e32 v15, v108, v77
	v_mul_i32_i24_e32 v152, v109, v147
	v_add3_u32 v14, v14, v153, v154
	v_mul_i32_i24_e32 v153, v110, v79
	v_mul_i32_i24_e32 v154, v16, v57
	s_delay_alu instid0(VALU_DEP_3) | instskip(SKIP_1) | instid1(VALU_DEP_2)
	v_add3_u32 v14, v14, v15, v152
	v_mul_i32_i24_e32 v15, v112, v6
	v_add3_u32 v152, v14, v153, v154
	v_mul_i32_i24_e32 v14, v111, v9
	v_mul_i32_i24_e32 v154, v114, v51
	;; [unrolled: 1-line block ×3, first 2 shown]
	s_delay_alu instid0(VALU_DEP_2) | instskip(SKIP_1) | instid1(VALU_DEP_2)
	v_add3_u32 v14, v128, v154, v14
	v_mul_i32_i24_e32 v154, v116, v55
	v_add3_u32 v128, v14, v15, v153
	v_mad_u64_u32 v[14:15], null, v152, v44, v[13:14]
	v_mul_i32_i24_e32 v15, v30, v67
	v_mul_i32_i24_e32 v152, v85, v238
	;; [unrolled: 1-line block ×3, first 2 shown]
	v_add3_u32 v154, v156, v154, v155
	v_mul_i32_i24_e32 v156, v123, v132
	v_mul_i32_i24_e32 v155, v117, v206
	v_cvt_f32_i32_e32 v13, v14
	v_cvt_f32_i32_e32 v14, v128
	v_mul_i32_i24_e32 v128, v84, v236
	v_mad_i32_i24 v156, v115, v133, v156
	s_delay_alu instid0(VALU_DEP_3) | instskip(NEXT) | instid1(VALU_DEP_1)
	v_mul_f32_e32 v14, v48, v14
	v_fma_mix_f32 v13, v182, v13, -v14 op_sel_hi:[1,0,0]
	v_mul_i32_i24_e32 v14, v19, v64
	s_delay_alu instid0(VALU_DEP_2) | instskip(SKIP_1) | instid1(VALU_DEP_1)
	v_fmac_f32_e32 v240, v20, v13
	v_mul_i32_i24_e32 v13, v17, v63
	v_mad_i32_i24 v13, v18, v59, v13
	s_delay_alu instid0(VALU_DEP_1) | instskip(SKIP_2) | instid1(VALU_DEP_1)
	v_add3_u32 v13, v13, v14, v15
	v_mul_i32_i24_e32 v14, v82, v65
	v_mul_i32_i24_e32 v15, v83, v66
	v_add3_u32 v13, v13, v14, v15
	v_mul_i32_i24_e32 v14, v86, v237
	v_mul_i32_i24_e32 v15, v87, v68
	s_delay_alu instid0(VALU_DEP_3) | instskip(SKIP_2) | instid1(VALU_DEP_3)
	v_add3_u32 v13, v13, v128, v152
	v_mul_i32_i24_e32 v128, v88, v70
	v_mul_i32_i24_e32 v152, v89, v242
	v_add3_u32 v13, v13, v14, v15
	v_mul_i32_i24_e32 v14, v90, v241
	v_mul_i32_i24_e32 v15, v91, v243
	s_delay_alu instid0(VALU_DEP_3) | instskip(SKIP_2) | instid1(VALU_DEP_3)
	v_add3_u32 v13, v13, v128, v152
	v_mul_i32_i24_e32 v128, v92, v244
	v_mul_i32_i24_e32 v152, v93, v245
	v_add3_u32 v13, v13, v14, v15
	v_mul_i32_i24_e32 v14, v94, v248
	v_mul_i32_i24_e32 v15, v96, v249
	s_delay_alu instid0(VALU_DEP_3) | instskip(SKIP_1) | instid1(VALU_DEP_4)
	v_add3_u32 v13, v13, v128, v152
	v_mul_i32_i24_e32 v128, v97, v252
	v_mad_i32_i24 v14, v95, v247, v14
	v_mul_i32_i24_e32 v152, v100, v253
	s_delay_alu instid0(VALU_DEP_4) | instskip(NEXT) | instid1(VALU_DEP_3)
	v_mul_lo_u32 v13, v13, v246
	v_add3_u32 v14, v14, v15, v128
	v_mul_i32_i24_e32 v15, v98, v49
	v_mul_i32_i24_e32 v128, v99, v251
	s_delay_alu instid0(VALU_DEP_1) | instskip(SKIP_2) | instid1(VALU_DEP_3)
	v_add3_u32 v14, v14, v15, v128
	v_mul_i32_i24_e32 v15, v102, v74
	v_mul_i32_i24_e32 v128, v103, v148
	v_add3_u32 v14, v14, v152, v153
	v_mul_i32_i24_e32 v152, v106, v46
	v_mul_i32_i24_e32 v153, v107, v42
	s_delay_alu instid0(VALU_DEP_3) | instskip(SKIP_2) | instid1(VALU_DEP_3)
	v_add3_u32 v14, v14, v15, v128
	v_mul_i32_i24_e32 v15, v108, v150
	v_mul_i32_i24_e32 v128, v109, v43
	v_add3_u32 v14, v14, v152, v153
	v_mul_i32_i24_e32 v152, v110, v45
	v_mul_i32_i24_e32 v153, v16, v47
	s_delay_alu instid0(VALU_DEP_3) | instskip(SKIP_1) | instid1(VALU_DEP_2)
	v_add3_u32 v14, v14, v15, v128
	v_mul_i32_i24_e32 v15, v112, v250
	v_add3_u32 v128, v14, v152, v153
	v_mul_i32_i24_e32 v14, v111, v0
	v_mul_i32_i24_e32 v153, v114, v226
	;; [unrolled: 1-line block ×3, first 2 shown]
	s_delay_alu instid0(VALU_DEP_2) | instskip(SKIP_2) | instid1(VALU_DEP_3)
	v_add3_u32 v14, v154, v153, v14
	v_mul_i32_i24_e32 v153, v101, v220
	v_mul_i32_i24_e32 v154, v116, v23
	v_add3_u32 v152, v14, v15, v152
	v_mad_u64_u32 v[14:15], null, v128, v190, v[13:14]
	v_mul_i32_i24_e32 v15, v30, v199
	v_mul_i32_i24_e32 v128, v84, v26
	v_add3_u32 v154, v156, v154, v155
	s_delay_alu instid0(VALU_DEP_4) | instskip(SKIP_2) | instid1(VALU_DEP_2)
	v_cvt_f32_i32_e32 v13, v14
	v_cvt_f32_i32_e32 v14, v152
	v_mul_i32_i24_e32 v152, v85, v32
	v_mul_f32_e32 v14, v191, v14
	s_delay_alu instid0(VALU_DEP_1) | instskip(SKIP_1) | instid1(VALU_DEP_2)
	v_fma_mix_f32 v13, v138, v13, -v14 op_sel_hi:[1,0,0]
	v_mul_i32_i24_e32 v14, v19, v196
	v_fmac_f32_e32 v239, v20, v13
	v_mul_i32_i24_e32 v13, v17, v193
	s_delay_alu instid0(VALU_DEP_1) | instskip(NEXT) | instid1(VALU_DEP_1)
	v_mad_i32_i24 v13, v18, v192, v13
	v_add3_u32 v13, v13, v14, v15
	v_mul_i32_i24_e32 v14, v82, v33
	v_mul_i32_i24_e32 v15, v83, v25
	s_delay_alu instid0(VALU_DEP_1) | instskip(SKIP_2) | instid1(VALU_DEP_3)
	v_add3_u32 v13, v13, v14, v15
	v_mul_i32_i24_e32 v14, v86, v27
	v_mul_i32_i24_e32 v15, v87, v28
	v_add3_u32 v13, v13, v128, v152
	v_mul_i32_i24_e32 v128, v88, v202
	v_mul_i32_i24_e32 v152, v89, v204
	s_delay_alu instid0(VALU_DEP_3) | instskip(SKIP_2) | instid1(VALU_DEP_3)
	v_add3_u32 v13, v13, v14, v15
	v_mul_i32_i24_e32 v14, v90, v31
	v_mul_i32_i24_e32 v15, v91, v203
	v_add3_u32 v13, v13, v128, v152
	v_mul_i32_i24_e32 v128, v92, v34
	v_mul_i32_i24_e32 v152, v93, v210
	s_delay_alu instid0(VALU_DEP_3) | instskip(SKIP_2) | instid1(VALU_DEP_3)
	v_add3_u32 v13, v13, v14, v15
	v_mul_i32_i24_e32 v14, v94, v212
	v_mul_i32_i24_e32 v15, v96, v214
	v_add3_u32 v13, v13, v128, v152
	v_mul_i32_i24_e32 v128, v97, v217
	s_delay_alu instid0(VALU_DEP_4) | instskip(SKIP_1) | instid1(VALU_DEP_4)
	v_mad_i32_i24 v14, v95, v211, v14
	v_mul_i32_i24_e32 v152, v100, v218
	v_mul_lo_u32 v13, v13, v36
	s_delay_alu instid0(VALU_DEP_3) | instskip(SKIP_2) | instid1(VALU_DEP_1)
	v_add3_u32 v14, v14, v15, v128
	v_mul_i32_i24_e32 v15, v98, v38
	v_mul_i32_i24_e32 v128, v99, v213
	v_add3_u32 v14, v14, v15, v128
	v_mul_i32_i24_e32 v15, v102, v216
	v_mul_i32_i24_e32 v128, v103, v219
	s_delay_alu instid0(VALU_DEP_3) | instskip(SKIP_2) | instid1(VALU_DEP_3)
	v_add3_u32 v14, v14, v152, v153
	v_mul_i32_i24_e32 v152, v106, v37
	v_mul_i32_i24_e32 v153, v107, v145
	v_add3_u32 v14, v14, v15, v128
	v_mul_i32_i24_e32 v15, v108, v221
	v_mul_i32_i24_e32 v128, v109, v146
	s_delay_alu instid0(VALU_DEP_3) | instskip(SKIP_3) | instid1(VALU_DEP_4)
	v_add3_u32 v14, v14, v152, v153
	v_mul_i32_i24_e32 v152, v110, v144
	v_mul_i32_i24_e32 v153, v16, v143
	;; [unrolled: 1-line block ×3, first 2 shown]
	v_add3_u32 v14, v14, v15, v128
	v_mul_i32_i24_e32 v15, v112, v35
	s_delay_alu instid0(VALU_DEP_2) | instskip(SKIP_3) | instid1(VALU_DEP_2)
	v_add3_u32 v128, v14, v152, v153
	v_mul_i32_i24_e32 v14, v111, v215
	v_mul_i32_i24_e32 v153, v114, v183
	;; [unrolled: 1-line block ×3, first 2 shown]
	v_add3_u32 v14, v154, v153, v14
	s_delay_alu instid0(VALU_DEP_1) | instskip(SKIP_3) | instid1(VALU_DEP_3)
	v_add3_u32 v152, v14, v15, v152
	v_mad_u64_u32 v[14:15], null, v128, v136, v[13:14]
	v_mul_i32_i24_e32 v15, v30, v164
	v_mul_i32_i24_e32 v30, v117, v167
	v_cvt_f32_i32_e32 v13, v14
	v_cvt_f32_i32_e32 v14, v152
	s_delay_alu instid0(VALU_DEP_1) | instskip(NEXT) | instid1(VALU_DEP_1)
	v_mul_f32_e32 v14, v137, v14
	v_fma_mix_f32 v13, v131, v13, -v14 op_sel_hi:[1,0,0]
	v_mul_i32_i24_e32 v14, v19, v187
	v_mul_i32_i24_e32 v19, v101, v197
	s_delay_alu instid0(VALU_DEP_3) | instskip(SKIP_2) | instid1(VALU_DEP_2)
	v_fmac_f32_e32 v235, v20, v13
	v_mul_i32_i24_e32 v13, v17, v185
	v_mul_i32_i24_e32 v17, v84, v129
	v_mad_i32_i24 v13, v18, v21, v13
	v_mul_i32_i24_e32 v18, v85, v168
	s_delay_alu instid0(VALU_DEP_2) | instskip(SKIP_3) | instid1(VALU_DEP_2)
	v_add3_u32 v13, v13, v14, v15
	v_mul_i32_i24_e32 v14, v82, v104
	v_mul_i32_i24_e32 v15, v83, v105
	;; [unrolled: 1-line block ×3, first 2 shown]
	v_add3_u32 v13, v13, v14, v15
	v_mul_i32_i24_e32 v14, v86, v127
	v_mul_i32_i24_e32 v15, v87, v135
	s_delay_alu instid0(VALU_DEP_4) | instskip(NEXT) | instid1(VALU_DEP_4)
	v_mad_i32_i24 v82, v115, v161, v82
	v_add3_u32 v13, v13, v17, v18
	v_mul_i32_i24_e32 v17, v88, v142
	v_mul_i32_i24_e32 v18, v89, v172
	s_delay_alu instid0(VALU_DEP_3) | instskip(SKIP_2) | instid1(VALU_DEP_3)
	v_add3_u32 v13, v13, v14, v15
	v_mul_i32_i24_e32 v14, v90, v170
	v_mul_i32_i24_e32 v15, v91, v171
	v_add3_u32 v13, v13, v17, v18
	v_mul_i32_i24_e32 v17, v92, v174
	v_mul_i32_i24_e32 v18, v93, v175
	s_delay_alu instid0(VALU_DEP_3) | instskip(SKIP_2) | instid1(VALU_DEP_3)
	v_add3_u32 v13, v13, v14, v15
	v_mul_i32_i24_e32 v14, v94, v178
	v_mul_i32_i24_e32 v15, v96, v207
	v_add3_u32 v13, v13, v17, v18
	v_mul_i32_i24_e32 v17, v97, v180
	s_delay_alu instid0(VALU_DEP_4) | instskip(SKIP_1) | instid1(VALU_DEP_4)
	v_mad_i32_i24 v14, v95, v177, v14
	v_mul_i32_i24_e32 v18, v100, v194
	v_mul_lo_u32 v13, v13, v176
	s_delay_alu instid0(VALU_DEP_3) | instskip(SKIP_2) | instid1(VALU_DEP_1)
	v_add3_u32 v14, v14, v15, v17
	v_mul_i32_i24_e32 v15, v98, v22
	v_mul_i32_i24_e32 v17, v99, v179
	v_add3_u32 v14, v14, v15, v17
	v_mul_i32_i24_e32 v15, v102, v181
	v_mul_i32_i24_e32 v17, v103, v198
	s_delay_alu instid0(VALU_DEP_3) | instskip(SKIP_2) | instid1(VALU_DEP_3)
	v_add3_u32 v14, v14, v18, v19
	v_mul_i32_i24_e32 v18, v106, v200
	v_mul_i32_i24_e32 v19, v107, v201
	v_add3_u32 v14, v14, v15, v17
	v_mul_i32_i24_e32 v15, v108, v184
	v_mul_i32_i24_e32 v17, v109, v24
	s_delay_alu instid0(VALU_DEP_3) | instskip(SKIP_2) | instid1(VALU_DEP_3)
	v_add3_u32 v14, v14, v18, v19
	v_mul_i32_i24_e32 v18, v110, v141
	v_mul_i32_i24_e32 v19, v116, v173
	v_add3_u32 v14, v14, v15, v17
	v_mul_i32_i24_e32 v15, v112, v205
	s_delay_alu instid0(VALU_DEP_3) | instskip(SKIP_1) | instid1(VALU_DEP_4)
	v_add3_u32 v19, v82, v19, v30
	v_mul_i32_i24_e32 v17, v113, v188
	v_add3_u32 v16, v14, v18, v16
	v_mul_i32_i24_e32 v14, v111, v186
	v_mul_i32_i24_e32 v18, v114, v139
	s_delay_alu instid0(VALU_DEP_1) | instskip(NEXT) | instid1(VALU_DEP_1)
	v_add3_u32 v14, v19, v18, v14
	v_add3_u32 v17, v14, v15, v17
	v_mad_u64_u32 v[14:15], null, v16, v160, v[13:14]
	s_delay_alu instid0(VALU_DEP_1) | instskip(NEXT) | instid1(VALU_DEP_3)
	v_cvt_f32_i32_e32 v13, v14
	v_cvt_f32_i32_e32 v14, v17
	s_delay_alu instid0(VALU_DEP_1) | instskip(NEXT) | instid1(VALU_DEP_1)
	v_mul_f32_e32 v14, v159, v14
	v_fma_mix_f32 v13, v126, v13, -v14 op_sel_hi:[1,0,0]
	s_delay_alu instid0(VALU_DEP_1)
	v_fmac_f32_e32 v234, v20, v13
	ds_load_2addr_b32 v[19:20], v125 offset0:64 offset1:96
	ds_load_b128 v[13:16], v124 offset:2048
	v_mov_b32_e32 v157, v31
	s_waitcnt lgkmcnt(0)
	v_bfe_i32 v17, v13, 0, 8
	v_bfe_i32 v18, v13, 8, 8
	v_bfe_i32 v30, v13, 16, 8
	v_ashrrev_i32_e32 v82, 24, v13
	v_bfe_i32 v83, v14, 0, 8
	v_bfe_i32 v84, v14, 8, 8
	v_bfe_i32 v85, v14, 16, 8
	v_ashrrev_i32_e32 v86, 24, v14
	;; [unrolled: 4-line block ×4, first 2 shown]
	ds_load_b128 v[13:16], v124 offset:2064
	v_mul_i32_i24_e32 v152, v85, v76
	v_mul_i32_i24_e32 v153, v86, v61
	s_waitcnt lgkmcnt(0)
	v_ashrrev_i32_e32 v98, 24, v13
	v_ashrrev_i32_e32 v102, 24, v14
	v_bfe_i32 v95, v13, 0, 8
	v_bfe_i32 v96, v13, 8, 8
	;; [unrolled: 1-line block ×4, first 2 shown]
	v_ashrrev_i32_e32 v108, 24, v15
	v_bfe_i32 v109, v16, 0, 8
	v_bfe_i32 v110, v16, 8, 8
	;; [unrolled: 1-line block ×3, first 2 shown]
	v_ashrrev_i32_e32 v16, 24, v16
	v_add_nc_u32_e32 v13, v102, v98
	v_bfe_i32 v100, v14, 8, 8
	v_bfe_i32 v107, v15, 16, 8
	v_bfe_i32 v99, v14, 0, 8
	v_bfe_i32 v106, v15, 8, 8
	v_add3_u32 v112, v13, v108, v16
	v_add_nc_u32_e32 v13, v101, v97
	v_bfe_i32 v103, v15, 0, 8
	v_mul_i32_i24_e32 v14, v30, v60
	v_mul_i32_i24_e32 v15, v82, v56
	;; [unrolled: 1-line block ×3, first 2 shown]
	v_add3_u32 v113, v13, v107, v111
	v_add_nc_u32_e32 v13, v100, v96
	s_delay_alu instid0(VALU_DEP_1) | instskip(SKIP_1) | instid1(VALU_DEP_1)
	v_add3_u32 v114, v13, v106, v110
	v_add_nc_u32_e32 v13, v99, v95
	v_add3_u32 v115, v13, v103, v109
	v_add_nc_u32_e32 v13, v86, v82
	s_delay_alu instid0(VALU_DEP_1) | instskip(SKIP_1) | instid1(VALU_DEP_1)
	v_add3_u32 v116, v13, v90, v94
	v_add_nc_u32_e32 v13, v85, v30
	v_add3_u32 v117, v13, v89, v93
	v_add_nc_u32_e32 v13, v84, v18
	s_delay_alu instid0(VALU_DEP_2) | instskip(NEXT) | instid1(VALU_DEP_2)
	v_mul_i32_i24_e32 v155, v117, v162
	v_add3_u32 v123, v13, v88, v92
	v_add_nc_u32_e32 v13, v83, v17
	s_delay_alu instid0(VALU_DEP_2) | instskip(NEXT) | instid1(VALU_DEP_2)
	v_mul_i32_i24_e32 v156, v123, v158
	v_add3_u32 v128, v13, v87, v91
	v_mul_i32_i24_e32 v13, v17, v58
	s_delay_alu instid0(VALU_DEP_2) | instskip(NEXT) | instid1(VALU_DEP_2)
	v_mul_i32_i24_e32 v134, v128, v195
	v_mad_i32_i24 v13, v18, v53, v13
	s_delay_alu instid0(VALU_DEP_2) | instskip(NEXT) | instid1(VALU_DEP_2)
	v_mad_i32_i24 v134, v116, v40, v134
	v_add3_u32 v13, v13, v14, v15
	v_mul_i32_i24_e32 v14, v83, v73
	v_mul_i32_i24_e32 v15, v84, v50
	s_delay_alu instid0(VALU_DEP_4) | instskip(SKIP_2) | instid1(VALU_DEP_4)
	v_add3_u32 v134, v134, v155, v156
	v_mul_i32_i24_e32 v156, v128, v151
	v_mul_i32_i24_e32 v155, v123, v52
	v_add3_u32 v13, v13, v14, v15
	v_mul_i32_i24_e32 v14, v87, v75
	v_mul_i32_i24_e32 v15, v88, v78
	v_mad_i32_i24 v156, v116, v189, v156
	s_delay_alu instid0(VALU_DEP_4) | instskip(SKIP_2) | instid1(VALU_DEP_3)
	v_add3_u32 v13, v13, v152, v153
	v_mul_i32_i24_e32 v152, v89, v81
	v_mul_i32_i24_e32 v153, v90, v119
	v_add3_u32 v13, v13, v14, v15
	v_mul_i32_i24_e32 v14, v91, v118
	v_mul_i32_i24_e32 v15, v92, v120
	s_delay_alu instid0(VALU_DEP_3) | instskip(SKIP_2) | instid1(VALU_DEP_3)
	v_add3_u32 v13, v13, v152, v153
	v_mul_i32_i24_e32 v152, v93, v121
	v_mul_i32_i24_e32 v153, v94, v122
	v_add3_u32 v13, v13, v14, v15
	v_mul_i32_i24_e32 v14, v95, v54
	v_mul_i32_i24_e32 v15, v97, v69
	s_delay_alu instid0(VALU_DEP_3) | instskip(SKIP_1) | instid1(VALU_DEP_4)
	v_add3_u32 v13, v13, v152, v153
	v_mul_i32_i24_e32 v152, v98, v72
	v_mad_i32_i24 v14, v96, v5, v14
	v_mul_i32_i24_e32 v153, v101, v10
	s_delay_alu instid0(VALU_DEP_4) | instskip(NEXT) | instid1(VALU_DEP_3)
	v_mul_lo_u32 v13, v13, v4
	v_add3_u32 v14, v14, v15, v152
	v_mul_i32_i24_e32 v15, v99, v2
	v_mul_i32_i24_e32 v152, v100, v7
	s_delay_alu instid0(VALU_DEP_1) | instskip(SKIP_2) | instid1(VALU_DEP_3)
	v_add3_u32 v14, v14, v15, v152
	v_mul_i32_i24_e32 v15, v103, v8
	v_mul_i32_i24_e32 v152, v106, v11
	v_add3_u32 v14, v14, v153, v154
	v_mul_i32_i24_e32 v153, v107, v163
	v_mul_i32_i24_e32 v154, v108, v165
	s_delay_alu instid0(VALU_DEP_3) | instskip(SKIP_2) | instid1(VALU_DEP_3)
	v_add3_u32 v14, v14, v15, v152
	v_mul_i32_i24_e32 v15, v109, v77
	v_mul_i32_i24_e32 v152, v110, v147
	v_add3_u32 v14, v14, v153, v154
	v_mul_i32_i24_e32 v153, v111, v79
	v_mul_i32_i24_e32 v154, v16, v57
	s_delay_alu instid0(VALU_DEP_3) | instskip(SKIP_1) | instid1(VALU_DEP_2)
	v_add3_u32 v14, v14, v15, v152
	v_mul_i32_i24_e32 v15, v113, v6
	v_add3_u32 v152, v14, v153, v154
	v_mul_i32_i24_e32 v14, v112, v9
	v_mul_i32_i24_e32 v154, v115, v51
	;; [unrolled: 1-line block ×3, first 2 shown]
	s_delay_alu instid0(VALU_DEP_2) | instskip(SKIP_1) | instid1(VALU_DEP_2)
	v_add3_u32 v14, v134, v154, v14
	v_mul_i32_i24_e32 v154, v117, v55
	v_add3_u32 v134, v14, v15, v153
	v_mad_u64_u32 v[14:15], null, v152, v44, v[13:14]
	v_mul_i32_i24_e32 v15, v82, v67
	v_mul_i32_i24_e32 v152, v86, v238
	;; [unrolled: 1-line block ×3, first 2 shown]
	v_add3_u32 v154, v156, v154, v155
	v_mul_i32_i24_e32 v156, v128, v132
	v_mul_i32_i24_e32 v155, v123, v206
	v_cvt_f32_i32_e32 v13, v14
	v_cvt_f32_i32_e32 v14, v134
	v_mul_i32_i24_e32 v134, v85, v236
	v_mad_i32_i24 v156, v116, v133, v156
	s_delay_alu instid0(VALU_DEP_3) | instskip(NEXT) | instid1(VALU_DEP_1)
	v_mul_f32_e32 v14, v48, v14
	v_fma_mix_f32 v13, v182, v13, -v14 op_sel_hi:[1,0,0]
	v_mul_i32_i24_e32 v14, v30, v64
	s_delay_alu instid0(VALU_DEP_2) | instskip(SKIP_1) | instid1(VALU_DEP_1)
	v_fmac_f32_e32 v233, v19, v13
	v_mul_i32_i24_e32 v13, v17, v63
	v_mad_i32_i24 v13, v18, v59, v13
	s_delay_alu instid0(VALU_DEP_1) | instskip(SKIP_2) | instid1(VALU_DEP_1)
	v_add3_u32 v13, v13, v14, v15
	v_mul_i32_i24_e32 v14, v83, v65
	v_mul_i32_i24_e32 v15, v84, v66
	v_add3_u32 v13, v13, v14, v15
	v_mul_i32_i24_e32 v14, v87, v237
	v_mul_i32_i24_e32 v15, v88, v68
	s_delay_alu instid0(VALU_DEP_3) | instskip(SKIP_2) | instid1(VALU_DEP_3)
	v_add3_u32 v13, v13, v134, v152
	v_mul_i32_i24_e32 v134, v89, v70
	v_mul_i32_i24_e32 v152, v90, v242
	v_add3_u32 v13, v13, v14, v15
	v_mul_i32_i24_e32 v14, v91, v241
	v_mul_i32_i24_e32 v15, v92, v243
	s_delay_alu instid0(VALU_DEP_3) | instskip(SKIP_2) | instid1(VALU_DEP_3)
	v_add3_u32 v13, v13, v134, v152
	v_mul_i32_i24_e32 v134, v93, v244
	v_mul_i32_i24_e32 v152, v94, v245
	v_add3_u32 v13, v13, v14, v15
	v_mul_i32_i24_e32 v14, v95, v248
	v_mul_i32_i24_e32 v15, v97, v249
	s_delay_alu instid0(VALU_DEP_3) | instskip(SKIP_1) | instid1(VALU_DEP_4)
	v_add3_u32 v13, v13, v134, v152
	v_mul_i32_i24_e32 v134, v98, v252
	v_mad_i32_i24 v14, v96, v247, v14
	v_mul_i32_i24_e32 v152, v101, v253
	s_delay_alu instid0(VALU_DEP_4) | instskip(NEXT) | instid1(VALU_DEP_3)
	v_mul_lo_u32 v13, v13, v246
	v_add3_u32 v14, v14, v15, v134
	v_mul_i32_i24_e32 v15, v99, v49
	v_mul_i32_i24_e32 v134, v100, v251
	s_delay_alu instid0(VALU_DEP_1) | instskip(SKIP_2) | instid1(VALU_DEP_3)
	v_add3_u32 v14, v14, v15, v134
	v_mul_i32_i24_e32 v15, v103, v74
	v_mul_i32_i24_e32 v134, v106, v148
	v_add3_u32 v14, v14, v152, v153
	v_mul_i32_i24_e32 v152, v107, v46
	v_mul_i32_i24_e32 v153, v108, v42
	s_delay_alu instid0(VALU_DEP_3) | instskip(SKIP_2) | instid1(VALU_DEP_3)
	v_add3_u32 v14, v14, v15, v134
	v_mul_i32_i24_e32 v15, v109, v150
	v_mul_i32_i24_e32 v134, v110, v43
	v_add3_u32 v14, v14, v152, v153
	v_mul_i32_i24_e32 v152, v111, v45
	v_mul_i32_i24_e32 v153, v16, v47
	s_delay_alu instid0(VALU_DEP_3) | instskip(SKIP_1) | instid1(VALU_DEP_2)
	v_add3_u32 v14, v14, v15, v134
	v_mul_i32_i24_e32 v15, v113, v250
	v_add3_u32 v134, v14, v152, v153
	v_mul_i32_i24_e32 v14, v112, v0
	v_mul_i32_i24_e32 v153, v115, v226
	;; [unrolled: 1-line block ×3, first 2 shown]
	v_mov_b32_e32 v0, v23
	s_delay_alu instid0(VALU_DEP_3) | instskip(SKIP_3) | instid1(VALU_DEP_4)
	v_add3_u32 v14, v154, v153, v14
	v_mul_i32_i24_e32 v153, v102, v220
	v_mul_i32_i24_e32 v154, v117, v23
	v_mov_b32_e32 v23, v2
	v_add3_u32 v152, v14, v15, v152
	v_mad_u64_u32 v[14:15], null, v134, v190, v[13:14]
	v_mul_i32_i24_e32 v15, v82, v199
	v_mul_i32_i24_e32 v134, v85, v26
	v_add3_u32 v154, v156, v154, v155
	s_delay_alu instid0(VALU_DEP_4) | instskip(SKIP_2) | instid1(VALU_DEP_2)
	v_cvt_f32_i32_e32 v13, v14
	v_cvt_f32_i32_e32 v14, v152
	v_mul_i32_i24_e32 v152, v86, v32
	v_mul_f32_e32 v14, v191, v14
	s_delay_alu instid0(VALU_DEP_1) | instskip(SKIP_1) | instid1(VALU_DEP_2)
	v_fma_mix_f32 v13, v138, v13, -v14 op_sel_hi:[1,0,0]
	v_mul_i32_i24_e32 v14, v30, v196
	v_fmac_f32_e32 v232, v19, v13
	v_mul_i32_i24_e32 v13, v17, v193
	s_delay_alu instid0(VALU_DEP_1) | instskip(NEXT) | instid1(VALU_DEP_1)
	v_mad_i32_i24 v13, v18, v192, v13
	v_add3_u32 v13, v13, v14, v15
	v_mul_i32_i24_e32 v14, v83, v33
	v_mul_i32_i24_e32 v15, v84, v25
	s_delay_alu instid0(VALU_DEP_1) | instskip(SKIP_2) | instid1(VALU_DEP_3)
	v_add3_u32 v13, v13, v14, v15
	v_mul_i32_i24_e32 v14, v87, v27
	v_mul_i32_i24_e32 v15, v88, v28
	v_add3_u32 v13, v13, v134, v152
	v_mul_i32_i24_e32 v134, v89, v202
	v_mul_i32_i24_e32 v152, v90, v204
	s_delay_alu instid0(VALU_DEP_3) | instskip(SKIP_2) | instid1(VALU_DEP_3)
	v_add3_u32 v13, v13, v14, v15
	v_mul_i32_i24_e32 v14, v91, v31
	v_mul_i32_i24_e32 v15, v92, v203
	v_add3_u32 v13, v13, v134, v152
	v_mul_i32_i24_e32 v134, v93, v34
	v_mul_i32_i24_e32 v152, v94, v210
	s_delay_alu instid0(VALU_DEP_3) | instskip(SKIP_2) | instid1(VALU_DEP_3)
	v_add3_u32 v13, v13, v14, v15
	v_mul_i32_i24_e32 v14, v95, v212
	v_mul_i32_i24_e32 v15, v97, v214
	v_add3_u32 v13, v13, v134, v152
	v_mul_i32_i24_e32 v134, v98, v217
	s_delay_alu instid0(VALU_DEP_4) | instskip(SKIP_1) | instid1(VALU_DEP_4)
	v_mad_i32_i24 v14, v96, v211, v14
	v_mul_i32_i24_e32 v152, v101, v218
	v_mul_lo_u32 v13, v13, v36
	s_delay_alu instid0(VALU_DEP_3) | instskip(SKIP_2) | instid1(VALU_DEP_1)
	v_add3_u32 v14, v14, v15, v134
	v_mul_i32_i24_e32 v15, v99, v38
	v_mul_i32_i24_e32 v134, v100, v213
	v_add3_u32 v14, v14, v15, v134
	v_mul_i32_i24_e32 v15, v103, v216
	v_mul_i32_i24_e32 v134, v106, v219
	s_delay_alu instid0(VALU_DEP_3) | instskip(SKIP_2) | instid1(VALU_DEP_3)
	v_add3_u32 v14, v14, v152, v153
	v_mul_i32_i24_e32 v152, v107, v37
	v_mul_i32_i24_e32 v153, v108, v145
	v_add3_u32 v14, v14, v15, v134
	v_mul_i32_i24_e32 v15, v109, v221
	v_mul_i32_i24_e32 v134, v110, v146
	s_delay_alu instid0(VALU_DEP_3) | instskip(SKIP_3) | instid1(VALU_DEP_4)
	v_add3_u32 v14, v14, v152, v153
	v_mul_i32_i24_e32 v152, v111, v144
	v_mul_i32_i24_e32 v153, v16, v143
	;; [unrolled: 1-line block ×3, first 2 shown]
	v_add3_u32 v14, v14, v15, v134
	v_mul_i32_i24_e32 v15, v113, v35
	s_delay_alu instid0(VALU_DEP_2) | instskip(SKIP_3) | instid1(VALU_DEP_2)
	v_add3_u32 v134, v14, v152, v153
	v_mul_i32_i24_e32 v14, v112, v215
	v_mul_i32_i24_e32 v153, v115, v183
	;; [unrolled: 1-line block ×3, first 2 shown]
	v_add3_u32 v14, v154, v153, v14
	s_delay_alu instid0(VALU_DEP_1) | instskip(SKIP_3) | instid1(VALU_DEP_3)
	v_add3_u32 v152, v14, v15, v152
	v_mad_u64_u32 v[14:15], null, v134, v136, v[13:14]
	v_mul_i32_i24_e32 v15, v82, v164
	v_mul_i32_i24_e32 v82, v123, v167
	v_cvt_f32_i32_e32 v13, v14
	v_cvt_f32_i32_e32 v14, v152
	s_delay_alu instid0(VALU_DEP_1) | instskip(NEXT) | instid1(VALU_DEP_1)
	v_mul_f32_e32 v14, v137, v14
	v_fma_mix_f32 v13, v131, v13, -v14 op_sel_hi:[1,0,0]
	v_mul_i32_i24_e32 v14, v30, v187
	v_mul_i32_i24_e32 v30, v102, v197
	s_delay_alu instid0(VALU_DEP_3) | instskip(SKIP_2) | instid1(VALU_DEP_2)
	v_fmac_f32_e32 v231, v19, v13
	v_mul_i32_i24_e32 v13, v17, v185
	v_mul_i32_i24_e32 v17, v85, v129
	v_mad_i32_i24 v13, v18, v21, v13
	v_mul_i32_i24_e32 v18, v86, v168
	s_delay_alu instid0(VALU_DEP_2) | instskip(SKIP_3) | instid1(VALU_DEP_2)
	v_add3_u32 v13, v13, v14, v15
	v_mul_i32_i24_e32 v14, v83, v104
	v_mul_i32_i24_e32 v15, v84, v105
	;; [unrolled: 1-line block ×3, first 2 shown]
	v_add3_u32 v13, v13, v14, v15
	v_mul_i32_i24_e32 v14, v87, v127
	v_mul_i32_i24_e32 v15, v88, v135
	s_delay_alu instid0(VALU_DEP_4) | instskip(NEXT) | instid1(VALU_DEP_4)
	v_mad_i32_i24 v83, v116, v161, v83
	v_add3_u32 v13, v13, v17, v18
	v_mul_i32_i24_e32 v17, v89, v142
	v_mul_i32_i24_e32 v18, v90, v172
	s_delay_alu instid0(VALU_DEP_3) | instskip(SKIP_2) | instid1(VALU_DEP_3)
	v_add3_u32 v13, v13, v14, v15
	v_mul_i32_i24_e32 v14, v91, v170
	v_mul_i32_i24_e32 v15, v92, v171
	v_add3_u32 v13, v13, v17, v18
	v_mul_i32_i24_e32 v17, v93, v174
	v_mul_i32_i24_e32 v18, v94, v175
	s_delay_alu instid0(VALU_DEP_3) | instskip(SKIP_2) | instid1(VALU_DEP_3)
	v_add3_u32 v13, v13, v14, v15
	v_mul_i32_i24_e32 v14, v95, v178
	v_mul_i32_i24_e32 v15, v97, v207
	v_add3_u32 v13, v13, v17, v18
	v_mul_i32_i24_e32 v17, v98, v180
	s_delay_alu instid0(VALU_DEP_4) | instskip(SKIP_1) | instid1(VALU_DEP_4)
	v_mad_i32_i24 v14, v96, v177, v14
	v_mul_i32_i24_e32 v18, v101, v194
	v_mul_lo_u32 v13, v13, v176
	s_delay_alu instid0(VALU_DEP_3) | instskip(SKIP_2) | instid1(VALU_DEP_1)
	v_add3_u32 v14, v14, v15, v17
	v_mul_i32_i24_e32 v15, v99, v22
	v_mul_i32_i24_e32 v17, v100, v179
	v_add3_u32 v14, v14, v15, v17
	v_mul_i32_i24_e32 v15, v103, v181
	v_mul_i32_i24_e32 v17, v106, v198
	s_delay_alu instid0(VALU_DEP_3) | instskip(SKIP_2) | instid1(VALU_DEP_3)
	v_add3_u32 v14, v14, v18, v30
	v_mul_i32_i24_e32 v18, v107, v200
	v_mul_i32_i24_e32 v30, v108, v201
	v_add3_u32 v14, v14, v15, v17
	v_mul_i32_i24_e32 v15, v109, v184
	v_mul_i32_i24_e32 v17, v110, v24
	s_delay_alu instid0(VALU_DEP_3) | instskip(SKIP_2) | instid1(VALU_DEP_3)
	v_add3_u32 v14, v14, v18, v30
	v_mul_i32_i24_e32 v18, v111, v141
	v_mul_i32_i24_e32 v30, v117, v173
	v_add3_u32 v14, v14, v15, v17
	v_mul_i32_i24_e32 v15, v113, v205
	s_delay_alu instid0(VALU_DEP_3) | instskip(SKIP_1) | instid1(VALU_DEP_4)
	v_add3_u32 v30, v83, v30, v82
	v_mul_i32_i24_e32 v17, v114, v188
	v_add3_u32 v16, v14, v18, v16
	v_mul_i32_i24_e32 v14, v112, v186
	v_mul_i32_i24_e32 v18, v115, v139
	s_delay_alu instid0(VALU_DEP_1) | instskip(NEXT) | instid1(VALU_DEP_1)
	v_add3_u32 v14, v30, v18, v14
	v_add3_u32 v17, v14, v15, v17
	v_mad_u64_u32 v[14:15], null, v16, v160, v[13:14]
	s_delay_alu instid0(VALU_DEP_1) | instskip(NEXT) | instid1(VALU_DEP_3)
	v_cvt_f32_i32_e32 v13, v14
	v_cvt_f32_i32_e32 v14, v17
	s_delay_alu instid0(VALU_DEP_1) | instskip(NEXT) | instid1(VALU_DEP_1)
	v_mul_f32_e32 v14, v159, v14
	v_fma_mix_f32 v13, v126, v13, -v14 op_sel_hi:[1,0,0]
	s_delay_alu instid0(VALU_DEP_1)
	v_fmac_f32_e32 v230, v19, v13
	ds_load_b128 v[13:16], v124 offset:3072
	s_waitcnt lgkmcnt(0)
	v_bfe_i32 v17, v13, 0, 8
	v_bfe_i32 v18, v13, 8, 8
	v_bfe_i32 v19, v13, 16, 8
	v_ashrrev_i32_e32 v30, 24, v13
	v_bfe_i32 v82, v14, 0, 8
	v_bfe_i32 v83, v14, 8, 8
	v_bfe_i32 v84, v14, 16, 8
	v_ashrrev_i32_e32 v85, 24, v14
	;; [unrolled: 4-line block ×4, first 2 shown]
	ds_load_b128 v[13:16], v124 offset:3088
	v_mul_i32_i24_e32 v128, v84, v76
	v_mul_i32_i24_e32 v134, v85, v61
	s_waitcnt lgkmcnt(0)
	v_ashrrev_i32_e32 v97, 24, v13
	v_ashrrev_i32_e32 v101, 24, v14
	v_bfe_i32 v94, v13, 0, 8
	v_bfe_i32 v95, v13, 8, 8
	;; [unrolled: 1-line block ×4, first 2 shown]
	v_ashrrev_i32_e32 v107, 24, v15
	v_bfe_i32 v108, v16, 0, 8
	v_bfe_i32 v109, v16, 8, 8
	;; [unrolled: 1-line block ×3, first 2 shown]
	v_ashrrev_i32_e32 v16, 24, v16
	v_add_nc_u32_e32 v13, v101, v97
	v_bfe_i32 v99, v14, 8, 8
	v_bfe_i32 v106, v15, 16, 8
	;; [unrolled: 1-line block ×4, first 2 shown]
	v_add3_u32 v111, v13, v107, v16
	v_add_nc_u32_e32 v13, v100, v96
	v_bfe_i32 v102, v15, 0, 8
	v_mul_i32_i24_e32 v14, v19, v60
	v_mul_i32_i24_e32 v15, v30, v56
	;; [unrolled: 1-line block ×3, first 2 shown]
	v_add3_u32 v112, v13, v106, v110
	v_add_nc_u32_e32 v13, v99, v95
	s_delay_alu instid0(VALU_DEP_1) | instskip(SKIP_1) | instid1(VALU_DEP_1)
	v_add3_u32 v113, v13, v103, v109
	v_add_nc_u32_e32 v13, v98, v94
	v_add3_u32 v114, v13, v102, v108
	v_add_nc_u32_e32 v13, v85, v30
	s_delay_alu instid0(VALU_DEP_1) | instskip(SKIP_1) | instid1(VALU_DEP_1)
	v_add3_u32 v115, v13, v89, v93
	v_add_nc_u32_e32 v13, v84, v19
	v_add3_u32 v116, v13, v88, v92
	v_add_nc_u32_e32 v13, v83, v18
	s_delay_alu instid0(VALU_DEP_2) | instskip(NEXT) | instid1(VALU_DEP_2)
	v_mul_i32_i24_e32 v153, v116, v162
	v_add3_u32 v117, v13, v87, v91
	v_add_nc_u32_e32 v13, v82, v17
	s_delay_alu instid0(VALU_DEP_2) | instskip(NEXT) | instid1(VALU_DEP_2)
	v_mul_i32_i24_e32 v154, v117, v158
	v_add3_u32 v123, v13, v86, v90
	v_mul_i32_i24_e32 v13, v17, v58
	s_delay_alu instid0(VALU_DEP_2) | instskip(NEXT) | instid1(VALU_DEP_2)
	v_mul_i32_i24_e32 v155, v123, v195
	v_mad_i32_i24 v13, v18, v53, v13
	s_delay_alu instid0(VALU_DEP_2) | instskip(NEXT) | instid1(VALU_DEP_2)
	v_mad_i32_i24 v155, v115, v40, v155
	v_add3_u32 v13, v13, v14, v15
	v_mul_i32_i24_e32 v14, v82, v73
	v_mul_i32_i24_e32 v15, v83, v50
	s_delay_alu instid0(VALU_DEP_4) | instskip(SKIP_2) | instid1(VALU_DEP_4)
	v_add3_u32 v153, v155, v153, v154
	v_mul_i32_i24_e32 v155, v123, v151
	v_mul_i32_i24_e32 v154, v117, v52
	v_add3_u32 v13, v13, v14, v15
	v_mul_i32_i24_e32 v14, v86, v75
	v_mul_i32_i24_e32 v15, v87, v78
	v_mad_i32_i24 v155, v115, v189, v155
	s_delay_alu instid0(VALU_DEP_4) | instskip(SKIP_2) | instid1(VALU_DEP_3)
	v_add3_u32 v13, v13, v128, v134
	v_mul_i32_i24_e32 v128, v88, v81
	v_mul_i32_i24_e32 v134, v89, v119
	v_add3_u32 v13, v13, v14, v15
	v_mul_i32_i24_e32 v14, v90, v118
	v_mul_i32_i24_e32 v15, v91, v120
	s_delay_alu instid0(VALU_DEP_3) | instskip(SKIP_2) | instid1(VALU_DEP_3)
	v_add3_u32 v13, v13, v128, v134
	v_mul_i32_i24_e32 v128, v92, v121
	v_mul_i32_i24_e32 v134, v93, v122
	v_add3_u32 v13, v13, v14, v15
	v_mul_i32_i24_e32 v14, v94, v54
	v_mul_i32_i24_e32 v15, v96, v69
	s_delay_alu instid0(VALU_DEP_3) | instskip(SKIP_1) | instid1(VALU_DEP_4)
	v_add3_u32 v13, v13, v128, v134
	v_mul_i32_i24_e32 v128, v97, v72
	v_mad_i32_i24 v14, v95, v5, v14
	v_mul_i32_i24_e32 v134, v100, v10
	s_delay_alu instid0(VALU_DEP_4) | instskip(NEXT) | instid1(VALU_DEP_3)
	v_mul_lo_u32 v13, v13, v4
	v_add3_u32 v14, v14, v15, v128
	v_mul_i32_i24_e32 v15, v98, v23
	v_mul_i32_i24_e32 v128, v99, v7
	s_delay_alu instid0(VALU_DEP_1) | instskip(SKIP_2) | instid1(VALU_DEP_3)
	v_add3_u32 v14, v14, v15, v128
	v_mul_i32_i24_e32 v15, v102, v8
	v_mul_i32_i24_e32 v128, v103, v11
	v_add3_u32 v14, v14, v134, v152
	v_mul_i32_i24_e32 v134, v106, v163
	v_mul_i32_i24_e32 v152, v107, v165
	s_delay_alu instid0(VALU_DEP_3) | instskip(SKIP_2) | instid1(VALU_DEP_3)
	v_add3_u32 v14, v14, v15, v128
	v_mul_i32_i24_e32 v15, v108, v77
	v_mul_i32_i24_e32 v128, v109, v147
	v_add3_u32 v14, v14, v134, v152
	v_mul_i32_i24_e32 v134, v110, v79
	v_mul_i32_i24_e32 v152, v16, v57
	s_delay_alu instid0(VALU_DEP_3) | instskip(SKIP_1) | instid1(VALU_DEP_2)
	v_add3_u32 v14, v14, v15, v128
	v_mul_i32_i24_e32 v15, v112, v6
	v_add3_u32 v128, v14, v134, v152
	v_mul_i32_i24_e32 v14, v111, v9
	v_mul_i32_i24_e32 v152, v114, v51
	;; [unrolled: 1-line block ×3, first 2 shown]
	s_delay_alu instid0(VALU_DEP_2) | instskip(SKIP_2) | instid1(VALU_DEP_3)
	v_add3_u32 v14, v153, v152, v14
	v_mul_i32_i24_e32 v152, v101, v255
	v_mul_i32_i24_e32 v153, v116, v55
	v_add3_u32 v134, v14, v15, v134
	v_mad_u64_u32 v[14:15], null, v128, v44, v[13:14]
	v_mul_i32_i24_e32 v15, v30, v67
	v_mul_i32_i24_e32 v128, v84, v236
	v_add3_u32 v153, v155, v153, v154
	v_mul_i32_i24_e32 v155, v123, v132
	v_mul_i32_i24_e32 v154, v117, v206
	v_cvt_f32_i32_e32 v13, v14
	v_cvt_f32_i32_e32 v14, v134
	v_mul_i32_i24_e32 v134, v85, v238
	v_mad_i32_i24 v155, v115, v133, v155
	s_delay_alu instid0(VALU_DEP_3) | instskip(NEXT) | instid1(VALU_DEP_1)
	v_mul_f32_e32 v14, v48, v14
	v_fma_mix_f32 v13, v182, v13, -v14 op_sel_hi:[1,0,0]
	v_mul_i32_i24_e32 v14, v19, v64
	s_delay_alu instid0(VALU_DEP_2) | instskip(SKIP_3) | instid1(VALU_DEP_3)
	v_fmac_f32_e32 v229, v20, v13
	v_mul_i32_i24_e32 v13, v17, v63
	v_mov_b32_e32 v12, v2
	v_mov_b32_e32 v2, v26
	v_mad_i32_i24 v13, v18, v59, v13
	s_delay_alu instid0(VALU_DEP_1) | instskip(SKIP_2) | instid1(VALU_DEP_1)
	v_add3_u32 v13, v13, v14, v15
	v_mul_i32_i24_e32 v14, v82, v65
	v_mul_i32_i24_e32 v15, v83, v66
	v_add3_u32 v13, v13, v14, v15
	v_mul_i32_i24_e32 v14, v86, v237
	v_mul_i32_i24_e32 v15, v87, v68
	s_delay_alu instid0(VALU_DEP_3) | instskip(SKIP_2) | instid1(VALU_DEP_3)
	v_add3_u32 v13, v13, v128, v134
	v_mul_i32_i24_e32 v128, v88, v70
	v_mul_i32_i24_e32 v134, v89, v242
	v_add3_u32 v13, v13, v14, v15
	v_mul_i32_i24_e32 v14, v90, v241
	v_mul_i32_i24_e32 v15, v91, v243
	s_delay_alu instid0(VALU_DEP_3) | instskip(SKIP_2) | instid1(VALU_DEP_3)
	v_add3_u32 v13, v13, v128, v134
	v_mul_i32_i24_e32 v128, v92, v244
	v_mul_i32_i24_e32 v134, v93, v245
	v_add3_u32 v13, v13, v14, v15
	v_mul_i32_i24_e32 v14, v94, v248
	v_mul_i32_i24_e32 v15, v96, v249
	s_delay_alu instid0(VALU_DEP_3) | instskip(SKIP_1) | instid1(VALU_DEP_4)
	v_add3_u32 v13, v13, v128, v134
	v_mul_i32_i24_e32 v128, v97, v252
	v_mad_i32_i24 v14, v95, v247, v14
	v_mul_i32_i24_e32 v134, v100, v253
	s_delay_alu instid0(VALU_DEP_4) | instskip(NEXT) | instid1(VALU_DEP_3)
	v_mul_lo_u32 v13, v13, v246
	v_add3_u32 v14, v14, v15, v128
	v_mul_i32_i24_e32 v15, v98, v49
	v_mul_i32_i24_e32 v128, v99, v251
	s_delay_alu instid0(VALU_DEP_1) | instskip(SKIP_2) | instid1(VALU_DEP_3)
	v_add3_u32 v14, v14, v15, v128
	v_mul_i32_i24_e32 v15, v102, v74
	v_mul_i32_i24_e32 v128, v103, v148
	v_add3_u32 v14, v14, v134, v152
	v_mul_i32_i24_e32 v134, v106, v46
	v_mul_i32_i24_e32 v152, v107, v42
	s_delay_alu instid0(VALU_DEP_3) | instskip(SKIP_2) | instid1(VALU_DEP_3)
	v_add3_u32 v14, v14, v15, v128
	v_mul_i32_i24_e32 v15, v108, v150
	v_mul_i32_i24_e32 v128, v109, v43
	v_add3_u32 v14, v14, v134, v152
	v_mul_i32_i24_e32 v134, v110, v45
	v_mul_i32_i24_e32 v152, v16, v47
	s_delay_alu instid0(VALU_DEP_3) | instskip(SKIP_1) | instid1(VALU_DEP_2)
	v_add3_u32 v14, v14, v15, v128
	v_mul_i32_i24_e32 v15, v112, v250
	v_add3_u32 v128, v14, v134, v152
	v_mul_i32_i24_e32 v14, v111, v149
	v_mul_i32_i24_e32 v152, v114, v226
	v_mul_i32_i24_e32 v134, v113, v62
	s_delay_alu instid0(VALU_DEP_2) | instskip(SKIP_2) | instid1(VALU_DEP_3)
	v_add3_u32 v14, v153, v152, v14
	v_mul_i32_i24_e32 v152, v101, v220
	v_mul_i32_i24_e32 v153, v116, v0
	v_add3_u32 v134, v14, v15, v134
	v_mad_u64_u32 v[14:15], null, v128, v190, v[13:14]
	v_mul_i32_i24_e32 v15, v30, v199
	v_mul_i32_i24_e32 v128, v84, v26
	v_add3_u32 v153, v155, v153, v154
	s_delay_alu instid0(VALU_DEP_4) | instskip(SKIP_2) | instid1(VALU_DEP_2)
	v_cvt_f32_i32_e32 v13, v14
	v_cvt_f32_i32_e32 v14, v134
	v_mul_i32_i24_e32 v134, v85, v32
	v_mul_f32_e32 v14, v191, v14
	s_delay_alu instid0(VALU_DEP_1) | instskip(SKIP_1) | instid1(VALU_DEP_2)
	v_fma_mix_f32 v13, v138, v13, -v14 op_sel_hi:[1,0,0]
	v_mul_i32_i24_e32 v14, v19, v196
	v_fmac_f32_e32 v228, v20, v13
	v_mul_i32_i24_e32 v13, v17, v193
	s_delay_alu instid0(VALU_DEP_1) | instskip(NEXT) | instid1(VALU_DEP_1)
	v_mad_i32_i24 v13, v18, v192, v13
	v_add3_u32 v13, v13, v14, v15
	v_mul_i32_i24_e32 v14, v82, v33
	v_mul_i32_i24_e32 v15, v83, v25
	s_delay_alu instid0(VALU_DEP_1) | instskip(SKIP_2) | instid1(VALU_DEP_3)
	v_add3_u32 v13, v13, v14, v15
	v_mul_i32_i24_e32 v14, v86, v27
	v_mul_i32_i24_e32 v15, v87, v28
	v_add3_u32 v13, v13, v128, v134
	v_mul_i32_i24_e32 v128, v88, v202
	v_mul_i32_i24_e32 v134, v89, v204
	s_delay_alu instid0(VALU_DEP_3) | instskip(SKIP_2) | instid1(VALU_DEP_3)
	v_add3_u32 v13, v13, v14, v15
	v_mul_i32_i24_e32 v14, v90, v31
	v_mul_i32_i24_e32 v15, v91, v203
	v_add3_u32 v13, v13, v128, v134
	v_mul_i32_i24_e32 v128, v92, v34
	v_mul_i32_i24_e32 v134, v93, v210
	s_delay_alu instid0(VALU_DEP_3) | instskip(SKIP_2) | instid1(VALU_DEP_3)
	v_add3_u32 v13, v13, v14, v15
	v_mul_i32_i24_e32 v14, v94, v212
	v_mul_i32_i24_e32 v15, v96, v214
	v_add3_u32 v13, v13, v128, v134
	v_mul_i32_i24_e32 v128, v97, v217
	s_delay_alu instid0(VALU_DEP_4) | instskip(SKIP_1) | instid1(VALU_DEP_4)
	v_mad_i32_i24 v14, v95, v211, v14
	v_mul_i32_i24_e32 v134, v100, v218
	v_mul_lo_u32 v13, v13, v36
	s_delay_alu instid0(VALU_DEP_3) | instskip(SKIP_2) | instid1(VALU_DEP_1)
	v_add3_u32 v14, v14, v15, v128
	v_mul_i32_i24_e32 v15, v98, v38
	v_mul_i32_i24_e32 v128, v99, v213
	v_add3_u32 v14, v14, v15, v128
	v_mul_i32_i24_e32 v15, v102, v216
	v_mul_i32_i24_e32 v128, v103, v219
	s_delay_alu instid0(VALU_DEP_3) | instskip(SKIP_2) | instid1(VALU_DEP_3)
	v_add3_u32 v14, v14, v134, v152
	v_mul_i32_i24_e32 v134, v106, v37
	v_mul_i32_i24_e32 v152, v107, v145
	v_add3_u32 v14, v14, v15, v128
	v_mul_i32_i24_e32 v15, v108, v221
	v_mul_i32_i24_e32 v128, v109, v146
	s_delay_alu instid0(VALU_DEP_3) | instskip(SKIP_3) | instid1(VALU_DEP_4)
	v_add3_u32 v14, v14, v134, v152
	v_mul_i32_i24_e32 v134, v110, v144
	v_mul_i32_i24_e32 v152, v16, v143
	;; [unrolled: 1-line block ×3, first 2 shown]
	v_add3_u32 v14, v14, v15, v128
	v_mul_i32_i24_e32 v15, v112, v35
	s_delay_alu instid0(VALU_DEP_2) | instskip(SKIP_3) | instid1(VALU_DEP_2)
	v_add3_u32 v128, v14, v134, v152
	v_mul_i32_i24_e32 v14, v111, v215
	v_mul_i32_i24_e32 v152, v114, v183
	;; [unrolled: 1-line block ×3, first 2 shown]
	v_add3_u32 v14, v153, v152, v14
	s_delay_alu instid0(VALU_DEP_1) | instskip(SKIP_3) | instid1(VALU_DEP_3)
	v_add3_u32 v134, v14, v15, v134
	v_mad_u64_u32 v[14:15], null, v128, v136, v[13:14]
	v_mul_i32_i24_e32 v15, v30, v164
	v_mul_i32_i24_e32 v30, v117, v167
	v_cvt_f32_i32_e32 v13, v14
	v_cvt_f32_i32_e32 v14, v134
	s_delay_alu instid0(VALU_DEP_1) | instskip(NEXT) | instid1(VALU_DEP_1)
	v_mul_f32_e32 v14, v137, v14
	v_fma_mix_f32 v13, v131, v13, -v14 op_sel_hi:[1,0,0]
	v_mul_i32_i24_e32 v14, v19, v187
	v_mul_i32_i24_e32 v19, v101, v197
	s_delay_alu instid0(VALU_DEP_3) | instskip(SKIP_2) | instid1(VALU_DEP_2)
	v_fmac_f32_e32 v227, v20, v13
	v_mul_i32_i24_e32 v13, v17, v185
	v_mul_i32_i24_e32 v17, v84, v129
	v_mad_i32_i24 v13, v18, v21, v13
	v_mul_i32_i24_e32 v18, v85, v168
	s_delay_alu instid0(VALU_DEP_2) | instskip(SKIP_3) | instid1(VALU_DEP_2)
	v_add3_u32 v13, v13, v14, v15
	v_mul_i32_i24_e32 v14, v82, v104
	v_mul_i32_i24_e32 v15, v83, v105
	;; [unrolled: 1-line block ×3, first 2 shown]
	v_add3_u32 v13, v13, v14, v15
	v_mul_i32_i24_e32 v14, v86, v127
	v_mul_i32_i24_e32 v15, v87, v135
	s_delay_alu instid0(VALU_DEP_4) | instskip(NEXT) | instid1(VALU_DEP_4)
	v_mad_i32_i24 v82, v115, v161, v82
	v_add3_u32 v13, v13, v17, v18
	v_mul_i32_i24_e32 v17, v88, v142
	v_mul_i32_i24_e32 v18, v89, v172
	s_delay_alu instid0(VALU_DEP_3) | instskip(SKIP_2) | instid1(VALU_DEP_3)
	v_add3_u32 v13, v13, v14, v15
	v_mul_i32_i24_e32 v14, v90, v170
	v_mul_i32_i24_e32 v15, v91, v171
	v_add3_u32 v13, v13, v17, v18
	v_mul_i32_i24_e32 v17, v92, v174
	v_mul_i32_i24_e32 v18, v93, v175
	s_delay_alu instid0(VALU_DEP_3) | instskip(SKIP_2) | instid1(VALU_DEP_3)
	v_add3_u32 v13, v13, v14, v15
	v_mul_i32_i24_e32 v14, v94, v178
	v_mul_i32_i24_e32 v15, v96, v207
	v_add3_u32 v13, v13, v17, v18
	v_mul_i32_i24_e32 v17, v97, v180
	s_delay_alu instid0(VALU_DEP_4) | instskip(SKIP_1) | instid1(VALU_DEP_4)
	v_mad_i32_i24 v14, v95, v177, v14
	v_mul_i32_i24_e32 v18, v100, v194
	v_mul_lo_u32 v13, v13, v176
	s_delay_alu instid0(VALU_DEP_3) | instskip(SKIP_2) | instid1(VALU_DEP_1)
	v_add3_u32 v14, v14, v15, v17
	v_mul_i32_i24_e32 v15, v98, v22
	v_mul_i32_i24_e32 v17, v99, v179
	v_add3_u32 v14, v14, v15, v17
	v_mul_i32_i24_e32 v15, v102, v181
	v_mul_i32_i24_e32 v17, v103, v198
	s_delay_alu instid0(VALU_DEP_3) | instskip(SKIP_2) | instid1(VALU_DEP_3)
	v_add3_u32 v14, v14, v18, v19
	v_mul_i32_i24_e32 v18, v106, v200
	v_mul_i32_i24_e32 v19, v107, v201
	v_add3_u32 v14, v14, v15, v17
	v_mul_i32_i24_e32 v15, v108, v184
	v_mul_i32_i24_e32 v17, v109, v24
	s_delay_alu instid0(VALU_DEP_3) | instskip(SKIP_2) | instid1(VALU_DEP_3)
	v_add3_u32 v14, v14, v18, v19
	v_mul_i32_i24_e32 v18, v110, v141
	v_mul_i32_i24_e32 v19, v116, v173
	v_add3_u32 v14, v14, v15, v17
	v_mul_i32_i24_e32 v15, v112, v205
	s_delay_alu instid0(VALU_DEP_3) | instskip(SKIP_1) | instid1(VALU_DEP_4)
	v_add3_u32 v19, v82, v19, v30
	v_mul_i32_i24_e32 v17, v113, v188
	v_add3_u32 v16, v14, v18, v16
	v_mul_i32_i24_e32 v14, v111, v186
	v_mul_i32_i24_e32 v18, v114, v139
	s_delay_alu instid0(VALU_DEP_1) | instskip(NEXT) | instid1(VALU_DEP_1)
	v_add3_u32 v14, v19, v18, v14
	v_add3_u32 v17, v14, v15, v17
	v_mad_u64_u32 v[14:15], null, v16, v160, v[13:14]
	s_delay_alu instid0(VALU_DEP_1) | instskip(NEXT) | instid1(VALU_DEP_3)
	v_cvt_f32_i32_e32 v13, v14
	v_cvt_f32_i32_e32 v14, v17
	s_delay_alu instid0(VALU_DEP_1) | instskip(NEXT) | instid1(VALU_DEP_1)
	v_mul_f32_e32 v14, v159, v14
	v_fma_mix_f32 v13, v126, v13, -v14 op_sel_hi:[1,0,0]
	s_delay_alu instid0(VALU_DEP_1)
	v_fmac_f32_e32 v225, v20, v13
	ds_load_2addr_b32 v[19:20], v125 offset0:128 offset1:160
	ds_load_b128 v[13:16], v124 offset:4096
	scratch_store_b32 off, v1, off offset:80 ; 4-byte Folded Spill
	s_waitcnt lgkmcnt(0)
	v_bfe_i32 v17, v13, 0, 8
	v_bfe_i32 v18, v13, 8, 8
	v_bfe_i32 v30, v13, 16, 8
	v_ashrrev_i32_e32 v82, 24, v13
	v_bfe_i32 v83, v14, 0, 8
	v_bfe_i32 v84, v14, 8, 8
	v_bfe_i32 v85, v14, 16, 8
	v_ashrrev_i32_e32 v86, 24, v14
	;; [unrolled: 4-line block ×4, first 2 shown]
	ds_load_b128 v[13:16], v124 offset:4112
	v_mul_i32_i24_e32 v134, v85, v76
	v_mul_i32_i24_e32 v152, v86, v61
	s_waitcnt lgkmcnt(0)
	v_ashrrev_i32_e32 v98, 24, v13
	v_ashrrev_i32_e32 v102, 24, v14
	v_bfe_i32 v95, v13, 0, 8
	v_bfe_i32 v96, v13, 8, 8
	;; [unrolled: 1-line block ×4, first 2 shown]
	v_add_nc_u32_e32 v13, v102, v98
	v_ashrrev_i32_e32 v108, 24, v15
	v_bfe_i32 v109, v16, 0, 8
	v_bfe_i32 v110, v16, 8, 8
	v_bfe_i32 v111, v16, 16, 8
	v_ashrrev_i32_e32 v16, 24, v16
	v_bfe_i32 v100, v14, 8, 8
	v_bfe_i32 v107, v15, 16, 8
	;; [unrolled: 1-line block ×4, first 2 shown]
	v_add3_u32 v112, v13, v108, v16
	v_add_nc_u32_e32 v13, v101, v97
	v_bfe_i32 v103, v15, 0, 8
	v_mul_i32_i24_e32 v14, v30, v60
	v_mul_i32_i24_e32 v15, v82, v56
	;; [unrolled: 1-line block ×3, first 2 shown]
	v_add3_u32 v113, v13, v107, v111
	v_add_nc_u32_e32 v13, v100, v96
	s_delay_alu instid0(VALU_DEP_1) | instskip(SKIP_1) | instid1(VALU_DEP_1)
	v_add3_u32 v114, v13, v106, v110
	v_add_nc_u32_e32 v13, v99, v95
	v_add3_u32 v115, v13, v103, v109
	v_add_nc_u32_e32 v13, v86, v82
	s_delay_alu instid0(VALU_DEP_1) | instskip(SKIP_1) | instid1(VALU_DEP_1)
	v_add3_u32 v116, v13, v90, v94
	v_add_nc_u32_e32 v13, v85, v30
	v_add3_u32 v117, v13, v89, v93
	v_add_nc_u32_e32 v13, v84, v18
	s_delay_alu instid0(VALU_DEP_2) | instskip(NEXT) | instid1(VALU_DEP_2)
	v_mul_i32_i24_e32 v154, v117, v162
	v_add3_u32 v123, v13, v88, v92
	v_add_nc_u32_e32 v13, v83, v17
	s_delay_alu instid0(VALU_DEP_2) | instskip(NEXT) | instid1(VALU_DEP_2)
	v_mul_i32_i24_e32 v155, v123, v158
	v_add3_u32 v128, v13, v87, v91
	v_mul_i32_i24_e32 v13, v17, v58
	s_delay_alu instid0(VALU_DEP_2) | instskip(NEXT) | instid1(VALU_DEP_2)
	v_mul_i32_i24_e32 v156, v128, v195
	v_mad_i32_i24 v13, v18, v53, v13
	s_delay_alu instid0(VALU_DEP_2) | instskip(NEXT) | instid1(VALU_DEP_2)
	v_mad_i32_i24 v156, v116, v40, v156
	v_add3_u32 v13, v13, v14, v15
	v_mul_i32_i24_e32 v14, v83, v73
	v_mul_i32_i24_e32 v15, v84, v50
	s_delay_alu instid0(VALU_DEP_4) | instskip(SKIP_2) | instid1(VALU_DEP_4)
	v_add3_u32 v154, v156, v154, v155
	v_mul_i32_i24_e32 v156, v128, v151
	v_mul_i32_i24_e32 v155, v123, v52
	v_add3_u32 v13, v13, v14, v15
	v_mul_i32_i24_e32 v14, v87, v75
	v_mul_i32_i24_e32 v15, v88, v78
	v_mad_i32_i24 v156, v116, v189, v156
	s_delay_alu instid0(VALU_DEP_4) | instskip(SKIP_2) | instid1(VALU_DEP_3)
	v_add3_u32 v13, v13, v134, v152
	v_mul_i32_i24_e32 v134, v89, v81
	v_mul_i32_i24_e32 v152, v90, v119
	v_add3_u32 v13, v13, v14, v15
	v_mul_i32_i24_e32 v14, v91, v118
	v_mul_i32_i24_e32 v15, v92, v120
	s_delay_alu instid0(VALU_DEP_3) | instskip(SKIP_2) | instid1(VALU_DEP_3)
	v_add3_u32 v13, v13, v134, v152
	v_mul_i32_i24_e32 v134, v93, v121
	v_mul_i32_i24_e32 v152, v94, v122
	v_add3_u32 v13, v13, v14, v15
	v_mul_i32_i24_e32 v14, v95, v54
	v_mul_i32_i24_e32 v15, v97, v69
	s_delay_alu instid0(VALU_DEP_3) | instskip(SKIP_1) | instid1(VALU_DEP_4)
	v_add3_u32 v13, v13, v134, v152
	v_mul_i32_i24_e32 v134, v98, v72
	v_mad_i32_i24 v14, v96, v5, v14
	v_mul_i32_i24_e32 v152, v101, v10
	s_delay_alu instid0(VALU_DEP_4) | instskip(NEXT) | instid1(VALU_DEP_3)
	v_mul_lo_u32 v13, v13, v4
	v_add3_u32 v14, v14, v15, v134
	v_mul_i32_i24_e32 v15, v99, v23
	v_mul_i32_i24_e32 v134, v100, v7
	v_mov_b32_e32 v23, v207
	s_delay_alu instid0(VALU_DEP_2) | instskip(SKIP_2) | instid1(VALU_DEP_3)
	v_add3_u32 v14, v14, v15, v134
	v_mul_i32_i24_e32 v15, v103, v8
	v_mul_i32_i24_e32 v134, v106, v11
	v_add3_u32 v14, v14, v152, v153
	v_mul_i32_i24_e32 v152, v107, v163
	v_mul_i32_i24_e32 v153, v108, v165
	s_delay_alu instid0(VALU_DEP_3) | instskip(SKIP_2) | instid1(VALU_DEP_3)
	v_add3_u32 v14, v14, v15, v134
	v_mul_i32_i24_e32 v15, v109, v77
	v_mul_i32_i24_e32 v134, v110, v147
	v_add3_u32 v14, v14, v152, v153
	v_mul_i32_i24_e32 v152, v111, v79
	v_mul_i32_i24_e32 v153, v16, v57
	s_delay_alu instid0(VALU_DEP_3) | instskip(SKIP_1) | instid1(VALU_DEP_2)
	v_add3_u32 v14, v14, v15, v134
	v_mul_i32_i24_e32 v15, v113, v6
	v_add3_u32 v134, v14, v152, v153
	v_mul_i32_i24_e32 v14, v112, v9
	v_mul_i32_i24_e32 v153, v115, v51
	;; [unrolled: 1-line block ×3, first 2 shown]
	v_mov_b32_e32 v3, v27
	s_delay_alu instid0(VALU_DEP_3) | instskip(SKIP_2) | instid1(VALU_DEP_3)
	v_add3_u32 v14, v154, v153, v14
	v_mul_i32_i24_e32 v153, v102, v255
	v_mul_i32_i24_e32 v154, v117, v55
	v_add3_u32 v152, v14, v15, v152
	v_mad_u64_u32 v[14:15], null, v134, v44, v[13:14]
	v_mul_i32_i24_e32 v15, v82, v67
	v_mul_i32_i24_e32 v134, v85, v236
	v_add3_u32 v154, v156, v154, v155
	v_mul_i32_i24_e32 v156, v128, v132
	v_mul_i32_i24_e32 v155, v123, v206
	v_cvt_f32_i32_e32 v13, v14
	v_cvt_f32_i32_e32 v14, v152
	v_mul_i32_i24_e32 v152, v86, v238
	v_mad_i32_i24 v156, v116, v133, v156
	s_delay_alu instid0(VALU_DEP_3) | instskip(NEXT) | instid1(VALU_DEP_1)
	v_mul_f32_e32 v14, v48, v14
	v_fma_mix_f32 v13, v182, v13, -v14 op_sel_hi:[1,0,0]
	v_mul_i32_i24_e32 v14, v30, v64
	s_delay_alu instid0(VALU_DEP_2) | instskip(SKIP_1) | instid1(VALU_DEP_1)
	v_fmac_f32_e32 v224, v19, v13
	v_mul_i32_i24_e32 v13, v17, v63
	v_mad_i32_i24 v13, v18, v59, v13
	s_delay_alu instid0(VALU_DEP_1) | instskip(SKIP_2) | instid1(VALU_DEP_1)
	v_add3_u32 v13, v13, v14, v15
	v_mul_i32_i24_e32 v14, v83, v65
	v_mul_i32_i24_e32 v15, v84, v66
	v_add3_u32 v13, v13, v14, v15
	v_mul_i32_i24_e32 v14, v87, v237
	v_mul_i32_i24_e32 v15, v88, v68
	s_delay_alu instid0(VALU_DEP_3) | instskip(SKIP_2) | instid1(VALU_DEP_3)
	v_add3_u32 v13, v13, v134, v152
	v_mul_i32_i24_e32 v134, v89, v70
	v_mul_i32_i24_e32 v152, v90, v242
	v_add3_u32 v13, v13, v14, v15
	v_mul_i32_i24_e32 v14, v91, v241
	v_mul_i32_i24_e32 v15, v92, v243
	s_delay_alu instid0(VALU_DEP_3) | instskip(SKIP_2) | instid1(VALU_DEP_3)
	v_add3_u32 v13, v13, v134, v152
	v_mul_i32_i24_e32 v134, v93, v244
	v_mul_i32_i24_e32 v152, v94, v245
	v_add3_u32 v13, v13, v14, v15
	v_mul_i32_i24_e32 v14, v95, v248
	v_mul_i32_i24_e32 v15, v97, v249
	s_delay_alu instid0(VALU_DEP_3) | instskip(SKIP_1) | instid1(VALU_DEP_4)
	v_add3_u32 v13, v13, v134, v152
	v_mul_i32_i24_e32 v134, v98, v252
	v_mad_i32_i24 v14, v96, v247, v14
	v_mul_i32_i24_e32 v152, v101, v253
	s_delay_alu instid0(VALU_DEP_4) | instskip(NEXT) | instid1(VALU_DEP_3)
	v_mul_lo_u32 v13, v13, v246
	v_add3_u32 v14, v14, v15, v134
	v_mul_i32_i24_e32 v15, v99, v49
	v_mul_i32_i24_e32 v134, v100, v251
	s_delay_alu instid0(VALU_DEP_1) | instskip(SKIP_2) | instid1(VALU_DEP_3)
	v_add3_u32 v14, v14, v15, v134
	v_mul_i32_i24_e32 v15, v103, v74
	v_mul_i32_i24_e32 v134, v106, v148
	v_add3_u32 v14, v14, v152, v153
	v_mul_i32_i24_e32 v152, v107, v46
	v_mul_i32_i24_e32 v153, v108, v42
	s_delay_alu instid0(VALU_DEP_3) | instskip(SKIP_2) | instid1(VALU_DEP_3)
	v_add3_u32 v14, v14, v15, v134
	v_mul_i32_i24_e32 v15, v109, v150
	v_mul_i32_i24_e32 v134, v110, v43
	v_add3_u32 v14, v14, v152, v153
	v_mul_i32_i24_e32 v152, v111, v45
	v_mul_i32_i24_e32 v153, v16, v47
	s_delay_alu instid0(VALU_DEP_3) | instskip(SKIP_1) | instid1(VALU_DEP_2)
	v_add3_u32 v14, v14, v15, v134
	v_mul_i32_i24_e32 v15, v113, v250
	v_add3_u32 v134, v14, v152, v153
	v_mul_i32_i24_e32 v14, v112, v149
	v_mul_i32_i24_e32 v153, v115, v226
	;; [unrolled: 1-line block ×3, first 2 shown]
	s_delay_alu instid0(VALU_DEP_2) | instskip(SKIP_2) | instid1(VALU_DEP_3)
	v_add3_u32 v14, v154, v153, v14
	v_mul_i32_i24_e32 v153, v102, v220
	v_mul_i32_i24_e32 v154, v117, v0
	v_add3_u32 v152, v14, v15, v152
	v_mad_u64_u32 v[14:15], null, v134, v190, v[13:14]
	v_mul_i32_i24_e32 v15, v82, v199
	v_mul_i32_i24_e32 v134, v85, v26
	v_add3_u32 v154, v156, v154, v155
	v_mov_b32_e32 v26, v197
	v_mov_b32_e32 v197, v41
	scratch_load_b32 v41, off, off offset:76 ; 4-byte Folded Reload
	v_cvt_f32_i32_e32 v13, v14
	v_cvt_f32_i32_e32 v14, v152
	v_mul_i32_i24_e32 v152, v86, v32
	v_mov_b32_e32 v156, v22
	v_mov_b32_e32 v22, v188
	;; [unrolled: 1-line block ×3, first 2 shown]
	v_mul_f32_e32 v14, v191, v14
	s_delay_alu instid0(VALU_DEP_1) | instskip(SKIP_1) | instid1(VALU_DEP_2)
	v_fma_mix_f32 v13, v138, v13, -v14 op_sel_hi:[1,0,0]
	v_mul_i32_i24_e32 v14, v30, v196
	v_fmac_f32_e32 v223, v19, v13
	v_mul_i32_i24_e32 v13, v17, v193
	s_delay_alu instid0(VALU_DEP_1) | instskip(NEXT) | instid1(VALU_DEP_1)
	v_mad_i32_i24 v13, v18, v192, v13
	v_add3_u32 v13, v13, v14, v15
	v_mul_i32_i24_e32 v14, v83, v33
	v_mul_i32_i24_e32 v15, v84, v25
	v_dual_mov_b32 v25, v194 :: v_dual_mov_b32 v194, v29
	scratch_load_b32 v29, off, off offset:72 ; 4-byte Folded Reload
	v_add3_u32 v13, v13, v14, v15
	v_mul_i32_i24_e32 v14, v87, v27
	v_mul_i32_i24_e32 v15, v88, v28
	v_dual_mov_b32 v27, v198 :: v_dual_mov_b32 v28, v200
	s_delay_alu instid0(VALU_DEP_4)
	v_add3_u32 v13, v13, v134, v152
	v_mul_i32_i24_e32 v134, v89, v202
	v_mul_i32_i24_e32 v152, v90, v204
	v_mov_b32_e32 v198, v24
	v_mov_b32_e32 v24, v205
	v_add3_u32 v13, v13, v14, v15
	v_mul_i32_i24_e32 v14, v91, v31
	v_mul_i32_i24_e32 v15, v92, v203
	v_mov_b32_e32 v205, v209
	v_mov_b32_e32 v209, v39
	v_add3_u32 v13, v13, v134, v152
	v_mul_i32_i24_e32 v134, v93, v34
	v_mul_i32_i24_e32 v152, v94, v210
	v_dual_mov_b32 v200, v156 :: v_dual_mov_b32 v31, v201
	s_delay_alu instid0(VALU_DEP_4) | instskip(SKIP_2) | instid1(VALU_DEP_3)
	v_add3_u32 v13, v13, v14, v15
	v_mul_i32_i24_e32 v14, v95, v212
	v_mul_i32_i24_e32 v15, v97, v214
	v_add3_u32 v13, v13, v134, v152
	v_mul_i32_i24_e32 v134, v98, v217
	s_delay_alu instid0(VALU_DEP_4) | instskip(SKIP_1) | instid1(VALU_DEP_4)
	v_mad_i32_i24 v14, v96, v211, v14
	v_mul_i32_i24_e32 v152, v101, v218
	v_mul_lo_u32 v13, v13, v36
	s_delay_alu instid0(VALU_DEP_3) | instskip(SKIP_2) | instid1(VALU_DEP_1)
	v_add3_u32 v14, v14, v15, v134
	v_mul_i32_i24_e32 v15, v99, v38
	v_mul_i32_i24_e32 v134, v100, v213
	v_add3_u32 v14, v14, v15, v134
	v_mul_i32_i24_e32 v15, v103, v216
	v_mul_i32_i24_e32 v134, v106, v219
	s_delay_alu instid0(VALU_DEP_3) | instskip(SKIP_2) | instid1(VALU_DEP_3)
	v_add3_u32 v14, v14, v152, v153
	v_mul_i32_i24_e32 v152, v107, v37
	v_mul_i32_i24_e32 v153, v108, v145
	v_add3_u32 v14, v14, v15, v134
	v_mul_i32_i24_e32 v15, v109, v221
	v_mul_i32_i24_e32 v134, v110, v146
	s_delay_alu instid0(VALU_DEP_3) | instskip(SKIP_3) | instid1(VALU_DEP_4)
	v_add3_u32 v14, v14, v152, v153
	v_mul_i32_i24_e32 v152, v111, v144
	v_mul_i32_i24_e32 v153, v16, v143
	;; [unrolled: 1-line block ×3, first 2 shown]
	v_add3_u32 v14, v14, v15, v134
	v_mul_i32_i24_e32 v15, v113, v35
	s_delay_alu instid0(VALU_DEP_2) | instskip(SKIP_3) | instid1(VALU_DEP_2)
	v_add3_u32 v134, v14, v152, v153
	v_mul_i32_i24_e32 v14, v112, v215
	v_mul_i32_i24_e32 v153, v115, v183
	;; [unrolled: 1-line block ×3, first 2 shown]
	v_add3_u32 v14, v154, v153, v14
	s_delay_alu instid0(VALU_DEP_1) | instskip(SKIP_3) | instid1(VALU_DEP_3)
	v_add3_u32 v152, v14, v15, v152
	v_mad_u64_u32 v[14:15], null, v134, v136, v[13:14]
	v_mul_i32_i24_e32 v15, v82, v164
	v_mul_i32_i24_e32 v82, v123, v167
	v_cvt_f32_i32_e32 v13, v14
	v_cvt_f32_i32_e32 v14, v152
	s_delay_alu instid0(VALU_DEP_1) | instskip(NEXT) | instid1(VALU_DEP_1)
	v_mul_f32_e32 v14, v137, v14
	v_fma_mix_f32 v13, v131, v13, -v14 op_sel_hi:[1,0,0]
	v_mul_i32_i24_e32 v14, v30, v187
	v_mul_i32_i24_e32 v30, v102, v26
	s_delay_alu instid0(VALU_DEP_3) | instskip(SKIP_2) | instid1(VALU_DEP_2)
	v_fmac_f32_e32 v222, v19, v13
	v_mul_i32_i24_e32 v13, v17, v185
	v_mul_i32_i24_e32 v17, v85, v129
	v_mad_i32_i24 v13, v18, v21, v13
	v_mul_i32_i24_e32 v18, v86, v168
	s_delay_alu instid0(VALU_DEP_2) | instskip(SKIP_3) | instid1(VALU_DEP_2)
	v_add3_u32 v13, v13, v14, v15
	v_mul_i32_i24_e32 v14, v83, v104
	v_mul_i32_i24_e32 v15, v84, v105
	;; [unrolled: 1-line block ×3, first 2 shown]
	v_add3_u32 v13, v13, v14, v15
	v_mul_i32_i24_e32 v14, v87, v127
	v_mul_i32_i24_e32 v15, v88, v135
	s_delay_alu instid0(VALU_DEP_4) | instskip(NEXT) | instid1(VALU_DEP_4)
	v_mad_i32_i24 v83, v116, v161, v83
	v_add3_u32 v13, v13, v17, v18
	v_mul_i32_i24_e32 v17, v89, v142
	v_mul_i32_i24_e32 v18, v90, v172
	s_delay_alu instid0(VALU_DEP_3) | instskip(SKIP_2) | instid1(VALU_DEP_3)
	v_add3_u32 v13, v13, v14, v15
	v_mul_i32_i24_e32 v14, v91, v170
	v_mul_i32_i24_e32 v15, v92, v171
	v_add3_u32 v13, v13, v17, v18
	v_mul_i32_i24_e32 v17, v93, v174
	v_mul_i32_i24_e32 v18, v94, v175
	s_delay_alu instid0(VALU_DEP_3) | instskip(SKIP_2) | instid1(VALU_DEP_3)
	v_add3_u32 v13, v13, v14, v15
	v_mul_i32_i24_e32 v14, v95, v178
	v_mul_i32_i24_e32 v15, v97, v207
	v_add3_u32 v13, v13, v17, v18
	v_mul_i32_i24_e32 v17, v98, v180
	s_delay_alu instid0(VALU_DEP_4) | instskip(SKIP_1) | instid1(VALU_DEP_4)
	v_mad_i32_i24 v14, v96, v177, v14
	v_mul_i32_i24_e32 v18, v101, v25
	v_mul_lo_u32 v13, v13, v176
	s_delay_alu instid0(VALU_DEP_3) | instskip(SKIP_2) | instid1(VALU_DEP_1)
	v_add3_u32 v14, v14, v15, v17
	v_mul_i32_i24_e32 v15, v99, v156
	v_mul_i32_i24_e32 v17, v100, v179
	v_add3_u32 v14, v14, v15, v17
	v_mul_i32_i24_e32 v15, v103, v181
	v_mul_i32_i24_e32 v17, v106, v27
	s_delay_alu instid0(VALU_DEP_3) | instskip(SKIP_2) | instid1(VALU_DEP_3)
	v_add3_u32 v14, v14, v18, v30
	v_mul_i32_i24_e32 v18, v107, v28
	v_mul_i32_i24_e32 v30, v108, v201
	v_add3_u32 v14, v14, v15, v17
	v_mul_i32_i24_e32 v15, v109, v184
	v_mul_i32_i24_e32 v17, v110, v198
	s_delay_alu instid0(VALU_DEP_3) | instskip(SKIP_2) | instid1(VALU_DEP_3)
	v_add3_u32 v14, v14, v18, v30
	v_mul_i32_i24_e32 v18, v111, v141
	v_mul_i32_i24_e32 v30, v117, v173
	v_add3_u32 v14, v14, v15, v17
	v_mul_i32_i24_e32 v15, v113, v24
	s_delay_alu instid0(VALU_DEP_3) | instskip(SKIP_1) | instid1(VALU_DEP_4)
	v_add3_u32 v30, v83, v30, v82
	v_mul_i32_i24_e32 v17, v114, v22
	v_add3_u32 v16, v14, v18, v16
	v_mul_i32_i24_e32 v14, v112, v186
	v_mul_i32_i24_e32 v18, v115, v139
	s_delay_alu instid0(VALU_DEP_1) | instskip(NEXT) | instid1(VALU_DEP_1)
	v_add3_u32 v14, v30, v18, v14
	v_add3_u32 v17, v14, v15, v17
	v_mad_u64_u32 v[14:15], null, v16, v160, v[13:14]
	s_delay_alu instid0(VALU_DEP_1) | instskip(NEXT) | instid1(VALU_DEP_3)
	v_cvt_f32_i32_e32 v13, v14
	v_cvt_f32_i32_e32 v14, v17
	s_delay_alu instid0(VALU_DEP_1) | instskip(NEXT) | instid1(VALU_DEP_1)
	v_mul_f32_e32 v14, v159, v14
	v_fma_mix_f32 v13, v126, v13, -v14 op_sel_hi:[1,0,0]
	s_delay_alu instid0(VALU_DEP_1)
	v_fmac_f32_e32 v194, v19, v13
	ds_load_b128 v[13:16], v124 offset:5120
	s_waitcnt lgkmcnt(0)
	v_bfe_i32 v17, v13, 0, 8
	v_bfe_i32 v18, v13, 8, 8
	v_bfe_i32 v19, v13, 16, 8
	v_ashrrev_i32_e32 v30, 24, v13
	v_bfe_i32 v82, v14, 0, 8
	v_bfe_i32 v83, v14, 8, 8
	v_bfe_i32 v84, v14, 16, 8
	v_ashrrev_i32_e32 v85, 24, v14
	;; [unrolled: 4-line block ×4, first 2 shown]
	ds_load_b128 v[13:16], v124 offset:5136
	v_mul_i32_i24_e32 v128, v84, v76
	v_mul_i32_i24_e32 v134, v85, v61
	s_waitcnt lgkmcnt(0)
	v_ashrrev_i32_e32 v97, 24, v13
	v_ashrrev_i32_e32 v101, 24, v14
	v_bfe_i32 v94, v13, 0, 8
	v_bfe_i32 v95, v13, 8, 8
	;; [unrolled: 1-line block ×4, first 2 shown]
	v_ashrrev_i32_e32 v107, 24, v15
	v_bfe_i32 v108, v16, 0, 8
	v_bfe_i32 v109, v16, 8, 8
	;; [unrolled: 1-line block ×3, first 2 shown]
	v_ashrrev_i32_e32 v16, 24, v16
	v_add_nc_u32_e32 v13, v101, v97
	v_bfe_i32 v99, v14, 8, 8
	v_bfe_i32 v106, v15, 16, 8
	;; [unrolled: 1-line block ×4, first 2 shown]
	v_add3_u32 v111, v13, v107, v16
	v_add_nc_u32_e32 v13, v100, v96
	v_bfe_i32 v102, v15, 0, 8
	v_mul_i32_i24_e32 v14, v19, v60
	v_mul_i32_i24_e32 v15, v30, v56
	;; [unrolled: 1-line block ×3, first 2 shown]
	v_add3_u32 v112, v13, v106, v110
	v_add_nc_u32_e32 v13, v99, v95
	s_delay_alu instid0(VALU_DEP_1) | instskip(SKIP_1) | instid1(VALU_DEP_1)
	v_add3_u32 v113, v13, v103, v109
	v_add_nc_u32_e32 v13, v98, v94
	v_add3_u32 v114, v13, v102, v108
	v_add_nc_u32_e32 v13, v85, v30
	s_delay_alu instid0(VALU_DEP_1) | instskip(SKIP_1) | instid1(VALU_DEP_1)
	v_add3_u32 v115, v13, v89, v93
	v_add_nc_u32_e32 v13, v84, v19
	v_add3_u32 v116, v13, v88, v92
	v_add_nc_u32_e32 v13, v83, v18
	s_delay_alu instid0(VALU_DEP_2) | instskip(NEXT) | instid1(VALU_DEP_2)
	v_mul_i32_i24_e32 v153, v116, v162
	v_add3_u32 v117, v13, v87, v91
	v_add_nc_u32_e32 v13, v82, v17
	s_delay_alu instid0(VALU_DEP_2) | instskip(NEXT) | instid1(VALU_DEP_2)
	v_mul_i32_i24_e32 v154, v117, v158
	v_add3_u32 v123, v13, v86, v90
	v_mul_i32_i24_e32 v13, v17, v58
	s_delay_alu instid0(VALU_DEP_2) | instskip(NEXT) | instid1(VALU_DEP_2)
	v_mul_i32_i24_e32 v155, v123, v195
	v_mad_i32_i24 v13, v18, v53, v13
	s_delay_alu instid0(VALU_DEP_2) | instskip(NEXT) | instid1(VALU_DEP_2)
	v_mad_i32_i24 v155, v115, v40, v155
	v_add3_u32 v13, v13, v14, v15
	v_mul_i32_i24_e32 v14, v82, v73
	v_mul_i32_i24_e32 v15, v83, v50
	s_delay_alu instid0(VALU_DEP_4) | instskip(SKIP_2) | instid1(VALU_DEP_4)
	v_add3_u32 v153, v155, v153, v154
	v_mul_i32_i24_e32 v155, v123, v151
	v_mul_i32_i24_e32 v154, v117, v52
	v_add3_u32 v13, v13, v14, v15
	v_mul_i32_i24_e32 v14, v86, v75
	v_mul_i32_i24_e32 v15, v87, v78
	v_mad_i32_i24 v155, v115, v189, v155
	s_delay_alu instid0(VALU_DEP_4) | instskip(SKIP_2) | instid1(VALU_DEP_3)
	v_add3_u32 v13, v13, v128, v134
	v_mul_i32_i24_e32 v128, v88, v81
	v_mul_i32_i24_e32 v134, v89, v119
	v_add3_u32 v13, v13, v14, v15
	v_mul_i32_i24_e32 v14, v90, v118
	v_mul_i32_i24_e32 v15, v91, v120
	s_delay_alu instid0(VALU_DEP_3) | instskip(SKIP_2) | instid1(VALU_DEP_3)
	v_add3_u32 v13, v13, v128, v134
	v_mul_i32_i24_e32 v128, v92, v121
	v_mul_i32_i24_e32 v134, v93, v122
	v_add3_u32 v13, v13, v14, v15
	v_mul_i32_i24_e32 v14, v94, v54
	v_mul_i32_i24_e32 v15, v96, v69
	s_delay_alu instid0(VALU_DEP_3) | instskip(SKIP_1) | instid1(VALU_DEP_4)
	v_add3_u32 v13, v13, v128, v134
	v_mul_i32_i24_e32 v128, v97, v72
	v_mad_i32_i24 v14, v95, v5, v14
	v_mul_i32_i24_e32 v134, v100, v10
	s_delay_alu instid0(VALU_DEP_4) | instskip(NEXT) | instid1(VALU_DEP_3)
	v_mul_lo_u32 v13, v13, v4
	v_add3_u32 v14, v14, v15, v128
	v_mul_i32_i24_e32 v15, v98, v12
	v_mul_i32_i24_e32 v128, v99, v7
	s_delay_alu instid0(VALU_DEP_1) | instskip(SKIP_2) | instid1(VALU_DEP_3)
	v_add3_u32 v14, v14, v15, v128
	v_mul_i32_i24_e32 v15, v102, v8
	v_mul_i32_i24_e32 v128, v103, v11
	v_add3_u32 v14, v14, v134, v152
	v_mul_i32_i24_e32 v134, v106, v163
	v_mul_i32_i24_e32 v152, v107, v165
	s_delay_alu instid0(VALU_DEP_3) | instskip(SKIP_2) | instid1(VALU_DEP_3)
	v_add3_u32 v14, v14, v15, v128
	v_mul_i32_i24_e32 v15, v108, v77
	v_mul_i32_i24_e32 v128, v109, v147
	v_add3_u32 v14, v14, v134, v152
	v_mul_i32_i24_e32 v134, v110, v79
	v_mul_i32_i24_e32 v152, v16, v57
	s_delay_alu instid0(VALU_DEP_3) | instskip(SKIP_1) | instid1(VALU_DEP_2)
	v_add3_u32 v14, v14, v15, v128
	v_mul_i32_i24_e32 v15, v112, v6
	v_add3_u32 v128, v14, v134, v152
	v_mul_i32_i24_e32 v14, v111, v9
	v_mul_i32_i24_e32 v152, v114, v51
	;; [unrolled: 1-line block ×3, first 2 shown]
	s_delay_alu instid0(VALU_DEP_2) | instskip(SKIP_2) | instid1(VALU_DEP_3)
	v_add3_u32 v14, v153, v152, v14
	v_mul_i32_i24_e32 v152, v101, v255
	v_mul_i32_i24_e32 v153, v116, v55
	v_add3_u32 v134, v14, v15, v134
	v_mad_u64_u32 v[14:15], null, v128, v44, v[13:14]
	v_mul_i32_i24_e32 v15, v30, v67
	v_mul_i32_i24_e32 v128, v84, v236
	v_add3_u32 v153, v155, v153, v154
	v_mul_i32_i24_e32 v155, v123, v132
	v_mul_i32_i24_e32 v154, v117, v206
	v_cvt_f32_i32_e32 v13, v14
	v_cvt_f32_i32_e32 v14, v134
	v_mul_i32_i24_e32 v134, v85, v238
	v_mad_i32_i24 v155, v115, v133, v155
	s_delay_alu instid0(VALU_DEP_3) | instskip(NEXT) | instid1(VALU_DEP_1)
	v_mul_f32_e32 v14, v48, v14
	v_fma_mix_f32 v13, v182, v13, -v14 op_sel_hi:[1,0,0]
	v_mul_i32_i24_e32 v14, v19, v64
	s_waitcnt vmcnt(1)
	s_delay_alu instid0(VALU_DEP_2) | instskip(SKIP_1) | instid1(VALU_DEP_1)
	v_fmac_f32_e32 v41, v20, v13
	v_mul_i32_i24_e32 v13, v17, v63
	v_mad_i32_i24 v13, v18, v59, v13
	s_delay_alu instid0(VALU_DEP_1) | instskip(SKIP_2) | instid1(VALU_DEP_1)
	v_add3_u32 v13, v13, v14, v15
	v_mul_i32_i24_e32 v14, v82, v65
	v_mul_i32_i24_e32 v15, v83, v66
	v_add3_u32 v13, v13, v14, v15
	v_mul_i32_i24_e32 v14, v86, v237
	v_mul_i32_i24_e32 v15, v87, v68
	s_delay_alu instid0(VALU_DEP_3) | instskip(SKIP_2) | instid1(VALU_DEP_3)
	v_add3_u32 v13, v13, v128, v134
	v_mul_i32_i24_e32 v128, v88, v70
	v_mul_i32_i24_e32 v134, v89, v242
	v_add3_u32 v13, v13, v14, v15
	v_mul_i32_i24_e32 v14, v90, v241
	v_mul_i32_i24_e32 v15, v91, v243
	s_delay_alu instid0(VALU_DEP_3) | instskip(SKIP_2) | instid1(VALU_DEP_3)
	v_add3_u32 v13, v13, v128, v134
	v_mul_i32_i24_e32 v128, v92, v244
	v_mul_i32_i24_e32 v134, v93, v245
	v_add3_u32 v13, v13, v14, v15
	v_mul_i32_i24_e32 v14, v94, v248
	v_mul_i32_i24_e32 v15, v96, v249
	s_delay_alu instid0(VALU_DEP_3) | instskip(SKIP_1) | instid1(VALU_DEP_4)
	v_add3_u32 v13, v13, v128, v134
	v_mul_i32_i24_e32 v128, v97, v252
	v_mad_i32_i24 v14, v95, v247, v14
	v_mul_i32_i24_e32 v134, v100, v253
	s_delay_alu instid0(VALU_DEP_4) | instskip(NEXT) | instid1(VALU_DEP_3)
	v_mul_lo_u32 v13, v13, v246
	v_add3_u32 v14, v14, v15, v128
	v_mul_i32_i24_e32 v15, v98, v49
	v_mul_i32_i24_e32 v128, v99, v251
	s_delay_alu instid0(VALU_DEP_1) | instskip(SKIP_2) | instid1(VALU_DEP_3)
	v_add3_u32 v14, v14, v15, v128
	v_mul_i32_i24_e32 v15, v102, v74
	v_mul_i32_i24_e32 v128, v103, v148
	v_add3_u32 v14, v14, v134, v152
	v_mul_i32_i24_e32 v134, v106, v46
	v_mul_i32_i24_e32 v152, v107, v42
	s_delay_alu instid0(VALU_DEP_3) | instskip(SKIP_2) | instid1(VALU_DEP_3)
	v_add3_u32 v14, v14, v15, v128
	v_mul_i32_i24_e32 v15, v108, v150
	v_mul_i32_i24_e32 v128, v109, v43
	v_add3_u32 v14, v14, v134, v152
	v_mul_i32_i24_e32 v134, v110, v45
	v_mul_i32_i24_e32 v152, v16, v47
	s_delay_alu instid0(VALU_DEP_3) | instskip(SKIP_1) | instid1(VALU_DEP_2)
	v_add3_u32 v14, v14, v15, v128
	v_mul_i32_i24_e32 v15, v112, v250
	v_add3_u32 v128, v14, v134, v152
	v_mul_i32_i24_e32 v14, v111, v149
	v_mul_i32_i24_e32 v152, v114, v226
	;; [unrolled: 1-line block ×3, first 2 shown]
	s_delay_alu instid0(VALU_DEP_2) | instskip(SKIP_2) | instid1(VALU_DEP_3)
	v_add3_u32 v14, v153, v152, v14
	v_mul_i32_i24_e32 v152, v101, v220
	v_mul_i32_i24_e32 v153, v116, v0
	v_add3_u32 v134, v14, v15, v134
	v_mad_u64_u32 v[14:15], null, v128, v190, v[13:14]
	v_mul_i32_i24_e32 v15, v30, v199
	v_mul_i32_i24_e32 v128, v84, v2
	v_add3_u32 v153, v155, v153, v154
	s_delay_alu instid0(VALU_DEP_4) | instskip(SKIP_2) | instid1(VALU_DEP_2)
	v_cvt_f32_i32_e32 v13, v14
	v_cvt_f32_i32_e32 v14, v134
	v_mul_i32_i24_e32 v134, v85, v32
	v_mul_f32_e32 v14, v191, v14
	s_delay_alu instid0(VALU_DEP_1) | instskip(SKIP_1) | instid1(VALU_DEP_2)
	v_fma_mix_f32 v13, v138, v13, -v14 op_sel_hi:[1,0,0]
	v_mul_i32_i24_e32 v14, v19, v196
	v_fmac_f32_e32 v205, v20, v13
	v_mul_i32_i24_e32 v13, v17, v193
	s_delay_alu instid0(VALU_DEP_1) | instskip(NEXT) | instid1(VALU_DEP_1)
	v_mad_i32_i24 v13, v18, v192, v13
	v_add3_u32 v13, v13, v14, v15
	v_mul_i32_i24_e32 v14, v82, v33
	v_mul_i32_i24_e32 v15, v83, v1
	s_delay_alu instid0(VALU_DEP_1) | instskip(SKIP_2) | instid1(VALU_DEP_3)
	v_add3_u32 v13, v13, v14, v15
	v_mul_i32_i24_e32 v14, v86, v3
	v_mul_i32_i24_e32 v15, v87, v39
	v_add3_u32 v13, v13, v128, v134
	v_mul_i32_i24_e32 v128, v88, v202
	v_mul_i32_i24_e32 v134, v89, v204
	s_delay_alu instid0(VALU_DEP_3) | instskip(SKIP_2) | instid1(VALU_DEP_3)
	v_add3_u32 v13, v13, v14, v15
	v_mul_i32_i24_e32 v14, v90, v157
	v_mul_i32_i24_e32 v15, v91, v203
	v_add3_u32 v13, v13, v128, v134
	v_mul_i32_i24_e32 v128, v92, v34
	v_mul_i32_i24_e32 v134, v93, v210
	s_delay_alu instid0(VALU_DEP_3) | instskip(SKIP_2) | instid1(VALU_DEP_3)
	v_add3_u32 v13, v13, v14, v15
	v_mul_i32_i24_e32 v14, v94, v212
	v_mul_i32_i24_e32 v15, v96, v214
	v_add3_u32 v13, v13, v128, v134
	v_mul_i32_i24_e32 v128, v97, v217
	s_delay_alu instid0(VALU_DEP_4) | instskip(SKIP_1) | instid1(VALU_DEP_4)
	v_mad_i32_i24 v14, v95, v211, v14
	v_mul_i32_i24_e32 v134, v100, v218
	v_mul_lo_u32 v13, v13, v36
	s_delay_alu instid0(VALU_DEP_3) | instskip(SKIP_2) | instid1(VALU_DEP_1)
	v_add3_u32 v14, v14, v15, v128
	v_mul_i32_i24_e32 v15, v98, v38
	v_mul_i32_i24_e32 v128, v99, v213
	v_add3_u32 v14, v14, v15, v128
	v_mul_i32_i24_e32 v15, v102, v216
	v_mul_i32_i24_e32 v128, v103, v219
	s_delay_alu instid0(VALU_DEP_3) | instskip(SKIP_2) | instid1(VALU_DEP_3)
	v_add3_u32 v14, v14, v134, v152
	v_mul_i32_i24_e32 v134, v106, v37
	v_mul_i32_i24_e32 v152, v107, v145
	v_add3_u32 v14, v14, v15, v128
	v_mul_i32_i24_e32 v15, v108, v221
	v_mul_i32_i24_e32 v128, v109, v146
	s_delay_alu instid0(VALU_DEP_3) | instskip(SKIP_3) | instid1(VALU_DEP_4)
	v_add3_u32 v14, v14, v134, v152
	v_mul_i32_i24_e32 v134, v110, v144
	v_mul_i32_i24_e32 v152, v16, v143
	;; [unrolled: 1-line block ×3, first 2 shown]
	v_add3_u32 v14, v14, v15, v128
	v_mul_i32_i24_e32 v15, v112, v35
	s_delay_alu instid0(VALU_DEP_2) | instskip(SKIP_3) | instid1(VALU_DEP_2)
	v_add3_u32 v128, v14, v134, v152
	v_mul_i32_i24_e32 v14, v111, v215
	v_mul_i32_i24_e32 v152, v114, v183
	;; [unrolled: 1-line block ×3, first 2 shown]
	v_add3_u32 v14, v153, v152, v14
	s_delay_alu instid0(VALU_DEP_1) | instskip(SKIP_3) | instid1(VALU_DEP_3)
	v_add3_u32 v134, v14, v15, v134
	v_mad_u64_u32 v[14:15], null, v128, v136, v[13:14]
	v_mul_i32_i24_e32 v15, v30, v164
	v_mul_i32_i24_e32 v30, v117, v167
	v_cvt_f32_i32_e32 v13, v14
	v_cvt_f32_i32_e32 v14, v134
	s_delay_alu instid0(VALU_DEP_1) | instskip(NEXT) | instid1(VALU_DEP_1)
	v_mul_f32_e32 v14, v137, v14
	v_fma_mix_f32 v13, v131, v13, -v14 op_sel_hi:[1,0,0]
	v_mul_i32_i24_e32 v14, v19, v187
	v_mul_i32_i24_e32 v19, v101, v26
	s_waitcnt vmcnt(0)
	s_delay_alu instid0(VALU_DEP_3) | instskip(SKIP_2) | instid1(VALU_DEP_2)
	v_fmac_f32_e32 v29, v20, v13
	v_mul_i32_i24_e32 v13, v17, v185
	v_mul_i32_i24_e32 v17, v84, v129
	v_mad_i32_i24 v13, v18, v21, v13
	v_mul_i32_i24_e32 v18, v85, v168
	s_delay_alu instid0(VALU_DEP_2) | instskip(SKIP_3) | instid1(VALU_DEP_2)
	v_add3_u32 v13, v13, v14, v15
	v_mul_i32_i24_e32 v14, v82, v104
	v_mul_i32_i24_e32 v15, v83, v105
	v_mul_i32_i24_e32 v82, v123, v130
	v_add3_u32 v13, v13, v14, v15
	v_mul_i32_i24_e32 v14, v86, v127
	v_mul_i32_i24_e32 v15, v87, v135
	s_delay_alu instid0(VALU_DEP_4) | instskip(NEXT) | instid1(VALU_DEP_4)
	v_mad_i32_i24 v82, v115, v161, v82
	v_add3_u32 v13, v13, v17, v18
	v_mul_i32_i24_e32 v17, v88, v142
	v_mul_i32_i24_e32 v18, v89, v172
	s_delay_alu instid0(VALU_DEP_3) | instskip(SKIP_2) | instid1(VALU_DEP_3)
	v_add3_u32 v13, v13, v14, v15
	v_mul_i32_i24_e32 v14, v90, v170
	v_mul_i32_i24_e32 v15, v91, v171
	v_add3_u32 v13, v13, v17, v18
	v_mul_i32_i24_e32 v17, v92, v174
	v_mul_i32_i24_e32 v18, v93, v175
	s_delay_alu instid0(VALU_DEP_3) | instskip(SKIP_3) | instid1(VALU_DEP_4)
	v_add3_u32 v13, v13, v14, v15
	v_mul_i32_i24_e32 v14, v94, v178
	v_mul_i32_i24_e32 v15, v96, v207
	v_mov_b32_e32 v207, v3
	v_add3_u32 v13, v13, v17, v18
	v_mul_i32_i24_e32 v17, v97, v180
	v_mad_i32_i24 v14, v95, v177, v14
	v_mul_i32_i24_e32 v18, v100, v25
	s_delay_alu instid0(VALU_DEP_4) | instskip(NEXT) | instid1(VALU_DEP_3)
	v_mul_lo_u32 v13, v13, v176
	v_add3_u32 v14, v14, v15, v17
	v_mul_i32_i24_e32 v15, v98, v156
	v_mul_i32_i24_e32 v17, v99, v179
	s_delay_alu instid0(VALU_DEP_1) | instskip(SKIP_2) | instid1(VALU_DEP_3)
	v_add3_u32 v14, v14, v15, v17
	v_mul_i32_i24_e32 v15, v102, v181
	v_mul_i32_i24_e32 v17, v103, v27
	v_add3_u32 v14, v14, v18, v19
	v_mul_i32_i24_e32 v18, v106, v28
	v_mul_i32_i24_e32 v19, v107, v201
	v_mov_b32_e32 v201, v2
	s_delay_alu instid0(VALU_DEP_4) | instskip(SKIP_2) | instid1(VALU_DEP_3)
	v_add3_u32 v14, v14, v15, v17
	v_mul_i32_i24_e32 v15, v108, v184
	v_mul_i32_i24_e32 v17, v109, v198
	v_add3_u32 v14, v14, v18, v19
	v_mul_i32_i24_e32 v18, v110, v141
	v_mul_i32_i24_e32 v19, v116, v173
	s_delay_alu instid0(VALU_DEP_3) | instskip(SKIP_1) | instid1(VALU_DEP_3)
	v_add3_u32 v14, v14, v15, v17
	v_mul_i32_i24_e32 v15, v112, v24
	v_add3_u32 v19, v82, v19, v30
	v_mul_i32_i24_e32 v17, v113, v22
	s_delay_alu instid0(VALU_DEP_4) | instskip(SKIP_2) | instid1(VALU_DEP_1)
	v_add3_u32 v16, v14, v18, v16
	v_mul_i32_i24_e32 v14, v111, v186
	v_mul_i32_i24_e32 v18, v114, v139
	v_add3_u32 v14, v19, v18, v14
	s_delay_alu instid0(VALU_DEP_1) | instskip(SKIP_1) | instid1(VALU_DEP_1)
	v_add3_u32 v17, v14, v15, v17
	v_mad_u64_u32 v[14:15], null, v16, v160, v[13:14]
	v_cvt_f32_i32_e32 v13, v14
	s_delay_alu instid0(VALU_DEP_3) | instskip(NEXT) | instid1(VALU_DEP_1)
	v_cvt_f32_i32_e32 v14, v17
	v_mul_f32_e32 v14, v159, v14
	s_delay_alu instid0(VALU_DEP_1) | instskip(NEXT) | instid1(VALU_DEP_1)
	v_fma_mix_f32 v13, v126, v13, -v14 op_sel_hi:[1,0,0]
	v_fmac_f32_e32 v197, v20, v13
	ds_load_2addr_b32 v[19:20], v125 offset0:192 offset1:224
	ds_load_b128 v[13:16], v124 offset:6144
	scratch_load_b32 v0, off, off offset:16 ; 4-byte Folded Reload
	v_add_nc_u32_e32 v125, 4, v125
	s_waitcnt lgkmcnt(0)
	v_bfe_i32 v17, v13, 0, 8
	v_bfe_i32 v18, v13, 8, 8
	v_bfe_i32 v30, v13, 16, 8
	v_ashrrev_i32_e32 v82, 24, v13
	v_bfe_i32 v83, v14, 0, 8
	v_bfe_i32 v84, v14, 8, 8
	v_bfe_i32 v85, v14, 16, 8
	v_ashrrev_i32_e32 v86, 24, v14
	;; [unrolled: 4-line block ×4, first 2 shown]
	ds_load_b128 v[13:16], v124 offset:6160
	v_mul_i32_i24_e32 v134, v85, v76
	v_mul_i32_i24_e32 v152, v86, v61
	s_waitcnt lgkmcnt(0)
	v_ashrrev_i32_e32 v98, 24, v13
	v_ashrrev_i32_e32 v102, 24, v14
	v_bfe_i32 v95, v13, 0, 8
	v_bfe_i32 v96, v13, 8, 8
	;; [unrolled: 1-line block ×4, first 2 shown]
	v_ashrrev_i32_e32 v108, 24, v15
	v_bfe_i32 v109, v16, 0, 8
	v_bfe_i32 v110, v16, 8, 8
	;; [unrolled: 1-line block ×3, first 2 shown]
	v_ashrrev_i32_e32 v16, 24, v16
	v_add_nc_u32_e32 v13, v102, v98
	v_bfe_i32 v100, v14, 8, 8
	v_bfe_i32 v107, v15, 16, 8
	;; [unrolled: 1-line block ×4, first 2 shown]
	v_add3_u32 v112, v13, v108, v16
	v_add_nc_u32_e32 v13, v101, v97
	v_bfe_i32 v103, v15, 0, 8
	v_mul_i32_i24_e32 v14, v30, v60
	v_mul_i32_i24_e32 v15, v82, v56
	;; [unrolled: 1-line block ×3, first 2 shown]
	v_add3_u32 v113, v13, v107, v111
	v_add_nc_u32_e32 v13, v100, v96
	s_delay_alu instid0(VALU_DEP_1) | instskip(SKIP_1) | instid1(VALU_DEP_1)
	v_add3_u32 v114, v13, v106, v110
	v_add_nc_u32_e32 v13, v99, v95
	v_add3_u32 v115, v13, v103, v109
	v_add_nc_u32_e32 v13, v86, v82
	s_delay_alu instid0(VALU_DEP_1) | instskip(SKIP_1) | instid1(VALU_DEP_1)
	v_add3_u32 v116, v13, v90, v94
	v_add_nc_u32_e32 v13, v85, v30
	v_add3_u32 v117, v13, v89, v93
	v_add_nc_u32_e32 v13, v84, v18
	s_delay_alu instid0(VALU_DEP_2) | instskip(NEXT) | instid1(VALU_DEP_2)
	v_mul_i32_i24_e32 v154, v117, v162
	v_add3_u32 v123, v13, v88, v92
	v_add_nc_u32_e32 v13, v83, v17
	s_delay_alu instid0(VALU_DEP_2) | instskip(NEXT) | instid1(VALU_DEP_2)
	v_mul_i32_i24_e32 v155, v123, v158
	v_add3_u32 v128, v13, v87, v91
	v_mul_i32_i24_e32 v13, v17, v58
	s_delay_alu instid0(VALU_DEP_2) | instskip(NEXT) | instid1(VALU_DEP_2)
	v_mul_i32_i24_e32 v156, v128, v195
	v_mad_i32_i24 v13, v18, v53, v13
	s_delay_alu instid0(VALU_DEP_2) | instskip(NEXT) | instid1(VALU_DEP_2)
	v_mad_i32_i24 v156, v116, v40, v156
	v_add3_u32 v13, v13, v14, v15
	v_mul_i32_i24_e32 v14, v83, v73
	v_mul_i32_i24_e32 v15, v84, v50
	s_delay_alu instid0(VALU_DEP_4) | instskip(SKIP_2) | instid1(VALU_DEP_4)
	v_add3_u32 v154, v156, v154, v155
	v_mul_i32_i24_e32 v156, v128, v151
	v_mul_i32_i24_e32 v155, v123, v52
	v_add3_u32 v13, v13, v14, v15
	v_mul_i32_i24_e32 v14, v87, v75
	v_mul_i32_i24_e32 v15, v88, v78
	v_mad_i32_i24 v156, v116, v189, v156
	s_delay_alu instid0(VALU_DEP_4) | instskip(SKIP_2) | instid1(VALU_DEP_3)
	v_add3_u32 v13, v13, v134, v152
	v_mul_i32_i24_e32 v134, v89, v81
	v_mul_i32_i24_e32 v152, v90, v119
	v_add3_u32 v13, v13, v14, v15
	v_mul_i32_i24_e32 v14, v91, v118
	v_mul_i32_i24_e32 v15, v92, v120
	s_delay_alu instid0(VALU_DEP_3) | instskip(SKIP_2) | instid1(VALU_DEP_3)
	v_add3_u32 v13, v13, v134, v152
	v_mul_i32_i24_e32 v134, v93, v121
	v_mul_i32_i24_e32 v152, v94, v122
	v_add3_u32 v13, v13, v14, v15
	v_mul_i32_i24_e32 v14, v95, v54
	v_mul_i32_i24_e32 v15, v97, v69
	s_delay_alu instid0(VALU_DEP_3) | instskip(SKIP_1) | instid1(VALU_DEP_4)
	v_add3_u32 v13, v13, v134, v152
	v_mul_i32_i24_e32 v134, v98, v72
	v_mad_i32_i24 v14, v96, v5, v14
	v_mul_i32_i24_e32 v152, v101, v10
	s_delay_alu instid0(VALU_DEP_4) | instskip(NEXT) | instid1(VALU_DEP_3)
	v_mul_lo_u32 v13, v13, v4
	v_add3_u32 v14, v14, v15, v134
	v_mul_i32_i24_e32 v15, v99, v12
	v_mul_i32_i24_e32 v134, v100, v7
	s_delay_alu instid0(VALU_DEP_1) | instskip(SKIP_2) | instid1(VALU_DEP_3)
	v_add3_u32 v14, v14, v15, v134
	v_mul_i32_i24_e32 v15, v103, v8
	v_mul_i32_i24_e32 v134, v106, v11
	v_add3_u32 v14, v14, v152, v153
	v_mul_i32_i24_e32 v152, v107, v163
	v_mul_i32_i24_e32 v153, v108, v165
	s_delay_alu instid0(VALU_DEP_3) | instskip(SKIP_2) | instid1(VALU_DEP_3)
	v_add3_u32 v14, v14, v15, v134
	v_mul_i32_i24_e32 v15, v109, v77
	v_mul_i32_i24_e32 v134, v110, v147
	v_add3_u32 v14, v14, v152, v153
	v_mul_i32_i24_e32 v152, v111, v79
	v_mul_i32_i24_e32 v153, v16, v57
	s_delay_alu instid0(VALU_DEP_3) | instskip(SKIP_1) | instid1(VALU_DEP_2)
	v_add3_u32 v14, v14, v15, v134
	v_mul_i32_i24_e32 v15, v113, v6
	v_add3_u32 v134, v14, v152, v153
	v_mul_i32_i24_e32 v14, v112, v9
	v_mul_i32_i24_e32 v153, v115, v51
	;; [unrolled: 1-line block ×3, first 2 shown]
	s_delay_alu instid0(VALU_DEP_2) | instskip(SKIP_2) | instid1(VALU_DEP_3)
	v_add3_u32 v14, v154, v153, v14
	v_mul_i32_i24_e32 v153, v102, v255
	v_mul_i32_i24_e32 v154, v117, v55
	v_add3_u32 v152, v14, v15, v152
	v_mad_u64_u32 v[14:15], null, v134, v44, v[13:14]
	v_mul_i32_i24_e32 v15, v82, v67
	v_mul_i32_i24_e32 v134, v85, v236
	v_add3_u32 v154, v156, v154, v155
	v_mul_i32_i24_e32 v156, v128, v132
	v_mul_i32_i24_e32 v155, v123, v206
	v_cvt_f32_i32_e32 v13, v14
	v_cvt_f32_i32_e32 v14, v152
	v_mul_i32_i24_e32 v152, v86, v238
	v_mad_i32_i24 v156, v116, v133, v156
	s_delay_alu instid0(VALU_DEP_3) | instskip(NEXT) | instid1(VALU_DEP_1)
	v_mul_f32_e32 v14, v48, v14
	v_fma_mix_f32 v13, v182, v13, -v14 op_sel_hi:[1,0,0]
	v_mul_i32_i24_e32 v14, v30, v64
	s_waitcnt vmcnt(0)
	s_delay_alu instid0(VALU_DEP_2) | instskip(SKIP_4) | instid1(VALU_DEP_1)
	v_fmac_f32_e32 v0, v19, v13
	v_mul_i32_i24_e32 v13, v17, v63
	scratch_store_b32 off, v0, off offset:16 ; 4-byte Folded Spill
	scratch_load_b32 v0, off, off offset:12 ; 4-byte Folded Reload
	v_mad_i32_i24 v13, v18, v59, v13
	v_add3_u32 v13, v13, v14, v15
	v_mul_i32_i24_e32 v14, v83, v65
	v_mul_i32_i24_e32 v15, v84, v66
	s_delay_alu instid0(VALU_DEP_1) | instskip(SKIP_2) | instid1(VALU_DEP_3)
	v_add3_u32 v13, v13, v14, v15
	v_mul_i32_i24_e32 v14, v87, v237
	v_mul_i32_i24_e32 v15, v88, v68
	v_add3_u32 v13, v13, v134, v152
	v_mul_i32_i24_e32 v134, v89, v70
	v_mul_i32_i24_e32 v152, v90, v242
	s_delay_alu instid0(VALU_DEP_3) | instskip(SKIP_2) | instid1(VALU_DEP_3)
	v_add3_u32 v13, v13, v14, v15
	v_mul_i32_i24_e32 v14, v91, v241
	v_mul_i32_i24_e32 v15, v92, v243
	v_add3_u32 v13, v13, v134, v152
	v_mul_i32_i24_e32 v134, v93, v244
	v_mul_i32_i24_e32 v152, v94, v245
	s_delay_alu instid0(VALU_DEP_3) | instskip(SKIP_2) | instid1(VALU_DEP_3)
	v_add3_u32 v13, v13, v14, v15
	v_mul_i32_i24_e32 v14, v95, v248
	v_mul_i32_i24_e32 v15, v97, v249
	v_add3_u32 v13, v13, v134, v152
	v_mul_i32_i24_e32 v134, v98, v252
	s_delay_alu instid0(VALU_DEP_4) | instskip(SKIP_1) | instid1(VALU_DEP_4)
	v_mad_i32_i24 v14, v96, v247, v14
	v_mul_i32_i24_e32 v152, v101, v253
	v_mul_lo_u32 v13, v13, v246
	s_delay_alu instid0(VALU_DEP_3) | instskip(SKIP_2) | instid1(VALU_DEP_1)
	v_add3_u32 v14, v14, v15, v134
	v_mul_i32_i24_e32 v15, v99, v49
	v_mul_i32_i24_e32 v134, v100, v251
	v_add3_u32 v14, v14, v15, v134
	v_mul_i32_i24_e32 v15, v103, v74
	v_mul_i32_i24_e32 v134, v106, v148
	s_delay_alu instid0(VALU_DEP_3) | instskip(SKIP_2) | instid1(VALU_DEP_3)
	v_add3_u32 v14, v14, v152, v153
	v_mul_i32_i24_e32 v152, v107, v46
	v_mul_i32_i24_e32 v153, v108, v42
	v_add3_u32 v14, v14, v15, v134
	v_mul_i32_i24_e32 v15, v109, v150
	v_mul_i32_i24_e32 v134, v110, v43
	s_delay_alu instid0(VALU_DEP_3) | instskip(SKIP_2) | instid1(VALU_DEP_3)
	v_add3_u32 v14, v14, v152, v153
	v_mul_i32_i24_e32 v152, v111, v45
	v_mul_i32_i24_e32 v153, v16, v47
	v_add3_u32 v14, v14, v15, v134
	v_mul_i32_i24_e32 v15, v113, v250
	s_delay_alu instid0(VALU_DEP_2) | instskip(SKIP_3) | instid1(VALU_DEP_2)
	v_add3_u32 v134, v14, v152, v153
	v_mul_i32_i24_e32 v14, v112, v149
	v_mul_i32_i24_e32 v153, v115, v226
	;; [unrolled: 1-line block ×3, first 2 shown]
	v_add3_u32 v14, v154, v153, v14
	v_mul_i32_i24_e32 v154, v117, v188
	v_mul_i32_i24_e32 v153, v102, v220
	s_delay_alu instid0(VALU_DEP_3) | instskip(SKIP_1) | instid1(VALU_DEP_4)
	v_add3_u32 v152, v14, v15, v152
	v_mad_u64_u32 v[14:15], null, v134, v190, v[13:14]
	v_add3_u32 v154, v156, v154, v155
	scratch_load_b32 v156, off, off offset:68 ; 4-byte Folded Reload
	v_mul_i32_i24_e32 v15, v82, v199
	v_mul_i32_i24_e32 v134, v85, v2
	v_cvt_f32_i32_e32 v13, v14
	v_cvt_f32_i32_e32 v14, v152
	v_mul_i32_i24_e32 v152, v86, v32
	s_delay_alu instid0(VALU_DEP_2) | instskip(NEXT) | instid1(VALU_DEP_1)
	v_mul_f32_e32 v14, v191, v14
	v_fma_mix_f32 v13, v138, v13, -v14 op_sel_hi:[1,0,0]
	v_mul_i32_i24_e32 v14, v30, v196
	s_waitcnt vmcnt(1)
	s_delay_alu instid0(VALU_DEP_2) | instskip(SKIP_1) | instid1(VALU_DEP_1)
	v_fmac_f32_e32 v0, v19, v13
	v_mul_i32_i24_e32 v13, v17, v193
	v_mad_i32_i24 v13, v18, v192, v13
	s_delay_alu instid0(VALU_DEP_1) | instskip(SKIP_2) | instid1(VALU_DEP_1)
	v_add3_u32 v13, v13, v14, v15
	v_mul_i32_i24_e32 v14, v83, v33
	v_mul_i32_i24_e32 v15, v84, v1
	v_add3_u32 v13, v13, v14, v15
	v_mul_i32_i24_e32 v14, v87, v3
	v_mul_i32_i24_e32 v15, v88, v39
	s_delay_alu instid0(VALU_DEP_3) | instskip(SKIP_2) | instid1(VALU_DEP_3)
	v_add3_u32 v13, v13, v134, v152
	v_mul_i32_i24_e32 v134, v89, v202
	v_mul_i32_i24_e32 v152, v90, v204
	v_add3_u32 v13, v13, v14, v15
	v_mul_i32_i24_e32 v14, v91, v157
	v_mul_i32_i24_e32 v15, v92, v203
	s_delay_alu instid0(VALU_DEP_3) | instskip(SKIP_2) | instid1(VALU_DEP_3)
	v_add3_u32 v13, v13, v134, v152
	v_mul_i32_i24_e32 v134, v93, v34
	v_mul_i32_i24_e32 v152, v94, v210
	v_add3_u32 v13, v13, v14, v15
	v_mul_i32_i24_e32 v14, v95, v212
	v_mul_i32_i24_e32 v15, v97, v214
	s_delay_alu instid0(VALU_DEP_3) | instskip(SKIP_1) | instid1(VALU_DEP_4)
	v_add3_u32 v13, v13, v134, v152
	v_mul_i32_i24_e32 v134, v98, v217
	v_mad_i32_i24 v14, v96, v211, v14
	v_mul_i32_i24_e32 v152, v101, v218
	s_delay_alu instid0(VALU_DEP_4) | instskip(NEXT) | instid1(VALU_DEP_3)
	v_mul_lo_u32 v13, v13, v36
	v_add3_u32 v14, v14, v15, v134
	v_mul_i32_i24_e32 v15, v99, v38
	v_mul_i32_i24_e32 v134, v100, v213
	s_delay_alu instid0(VALU_DEP_1) | instskip(SKIP_2) | instid1(VALU_DEP_3)
	v_add3_u32 v14, v14, v15, v134
	v_mul_i32_i24_e32 v15, v103, v216
	v_mul_i32_i24_e32 v134, v106, v219
	v_add3_u32 v14, v14, v152, v153
	v_mul_i32_i24_e32 v152, v107, v37
	v_mul_i32_i24_e32 v153, v108, v145
	s_delay_alu instid0(VALU_DEP_3) | instskip(SKIP_2) | instid1(VALU_DEP_3)
	v_add3_u32 v14, v14, v15, v134
	v_mul_i32_i24_e32 v15, v109, v221
	v_mul_i32_i24_e32 v134, v110, v146
	v_add3_u32 v14, v14, v152, v153
	v_mul_i32_i24_e32 v152, v111, v144
	v_mul_i32_i24_e32 v153, v16, v143
	;; [unrolled: 1-line block ×3, first 2 shown]
	s_delay_alu instid0(VALU_DEP_4) | instskip(SKIP_1) | instid1(VALU_DEP_2)
	v_add3_u32 v14, v14, v15, v134
	v_mul_i32_i24_e32 v15, v113, v35
	v_add3_u32 v134, v14, v152, v153
	v_mul_i32_i24_e32 v14, v112, v215
	v_mul_i32_i24_e32 v153, v115, v183
	;; [unrolled: 1-line block ×3, first 2 shown]
	s_delay_alu instid0(VALU_DEP_2)
	v_add3_u32 v14, v154, v153, v14
	scratch_load_b32 v154, off, off offset:52 ; 4-byte Folded Reload
	v_add3_u32 v152, v14, v15, v152
	v_mad_u64_u32 v[14:15], null, v134, v136, v[13:14]
	v_mul_i32_i24_e32 v15, v82, v164
	v_mul_i32_i24_e32 v82, v123, v167
	s_delay_alu instid0(VALU_DEP_3) | instskip(SKIP_3) | instid1(VALU_DEP_1)
	v_cvt_f32_i32_e32 v13, v14
	v_cvt_f32_i32_e32 v14, v152
	scratch_load_b32 v152, off, off offset:48 ; 4-byte Folded Reload
	v_mul_f32_e32 v14, v137, v14
	v_fma_mix_f32 v13, v131, v13, -v14 op_sel_hi:[1,0,0]
	v_mul_i32_i24_e32 v14, v30, v187
	v_mul_i32_i24_e32 v30, v102, v26
	s_delay_alu instid0(VALU_DEP_3) | instskip(SKIP_2) | instid1(VALU_DEP_2)
	v_fmac_f32_e32 v169, v19, v13
	v_mul_i32_i24_e32 v13, v17, v185
	v_mul_i32_i24_e32 v17, v85, v129
	v_mad_i32_i24 v13, v18, v21, v13
	v_mul_i32_i24_e32 v18, v86, v168
	s_delay_alu instid0(VALU_DEP_2) | instskip(SKIP_3) | instid1(VALU_DEP_2)
	v_add3_u32 v13, v13, v14, v15
	v_mul_i32_i24_e32 v14, v83, v104
	v_mul_i32_i24_e32 v15, v84, v105
	;; [unrolled: 1-line block ×3, first 2 shown]
	v_add3_u32 v13, v13, v14, v15
	v_mul_i32_i24_e32 v14, v87, v127
	v_mul_i32_i24_e32 v15, v88, v135
	s_delay_alu instid0(VALU_DEP_4) | instskip(NEXT) | instid1(VALU_DEP_4)
	v_mad_i32_i24 v83, v116, v161, v83
	v_add3_u32 v13, v13, v17, v18
	v_mul_i32_i24_e32 v17, v89, v142
	v_mul_i32_i24_e32 v18, v90, v172
	s_delay_alu instid0(VALU_DEP_3) | instskip(SKIP_2) | instid1(VALU_DEP_3)
	v_add3_u32 v13, v13, v14, v15
	v_mul_i32_i24_e32 v14, v91, v170
	v_mul_i32_i24_e32 v15, v92, v171
	v_add3_u32 v13, v13, v17, v18
	v_mul_i32_i24_e32 v17, v93, v174
	v_mul_i32_i24_e32 v18, v94, v175
	s_delay_alu instid0(VALU_DEP_3) | instskip(SKIP_2) | instid1(VALU_DEP_3)
	v_add3_u32 v13, v13, v14, v15
	v_mul_i32_i24_e32 v14, v95, v178
	v_mul_i32_i24_e32 v15, v97, v23
	v_add3_u32 v13, v13, v17, v18
	v_mul_i32_i24_e32 v17, v98, v180
	s_delay_alu instid0(VALU_DEP_4) | instskip(SKIP_1) | instid1(VALU_DEP_4)
	v_mad_i32_i24 v14, v96, v177, v14
	v_mul_i32_i24_e32 v18, v101, v25
	v_mul_lo_u32 v13, v13, v176
	s_delay_alu instid0(VALU_DEP_3)
	v_add3_u32 v14, v14, v15, v17
	v_mul_i32_i24_e32 v15, v99, v200
	v_mul_i32_i24_e32 v17, v100, v179
	ds_load_b128 v[97:100], v124 offset:7184
	v_add3_u32 v14, v14, v15, v17
	v_mul_i32_i24_e32 v15, v103, v181
	v_mul_i32_i24_e32 v17, v106, v27
	s_delay_alu instid0(VALU_DEP_3) | instskip(SKIP_2) | instid1(VALU_DEP_3)
	v_add3_u32 v14, v14, v18, v30
	v_mul_i32_i24_e32 v18, v107, v28
	v_mul_i32_i24_e32 v30, v108, v31
	v_add3_u32 v14, v14, v15, v17
	v_mul_i32_i24_e32 v15, v109, v184
	v_mul_i32_i24_e32 v17, v110, v198
	s_delay_alu instid0(VALU_DEP_3)
	v_add3_u32 v14, v14, v18, v30
	v_mul_i32_i24_e32 v18, v111, v141
	v_mul_i32_i24_e32 v30, v117, v173
	s_waitcnt lgkmcnt(0)
	v_bfe_i32 v111, v97, 0, 8
	v_bfe_i32 v123, v97, 8, 8
	v_add3_u32 v14, v14, v15, v17
	v_mul_i32_i24_e32 v15, v113, v24
	v_add3_u32 v30, v83, v30, v82
	v_mul_i32_i24_e32 v17, v114, v22
	v_ashrrev_i32_e32 v110, 24, v98
	v_add3_u32 v16, v14, v18, v16
	v_mul_i32_i24_e32 v14, v112, v186
	v_mul_i32_i24_e32 v18, v115, v139
	v_bfe_i32 v112, v97, 16, 8
	v_ashrrev_i32_e32 v115, 24, v97
	v_mul_i32_i24_e32 v39, v111, v54
	v_bfe_i32 v109, v98, 16, 8
	v_add3_u32 v14, v30, v18, v14
	v_ashrrev_i32_e32 v30, 24, v99
	v_ashrrev_i32_e32 v116, 24, v100
	v_mul_i32_i24_e32 v2, v115, v72
	v_mad_i32_i24 v39, v123, v5, v39
	v_add3_u32 v17, v14, v15, v17
	v_mad_u64_u32 v[14:15], null, v16, v160, v[13:14]
	v_bfe_i32 v108, v99, 8, 8
	v_mul_i32_i24_e32 v3, v109, v10
	v_mul_i32_i24_e32 v5, v110, v71
	v_bfe_i32 v113, v99, 16, 8
	v_bfe_i32 v95, v100, 0, 8
	;; [unrolled: 1-line block ×3, first 2 shown]
	v_cvt_f32_i32_e32 v13, v14
	v_cvt_f32_i32_e32 v14, v17
	v_bfe_i32 v17, v98, 8, 8
	v_bfe_i32 v97, v100, 16, 8
	s_delay_alu instid0(VALU_DEP_3) | instskip(NEXT) | instid1(VALU_DEP_3)
	v_mul_f32_e32 v14, v159, v14
	v_mul_i32_i24_e32 v1, v17, v7
	s_delay_alu instid0(VALU_DEP_2) | instskip(NEXT) | instid1(VALU_DEP_1)
	v_fma_mix_f32 v13, v126, v13, -v14 op_sel_hi:[1,0,0]
	v_fmac_f32_e32 v166, v19, v13
	ds_load_b128 v[13:16], v124 offset:7168
	v_add_nc_u32_e32 v124, 32, v124
	s_waitcnt lgkmcnt(0)
	v_bfe_i32 v93, v13, 16, 8
	v_bfe_i32 v90, v14, 16, 8
	;; [unrolled: 1-line block ×6, first 2 shown]
	v_add_nc_u32_e32 v19, v90, v93
	v_bfe_i32 v92, v13, 0, 8
	v_bfe_i32 v88, v14, 0, 8
	;; [unrolled: 1-line block ×4, first 2 shown]
	v_ashrrev_i32_e32 v86, 24, v15
	v_bfe_i32 v15, v16, 8, 8
	v_add3_u32 v101, v19, v85, v18
	v_add_nc_u32_e32 v19, v89, v87
	v_ashrrev_i32_e32 v91, 24, v14
	v_bfe_i32 v14, v16, 0, 8
	v_ashrrev_i32_e32 v94, 24, v13
	v_ashrrev_i32_e32 v82, 24, v16
	v_add3_u32 v102, v19, v84, v15
	v_add_nc_u32_e32 v19, v88, v92
	v_mul_i32_i24_e32 v61, v91, v61
	v_bfe_i32 v16, v98, 0, 8
	v_add_nc_u32_e32 v13, v110, v115
	v_bfe_i32 v98, v99, 0, 8
	v_add3_u32 v103, v19, v83, v14
	v_mul_i32_i24_e32 v19, v92, v58
	v_mul_i32_i24_e32 v58, v93, v60
	;; [unrolled: 1-line block ×4, first 2 shown]
	v_add3_u32 v114, v13, v30, v116
	v_mad_i32_i24 v19, v87, v53, v19
	v_add_nc_u32_e32 v13, v109, v112
	scratch_store_b32 off, v0, off offset:12 ; 4-byte Folded Spill
	v_mul_i32_i24_e32 v0, v16, v12
	v_mul_i32_i24_e32 v7, v103, v195
	v_add3_u32 v19, v19, v58, v60
	v_mul_i32_i24_e32 v58, v89, v50
	v_mul_i32_i24_e32 v60, v90, v76
	v_add3_u32 v117, v13, v113, v97
	v_add_nc_u32_e32 v13, v17, v123
	s_delay_alu instid0(VALU_DEP_4) | instskip(SKIP_2) | instid1(VALU_DEP_4)
	v_add3_u32 v19, v19, v56, v58
	v_mul_i32_i24_e32 v56, v83, v75
	v_mul_i32_i24_e32 v58, v84, v78
	v_add3_u32 v99, v13, v108, v96
	v_add_nc_u32_e32 v13, v16, v111
	v_add3_u32 v19, v19, v60, v61
	v_mul_i32_i24_e32 v60, v85, v81
	v_mul_i32_i24_e32 v61, v86, v119
	s_delay_alu instid0(VALU_DEP_4) | instskip(NEXT) | instid1(VALU_DEP_4)
	v_add3_u32 v100, v13, v98, v95
	v_add3_u32 v19, v19, v56, v58
	v_mul_i32_i24_e32 v56, v14, v118
	v_mul_i32_i24_e32 v58, v15, v120
	v_add_nc_u32_e32 v13, v91, v94
	s_delay_alu instid0(VALU_DEP_4) | instskip(SKIP_2) | instid1(VALU_DEP_4)
	v_add3_u32 v19, v19, v60, v61
	v_mul_i32_i24_e32 v60, v18, v121
	v_mul_i32_i24_e32 v61, v82, v122
	v_add3_u32 v13, v13, v86, v82
	s_delay_alu instid0(VALU_DEP_4)
	v_add3_u32 v19, v19, v56, v58
	v_mul_i32_i24_e32 v56, v112, v69
	scratch_load_b32 v58, off, off offset:24 ; 4-byte Folded Reload
	v_mad_i32_i24 v7, v13, v40, v7
	v_add3_u32 v19, v19, v60, v61
	scratch_load_b32 v60, off, off offset:28 ; 4-byte Folded Reload
	v_add3_u32 v2, v39, v56, v2
	scratch_load_b32 v10, off, off offset:4 ; 4-byte Folded Reload
	v_mul_lo_u32 v19, v19, v4
	v_mul_i32_i24_e32 v4, v30, v165
	v_add3_u32 v0, v2, v0, v1
	v_mul_i32_i24_e32 v1, v98, v8
	v_mul_i32_i24_e32 v2, v108, v11
	;; [unrolled: 1-line block ×3, first 2 shown]
	s_delay_alu instid0(VALU_DEP_4) | instskip(SKIP_2) | instid1(VALU_DEP_4)
	v_add3_u32 v0, v0, v3, v5
	v_mul_i32_i24_e32 v3, v113, v163
	v_mul_i32_i24_e32 v5, v101, v162
	v_mad_i32_i24 v8, v13, v189, v8
	s_delay_alu instid0(VALU_DEP_4) | instskip(SKIP_2) | instid1(VALU_DEP_3)
	v_add3_u32 v0, v0, v1, v2
	v_mul_i32_i24_e32 v1, v95, v77
	v_mul_i32_i24_e32 v2, v96, v147
	v_add3_u32 v0, v0, v3, v4
	v_mul_i32_i24_e32 v4, v116, v57
	v_mul_i32_i24_e32 v3, v97, v79
	s_delay_alu instid0(VALU_DEP_3)
	v_add3_u32 v0, v0, v1, v2
	v_mul_i32_i24_e32 v1, v114, v9
	s_clause 0x1
	scratch_load_b32 v9, off, off offset:8
	scratch_load_b32 v57, off, off offset:20
	v_mul_i32_i24_e32 v2, v117, v6
	v_mul_i32_i24_e32 v6, v102, v158
	v_add3_u32 v0, v0, v3, v4
	v_mul_i32_i24_e32 v4, v100, v51
	v_mul_i32_i24_e32 v3, v99, v80
	s_delay_alu instid0(VALU_DEP_4) | instskip(SKIP_2) | instid1(VALU_DEP_3)
	v_add3_u32 v5, v7, v5, v6
	v_mul_i32_i24_e32 v6, v101, v55
	v_mul_i32_i24_e32 v7, v102, v52
	v_add3_u32 v1, v5, v4, v1
	v_mul_i32_i24_e32 v4, v91, v238
	v_mul_i32_i24_e32 v5, v110, v255
	s_delay_alu instid0(VALU_DEP_4)
	v_add3_u32 v6, v8, v6, v7
	v_mul_i32_i24_e32 v8, v103, v132
	v_add3_u32 v3, v1, v2, v3
	v_mad_u64_u32 v[1:2], null, v0, v44, v[19:20]
	v_mul_i32_i24_e32 v2, v94, v67
	v_mul_i32_i24_e32 v7, v102, v206
	v_mad_i32_i24 v8, v13, v133, v8
	s_delay_alu instid0(VALU_DEP_4) | instskip(SKIP_2) | instid1(VALU_DEP_2)
	v_cvt_f32_i32_e32 v0, v1
	v_cvt_f32_i32_e32 v1, v3
	v_mul_i32_i24_e32 v3, v90, v236
	v_mul_f32_e32 v1, v48, v1
	s_delay_alu instid0(VALU_DEP_1) | instskip(SKIP_2) | instid1(VALU_DEP_2)
	v_fma_mix_f32 v0, v182, v0, -v1 op_sel_hi:[1,0,0]
	v_mul_i32_i24_e32 v1, v93, v64
	s_waitcnt vmcnt(1)
	v_fmac_f32_e32 v9, v20, v0
	v_mul_i32_i24_e32 v0, v92, v63
	s_delay_alu instid0(VALU_DEP_1) | instskip(NEXT) | instid1(VALU_DEP_1)
	v_mad_i32_i24 v0, v87, v59, v0
	v_add3_u32 v0, v0, v1, v2
	v_mul_i32_i24_e32 v1, v88, v65
	v_mul_i32_i24_e32 v2, v89, v66
	s_delay_alu instid0(VALU_DEP_1) | instskip(SKIP_2) | instid1(VALU_DEP_3)
	v_add3_u32 v0, v0, v1, v2
	v_mul_i32_i24_e32 v1, v83, v237
	v_mul_i32_i24_e32 v2, v84, v68
	v_add3_u32 v0, v0, v3, v4
	v_mul_i32_i24_e32 v3, v85, v70
	v_mul_i32_i24_e32 v4, v86, v242
	s_delay_alu instid0(VALU_DEP_3) | instskip(SKIP_2) | instid1(VALU_DEP_3)
	v_add3_u32 v0, v0, v1, v2
	v_mul_i32_i24_e32 v1, v14, v241
	v_mul_i32_i24_e32 v2, v15, v243
	v_add3_u32 v0, v0, v3, v4
	v_mul_i32_i24_e32 v3, v18, v244
	v_mul_i32_i24_e32 v4, v82, v245
	s_delay_alu instid0(VALU_DEP_3) | instskip(SKIP_2) | instid1(VALU_DEP_3)
	v_add3_u32 v0, v0, v1, v2
	v_mul_i32_i24_e32 v1, v111, v248
	v_mul_i32_i24_e32 v2, v112, v249
	v_add3_u32 v0, v0, v3, v4
	v_mul_i32_i24_e32 v3, v115, v252
	s_delay_alu instid0(VALU_DEP_4) | instskip(SKIP_1) | instid1(VALU_DEP_4)
	v_mad_i32_i24 v1, v123, v247, v1
	v_mul_i32_i24_e32 v4, v109, v253
	v_mul_lo_u32 v0, v0, v246
	s_delay_alu instid0(VALU_DEP_3) | instskip(SKIP_2) | instid1(VALU_DEP_1)
	v_add3_u32 v1, v1, v2, v3
	v_mul_i32_i24_e32 v2, v16, v49
	v_mul_i32_i24_e32 v3, v17, v251
	v_add3_u32 v1, v1, v2, v3
	v_mul_i32_i24_e32 v2, v98, v74
	v_mul_i32_i24_e32 v3, v108, v148
	s_delay_alu instid0(VALU_DEP_3) | instskip(SKIP_2) | instid1(VALU_DEP_3)
	v_add3_u32 v1, v1, v4, v5
	v_mul_i32_i24_e32 v4, v113, v46
	v_mul_i32_i24_e32 v5, v30, v42
	v_add3_u32 v1, v1, v2, v3
	v_mul_i32_i24_e32 v2, v95, v150
	v_mul_i32_i24_e32 v3, v96, v43
	s_delay_alu instid0(VALU_DEP_3) | instskip(SKIP_2) | instid1(VALU_DEP_3)
	v_add3_u32 v1, v1, v4, v5
	v_mul_i32_i24_e32 v4, v97, v45
	v_mul_i32_i24_e32 v5, v116, v47
	v_add3_u32 v1, v1, v2, v3
	v_mul_i32_i24_e32 v2, v117, v250
	s_delay_alu instid0(VALU_DEP_2) | instskip(SKIP_3) | instid1(VALU_DEP_2)
	v_add3_u32 v3, v1, v4, v5
	v_mul_i32_i24_e32 v1, v114, v149
	v_mul_i32_i24_e32 v5, v100, v226
	;; [unrolled: 1-line block ×3, first 2 shown]
	v_add3_u32 v1, v6, v5, v1
	v_mul_i32_i24_e32 v6, v101, v188
	v_mul_i32_i24_e32 v5, v110, v220
	s_delay_alu instid0(VALU_DEP_3)
	v_add3_u32 v4, v1, v2, v4
	v_mad_u64_u32 v[1:2], null, v3, v190, v[0:1]
	v_mul_i32_i24_e32 v2, v94, v199
	v_add3_u32 v6, v8, v6, v7
	scratch_load_b32 v8, off, off           ; 4-byte Folded Reload
	v_mul_i32_i24_e32 v3, v90, v201
	v_mul_i32_i24_e32 v7, v103, v130
	v_cvt_f32_i32_e32 v0, v1
	v_cvt_f32_i32_e32 v1, v4
	v_mul_i32_i24_e32 v4, v91, v32
	s_delay_alu instid0(VALU_DEP_4) | instskip(NEXT) | instid1(VALU_DEP_3)
	v_mad_i32_i24 v7, v13, v161, v7
	v_mul_f32_e32 v1, v191, v1
	s_delay_alu instid0(VALU_DEP_1) | instskip(SKIP_1) | instid1(VALU_DEP_2)
	v_fma_mix_f32 v0, v138, v0, -v1 op_sel_hi:[1,0,0]
	v_mul_i32_i24_e32 v1, v93, v196
	v_fmac_f32_e32 v10, v20, v0
	v_mul_i32_i24_e32 v0, v92, v193
	s_delay_alu instid0(VALU_DEP_1) | instskip(NEXT) | instid1(VALU_DEP_1)
	v_mad_i32_i24 v0, v87, v192, v0
	v_add3_u32 v0, v0, v1, v2
	scratch_load_b32 v2, off, off offset:80 ; 4-byte Folded Reload
	v_mul_i32_i24_e32 v1, v88, v33
	s_waitcnt vmcnt(0)
	v_mul_i32_i24_e32 v2, v89, v2
	s_delay_alu instid0(VALU_DEP_1) | instskip(SKIP_2) | instid1(VALU_DEP_3)
	v_add3_u32 v0, v0, v1, v2
	v_mul_i32_i24_e32 v1, v83, v207
	v_mul_i32_i24_e32 v2, v84, v209
	v_add3_u32 v0, v0, v3, v4
	v_mul_i32_i24_e32 v3, v85, v202
	v_mul_i32_i24_e32 v4, v86, v204
	scratch_load_b32 v204, off, off offset:60 ; 4-byte Folded Reload
	v_add3_u32 v0, v0, v1, v2
	v_mul_i32_i24_e32 v1, v14, v157
	v_mul_i32_i24_e32 v2, v15, v203
	s_delay_alu instid0(VALU_DEP_3) | instskip(SKIP_2) | instid1(VALU_DEP_3)
	v_add3_u32 v0, v0, v3, v4
	v_mul_i32_i24_e32 v3, v18, v34
	v_mul_i32_i24_e32 v4, v82, v210
	v_add3_u32 v0, v0, v1, v2
	v_mul_i32_i24_e32 v1, v111, v212
	v_mul_i32_i24_e32 v2, v112, v214
	s_delay_alu instid0(VALU_DEP_3) | instskip(SKIP_1) | instid1(VALU_DEP_4)
	v_add3_u32 v0, v0, v3, v4
	v_mul_i32_i24_e32 v3, v115, v217
	v_mad_i32_i24 v1, v123, v211, v1
	v_mul_i32_i24_e32 v4, v109, v218
	s_delay_alu instid0(VALU_DEP_4) | instskip(NEXT) | instid1(VALU_DEP_3)
	v_mul_lo_u32 v0, v0, v36
	v_add3_u32 v1, v1, v2, v3
	v_mul_i32_i24_e32 v2, v16, v38
	v_mul_i32_i24_e32 v3, v17, v213
	s_delay_alu instid0(VALU_DEP_1) | instskip(SKIP_2) | instid1(VALU_DEP_3)
	v_add3_u32 v1, v1, v2, v3
	v_mul_i32_i24_e32 v2, v98, v216
	v_mul_i32_i24_e32 v3, v108, v219
	v_add3_u32 v1, v1, v4, v5
	v_mul_i32_i24_e32 v4, v113, v37
	v_mul_i32_i24_e32 v5, v30, v145
	scratch_load_b32 v145, off, off offset:44 ; 4-byte Folded Reload
	v_add3_u32 v1, v1, v2, v3
	v_mul_i32_i24_e32 v2, v95, v221
	v_mul_i32_i24_e32 v3, v96, v146
	s_delay_alu instid0(VALU_DEP_3)
	v_add3_u32 v1, v1, v4, v5
	v_mul_i32_i24_e32 v4, v97, v144
	v_mul_i32_i24_e32 v5, v116, v143
	scratch_load_b32 v144, off, off offset:40 ; 4-byte Folded Reload
	v_add3_u32 v1, v1, v2, v3
	v_mul_i32_i24_e32 v2, v117, v35
	s_delay_alu instid0(VALU_DEP_2) | instskip(SKIP_3) | instid1(VALU_DEP_2)
	v_add3_u32 v3, v1, v4, v5
	v_mul_i32_i24_e32 v1, v114, v215
	v_mul_i32_i24_e32 v5, v100, v183
	;; [unrolled: 1-line block ×3, first 2 shown]
	v_add3_u32 v1, v6, v5, v1
	v_mul_i32_i24_e32 v5, v101, v173
	v_mul_i32_i24_e32 v6, v102, v167
	s_delay_alu instid0(VALU_DEP_3)
	v_add3_u32 v4, v1, v2, v4
	v_mad_u64_u32 v[1:2], null, v3, v136, v[0:1]
	scratch_load_b32 v136, off, off offset:32 ; 4-byte Folded Reload
	v_mul_i32_i24_e32 v2, v94, v164
	v_mul_i32_i24_e32 v3, v90, v129
	v_add3_u32 v5, v7, v5, v6
	v_cvt_f32_i32_e32 v0, v1
	v_cvt_f32_i32_e32 v1, v4
	v_mul_i32_i24_e32 v4, v91, v168
	s_delay_alu instid0(VALU_DEP_2) | instskip(SKIP_3) | instid1(VALU_DEP_2)
	v_mul_f32_e32 v1, v137, v1
	scratch_load_b32 v137, off, off offset:36 ; 4-byte Folded Reload
	v_fma_mix_f32 v0, v131, v0, -v1 op_sel_hi:[1,0,0]
	v_mul_i32_i24_e32 v1, v93, v187
	v_fmac_f32_e32 v8, v20, v0
	v_mul_i32_i24_e32 v0, v92, v185
	s_delay_alu instid0(VALU_DEP_1) | instskip(NEXT) | instid1(VALU_DEP_1)
	v_mad_i32_i24 v0, v87, v21, v0
	v_add3_u32 v0, v0, v1, v2
	v_mul_i32_i24_e32 v1, v88, v104
	v_mul_i32_i24_e32 v2, v89, v105
	s_delay_alu instid0(VALU_DEP_1) | instskip(SKIP_2) | instid1(VALU_DEP_3)
	v_add3_u32 v0, v0, v1, v2
	v_mul_i32_i24_e32 v1, v83, v127
	v_mul_i32_i24_e32 v2, v84, v135
	v_add3_u32 v0, v0, v3, v4
	v_mul_i32_i24_e32 v3, v85, v142
	v_mul_i32_i24_e32 v4, v86, v172
	s_delay_alu instid0(VALU_DEP_3) | instskip(SKIP_2) | instid1(VALU_DEP_3)
	v_add3_u32 v0, v0, v1, v2
	v_mul_i32_i24_e32 v1, v14, v170
	v_mul_i32_i24_e32 v2, v15, v171
	v_add3_u32 v0, v0, v3, v4
	v_mul_i32_i24_e32 v3, v18, v174
	v_mul_i32_i24_e32 v4, v82, v175
	s_delay_alu instid0(VALU_DEP_3) | instskip(SKIP_2) | instid1(VALU_DEP_3)
	v_add3_u32 v0, v0, v1, v2
	v_mul_i32_i24_e32 v1, v112, v23
	v_mul_i32_i24_e32 v2, v115, v180
	v_add3_u32 v0, v0, v3, v4
	v_mul_i32_i24_e32 v3, v109, v25
	v_mul_i32_i24_e32 v4, v110, v26
	s_delay_alu instid0(VALU_DEP_3) | instskip(SKIP_1) | instid1(VALU_DEP_1)
	v_mul_lo_u32 v19, v0, v176
	v_mul_i32_i24_e32 v0, v111, v178
	v_mad_i32_i24 v0, v123, v177, v0
	s_delay_alu instid0(VALU_DEP_1)
	v_add3_u32 v0, v0, v1, v2
	v_mul_i32_i24_e32 v1, v16, v200
	v_mul_i32_i24_e32 v2, v17, v179
	scratch_load_b32 v179, off, off offset:56 ; 4-byte Folded Reload
	v_add3_u32 v0, v0, v1, v2
	v_mul_i32_i24_e32 v1, v98, v181
	v_mul_i32_i24_e32 v2, v108, v27
	s_delay_alu instid0(VALU_DEP_3)
	v_add3_u32 v0, v0, v3, v4
	v_mul_i32_i24_e32 v4, v30, v31
	scratch_load_b32 v31, off, off offset:64 ; 4-byte Folded Reload
	v_mul_i32_i24_e32 v3, v113, v28
	v_add3_u32 v0, v0, v1, v2
	v_mul_i32_i24_e32 v1, v95, v184
	v_mul_i32_i24_e32 v2, v96, v198
	s_delay_alu instid0(VALU_DEP_3) | instskip(SKIP_2) | instid1(VALU_DEP_3)
	v_add3_u32 v0, v0, v3, v4
	v_mul_i32_i24_e32 v3, v97, v141
	v_mul_i32_i24_e32 v4, v116, v140
	v_add3_u32 v0, v0, v1, v2
	v_mul_i32_i24_e32 v1, v117, v24
	v_mul_i32_i24_e32 v2, v99, v22
	s_delay_alu instid0(VALU_DEP_3) | instskip(SKIP_2) | instid1(VALU_DEP_1)
	v_add3_u32 v0, v0, v3, v4
	v_mul_i32_i24_e32 v3, v114, v186
	v_mul_i32_i24_e32 v4, v100, v139
	v_add3_u32 v3, v5, v4, v3
	s_delay_alu instid0(VALU_DEP_1) | instskip(SKIP_1) | instid1(VALU_DEP_2)
	v_add3_u32 v1, v3, v1, v2
	v_mad_u64_u32 v[2:3], null, v0, v160, v[19:20]
	v_cvt_f32_i32_e32 v1, v1
	s_delay_alu instid0(VALU_DEP_2) | instskip(NEXT) | instid1(VALU_DEP_2)
	v_cvt_f32_i32_e32 v0, v2
	v_mul_f32_e32 v1, v159, v1
	s_delay_alu instid0(VALU_DEP_1) | instskip(SKIP_1) | instid1(VALU_DEP_1)
	v_fma_mix_f32 v0, v126, v0, -v1 op_sel_hi:[1,0,0]
	s_waitcnt vmcnt(1)
	v_fmac_f32_e32 v179, v20, v0
	s_cbranch_scc1 .LBB128_12
; %bb.13:                               ;   in Loop: Header=BB128_8 Depth=2
	s_waitcnt vmcnt(0)
	s_waitcnt_vscnt null, 0x0
	s_barrier
	buffer_gl0_inv
	s_clause 0x9
	scratch_load_b32 v61, off, off offset:84
	scratch_load_b32 v32, off, off offset:88
	;; [unrolled: 1-line block ×10, first 2 shown]
	s_add_i32 s13, s13, 16
	v_dual_mov_b32 v25, v8 :: v_dual_mov_b32 v80, v9
	v_dual_mov_b32 v79, v10 :: v_dual_mov_b32 v210, v41
	;; [unrolled: 1-line block ×13, first 2 shown]
	v_mov_b32_e32 v255, v156
	s_cmp_eq_u32 s14, 4
	s_cselect_b32 s15, -1, 0
	s_delay_alu instid0(SALU_CYCLE_1)
	s_and_b32 vcc_lo, exec_lo, s15
	s_cbranch_vccz .LBB128_8
	s_branch .LBB128_5
.LBB128_14:
	s_clause 0x2
	scratch_load_b32 v1, off, off offset:468
	scratch_load_b32 v0, off, off offset:120
	;; [unrolled: 1-line block ×3, first 2 shown]
.LBB128_15:
	s_mov_b32 s0, exec_lo
	s_waitcnt vmcnt(0)
	v_cmpx_gt_u32_e64 s6, v2
	s_cbranch_execz .LBB128_66
; %bb.16:
	v_add_nc_u32_e32 v0, s12, v0
	v_mul_lo_u32 v5, v2, s10
	s_delay_alu instid0(VALU_DEP_2)
	v_cmp_gt_u32_e32 vcc_lo, s10, v0
	s_and_saveexec_b32 s1, vcc_lo
	s_cbranch_execz .LBB128_18
; %bb.17:
	s_delay_alu instid0(VALU_DEP_2) | instskip(NEXT) | instid1(VALU_DEP_1)
	v_dual_mov_b32 v3, 0 :: v_dual_add_nc_u32 v2, v0, v5
	v_lshlrev_b64 v[2:3], 2, v[2:3]
	s_waitcnt lgkmcnt(0)
	s_delay_alu instid0(VALU_DEP_1) | instskip(NEXT) | instid1(VALU_DEP_1)
	v_add_co_u32 v2, s0, s8, v2
	v_add_co_ci_u32_e64 v3, s0, s9, v3, s0
	global_store_b32 v[2:3], v204, off
.LBB128_18:
	s_or_b32 exec_lo, exec_lo, s1
	v_add_nc_u32_e32 v2, 32, v0
	s_delay_alu instid0(VALU_DEP_1) | instskip(NEXT) | instid1(VALU_DEP_1)
	v_cmp_gt_u32_e64 s0, s10, v2
	s_and_saveexec_b32 s2, s0
	s_cbranch_execz .LBB128_20
; %bb.19:
	v_dual_mov_b32 v4, 0 :: v_dual_add_nc_u32 v3, v2, v5
	s_delay_alu instid0(VALU_DEP_1) | instskip(SKIP_1) | instid1(VALU_DEP_1)
	v_lshlrev_b64 v[3:4], 2, v[3:4]
	s_waitcnt lgkmcnt(0)
	v_add_co_u32 v3, s1, s8, v3
	s_delay_alu instid0(VALU_DEP_1)
	v_add_co_ci_u32_e64 v4, s1, s9, v4, s1
	global_store_b32 v[3:4], v77, off
.LBB128_20:
	s_or_b32 exec_lo, exec_lo, s2
	v_add_nc_u32_e32 v3, 64, v0
	s_delay_alu instid0(VALU_DEP_1) | instskip(NEXT) | instid1(VALU_DEP_1)
	v_cmp_gt_u32_e64 s1, s10, v3
	s_and_saveexec_b32 s3, s1
	s_cbranch_execz .LBB128_22
; %bb.21:
	v_dual_mov_b32 v7, 0 :: v_dual_add_nc_u32 v6, v3, v5
	s_delay_alu instid0(VALU_DEP_1) | instskip(SKIP_1) | instid1(VALU_DEP_1)
	v_lshlrev_b64 v[6:7], 2, v[6:7]
	s_waitcnt lgkmcnt(0)
	v_add_co_u32 v6, s2, s8, v6
	s_delay_alu instid0(VALU_DEP_1)
	v_add_co_ci_u32_e64 v7, s2, s9, v7, s2
	global_store_b32 v[6:7], v255, off
.LBB128_22:
	;; [unrolled: 16-line block ×3, first 2 shown]
	s_or_b32 exec_lo, exec_lo, s4
	v_add3_u32 v5, v1, s11, 8
	s_delay_alu instid0(VALU_DEP_1) | instskip(NEXT) | instid1(VALU_DEP_1)
	v_cmp_gt_u32_e64 s3, s6, v5
	s_and_b32 exec_lo, exec_lo, s3
	s_cbranch_execz .LBB128_66
; %bb.25:
	v_mul_lo_u32 v5, v5, s10
	s_and_saveexec_b32 s4, vcc_lo
	s_cbranch_execnz .LBB128_67
; %bb.26:
	s_or_b32 exec_lo, exec_lo, s4
	s_and_saveexec_b32 s4, s0
	s_cbranch_execnz .LBB128_68
.LBB128_27:
	s_or_b32 exec_lo, exec_lo, s4
	s_and_saveexec_b32 s4, s1
	s_cbranch_execnz .LBB128_69
.LBB128_28:
	s_or_b32 exec_lo, exec_lo, s4
	s_and_saveexec_b32 s4, s2
	s_cbranch_execz .LBB128_30
.LBB128_29:
	v_dual_mov_b32 v6, 0 :: v_dual_add_nc_u32 v5, v5, v4
	s_delay_alu instid0(VALU_DEP_1) | instskip(SKIP_1) | instid1(VALU_DEP_1)
	v_lshlrev_b64 v[5:6], 2, v[5:6]
	s_waitcnt lgkmcnt(0)
	v_add_co_u32 v5, s3, s8, v5
	s_delay_alu instid0(VALU_DEP_1)
	v_add_co_ci_u32_e64 v6, s3, s9, v6, s3
	global_store_b32 v[5:6], v65, off
.LBB128_30:
	s_or_b32 exec_lo, exec_lo, s4
	v_add3_u32 v5, v1, s11, 16
	s_delay_alu instid0(VALU_DEP_1) | instskip(NEXT) | instid1(VALU_DEP_1)
	v_cmp_gt_u32_e64 s3, s6, v5
	s_and_b32 exec_lo, exec_lo, s3
	s_cbranch_execz .LBB128_66
; %bb.31:
	v_mul_lo_u32 v5, v5, s10
	s_and_saveexec_b32 s4, vcc_lo
	s_cbranch_execnz .LBB128_70
; %bb.32:
	s_or_b32 exec_lo, exec_lo, s4
	s_and_saveexec_b32 s4, s0
	s_cbranch_execnz .LBB128_71
.LBB128_33:
	s_or_b32 exec_lo, exec_lo, s4
	s_and_saveexec_b32 s4, s1
	s_cbranch_execnz .LBB128_72
.LBB128_34:
	s_or_b32 exec_lo, exec_lo, s4
	s_and_saveexec_b32 s4, s2
	s_cbranch_execz .LBB128_36
.LBB128_35:
	v_dual_mov_b32 v6, 0 :: v_dual_add_nc_u32 v5, v5, v4
	s_delay_alu instid0(VALU_DEP_1) | instskip(SKIP_1) | instid1(VALU_DEP_1)
	v_lshlrev_b64 v[5:6], 2, v[5:6]
	s_waitcnt lgkmcnt(0)
	v_add_co_u32 v5, s3, s8, v5
	s_delay_alu instid0(VALU_DEP_1)
	v_add_co_ci_u32_e64 v6, s3, s9, v6, s3
	global_store_b32 v[5:6], v59, off
.LBB128_36:
	s_or_b32 exec_lo, exec_lo, s4
	v_add3_u32 v5, v1, s11, 24
	s_delay_alu instid0(VALU_DEP_1) | instskip(NEXT) | instid1(VALU_DEP_1)
	v_cmp_gt_u32_e64 s3, s6, v5
	s_and_b32 exec_lo, exec_lo, s3
	s_cbranch_execz .LBB128_66
; %bb.37:
	v_mul_lo_u32 v5, v5, s10
	s_and_saveexec_b32 s4, vcc_lo
	s_cbranch_execnz .LBB128_73
; %bb.38:
	s_or_b32 exec_lo, exec_lo, s4
	s_and_saveexec_b32 s4, s0
	s_cbranch_execnz .LBB128_74
.LBB128_39:
	s_or_b32 exec_lo, exec_lo, s4
	s_and_saveexec_b32 s4, s1
	s_cbranch_execnz .LBB128_75
.LBB128_40:
	s_or_b32 exec_lo, exec_lo, s4
	s_and_saveexec_b32 s4, s2
	s_cbranch_execz .LBB128_42
.LBB128_41:
	v_dual_mov_b32 v6, 0 :: v_dual_add_nc_u32 v5, v5, v4
	s_delay_alu instid0(VALU_DEP_1) | instskip(SKIP_1) | instid1(VALU_DEP_1)
	v_lshlrev_b64 v[5:6], 2, v[5:6]
	s_waitcnt lgkmcnt(0)
	v_add_co_u32 v5, s3, s8, v5
	s_delay_alu instid0(VALU_DEP_1)
	v_add_co_ci_u32_e64 v6, s3, s9, v6, s3
	global_store_b32 v[5:6], v44, off
.LBB128_42:
	s_or_b32 exec_lo, exec_lo, s4
	v_add3_u32 v5, v1, s11, 32
	s_delay_alu instid0(VALU_DEP_1) | instskip(NEXT) | instid1(VALU_DEP_1)
	v_cmp_gt_u32_e64 s3, s6, v5
	s_and_b32 exec_lo, exec_lo, s3
	s_cbranch_execz .LBB128_66
; %bb.43:
	v_mul_lo_u32 v5, v5, s10
	s_and_saveexec_b32 s4, vcc_lo
	s_cbranch_execnz .LBB128_76
; %bb.44:
	s_or_b32 exec_lo, exec_lo, s4
	s_and_saveexec_b32 s4, s0
	s_cbranch_execnz .LBB128_77
.LBB128_45:
	s_or_b32 exec_lo, exec_lo, s4
	s_and_saveexec_b32 s4, s1
	s_cbranch_execnz .LBB128_78
.LBB128_46:
	s_or_b32 exec_lo, exec_lo, s4
	s_and_saveexec_b32 s4, s2
	s_cbranch_execz .LBB128_48
.LBB128_47:
	v_dual_mov_b32 v6, 0 :: v_dual_add_nc_u32 v5, v5, v4
	s_delay_alu instid0(VALU_DEP_1) | instskip(SKIP_1) | instid1(VALU_DEP_1)
	v_lshlrev_b64 v[5:6], 2, v[5:6]
	s_waitcnt lgkmcnt(0)
	v_add_co_u32 v5, s3, s8, v5
	s_delay_alu instid0(VALU_DEP_1)
	v_add_co_ci_u32_e64 v6, s3, s9, v6, s3
	global_store_b32 v[5:6], v221, off
.LBB128_48:
	s_or_b32 exec_lo, exec_lo, s4
	v_add3_u32 v5, v1, s11, 40
	s_delay_alu instid0(VALU_DEP_1) | instskip(NEXT) | instid1(VALU_DEP_1)
	v_cmp_gt_u32_e64 s3, s6, v5
	s_and_b32 exec_lo, exec_lo, s3
	s_cbranch_execz .LBB128_66
; %bb.49:
	v_mul_lo_u32 v5, v5, s10
	s_and_saveexec_b32 s4, vcc_lo
	s_cbranch_execnz .LBB128_79
; %bb.50:
	s_or_b32 exec_lo, exec_lo, s4
	s_and_saveexec_b32 s4, s0
	s_cbranch_execnz .LBB128_80
.LBB128_51:
	s_or_b32 exec_lo, exec_lo, s4
	s_and_saveexec_b32 s4, s1
	s_cbranch_execnz .LBB128_81
.LBB128_52:
	s_or_b32 exec_lo, exec_lo, s4
	s_and_saveexec_b32 s4, s2
	s_cbranch_execz .LBB128_54
.LBB128_53:
	v_dual_mov_b32 v6, 0 :: v_dual_add_nc_u32 v5, v5, v4
	s_delay_alu instid0(VALU_DEP_1) | instskip(SKIP_1) | instid1(VALU_DEP_1)
	v_lshlrev_b64 v[5:6], 2, v[5:6]
	s_waitcnt lgkmcnt(0)
	v_add_co_u32 v5, s3, s8, v5
	s_delay_alu instid0(VALU_DEP_1)
	v_add_co_ci_u32_e64 v6, s3, s9, v6, s3
	global_store_b32 v[5:6], v199, off
.LBB128_54:
	s_or_b32 exec_lo, exec_lo, s4
	v_add3_u32 v5, v1, s11, 48
	s_delay_alu instid0(VALU_DEP_1) | instskip(NEXT) | instid1(VALU_DEP_1)
	v_cmp_gt_u32_e64 s3, s6, v5
	s_and_b32 exec_lo, exec_lo, s3
	s_cbranch_execz .LBB128_66
; %bb.55:
	v_mul_lo_u32 v5, v5, s10
	s_and_saveexec_b32 s4, vcc_lo
	s_cbranch_execnz .LBB128_82
; %bb.56:
	s_or_b32 exec_lo, exec_lo, s4
	s_and_saveexec_b32 s4, s0
	s_cbranch_execnz .LBB128_83
.LBB128_57:
	s_or_b32 exec_lo, exec_lo, s4
	s_and_saveexec_b32 s4, s1
	s_cbranch_execnz .LBB128_84
.LBB128_58:
	s_or_b32 exec_lo, exec_lo, s4
	s_and_saveexec_b32 s4, s2
	s_cbranch_execz .LBB128_60
.LBB128_59:
	v_dual_mov_b32 v6, 0 :: v_dual_add_nc_u32 v5, v5, v4
	s_delay_alu instid0(VALU_DEP_1) | instskip(SKIP_1) | instid1(VALU_DEP_1)
	v_lshlrev_b64 v[5:6], 2, v[5:6]
	s_waitcnt lgkmcnt(0)
	v_add_co_u32 v5, s3, s8, v5
	s_delay_alu instid0(VALU_DEP_1)
	v_add_co_ci_u32_e64 v6, s3, s9, v6, s3
	global_store_b32 v[5:6], v104, off
.LBB128_60:
	s_or_b32 exec_lo, exec_lo, s4
	v_add3_u32 v1, v1, s11, 56
	s_delay_alu instid0(VALU_DEP_1) | instskip(NEXT) | instid1(VALU_DEP_1)
	v_cmp_gt_u32_e64 s3, s6, v1
	s_and_b32 exec_lo, exec_lo, s3
	s_cbranch_execz .LBB128_66
; %bb.61:
	v_mul_lo_u32 v1, v1, s10
	s_and_saveexec_b32 s3, vcc_lo
	s_cbranch_execnz .LBB128_85
; %bb.62:
	s_or_b32 exec_lo, exec_lo, s3
	s_and_saveexec_b32 s3, s0
	s_cbranch_execnz .LBB128_86
.LBB128_63:
	s_or_b32 exec_lo, exec_lo, s3
	s_and_saveexec_b32 s0, s1
	s_cbranch_execnz .LBB128_87
.LBB128_64:
	s_or_b32 exec_lo, exec_lo, s0
	s_delay_alu instid0(SALU_CYCLE_1)
	s_and_b32 exec_lo, exec_lo, s2
	s_cbranch_execz .LBB128_66
.LBB128_65:
	v_dual_mov_b32 v1, 0 :: v_dual_add_nc_u32 v0, v1, v4
	s_delay_alu instid0(VALU_DEP_1) | instskip(SKIP_1) | instid1(VALU_DEP_1)
	v_lshlrev_b64 v[0:1], 2, v[0:1]
	s_waitcnt lgkmcnt(0)
	v_add_co_u32 v0, vcc_lo, s8, v0
	s_delay_alu instid0(VALU_DEP_2)
	v_add_co_ci_u32_e32 v1, vcc_lo, s9, v1, vcc_lo
	global_store_b32 v[0:1], v179, off
.LBB128_66:
	s_endpgm
.LBB128_67:
	s_delay_alu instid0(VALU_DEP_1) | instskip(NEXT) | instid1(VALU_DEP_1)
	v_dual_mov_b32 v7, 0 :: v_dual_add_nc_u32 v6, v5, v0
	v_lshlrev_b64 v[6:7], 2, v[6:7]
	s_waitcnt lgkmcnt(0)
	s_delay_alu instid0(VALU_DEP_1) | instskip(NEXT) | instid1(VALU_DEP_1)
	v_add_co_u32 v6, s3, s8, v6
	v_add_co_ci_u32_e64 v7, s3, s9, v7, s3
	global_store_b32 v[6:7], v68, off
	s_or_b32 exec_lo, exec_lo, s4
	s_and_saveexec_b32 s4, s0
	s_cbranch_execz .LBB128_27
.LBB128_68:
	s_delay_alu instid0(VALU_DEP_1) | instskip(NEXT) | instid1(VALU_DEP_1)
	v_dual_mov_b32 v7, 0 :: v_dual_add_nc_u32 v6, v5, v2
	v_lshlrev_b64 v[6:7], 2, v[6:7]
	s_waitcnt lgkmcnt(0)
	s_delay_alu instid0(VALU_DEP_1) | instskip(NEXT) | instid1(VALU_DEP_1)
	v_add_co_u32 v6, s3, s8, v6
	v_add_co_ci_u32_e64 v7, s3, s9, v7, s3
	global_store_b32 v[6:7], v238, off
	s_or_b32 exec_lo, exec_lo, s4
	s_and_saveexec_b32 s4, s1
	s_cbranch_execz .LBB128_28
.LBB128_69:
	v_dual_mov_b32 v7, 0 :: v_dual_add_nc_u32 v6, v5, v3
	s_delay_alu instid0(VALU_DEP_1) | instskip(SKIP_1) | instid1(VALU_DEP_1)
	v_lshlrev_b64 v[6:7], 2, v[6:7]
	s_waitcnt lgkmcnt(0)
	v_add_co_u32 v6, s3, s8, v6
	s_delay_alu instid0(VALU_DEP_1)
	v_add_co_ci_u32_e64 v7, s3, s9, v7, s3
	global_store_b32 v[6:7], v66, off
	s_or_b32 exec_lo, exec_lo, s4
	s_and_saveexec_b32 s4, s2
	s_cbranch_execnz .LBB128_29
	s_branch .LBB128_30
.LBB128_70:
	s_delay_alu instid0(VALU_DEP_1) | instskip(NEXT) | instid1(VALU_DEP_1)
	v_dual_mov_b32 v7, 0 :: v_dual_add_nc_u32 v6, v5, v0
	v_lshlrev_b64 v[6:7], 2, v[6:7]
	s_waitcnt lgkmcnt(0)
	s_delay_alu instid0(VALU_DEP_1) | instskip(NEXT) | instid1(VALU_DEP_1)
	v_add_co_u32 v6, s3, s8, v6
	v_add_co_ci_u32_e64 v7, s3, s9, v7, s3
	global_store_b32 v[6:7], v64, off
	s_or_b32 exec_lo, exec_lo, s4
	s_and_saveexec_b32 s4, s0
	s_cbranch_execz .LBB128_33
.LBB128_71:
	s_delay_alu instid0(VALU_DEP_1) | instskip(NEXT) | instid1(VALU_DEP_1)
	v_dual_mov_b32 v7, 0 :: v_dual_add_nc_u32 v6, v5, v2
	v_lshlrev_b64 v[6:7], 2, v[6:7]
	s_waitcnt lgkmcnt(0)
	s_delay_alu instid0(VALU_DEP_1) | instskip(NEXT) | instid1(VALU_DEP_1)
	v_add_co_u32 v6, s3, s8, v6
	v_add_co_ci_u32_e64 v7, s3, s9, v7, s3
	global_store_b32 v[6:7], v63, off
	s_or_b32 exec_lo, exec_lo, s4
	s_and_saveexec_b32 s4, s1
	s_cbranch_execz .LBB128_34
.LBB128_72:
	v_dual_mov_b32 v7, 0 :: v_dual_add_nc_u32 v6, v5, v3
	s_delay_alu instid0(VALU_DEP_1) | instskip(SKIP_1) | instid1(VALU_DEP_1)
	v_lshlrev_b64 v[6:7], 2, v[6:7]
	s_waitcnt lgkmcnt(0)
	v_add_co_u32 v6, s3, s8, v6
	s_delay_alu instid0(VALU_DEP_1)
	v_add_co_ci_u32_e64 v7, s3, s9, v7, s3
	global_store_b32 v[6:7], v62, off
	s_or_b32 exec_lo, exec_lo, s4
	s_and_saveexec_b32 s4, s2
	s_cbranch_execnz .LBB128_35
	s_branch .LBB128_36
.LBB128_73:
	s_delay_alu instid0(VALU_DEP_1) | instskip(NEXT) | instid1(VALU_DEP_1)
	v_dual_mov_b32 v7, 0 :: v_dual_add_nc_u32 v6, v5, v0
	v_lshlrev_b64 v[6:7], 2, v[6:7]
	s_waitcnt lgkmcnt(0)
	s_delay_alu instid0(VALU_DEP_1) | instskip(NEXT) | instid1(VALU_DEP_1)
	v_add_co_u32 v6, s3, s8, v6
	v_add_co_ci_u32_e64 v7, s3, s9, v7, s3
	global_store_b32 v[6:7], v55, off
	s_or_b32 exec_lo, exec_lo, s4
	s_and_saveexec_b32 s4, s0
	s_cbranch_execz .LBB128_39
.LBB128_74:
	s_delay_alu instid0(VALU_DEP_1) | instskip(NEXT) | instid1(VALU_DEP_1)
	v_dual_mov_b32 v7, 0 :: v_dual_add_nc_u32 v6, v5, v2
	v_lshlrev_b64 v[6:7], 2, v[6:7]
	s_waitcnt lgkmcnt(0)
	s_delay_alu instid0(VALU_DEP_1) | instskip(NEXT) | instid1(VALU_DEP_1)
	v_add_co_u32 v6, s3, s8, v6
	v_add_co_ci_u32_e64 v7, s3, s9, v7, s3
	global_store_b32 v[6:7], v52, off
	s_or_b32 exec_lo, exec_lo, s4
	s_and_saveexec_b32 s4, s1
	s_cbranch_execz .LBB128_40
.LBB128_75:
	v_dual_mov_b32 v7, 0 :: v_dual_add_nc_u32 v6, v5, v3
	s_delay_alu instid0(VALU_DEP_1) | instskip(SKIP_1) | instid1(VALU_DEP_1)
	v_lshlrev_b64 v[6:7], 2, v[6:7]
	s_waitcnt lgkmcnt(0)
	v_add_co_u32 v6, s3, s8, v6
	s_delay_alu instid0(VALU_DEP_1)
	v_add_co_ci_u32_e64 v7, s3, s9, v7, s3
	global_store_b32 v[6:7], v48, off
	s_or_b32 exec_lo, exec_lo, s4
	s_and_saveexec_b32 s4, s2
	s_cbranch_execnz .LBB128_41
	s_branch .LBB128_42
.LBB128_76:
	s_delay_alu instid0(VALU_DEP_1) | instskip(NEXT) | instid1(VALU_DEP_1)
	v_dual_mov_b32 v7, 0 :: v_dual_add_nc_u32 v6, v5, v0
	v_lshlrev_b64 v[6:7], 2, v[6:7]
	s_waitcnt lgkmcnt(0)
	s_delay_alu instid0(VALU_DEP_1) | instskip(NEXT) | instid1(VALU_DEP_1)
	v_add_co_u32 v6, s3, s8, v6
	v_add_co_ci_u32_e64 v7, s3, s9, v7, s3
	global_store_b32 v[6:7], v40, off
	s_or_b32 exec_lo, exec_lo, s4
	s_and_saveexec_b32 s4, s0
	s_cbranch_execz .LBB128_45
.LBB128_77:
	s_delay_alu instid0(VALU_DEP_1) | instskip(NEXT) | instid1(VALU_DEP_1)
	v_dual_mov_b32 v7, 0 :: v_dual_add_nc_u32 v6, v5, v2
	v_lshlrev_b64 v[6:7], 2, v[6:7]
	s_waitcnt lgkmcnt(0)
	s_delay_alu instid0(VALU_DEP_1) | instskip(NEXT) | instid1(VALU_DEP_1)
	v_add_co_u32 v6, s3, s8, v6
	v_add_co_ci_u32_e64 v7, s3, s9, v7, s3
	global_store_b32 v[6:7], v38, off
	s_or_b32 exec_lo, exec_lo, s4
	s_and_saveexec_b32 s4, s1
	s_cbranch_execz .LBB128_46
.LBB128_78:
	v_dual_mov_b32 v7, 0 :: v_dual_add_nc_u32 v6, v5, v3
	s_delay_alu instid0(VALU_DEP_1) | instskip(SKIP_1) | instid1(VALU_DEP_1)
	v_lshlrev_b64 v[6:7], 2, v[6:7]
	s_waitcnt lgkmcnt(0)
	v_add_co_u32 v6, s3, s8, v6
	s_delay_alu instid0(VALU_DEP_1)
	v_add_co_ci_u32_e64 v7, s3, s9, v7, s3
	global_store_b32 v[6:7], v37, off
	s_or_b32 exec_lo, exec_lo, s4
	s_and_saveexec_b32 s4, s2
	s_cbranch_execnz .LBB128_47
	s_branch .LBB128_48
.LBB128_79:
	s_delay_alu instid0(VALU_DEP_1) | instskip(NEXT) | instid1(VALU_DEP_1)
	v_dual_mov_b32 v7, 0 :: v_dual_add_nc_u32 v6, v5, v0
	v_lshlrev_b64 v[6:7], 2, v[6:7]
	s_waitcnt lgkmcnt(0)
	s_delay_alu instid0(VALU_DEP_1) | instskip(NEXT) | instid1(VALU_DEP_1)
	v_add_co_u32 v6, s3, s8, v6
	v_add_co_ci_u32_e64 v7, s3, s9, v7, s3
	global_store_b32 v[6:7], v210, off
	s_or_b32 exec_lo, exec_lo, s4
	s_and_saveexec_b32 s4, s0
	s_cbranch_execz .LBB128_51
.LBB128_80:
	s_delay_alu instid0(VALU_DEP_1) | instskip(NEXT) | instid1(VALU_DEP_1)
	v_dual_mov_b32 v7, 0 :: v_dual_add_nc_u32 v6, v5, v2
	v_lshlrev_b64 v[6:7], 2, v[6:7]
	s_waitcnt lgkmcnt(0)
	s_delay_alu instid0(VALU_DEP_1) | instskip(NEXT) | instid1(VALU_DEP_1)
	v_add_co_u32 v6, s3, s8, v6
	v_add_co_ci_u32_e64 v7, s3, s9, v7, s3
	global_store_b32 v[6:7], v205, off
	s_or_b32 exec_lo, exec_lo, s4
	s_and_saveexec_b32 s4, s1
	s_cbranch_execz .LBB128_52
.LBB128_81:
	v_dual_mov_b32 v7, 0 :: v_dual_add_nc_u32 v6, v5, v3
	s_delay_alu instid0(VALU_DEP_1) | instskip(SKIP_1) | instid1(VALU_DEP_1)
	v_lshlrev_b64 v[6:7], 2, v[6:7]
	s_waitcnt lgkmcnt(0)
	v_add_co_u32 v6, s3, s8, v6
	s_delay_alu instid0(VALU_DEP_1)
	v_add_co_ci_u32_e64 v7, s3, s9, v7, s3
	global_store_b32 v[6:7], v33, off
	s_or_b32 exec_lo, exec_lo, s4
	s_and_saveexec_b32 s4, s2
	s_cbranch_execnz .LBB128_53
	s_branch .LBB128_54
.LBB128_82:
	s_delay_alu instid0(VALU_DEP_1) | instskip(NEXT) | instid1(VALU_DEP_1)
	v_dual_mov_b32 v7, 0 :: v_dual_add_nc_u32 v6, v5, v0
	v_lshlrev_b64 v[6:7], 2, v[6:7]
	s_waitcnt lgkmcnt(0)
	s_delay_alu instid0(VALU_DEP_1) | instskip(NEXT) | instid1(VALU_DEP_1)
	v_add_co_u32 v6, s3, s8, v6
	v_add_co_ci_u32_e64 v7, s3, s9, v7, s3
	global_store_b32 v[6:7], v184, off
	s_or_b32 exec_lo, exec_lo, s4
	s_and_saveexec_b32 s4, s0
	s_cbranch_execz .LBB128_57
.LBB128_83:
	s_delay_alu instid0(VALU_DEP_1) | instskip(NEXT) | instid1(VALU_DEP_1)
	v_dual_mov_b32 v7, 0 :: v_dual_add_nc_u32 v6, v5, v2
	v_lshlrev_b64 v[6:7], 2, v[6:7]
	s_waitcnt lgkmcnt(0)
	s_delay_alu instid0(VALU_DEP_1) | instskip(NEXT) | instid1(VALU_DEP_1)
	v_add_co_u32 v6, s3, s8, v6
	v_add_co_ci_u32_e64 v7, s3, s9, v7, s3
	global_store_b32 v[6:7], v27, off
	s_or_b32 exec_lo, exec_lo, s4
	s_and_saveexec_b32 s4, s1
	s_cbranch_execz .LBB128_58
.LBB128_84:
	v_dual_mov_b32 v7, 0 :: v_dual_add_nc_u32 v6, v5, v3
	s_delay_alu instid0(VALU_DEP_1) | instskip(SKIP_1) | instid1(VALU_DEP_1)
	v_lshlrev_b64 v[6:7], 2, v[6:7]
	s_waitcnt lgkmcnt(0)
	v_add_co_u32 v6, s3, s8, v6
	s_delay_alu instid0(VALU_DEP_1)
	v_add_co_ci_u32_e64 v7, s3, s9, v7, s3
	global_store_b32 v[6:7], v127, off
	s_or_b32 exec_lo, exec_lo, s4
	s_and_saveexec_b32 s4, s2
	s_cbranch_execnz .LBB128_59
	s_branch .LBB128_60
.LBB128_85:
	s_delay_alu instid0(VALU_DEP_1) | instskip(NEXT) | instid1(VALU_DEP_1)
	v_dual_mov_b32 v6, 0 :: v_dual_add_nc_u32 v5, v1, v0
	v_lshlrev_b64 v[5:6], 2, v[5:6]
	s_waitcnt lgkmcnt(0)
	s_delay_alu instid0(VALU_DEP_1) | instskip(NEXT) | instid1(VALU_DEP_2)
	v_add_co_u32 v5, vcc_lo, s8, v5
	v_add_co_ci_u32_e32 v6, vcc_lo, s9, v6, vcc_lo
	global_store_b32 v[5:6], v80, off
	s_or_b32 exec_lo, exec_lo, s3
	s_and_saveexec_b32 s3, s0
	s_cbranch_execz .LBB128_63
.LBB128_86:
	s_delay_alu instid0(VALU_DEP_1) | instskip(NEXT) | instid1(VALU_DEP_1)
	v_dual_mov_b32 v6, 0 :: v_dual_add_nc_u32 v5, v1, v2
	v_lshlrev_b64 v[5:6], 2, v[5:6]
	s_waitcnt lgkmcnt(0)
	s_delay_alu instid0(VALU_DEP_1) | instskip(NEXT) | instid1(VALU_DEP_2)
	v_add_co_u32 v5, vcc_lo, s8, v5
	v_add_co_ci_u32_e32 v6, vcc_lo, s9, v6, vcc_lo
	global_store_b32 v[5:6], v79, off
	s_or_b32 exec_lo, exec_lo, s3
	s_and_saveexec_b32 s0, s1
	s_cbranch_execz .LBB128_64
.LBB128_87:
	v_dual_mov_b32 v3, 0 :: v_dual_add_nc_u32 v2, v1, v3
	s_delay_alu instid0(VALU_DEP_1) | instskip(SKIP_1) | instid1(VALU_DEP_1)
	v_lshlrev_b64 v[2:3], 2, v[2:3]
	s_waitcnt lgkmcnt(0)
	v_add_co_u32 v2, vcc_lo, s8, v2
	s_delay_alu instid0(VALU_DEP_2) | instskip(SKIP_2) | instid1(SALU_CYCLE_1)
	v_add_co_ci_u32_e32 v3, vcc_lo, s9, v3, vcc_lo
	global_store_b32 v[2:3], v25, off
	s_or_b32 exec_lo, exec_lo, s0
	s_and_b32 exec_lo, exec_lo, s2
	s_cbranch_execnz .LBB128_65
	s_branch .LBB128_66
	.section	.rodata,"a",@progbits
	.p2align	6, 0x0
	.amdhsa_kernel _ZL12mul_mat_q2_KIfLb1EEvPKvS1_PT_iiiii
		.amdhsa_group_segment_fixed_size 31392
		.amdhsa_private_segment_fixed_size 480
		.amdhsa_kernarg_size 44
		.amdhsa_user_sgpr_count 14
		.amdhsa_user_sgpr_dispatch_ptr 0
		.amdhsa_user_sgpr_queue_ptr 0
		.amdhsa_user_sgpr_kernarg_segment_ptr 1
		.amdhsa_user_sgpr_dispatch_id 0
		.amdhsa_user_sgpr_private_segment_size 0
		.amdhsa_wavefront_size32 1
		.amdhsa_uses_dynamic_stack 0
		.amdhsa_enable_private_segment 1
		.amdhsa_system_sgpr_workgroup_id_x 1
		.amdhsa_system_sgpr_workgroup_id_y 1
		.amdhsa_system_sgpr_workgroup_id_z 0
		.amdhsa_system_sgpr_workgroup_info 0
		.amdhsa_system_vgpr_workitem_id 1
		.amdhsa_next_free_vgpr 256
		.amdhsa_next_free_sgpr 22
		.amdhsa_reserve_vcc 1
		.amdhsa_float_round_mode_32 0
		.amdhsa_float_round_mode_16_64 0
		.amdhsa_float_denorm_mode_32 3
		.amdhsa_float_denorm_mode_16_64 3
		.amdhsa_dx10_clamp 1
		.amdhsa_ieee_mode 1
		.amdhsa_fp16_overflow 0
		.amdhsa_workgroup_processor_mode 1
		.amdhsa_memory_ordered 1
		.amdhsa_forward_progress 0
		.amdhsa_shared_vgpr_count 0
		.amdhsa_exception_fp_ieee_invalid_op 0
		.amdhsa_exception_fp_denorm_src 0
		.amdhsa_exception_fp_ieee_div_zero 0
		.amdhsa_exception_fp_ieee_overflow 0
		.amdhsa_exception_fp_ieee_underflow 0
		.amdhsa_exception_fp_ieee_inexact 0
		.amdhsa_exception_int_div_zero 0
	.end_amdhsa_kernel
	.section	.text._ZL12mul_mat_q2_KIfLb1EEvPKvS1_PT_iiiii,"axG",@progbits,_ZL12mul_mat_q2_KIfLb1EEvPKvS1_PT_iiiii,comdat
.Lfunc_end128:
	.size	_ZL12mul_mat_q2_KIfLb1EEvPKvS1_PT_iiiii, .Lfunc_end128-_ZL12mul_mat_q2_KIfLb1EEvPKvS1_PT_iiiii
                                        ; -- End function
	.section	.AMDGPU.csdata,"",@progbits
; Kernel info:
; codeLenInByte = 44088
; NumSgprs: 24
; NumVgprs: 256
; ScratchSize: 480
; MemoryBound: 0
; FloatMode: 240
; IeeeMode: 1
; LDSByteSize: 31392 bytes/workgroup (compile time only)
; SGPRBlocks: 2
; VGPRBlocks: 31
; NumSGPRsForWavesPerEU: 24
; NumVGPRsForWavesPerEU: 256
; Occupancy: 5
; WaveLimiterHint : 0
; COMPUTE_PGM_RSRC2:SCRATCH_EN: 1
; COMPUTE_PGM_RSRC2:USER_SGPR: 14
; COMPUTE_PGM_RSRC2:TRAP_HANDLER: 0
; COMPUTE_PGM_RSRC2:TGID_X_EN: 1
; COMPUTE_PGM_RSRC2:TGID_Y_EN: 1
; COMPUTE_PGM_RSRC2:TGID_Z_EN: 0
; COMPUTE_PGM_RSRC2:TIDIG_COMP_CNT: 1
	.section	.text._ZL12mul_mat_q3_KIfLb0EEvPKvS1_PT_iiiii,"axG",@progbits,_ZL12mul_mat_q3_KIfLb0EEvPKvS1_PT_iiiii,comdat
	.globl	_ZL12mul_mat_q3_KIfLb0EEvPKvS1_PT_iiiii ; -- Begin function _ZL12mul_mat_q3_KIfLb0EEvPKvS1_PT_iiiii
	.p2align	8
	.type	_ZL12mul_mat_q3_KIfLb0EEvPKvS1_PT_iiiii,@function
_ZL12mul_mat_q3_KIfLb0EEvPKvS1_PT_iiiii: ; @_ZL12mul_mat_q3_KIfLb0EEvPKvS1_PT_iiiii
; %bb.0:
	s_clause 0x1
	s_load_b32 s11, s[0:1], 0x18
	s_load_b128 s[4:7], s[0:1], 0x20
	v_bfe_u32 v1, v0, 10, 10
	s_waitcnt lgkmcnt(0)
	s_lshl_b32 s7, s15, 6
	scratch_store_b32 off, v1, off offset:516 ; 4-byte Folded Spill
	v_and_b32_e32 v1, 0x3ff, v0
	scratch_store_b32 off, v1, off offset:152 ; 4-byte Folded Spill
	s_cmpk_gt_i32 s11, 0xff
	s_cbranch_scc1 .LBB129_2
; %bb.1:
	v_bfe_u32 v1, v0, 10, 10
	v_and_b32_e32 v0, 0x3ff, v0
	s_mov_b32 s2, 0
	s_mov_b32 s3, 0
	s_delay_alu instid0(VALU_DEP_2)
	v_add_nc_u32_e32 v2, s7, v1
	s_branch .LBB129_3
.LBB129_2:
	s_mov_b32 s2, -1
                                        ; implicit-def: $sgpr3
                                        ; implicit-def: $vgpr1
                                        ; implicit-def: $vgpr0
                                        ; implicit-def: $vgpr2
.LBB129_3:
	s_load_b64 s[8:9], s[0:1], 0x10
	v_dual_mov_b32 v28, s3 :: v_dual_mov_b32 v115, s3
	v_dual_mov_b32 v50, s3 :: v_dual_mov_b32 v81, s3
	;; [unrolled: 1-line block ×15, first 2 shown]
	v_mov_b32_e32 v193, s3
	v_mov_b32_e32 v229, s3
	s_and_not1_b32 vcc_lo, exec_lo, s2
	s_lshl_b32 s10, s14, 7
	s_cbranch_vccnz .LBB129_15
; %bb.4:
	s_clause 0x1
	scratch_load_b32 v46, off, off offset:152
	scratch_load_b32 v45, off, off offset:516
	s_load_b128 s[0:3], s[0:1], 0x0
	s_ashr_i32 s12, s11, 31
	s_ashr_i32 s16, s5, 31
	s_lshr_b32 s12, s12, 24
	v_mov_b32_e32 v54, 0
	s_add_i32 s11, s11, s12
	s_lshr_b32 s12, s16, 27
	s_ashr_i32 s11, s11, 8
	s_add_i32 s5, s5, s12
	s_mul_i32 s12, s11, s10
	s_ashr_i32 s16, s5, 5
	s_mul_i32 s5, s12, 0x6e
	s_mul_hi_i32 s12, s12, 0x6e
	s_movk_i32 s13, 0x1080
	s_movk_i32 s14, 0x2100
	;; [unrolled: 1-line block ×3, first 2 shown]
	v_dual_mov_b32 v88, 0 :: v_dual_mov_b32 v229, 0
	v_mov_b32_e32 v84, 0
	v_mov_b32_e32 v78, 0
	s_waitcnt lgkmcnt(0)
	s_add_u32 s5, s0, s5
	s_addc_u32 s12, s1, s12
	s_lshl_b32 s0, s11, 3
	s_lshl_b32 s1, s11, 4
	s_add_i32 s17, s4, -1
	v_mov_b32_e32 v193, 0
	v_mov_b32_e32 v123, 0
	;; [unrolled: 1-line block ×3, first 2 shown]
	v_dual_mov_b32 v71, 0 :: v_dual_mov_b32 v52, 0
	v_dual_mov_b32 v120, 0 :: v_dual_mov_b32 v137, 0
	v_mov_b32_e32 v87, 0
	v_mov_b32_e32 v49, 0
	;; [unrolled: 1-line block ×3, first 2 shown]
	v_dual_mov_b32 v83, 0 :: v_dual_mov_b32 v82, 0
	v_dual_mov_b32 v72, 0 :: v_dual_mov_b32 v77, 0
	v_mov_b32_e32 v74, 0
	v_mov_b32_e32 v86, 0
	;; [unrolled: 1-line block ×4, first 2 shown]
	v_dual_mov_b32 v50, 0 :: v_dual_mov_b32 v73, 0
	v_mov_b32_e32 v119, 0
	v_mov_b32_e32 v115, 0
	;; [unrolled: 1-line block ×4, first 2 shown]
	s_waitcnt vmcnt(1)
	v_lshlrev_b32_e32 v19, 2, v46
	s_waitcnt vmcnt(0)
	v_mad_i32_i24 v2, s11, v45, s0
	v_and_b32_e32 v0, 15, v46
	v_and_b32_e32 v3, 1, v46
	v_lshrrev_b32_e32 v47, 4, v46
	v_lshlrev_b32_e32 v1, 1, v45
	v_add_nc_u32_e32 v4, s0, v2
	scratch_store_b32 off, v2, off offset:248 ; 4-byte Folded Spill
	v_cmp_lt_u32_e32 vcc_lo, 7, v0
	v_lshlrev_b32_e32 v41, 2, v0
	v_mad_u32_u24 v5, 0x84, v45, v19
	scratch_store_b32 off, v4, off offset:252 ; 4-byte Folded Spill
	v_add_nc_u32_e32 v4, s0, v4
	v_cndmask_b32_e64 v0, 0, 1, vcc_lo
	scratch_store_b32 off, v3, off offset:244 ; 4-byte Folded Spill
	v_add_nc_u32_e32 v18, v47, v1
	s_clause 0x1
	scratch_store_b32 off, v0, off offset:268
	scratch_store_b32 off, v4, off offset:264
	v_add_nc_u32_e32 v7, s0, v4
	v_add_nc_u16 v0, v47, v1
	v_lshlrev_b32_e32 v20, 4, v45
	v_lshrrev_b32_e32 v21, 1, v46
	v_lshlrev_b32_e32 v3, 2, v3
	scratch_store_b32 off, v7, off offset:272 ; 4-byte Folded Spill
	v_add_nc_u32_e32 v1, s0, v7
	v_mul_i32_i24_e32 v7, s11, v45
	v_add_nc_u32_e32 v2, v21, v20
	v_lshrrev_b16 v0, 1, v0
	v_add_nc_u32_e32 v24, 32, v18
	v_mad_i32_i24 v17, s11, v18, s1
	scratch_store_b32 off, v7, off offset:284 ; 4-byte Folded Spill
	v_add_nc_u32_e32 v7, 0x420, v5
	v_and_b32_e32 v0, 0xffff, v0
	v_add_nc_u32_e32 v15, s7, v45
	v_add_nc_u32_e32 v34, s1, v17
	v_add_nc_u32_e32 v28, 48, v18
	scratch_store_b32 off, v7, off offset:288 ; 4-byte Folded Spill
	v_add_nc_u32_e32 v7, 0x840, v5
	v_add_nc_u32_e32 v4, 8, v15
	;; [unrolled: 1-line block ×5, first 2 shown]
	scratch_store_b32 off, v7, off offset:292 ; 4-byte Folded Spill
	v_add_nc_u32_e32 v7, 0xc60, v5
	s_clause 0x1
	scratch_store_b32 off, v7, off offset:296
	scratch_store_b32 off, v1, off offset:280
	v_add_nc_u32_e32 v7, 0x1080, v5
	v_add_nc_u32_e32 v1, s0, v1
	;; [unrolled: 1-line block ×5, first 2 shown]
	scratch_store_b32 off, v7, off offset:304 ; 4-byte Folded Spill
	v_add_nc_u32_e32 v7, 0x14a0, v5
	v_cvt_f64_u32_e32 v[10:11], v10
	v_cvt_f64_u32_e32 v[12:13], v12
	v_lshlrev_b32_e32 v29, 1, v28
	v_add_nc_u32_e32 v30, 64, v18
	scratch_store_b32 off, v7, off offset:308 ; 4-byte Folded Spill
	v_add_nc_u32_e32 v7, 0x18c0, v5
	v_add_nc_u32_e32 v31, 0x50, v18
	v_and_b32_e32 v29, 0xffc, v29
	v_add_nc_u32_e32 v38, s1, v37
	v_lshlrev_b32_e32 v33, 1, v30
	scratch_store_b32 off, v7, off offset:312 ; 4-byte Folded Spill
	v_add_nc_u32_e32 v7, 0x1ce0, v5
	s_clause 0x1
	scratch_store_b32 off, v7, off offset:316
	scratch_store_b32 off, v1, off offset:300
	v_add_nc_u32_e32 v7, 0x2100, v5
	v_add_nc_u32_e32 v1, s0, v1
	;; [unrolled: 1-line block ×3, first 2 shown]
	v_lshlrev_b32_e32 v36, 6, v28
	v_lshlrev_b32_e32 v23, 6, v18
	scratch_store_b32 off, v7, off offset:324 ; 4-byte Folded Spill
	v_add_nc_u32_e32 v7, 0x2520, v5
	v_and_b32_e32 v22, 7, v46
	v_and_b32_e32 v33, 0xffc, v33
	v_lshlrev_b32_e32 v39, 6, v31
	v_lshlrev_b32_e32 v67, 5, v46
	scratch_store_b32 off, v7, off offset:328 ; 4-byte Folded Spill
	v_add_nc_u32_e32 v7, 0x2940, v5
	v_add3_u32 v33, v33, v41, 0x4200
	v_lshlrev_b32_e32 v48, 2, v22
	v_lshl_add_u32 v59, v46, 4, v21
	v_mul_u32_u24_e32 v60, 0x84, v46
	scratch_store_b32 off, v7, off offset:332 ; 4-byte Folded Spill
	v_add_nc_u32_e32 v7, 0x2d60, v5
	s_clause 0x1
	scratch_store_b32 off, v7, off offset:336
	scratch_store_b32 off, v1, off offset:320
	v_add_nc_u32_e32 v7, 0x3180, v5
	v_add_nc_u32_e32 v1, s0, v1
	v_mad_u32_u24 v64, 0x84, v46, s13
	v_mad_u32_u24 v76, 0x84, v46, s14
	;; [unrolled: 1-line block ×3, first 2 shown]
	scratch_store_b32 off, v7, off offset:344 ; 4-byte Folded Spill
	v_add_nc_u32_e32 v7, 0x35a0, v5
	v_and_b32_e32 v95, 0xfc, v46
	s_mov_b32 s13, 0
	scratch_store_b32 off, v7, off offset:348 ; 4-byte Folded Spill
	v_add_nc_u32_e32 v7, 0x39c0, v5
	s_clause 0x1
	scratch_store_b32 off, v7, off offset:352
	scratch_store_b32 off, v5, off offset:260
	v_add_nc_u32_e32 v5, 0x3de0, v5
	s_clause 0x1
	scratch_store_b32 off, v5, off offset:356
	scratch_store_b32 off, v1, off offset:340
	v_add_nc_u32_e32 v5, s0, v1
	v_and_b32_e32 v1, 0x7f, v2
	v_mul_i32_i24_e32 v7, s11, v18
	v_lshrrev_b32_e32 v2, 2, v2
	v_add_nc_u32_e32 v99, 0x8308, v95
	scratch_store_b32 off, v5, off offset:360 ; 4-byte Folded Spill
	v_mul_i32_i24_e32 v8, s11, v1
	scratch_store_b32 off, v7, off offset:364 ; 4-byte Folded Spill
	v_add_nc_u32_e32 v7, s0, v5
	s_clause 0x1
	scratch_store_b32 off, v8, off offset:372
	scratch_store_b32 off, v7, off offset:368
	v_add_nc_u32_e32 v7, s0, v7
	v_lshl_or_b32 v1, v1, 3, v3
	v_and_b32_e32 v2, 28, v2
	v_add_nc_u32_e32 v5, 16, v18
	v_add_nc_u32_e32 v8, 24, v15
	s_clause 0x1
	scratch_store_b32 off, v17, off offset:396
	scratch_store_b32 off, v34, off offset:404
	v_add3_u32 v1, v1, v2, 0x9380
	scratch_store_b32 off, v7, off offset:376 ; 4-byte Folded Spill
	v_add_nc_u32_e32 v7, s0, v7
	v_lshlrev_b32_e32 v3, 1, v5
	v_lshlrev_b32_e32 v25, 6, v5
	;; [unrolled: 1-line block ×4, first 2 shown]
	v_add_nc_u32_e32 v0, s0, v7
	v_and_b32_e32 v3, 0xffc, v3
	scratch_store_b32 off, v7, off offset:380 ; 4-byte Folded Spill
	v_and_b32_e32 v26, 0xffc, v5
	v_add3_u32 v27, v2, v41, 0x4200
	v_add_nc_u32_e32 v5, s0, v0
	s_clause 0x1
	scratch_store_b32 off, v1, off offset:384
	scratch_store_b32 off, v0, off offset:388
	v_cvt_f64_i32_e32 v[0:1], s17
	v_add3_u32 v32, v3, v41, 0x4200
	v_add_nc_u32_e32 v2, s0, v5
	scratch_store_b32 off, v5, off offset:392 ; 4-byte Folded Spill
	v_cvt_f64_u32_e32 v[4:5], v4
	v_cvt_f64_u32_e32 v[6:7], v6
	;; [unrolled: 1-line block ×3, first 2 shown]
	s_clause 0x1
	scratch_store_b32 off, v2, off offset:400
	scratch_store_b32 off, v37, off offset:408
	v_cvt_f64_u32_e32 v[2:3], v15
	scratch_store_b32 off, v15, off offset:520 ; 4-byte Folded Spill
	v_cvt_f64_u32_e32 v[14:15], v14
	v_cvt_f64_u32_e32 v[16:17], v16
	v_add3_u32 v34, v29, v41, 0x4200
	v_lshlrev_b32_e32 v29, 1, v31
	v_lshlrev_b32_e32 v37, 6, v30
	v_add_nc_u32_e32 v30, s1, v38
	scratch_store_b32 off, v38, off offset:412 ; 4-byte Folded Spill
	v_add3_u32 v26, v26, v41, 0x4200
	v_and_b32_e32 v28, 0xffc, v29
	v_lshlrev_b32_e32 v29, 1, v35
	scratch_store_b32 off, v30, off offset:416 ; 4-byte Folded Spill
	v_add_nc_u32_e32 v30, s1, v30
	scratch_store_b32 off, v41, off offset:256 ; 4-byte Folded Spill
	v_add3_u32 v38, v28, v41, 0x4200
	v_and_b32_e32 v28, 0xffc, v29
	v_add_nc_u32_e32 v29, 0x70, v18
	v_and_b32_e32 v18, 3, v46
	scratch_store_b32 off, v30, off offset:420 ; 4-byte Folded Spill
	v_add_nc_u32_e32 v30, s1, v30
	v_add3_u32 v40, v28, v41, 0x4200
	v_lshlrev_b32_e32 v28, 1, v29
	v_cmp_gt_u32_e32 vcc_lo, 2, v18
	s_lshl_b32 s0, s11, 5
	scratch_store_b32 off, v30, off offset:424 ; 4-byte Folded Spill
	v_add_nc_u16 v30, v18, -2
	v_and_b32_e32 v28, 0xffc, v28
	v_lshlrev_b32_e32 v42, 6, v29
	v_min_f64 v[10:11], v[10:11], v[0:1]
	v_min_f64 v[12:13], v[12:13], v[0:1]
	v_lshlrev_b32_e32 v24, 6, v24
	v_add3_u32 v41, v28, v41, 0x4200
	v_min_f64 v[4:5], v[4:5], v[0:1]
	v_min_f64 v[6:7], v[6:7], v[0:1]
	v_min_f64 v[8:9], v[8:9], v[0:1]
	v_lshlrev_b32_e32 v35, 6, v35
	v_min_f64 v[2:3], v[2:3], v[0:1]
	v_min_f64 v[14:15], v[14:15], v[0:1]
	;; [unrolled: 1-line block ×3, first 2 shown]
	v_cndmask_b32_e32 v17, v30, v18, vcc_lo
	v_cmp_lt_u32_e32 vcc_lo, 1, v18
	v_lshrrev_b32_e32 v16, 3, v46
	s_delay_alu instid0(VALU_DEP_3) | instskip(SKIP_2) | instid1(VALU_DEP_4)
	v_dual_mov_b32 v30, 0 :: v_dual_and_b32 v17, 0xff, v17
	v_cndmask_b32_e64 v28, 0, 1, vcc_lo
	v_cmp_lt_u32_e32 vcc_lo, 3, v22
	v_lshl_add_u32 v16, v45, 2, v16
	s_delay_alu instid0(VALU_DEP_4) | instskip(SKIP_1) | instid1(VALU_DEP_3)
	v_lshlrev_b32_e32 v17, 2, v17
	v_cndmask_b32_e64 v22, 0, 1, vcc_lo
	v_lshlrev_b32_e32 v44, 5, v16
	scratch_store_b32 off, v22, off offset:428 ; 4-byte Folded Spill
	v_lshlrev_b32_e32 v22, 2, v28
	v_and_b32_e32 v28, 0x7fc, v16
	s_delay_alu instid0(VALU_DEP_1)
	v_add3_u32 v43, v28, v48, 0x8300
	v_mad_i32_i24 v28, s11, v16, s0
	scratch_store_b32 off, v17, off offset:436 ; 4-byte Folded Spill
	v_lshlrev_b32_e32 v17, 1, v18
	scratch_store_b32 off, v22, off offset:432 ; 4-byte Folded Spill
	v_cvt_i32_f64_e32 v4, v[4:5]
	v_cvt_i32_f64_e32 v6, v[6:7]
	;; [unrolled: 1-line block ×3, first 2 shown]
	scratch_store_b32 off, v17, off offset:440 ; 4-byte Folded Spill
	v_cvt_i32_f64_e32 v9, v[10:11]
	v_cvt_i32_f64_e32 v2, v[2:3]
	v_lshrrev_b32_e32 v10, 2, v46
	v_add_nc_u32_e32 v22, 32, v16
	v_cvt_i32_f64_e32 v0, v[0:1]
	v_mul_i32_i24_e32 v17, s11, v16
	v_add_nc_u32_e32 v5, 64, v16
	v_lshl_add_u32 v10, v45, 3, v10
	v_cvt_i32_f64_e32 v11, v[12:13]
	v_cvt_i32_f64_e32 v13, v[14:15]
	v_and_b32_e32 v15, 28, v19
	v_lshlrev_b32_e32 v19, 2, v18
	v_and_b32_e32 v10, 63, v10
	scratch_store_b32 off, v17, off offset:444 ; 4-byte Folded Spill
	v_and_b32_e32 v17, 0xffc, v22
	v_lshlrev_b32_e32 v3, 5, v22
	v_add_nc_u32_e32 v22, s0, v28
	v_and_b32_e32 v12, 0xffc, v5
	v_add_nc_u32_e32 v8, 0x60, v16
	v_or_b32_e32 v16, s7, v10
	v_lshl_or_b32 v10, v10, 4, v19
	v_add3_u32 v17, v17, v48, 0x8300
	v_add3_u32 v1, v12, v48, 0x8300
	v_add_nc_u32_e32 v12, s0, v22
	scratch_store_b32 off, v28, off offset:448 ; 4-byte Folded Spill
	v_add_co_u32 v28, s0, s2, v15
	v_and_b32_e32 v14, 0xffc, v8
	scratch_store_b32 off, v12, off offset:456 ; 4-byte Folded Spill
	v_add_co_ci_u32_e64 v29, null, s3, 0, s0
	v_add_nc_u32_e32 v10, 0x97a0, v10
	v_add3_u32 v12, v14, v48, 0x8300
	v_and_b32_e32 v14, 31, v46
	scratch_store_b64 off, v[28:29], off offset:156 ; 8-byte Folded Spill
	v_min_i32_e32 v15, s17, v16
	v_lshlrev_b32_e32 v5, 5, v5
	v_lshlrev_b32_e32 v8, 5, v8
	v_mul_lo_u32 v2, s16, v2
	scratch_store_b32 off, v10, off offset:164 ; 4-byte Folded Spill
	v_mad_u64_u32 v[28:29], null, v15, s16, v[18:19]
	v_mul_lo_u32 v0, s16, v0
	v_lshlrev_b32_e32 v10, 3, v46
	s_clause 0x1
	scratch_store_b32 off, v2, off offset:168
	scratch_store_b32 off, v22, off offset:452
	v_lshlrev_b32_e32 v22, 7, v45
	scratch_store_b32 off, v0, off offset:224 ; 4-byte Folded Spill
	v_add_nc_u32_e32 v0, 64, v46
	v_lshl_or_b32 v14, v14, 2, v22
	s_delay_alu instid0(VALU_DEP_2) | instskip(NEXT) | instid1(VALU_DEP_2)
	v_and_b32_e32 v93, 0x1fc, v0
	v_add_nc_u32_e32 v2, 0x6300, v14
	s_delay_alu instid0(VALU_DEP_2)
	v_add_nc_u32_e32 v97, 0x8b08, v93
	scratch_store_b32 off, v2, off offset:172 ; 4-byte Folded Spill
	v_mul_lo_u32 v2, s16, v4
	v_add_nc_u32_e32 v4, 0x7f00, v14
	scratch_store_b32 off, v2, off offset:176 ; 4-byte Folded Spill
	v_add_nc_u32_e32 v2, 0x6700, v14
	s_clause 0x1
	scratch_store_b32 off, v48, off offset:276
	scratch_store_b32 off, v2, off offset:180
	v_mul_lo_u32 v2, s16, v6
	scratch_store_b64 off, v[28:29], off offset:460 ; 8-byte Folded Spill
	v_dual_mov_b32 v29, 0 :: v_dual_add_nc_u32 v6, 0x60, v46
	v_mov_b32_e32 v28, 0
	s_delay_alu instid0(VALU_DEP_2)
	v_and_b32_e32 v92, 0x1fc, v6
	scratch_store_b32 off, v2, off offset:184 ; 4-byte Folded Spill
	v_add_nc_u32_e32 v2, 0x6b00, v14
	v_add_nc_u32_e32 v96, 0x8f08, v92
	scratch_store_b32 off, v2, off offset:188 ; 4-byte Folded Spill
	v_mul_lo_u32 v2, s16, v7
	v_lshrrev_b32_e32 v7, 1, v0
	s_delay_alu instid0(VALU_DEP_1)
	v_lshl_add_u32 v69, v0, 4, v7
	v_lshlrev_b32_e32 v7, 3, v6
	scratch_store_b32 off, v2, off offset:192 ; 4-byte Folded Spill
	v_add_nc_u32_e32 v2, 0x6f00, v14
	scratch_store_b32 off, v2, off offset:196 ; 4-byte Folded Spill
	v_mul_lo_u32 v2, s16, v9
	v_lshlrev_b32_e32 v9, 2, v47
	s_delay_alu instid0(VALU_DEP_1)
	v_add3_u32 v61, v9, v10, 0x9380
	scratch_store_b32 off, v2, off offset:200 ; 4-byte Folded Spill
	v_add_nc_u32_e32 v2, 0x7300, v14
	scratch_store_b32 off, v2, off offset:204 ; 4-byte Folded Spill
	v_mul_lo_u32 v2, s16, v11
	scratch_store_b32 off, v2, off offset:208 ; 4-byte Folded Spill
	v_add_nc_u32_e32 v2, 0x7700, v14
	scratch_store_b32 off, v2, off offset:212 ; 4-byte Folded Spill
	v_mul_lo_u32 v2, s16, v13
	v_lshrrev_b32_e32 v13, 1, v6
	s_delay_alu instid0(VALU_DEP_1) | instskip(SKIP_4) | instid1(VALU_DEP_1)
	v_lshl_add_u32 v85, v6, 4, v13
	scratch_store_b32 off, v2, off offset:216 ; 4-byte Folded Spill
	v_add_nc_u32_e32 v2, 0x7b00, v14
	scratch_store_b32 off, v2, off offset:220 ; 4-byte Folded Spill
	v_add_nc_u32_e32 v2, 32, v46
	v_lshrrev_b32_e32 v11, 2, v2
	v_lshlrev_b32_e32 v10, 3, v2
	v_and_b32_e32 v94, 0x1fc, v2
	s_delay_alu instid0(VALU_DEP_3) | instskip(SKIP_1) | instid1(VALU_DEP_3)
	v_and_b32_e32 v9, 0x7c, v11
	v_lshrrev_b32_e32 v11, 2, v0
	v_add_nc_u32_e32 v98, 0x8708, v94
	s_delay_alu instid0(VALU_DEP_3)
	v_add3_u32 v65, v10, v9, 0x9380
	v_lshlrev_b32_e32 v10, 3, v0
	v_add_nc_u32_e32 v0, 0x6300, v22
	scratch_store_b32 off, v4, off offset:228 ; 4-byte Folded Spill
	v_lshrrev_b32_e32 v4, 1, v2
	v_and_b32_e32 v9, 0x7c, v11
	scratch_store_b32 off, v0, off offset:236 ; 4-byte Folded Spill
	v_add_nc_u32_e32 v0, v27, v23
	v_lshl_add_u32 v62, v2, 4, v4
	v_lshrrev_b32_e32 v4, 2, v6
	v_add3_u32 v80, v10, v9, 0x9380
	scratch_store_b32 off, v0, off offset:468 ; 4-byte Folded Spill
	v_add_nc_u32_e32 v0, v32, v25
	v_and_b32_e32 v4, 0x7c, v4
	s_clause 0x1
	scratch_store_b32 off, v47, off offset:240
	scratch_store_b32 off, v0, off offset:472
	v_add3_u32 v91, v7, v4, 0x9380
	v_add_nc_u32_e32 v4, 0x97a0, v20
	v_add_nc_u32_e32 v0, v26, v24
	s_clause 0x1
	scratch_store_b32 off, v4, off offset:232
	scratch_store_b32 off, v0, off offset:476
	v_add_nc_u32_e32 v0, v34, v36
	scratch_store_b32 off, v0, off offset:480 ; 4-byte Folded Spill
	v_add_nc_u32_e32 v0, v33, v37
	scratch_store_b32 off, v0, off offset:484 ; 4-byte Folded Spill
	;; [unrolled: 2-line block ×8, first 2 shown]
	v_add_nc_u32_e32 v0, v12, v8
	s_clause 0x15
	scratch_store_b32 off, v0, off offset:512
	scratch_store_b32 off, v67, off offset:8
	scratch_store_b32 off, v59, off offset:12
	scratch_store_b32 off, v60, off offset:16
	scratch_store_b32 off, v61, off offset:20
	scratch_store_b32 off, v62, off offset:24
	scratch_store_b32 off, v64, off offset:28
	scratch_store_b32 off, v69, off offset:32
	scratch_store_b32 off, v76, off offset:36
	scratch_store_b32 off, v80, off offset:40
	scratch_store_b32 off, v85, off offset:44
	scratch_store_b32 off, v90, off offset:48
	scratch_store_b32 off, v92, off offset:116
	scratch_store_b32 off, v93, off offset:120
	scratch_store_b32 off, v94, off offset:124
	scratch_store_b32 off, v95, off offset:128
	scratch_store_b32 off, v96, off offset:132
	scratch_store_b32 off, v97, off offset:136
	scratch_store_b32 off, v98, off offset:140
	scratch_store_b32 off, v99, off offset:144
	scratch_store_b32 off, v65, off
	scratch_store_b32 off, v91, off offset:4
	s_branch .LBB129_6
.LBB129_5:                              ;   in Loop: Header=BB129_6 Depth=1
	s_add_i32 s13, s13, 2
	s_delay_alu instid0(SALU_CYCLE_1)
	s_cmp_ge_i32 s13, s11
	s_cbranch_scc1 .LBB129_14
.LBB129_6:                              ; =>This Loop Header: Depth=1
                                        ;     Child Loop BB129_8 Depth 2
                                        ;       Child Loop BB129_10 Depth 3
                                        ;       Child Loop BB129_12 Depth 3
	s_clause 0x5
	scratch_load_b32 v2, off, off offset:240
	scratch_load_b32 v6, off, off offset:248
	scratch_load_b32 v8, off, off offset:252
	scratch_load_b32 v10, off, off offset:264
	scratch_load_b32 v14, off, off offset:280
	scratch_load_b32 v16, off, off offset:300
	s_mul_i32 s0, s13, 0x6e
	s_mul_hi_u32 s1, s13, 0x6e
	s_add_u32 s0, s5, s0
	s_addc_u32 s1, s12, s1
	s_clause 0x1
	scratch_load_b32 v4, off, off offset:284
	scratch_load_b32 v18, off, off offset:320
	s_mov_b32 s14, 0
	scratch_load_b32 v12, off, off offset:272 ; 4-byte Folded Reload
	s_waitcnt vmcnt(8)
	v_mad_u64_u32 v[0:1], null, 0x6e, v2, s[0:1]
	scratch_load_b32 v2, off, off offset:256 ; 4-byte Folded Reload
	s_waitcnt vmcnt(0)
	v_add_co_u32 v0, vcc_lo, v0, v2
	v_add_co_ci_u32_e32 v1, vcc_lo, 0, v1, vcc_lo
	s_delay_alu instid0(VALU_DEP_2) | instskip(NEXT) | instid1(VALU_DEP_2)
	v_add_co_u32 v0, vcc_lo, v0, 32
	v_add_co_ci_u32_e32 v1, vcc_lo, 0, v1, vcc_lo
	s_delay_alu instid0(VALU_DEP_1)
	v_mad_u64_u32 v[2:3], null, 0x6e, v4, v[0:1]
	v_mad_u64_u32 v[4:5], null, 0x6e, v6, v[0:1]
	;; [unrolled: 1-line block ×8, first 2 shown]
	s_clause 0x7
	global_load_b32 v41, v[2:3], off
	global_load_b32 v42, v[4:5], off
	;; [unrolled: 1-line block ×8, first 2 shown]
	s_clause 0x11
	scratch_load_b32 v4, off, off offset:340
	scratch_load_b32 v6, off, off offset:360
	;; [unrolled: 1-line block ×18, first 2 shown]
	s_waitcnt vmcnt(17)
	v_mad_u64_u32 v[2:3], null, 0x6e, v4, v[0:1]
	s_waitcnt vmcnt(16)
	v_mad_u64_u32 v[4:5], null, 0x6e, v6, v[0:1]
	;; [unrolled: 2-line block ×6, first 2 shown]
	v_mad_u64_u32 v[14:15], null, 0x6e, v16, v[0:1]
	v_mad_u64_u32 v[16:17], null, 0x6e, v18, v[0:1]
	;; [unrolled: 1-line block ×3, first 2 shown]
	scratch_load_b32 v20, off, off offset:276 ; 4-byte Folded Reload
	s_waitcnt vmcnt(0)
	v_add_co_u32 v12, vcc_lo, v12, v20
	v_mad_u64_u32 v[20:21], null, 0x6e, v22, v[0:1]
	scratch_load_b32 v22, off, off offset:244 ; 4-byte Folded Reload
	v_add_co_ci_u32_e32 v13, vcc_lo, 0, v13, vcc_lo
	s_waitcnt vmcnt(0)
	v_mad_u64_u32 v[0:1], null, 0x6e, v22, v[18:19]
	scratch_load_b32 v22, off, off offset:364 ; 4-byte Folded Reload
	s_waitcnt vmcnt(0)
	v_mad_u64_u32 v[18:19], null, 0x6e, v22, v[12:13]
	v_mad_u64_u32 v[22:23], null, 0x6e, v24, v[12:13]
	;; [unrolled: 1-line block ×9, first 2 shown]
	scratch_load_b32 v53, off, off offset:444 ; 4-byte Folded Reload
	v_add_co_u32 v26, vcc_lo, 0x60, v26
	v_add_co_ci_u32_e32 v27, vcc_lo, 0, v27, vcc_lo
	s_lshl_b32 s0, s13, 3
	s_mov_b32 s1, 0
	s_waitcnt vmcnt(0)
	s_delay_alu instid0(VALU_DEP_1)
	v_mad_u64_u32 v[12:13], null, 0x6e, v53, v[26:27]
	s_clause 0x8
	global_load_u16 v53, v[0:1], off offset:108
	global_load_b32 v66, v[18:19], off
	global_load_b32 v68, v[22:23], off
	;; [unrolled: 1-line block ×8, first 2 shown]
	s_clause 0x3
	scratch_load_b32 v36, off, off offset:436
	scratch_load_b32 v22, off, off offset:448
	;; [unrolled: 1-line block ×4, first 2 shown]
	s_waitcnt vmcnt(3)
	v_add_co_u32 v0, vcc_lo, v12, v36
	s_waitcnt vmcnt(2)
	v_mad_u64_u32 v[18:19], null, 0x6e, v22, v[26:27]
	s_waitcnt vmcnt(1)
	v_mad_u64_u32 v[22:23], null, 0x6e, v24, v[26:27]
	;; [unrolled: 2-line block ×3, first 2 shown]
	v_add_co_ci_u32_e32 v1, vcc_lo, 0, v13, vcc_lo
	s_clause 0xc
	global_load_b32 v26, v[2:3], off
	global_load_b32 v27, v[4:5], off
	;; [unrolled: 1-line block ×8, first 2 shown]
	global_load_b32 v14, v[24:25], off offset:8
	global_load_b32 v15, v[22:23], off offset:8
	;; [unrolled: 1-line block ×3, first 2 shown]
	global_load_b32 v17, v[0:1], off
	global_load_b32 v12, v[12:13], off offset:8
	v_add_co_u32 v0, vcc_lo, v18, v36
	v_add_co_ci_u32_e32 v1, vcc_lo, 0, v19, vcc_lo
	v_add_co_u32 v2, vcc_lo, v22, v36
	v_add_co_ci_u32_e32 v3, vcc_lo, 0, v23, vcc_lo
	v_add_co_u32 v4, vcc_lo, v24, v36
	v_add_co_ci_u32_e32 v5, vcc_lo, 0, v25, vcc_lo
	s_clause 0x2
	global_load_b32 v0, v[0:1], off
	global_load_b32 v1, v[2:3], off
	;; [unrolled: 1-line block ×3, first 2 shown]
	s_clause 0x1
	scratch_load_b64 v[3:4], off, off offset:460
	scratch_load_b32 v23, off, off offset:260
	s_waitcnt vmcnt(1)
	v_not_b32_e32 v4, v66
	v_not_b32_e32 v5, v68
	;; [unrolled: 1-line block ×8, first 2 shown]
	v_add_nc_u32_e32 v3, s0, v3
	s_waitcnt vmcnt(0)
	ds_store_b32 v23, v41
	scratch_load_b32 v23, off, off offset:288 ; 4-byte Folded Reload
	scratch_store_b32 off, v3, off offset:148 ; 4-byte Folded Spill
	v_cvt_f32_f16_e32 v3, v53
	s_waitcnt vmcnt(0)
	ds_store_b32 v23, v42
	scratch_load_b32 v23, off, off offset:292 ; 4-byte Folded Reload
	s_waitcnt vmcnt(0)
	ds_store_b32 v23, v43
	scratch_load_b32 v23, off, off offset:296 ; 4-byte Folded Reload
	;; [unrolled: 3-line block ×10, first 2 shown]
	s_waitcnt vmcnt(0)
	ds_store_b32 v6, v7
	s_clause 0x1
	scratch_load_b32 v6, off, off offset:344
	scratch_load_b32 v7, off, off offset:432
	s_waitcnt vmcnt(1)
	ds_store_b32 v6, v8
	s_clause 0x1
	scratch_load_b32 v6, off, off offset:348
	scratch_load_b32 v8, off, off offset:440
	s_waitcnt vmcnt(2)
	v_ashrrev_i32_e32 v0, v7, v0
	v_ashrrev_i32_e32 v1, v7, v1
	;; [unrolled: 1-line block ×3, first 2 shown]
	s_delay_alu instid0(VALU_DEP_3) | instskip(NEXT) | instid1(VALU_DEP_3)
	v_and_b32_e32 v0, 0xf0f0f0f, v0
	v_and_b32_e32 v1, 0xf0f0f0f, v1
	s_delay_alu instid0(VALU_DEP_3)
	v_and_b32_e32 v2, 0xf0f0f0f, v2
	s_waitcnt vmcnt(1)
	ds_store_b32 v6, v9
	scratch_load_b32 v6, off, off offset:352 ; 4-byte Folded Reload
	s_waitcnt vmcnt(0)
	ds_store_b32 v6, v10
	scratch_load_b32 v6, off, off offset:356 ; 4-byte Folded Reload
	;; [unrolled: 3-line block ×4, first 2 shown]
	v_ashrrev_i32_e32 v6, v8, v15
	s_delay_alu instid0(VALU_DEP_1) | instskip(NEXT) | instid1(VALU_DEP_1)
	v_lshlrev_b32_e32 v6, 4, v6
	v_and_or_b32 v1, 0x30303030, v6, v1
	s_delay_alu instid0(VALU_DEP_1) | instskip(SKIP_4) | instid1(VALU_DEP_1)
	v_and_b32_e32 v9, 0x3f00, v1
	s_waitcnt vmcnt(0)
	ds_store_b32 v3, v4
	scratch_load_b32 v3, off, off offset:472 ; 4-byte Folded Reload
	v_ashrrev_i32_e32 v4, v8, v12
	v_lshlrev_b32_e32 v4, 4, v4
	s_waitcnt vmcnt(0)
	ds_store_b32 v3, v5
	scratch_load_b32 v3, off, off offset:476 ; 4-byte Folded Reload
	v_ashrrev_i32_e32 v5, v8, v16
	s_delay_alu instid0(VALU_DEP_1) | instskip(NEXT) | instid1(VALU_DEP_1)
	v_lshlrev_b32_e32 v5, 4, v5
	v_and_or_b32 v0, 0x30303030, v5, v0
	s_delay_alu instid0(VALU_DEP_1)
	v_lshrrev_b32_e32 v6, 16, v0
	s_waitcnt vmcnt(0)
	ds_store_b32 v3, v13
	scratch_load_b32 v3, off, off offset:480 ; 4-byte Folded Reload
	v_and_b32_e32 v13, 0x3f00, v6
	v_lshlrev_b16 v6, 8, v6
	s_delay_alu instid0(VALU_DEP_1)
	v_add_nc_u16 v6, v6, 0xe000
	s_waitcnt vmcnt(0)
	ds_store_b32 v3, v18
	scratch_load_b32 v3, off, off offset:484 ; 4-byte Folded Reload
	s_waitcnt vmcnt(0)
	ds_store_b32 v3, v19
	v_ashrrev_i32_e32 v3, v7, v17
	v_ashrrev_i32_e32 v7, v8, v14
	v_lshrrev_b32_e32 v8, 16, v1
	v_lshlrev_b16 v1, 8, v1
	s_delay_alu instid0(VALU_DEP_4) | instskip(NEXT) | instid1(VALU_DEP_4)
	v_and_b32_e32 v3, 0xf0f0f0f, v3
	v_lshlrev_b32_e32 v7, 4, v7
	s_delay_alu instid0(VALU_DEP_4)
	v_and_b32_e32 v14, 0x3f00, v8
	v_lshlrev_b16 v8, 8, v8
	v_add_nc_u16 v1, v1, 0xe000
	v_and_or_b32 v3, 0x30303030, v4, v3
	scratch_load_b32 v4, off, off offset:488 ; 4-byte Folded Reload
	v_and_or_b32 v2, 0x30303030, v7, v2
	v_add_nc_u16 v8, v8, 0xe000
	v_and_b32_e32 v7, 0x3f00, v0
	v_and_b32_e32 v5, 0x3f00, v3
	v_lshlrev_b16 v0, 8, v0
	v_lshrrev_b16 v1, 8, v1
	v_lshrrev_b32_e32 v10, 16, v2
	v_and_b32_e32 v11, 0x3f00, v2
	v_lshlrev_b16 v2, 8, v2
	v_add_nc_u16 v0, v0, 0xe000
	v_or_b32_e32 v1, v9, v1
	v_and_b32_e32 v15, 0x3f00, v10
	v_lshlrev_b16 v10, 8, v10
	v_add_nc_u16 v2, v2, 0xe000
	v_lshrrev_b16 v0, 8, v0
	v_add_nc_u16 v1, v1, 0xe000
	s_delay_alu instid0(VALU_DEP_4) | instskip(NEXT) | instid1(VALU_DEP_4)
	v_add_nc_u16 v10, v10, 0xe000
	v_lshrrev_b16 v2, 8, v2
	s_delay_alu instid0(VALU_DEP_4) | instskip(NEXT) | instid1(VALU_DEP_4)
	v_or_b32_e32 v0, v7, v0
	v_and_b32_e32 v1, 0xffff, v1
	s_delay_alu instid0(VALU_DEP_4) | instskip(NEXT) | instid1(VALU_DEP_4)
	v_lshrrev_b16 v7, 8, v10
	v_or_b32_e32 v2, v11, v2
	s_delay_alu instid0(VALU_DEP_4) | instskip(NEXT) | instid1(VALU_DEP_3)
	v_add_nc_u16 v0, v0, 0xe000
	v_or_b32_e32 v7, v15, v7
	s_delay_alu instid0(VALU_DEP_3) | instskip(NEXT) | instid1(VALU_DEP_3)
	v_add_nc_u16 v2, v2, 0xe000
	v_and_b32_e32 v0, 0xffff, v0
	s_delay_alu instid0(VALU_DEP_3) | instskip(NEXT) | instid1(VALU_DEP_3)
	v_add_nc_u16 v7, v7, 0xe000
	v_and_b32_e32 v2, 0xffff, v2
	s_delay_alu instid0(VALU_DEP_2) | instskip(NEXT) | instid1(VALU_DEP_1)
	v_lshlrev_b32_e32 v7, 16, v7
	v_or_b32_e32 v2, v2, v7
	s_waitcnt vmcnt(0)
	ds_store_b32 v4, v20
	v_lshrrev_b32_e32 v4, 16, v3
	v_lshlrev_b16 v3, 8, v3
	s_delay_alu instid0(VALU_DEP_2) | instskip(SKIP_1) | instid1(VALU_DEP_3)
	v_and_b32_e32 v12, 0x3f00, v4
	v_lshlrev_b16 v4, 8, v4
	v_add_nc_u16 v3, v3, 0xe000
	s_delay_alu instid0(VALU_DEP_2) | instskip(NEXT) | instid1(VALU_DEP_2)
	v_add_nc_u16 v4, v4, 0xe000
	v_lshrrev_b16 v3, 8, v3
	s_delay_alu instid0(VALU_DEP_2) | instskip(NEXT) | instid1(VALU_DEP_2)
	v_lshrrev_b16 v4, 8, v4
	v_or_b32_e32 v3, v5, v3
	v_lshrrev_b16 v5, 8, v6
	v_lshrrev_b16 v6, 8, v8
	scratch_load_b32 v8, off, off offset:492 ; 4-byte Folded Reload
	v_or_b32_e32 v4, v12, v4
	v_add_nc_u16 v3, v3, 0xe000
	v_or_b32_e32 v5, v13, v5
	v_or_b32_e32 v6, v14, v6
	s_delay_alu instid0(VALU_DEP_4) | instskip(NEXT) | instid1(VALU_DEP_4)
	v_add_nc_u16 v4, v4, 0xe000
	v_and_b32_e32 v3, 0xffff, v3
	s_delay_alu instid0(VALU_DEP_4) | instskip(NEXT) | instid1(VALU_DEP_4)
	v_add_nc_u16 v5, v5, 0xe000
	v_add_nc_u16 v6, v6, 0xe000
	s_delay_alu instid0(VALU_DEP_4) | instskip(NEXT) | instid1(VALU_DEP_3)
	v_lshlrev_b32_e32 v4, 16, v4
	v_lshlrev_b32_e32 v5, 16, v5
	s_delay_alu instid0(VALU_DEP_3) | instskip(NEXT) | instid1(VALU_DEP_3)
	v_lshlrev_b32_e32 v6, 16, v6
	v_or_b32_e32 v3, v3, v4
	scratch_load_b32 v4, off, off offset:496 ; 4-byte Folded Reload
	v_or_b32_e32 v0, v0, v5
	v_or_b32_e32 v1, v1, v6
	s_waitcnt vmcnt(1)
	ds_store_b32 v8, v21
	s_waitcnt vmcnt(0)
	ds_store_b32 v4, v22
	scratch_load_b32 v4, off, off offset:500 ; 4-byte Folded Reload
	s_waitcnt vmcnt(0)
	ds_store_b32 v4, v3
	scratch_load_b32 v3, off, off offset:504 ; 4-byte Folded Reload
	;; [unrolled: 3-line block ×4, first 2 shown]
	s_waitcnt vmcnt(0)
	ds_store_b32 v0, v2
	s_branch .LBB129_8
.LBB129_7:                              ;   in Loop: Header=BB129_8 Depth=2
                                        ; implicit-def: $sgpr14
                                        ; implicit-def: $sgpr1
	s_cbranch_execnz .LBB129_5
.LBB129_8:                              ;   Parent Loop BB129_6 Depth=1
                                        ; =>  This Loop Header: Depth=2
                                        ;       Child Loop BB129_10 Depth 3
                                        ;       Child Loop BB129_12 Depth 3
	s_lshr_b32 s15, s14, 1
	s_delay_alu instid0(SALU_CYCLE_1) | instskip(NEXT) | instid1(SALU_CYCLE_1)
	s_or_b32 s15, s15, s13
	s_cmp_lt_i32 s15, s11
	s_cbranch_scc0 .LBB129_7
; %bb.9:                                ;   in Loop: Header=BB129_8 Depth=2
	scratch_load_b32 v0, off, off offset:152 ; 4-byte Folded Reload
	s_or_b32 s16, s14, 1
	s_lshl_b32 s17, s14, 3
	s_mov_b32 s18, 0
	s_mov_b32 s19, 0
	s_lshl_b32 s15, s16, 3
	scratch_load_b64 v[19:20], off, off offset:156 ; 8-byte Folded Reload
	s_waitcnt vmcnt(1)
	v_lshl_add_u32 v0, s14, 5, v0
	s_delay_alu instid0(VALU_DEP_1) | instskip(NEXT) | instid1(VALU_DEP_1)
	v_lshrrev_b32_e32 v0, 3, v0
	v_add_nc_u32_e32 v12, s0, v0
	scratch_load_b32 v0, off, off offset:148 ; 4-byte Folded Reload
	s_waitcnt vmcnt(0)
	v_lshl_add_u32 v13, s14, 2, v0
	scratch_load_b32 v0, off, off offset:168 ; 4-byte Folded Reload
	s_waitcnt vmcnt(0)
	v_add_nc_u32_e32 v2, v12, v0
	scratch_load_b32 v0, off, off offset:176 ; 4-byte Folded Reload
	s_waitcnt vmcnt(0)
	v_add_nc_u32_e32 v4, v12, v0
	;; [unrolled: 3-line block ×7, first 2 shown]
	v_mad_i64_i32 v[0:1], null, v2, 36, v[19:20]
	v_mad_i64_i32 v[2:3], null, v4, 36, v[19:20]
	v_mad_i64_i32 v[4:5], null, v6, 36, v[19:20]
	v_mad_i64_i32 v[6:7], null, v8, 36, v[19:20]
	v_mad_i64_i32 v[8:9], null, v10, 36, v[19:20]
	v_mad_u64_u32 v[10:11], null, v13, 36, s[2:3]
	scratch_load_b32 v13, off, off offset:224 ; 4-byte Folded Reload
	s_waitcnt vmcnt(0)
	v_add_nc_u32_e32 v18, v12, v13
	v_mad_i64_i32 v[12:13], null, v14, 36, v[19:20]
	v_mad_i64_i32 v[14:15], null, v16, 36, v[19:20]
	s_delay_alu instid0(VALU_DEP_3)
	v_mad_i64_i32 v[16:17], null, v18, 36, v[19:20]
	s_clause 0x8
	global_load_b32 v10, v[10:11], off
	global_load_b32 v2, v[2:3], off offset:4
	global_load_b32 v3, v[4:5], off offset:4
	;; [unrolled: 1-line block ×8, first 2 shown]
	s_clause 0x2
	scratch_load_b32 v192, off, off offset:236
	scratch_load_b32 v247, off, off offset:232
	;; [unrolled: 1-line block ×3, first 2 shown]
	s_waitcnt vmcnt(11)
	v_cvt_f32_f16_e32 v1, v10
	s_waitcnt vmcnt(0)
	ds_store_b32 v9, v2
	scratch_load_b32 v2, off, off offset:188 ; 4-byte Folded Reload
	s_waitcnt vmcnt(0)
	ds_store_b32 v2, v3
	scratch_load_b32 v2, off, off offset:196 ; 4-byte Folded Reload
	;; [unrolled: 3-line block ×8, first 2 shown]
	s_waitcnt vmcnt(0)
	ds_store_b32 v0, v1
	s_waitcnt lgkmcnt(0)
	s_waitcnt_vscnt null, 0x0
	s_barrier
	buffer_gl0_inv
.LBB129_10:                             ;   Parent Loop BB129_6 Depth=1
                                        ;     Parent Loop BB129_8 Depth=2
                                        ; =>    This Inner Loop Header: Depth=3
	s_add_i32 s20, s1, s19
	v_mov_b32_e32 v245, v72
	s_and_b32 s21, s20, 0x3ffffff8
	s_lshr_b32 s22, s20, 4
	s_lshl_b32 s21, s21, 2
	s_lshl_b32 s20, s22, 2
	s_waitcnt vmcnt(5)
	v_add_nc_u32_e32 v4, s21, v60
	s_waitcnt vmcnt(2)
	v_dual_mov_b32 v230, v81 :: v_dual_add_nc_u32 v183, s21, v64
	v_add_nc_u32_e32 v6, s20, v61
	v_add_nc_u32_e32 v12, s21, v76
	ds_load_2addr_b32 v[0:1], v4 offset1:1
	ds_load_2addr_b32 v[2:3], v4 offset0:2 offset1:3
	ds_load_2addr_b32 v[31:32], v4 offset0:4 offset1:5
	;; [unrolled: 1-line block ×3, first 2 shown]
	v_dual_mov_b32 v225, v77 :: v_dual_add_nc_u32 v184, s21, v90
	s_lshl_b32 s21, s22, 3
	v_mov_b32_e32 v244, v71
	v_add_lshl_u32 v182, v62, s21, 2
	v_mov_b32_e32 v236, v73
	v_add_lshl_u32 v181, v85, s21, 2
	v_dual_mov_b32 v227, v78 :: v_dual_mov_b32 v134, v87
	v_dual_mov_b32 v90, v89 :: v_dual_mov_b32 v235, v84
	v_mov_b32_e32 v71, v28
	v_mov_b32_e32 v73, v29
	v_dual_mov_b32 v75, v49 :: v_dual_mov_b32 v92, v88
	v_mov_b32_e32 v88, v86
	s_waitcnt lgkmcnt(3)
	v_ashrrev_i32_e32 v5, s19, v0
	v_ashrrev_i32_e32 v4, s19, v1
	s_waitcnt lgkmcnt(2)
	v_ashrrev_i32_e32 v1, s19, v2
	v_ashrrev_i32_e32 v0, s19, v3
	ds_load_2addr_b32 v[2:3], v183 offset0:2 offset1:3
	ds_load_b32 v194, v6
	ds_load_2addr_b32 v[6:7], v183 offset1:1
	v_bfe_u32 v72, v5, 24, 2
	v_and_b32_e32 v5, 0x3030303, v5
	v_dual_mov_b32 v85, v52 :: v_dual_mov_b32 v240, v74
	v_mov_b32_e32 v74, v30
	v_mov_b32_e32 v84, v54
	;; [unrolled: 1-line block ×3, first 2 shown]
	s_waitcnt lgkmcnt(2)
	v_ashrrev_i32_e32 v10, s19, v2
	v_ashrrev_i32_e32 v11, s19, v3
	s_waitcnt lgkmcnt(0)
	v_ashrrev_i32_e32 v8, s19, v6
	v_ashrrev_i32_e32 v9, s19, v7
	ds_load_2addr_b32 v[2:3], v12 offset1:1
	ds_load_2addr_b32 v[6:7], v12 offset0:2 offset1:3
	ds_load_2addr_b32 v[41:42], v12 offset0:4 offset1:5
	;; [unrolled: 1-line block ×3, first 2 shown]
	s_waitcnt lgkmcnt(3)
	v_ashrrev_i32_e32 v12, s19, v2
	s_waitcnt lgkmcnt(2)
	v_ashrrev_i32_e32 v14, s19, v6
	v_add_nc_u32_e32 v6, s20, v80
	v_ashrrev_i32_e32 v13, s19, v3
	v_ashrrev_i32_e32 v15, s19, v7
	ds_load_2addr_b32 v[2:3], v184 offset0:2 offset1:3
	ds_load_b32 v195, v6
	ds_load_2addr_b32 v[6:7], v184 offset1:1
	v_mov_b32_e32 v80, v51
	s_waitcnt lgkmcnt(2)
	v_ashrrev_i32_e32 v18, s19, v2
	v_add_lshl_u32 v2, v59, s21, 2
	v_ashrrev_i32_e32 v19, s19, v3
	s_waitcnt lgkmcnt(0)
	v_ashrrev_i32_e32 v16, s19, v6
	v_ashrrev_i32_e32 v17, s19, v7
	v_add_nc_u32_e32 v3, 0x4200, v2
	v_add_nc_u32_e32 v6, 0x4208, v2
	;; [unrolled: 1-line block ×4, first 2 shown]
	ds_load_2addr_b32 v[2:3], v3 offset1:1
	ds_load_2addr_b32 v[6:7], v6 offset1:1
	;; [unrolled: 1-line block ×4, first 2 shown]
	s_waitcnt lgkmcnt(3)
	v_ashrrev_i32_e32 v20, s18, v2
	v_add_nc_u32_e32 v2, 0x4200, v182
	s_waitcnt lgkmcnt(2)
	v_ashrrev_i32_e32 v22, s18, v6
	v_add_nc_u32_e32 v6, 0x4208, v182
	v_ashrrev_i32_e32 v21, s18, v3
	v_ashrrev_i32_e32 v23, s18, v7
	ds_load_2addr_b32 v[2:3], v2 offset1:1
	ds_load_2addr_b32 v[6:7], v6 offset1:1
	ds_load_2addr_b32 v[47:48], v183 offset0:6 offset1:7
	v_lshlrev_b32_e32 v20, 2, v20
	s_waitcnt lgkmcnt(4)
	v_ashrrev_i32_e32 v45, s18, v45
	v_ashrrev_i32_e32 v46, s18, v46
	s_waitcnt lgkmcnt(3)
	v_ashrrev_i32_e32 v44, s18, v44
	v_and_b32_e32 v20, 0x4040404, v20
	s_delay_alu instid0(VALU_DEP_1) | instskip(SKIP_2) | instid1(VALU_DEP_3)
	v_lshrrev_b32_e32 v81, 24, v20
	v_lshrrev_b32_e32 v87, 16, v20
	v_sub_nc_u16 v203, v5, v20
	v_sub_nc_u16 v72, v72, v81
	v_lshrrev_b32_e32 v81, 16, v5
	s_waitcnt lgkmcnt(2)
	v_ashrrev_i32_e32 v24, s18, v2
	s_waitcnt vmcnt(1)
	v_add_lshl_u32 v2, v69, s21, 2
	v_ashrrev_i32_e32 v25, s18, v3
	s_waitcnt lgkmcnt(1)
	v_ashrrev_i32_e32 v26, s18, v6
	v_sub_nc_u16 v202, v81, v87
	v_lshrrev_b16 v81, 8, v5
	v_add_nc_u32_e32 v35, 0x4210, v2
	v_lshrrev_b16 v5, 8, v20
	v_lshlrev_b32_e32 v20, 2, v21
	v_bfe_u32 v21, v4, 24, 2
	v_and_b32_e32 v4, 0x3030303, v4
	v_add_nc_u32_e32 v3, 0x4200, v2
	v_sub_nc_u16 v5, v81, v5
	v_and_b32_e32 v20, 0x4040404, v20
	v_add_nc_u32_e32 v6, 0x4208, v2
	v_ashrrev_i32_e32 v27, s18, v7
	v_add_nc_u32_e32 v36, 0x4218, v2
	ds_load_2addr_b32 v[2:3], v3 offset1:1
	ds_load_2addr_b32 v[6:7], v6 offset1:1
	;; [unrolled: 1-line block ×4, first 2 shown]
	v_lshrrev_b32_e32 v81, 24, v20
	v_lshrrev_b32_e32 v87, 16, v20
	v_sub_nc_u16 v205, v4, v20
	v_lshlrev_b16 v5, 8, v5
	s_and_b32 s21, s17, -16
	v_sub_nc_u16 v21, v21, v81
	v_lshrrev_b32_e32 v81, 16, v4
	s_waitcnt lgkmcnt(4)
	v_ashrrev_i32_e32 v47, s19, v47
	v_ashrrev_i32_e32 v48, s19, v48
	s_add_i32 s17, s17, 2
	v_sub_nc_u16 v204, v81, v87
	v_lshrrev_b16 v81, 8, v4
	v_lshrrev_b16 v4, 8, v20
	v_lshlrev_b32_e32 v20, 2, v22
	v_bfe_u32 v22, v1, 24, 2
	v_and_b32_e32 v1, 0x3030303, v1
	s_waitcnt lgkmcnt(3)
	v_ashrrev_i32_e32 v53, s18, v2
	v_sub_nc_u16 v4, v81, v4
	v_and_b32_e32 v20, 0x4040404, v20
	v_ashrrev_i32_e32 v66, s18, v3
	s_waitcnt lgkmcnt(2)
	v_ashrrev_i32_e32 v68, s18, v6
	v_add_nc_u32_e32 v2, 0x4200, v181
	v_add_nc_u32_e32 v6, 0x4208, v181
	v_lshrrev_b32_e32 v81, 24, v20
	v_lshrrev_b32_e32 v87, 16, v20
	v_sub_nc_u16 v199, v1, v20
	v_ashrrev_i32_e32 v70, s18, v7
	ds_load_2addr_b32 v[2:3], v2 offset1:1
	ds_load_2addr_b32 v[6:7], v6 offset1:1
	ds_load_2addr_b32 v[189:190], v184 offset0:6 offset1:7
	v_sub_nc_u16 v22, v22, v81
	v_lshrrev_b32_e32 v81, 16, v1
	v_lshlrev_b16 v4, 8, v4
	s_delay_alu instid0(VALU_DEP_2)
	v_sub_nc_u16 v198, v81, v87
	v_lshrrev_b16 v81, 8, v1
	v_lshrrev_b16 v1, 8, v20
	v_lshlrev_b32_e32 v20, 2, v23
	v_bfe_u32 v23, v0, 24, 2
	v_and_b32_e32 v0, 0x3030303, v0
	s_delay_alu instid0(VALU_DEP_4) | instskip(NEXT) | instid1(VALU_DEP_4)
	v_sub_nc_u16 v1, v81, v1
	v_and_b32_e32 v20, 0x4040404, v20
	s_waitcnt lgkmcnt(2)
	v_ashrrev_i32_e32 v2, s18, v2
	v_ashrrev_i32_e32 v3, s18, v3
	s_delay_alu instid0(VALU_DEP_3)
	v_lshrrev_b32_e32 v81, 24, v20
	v_lshrrev_b32_e32 v87, 16, v20
	v_sub_nc_u16 v197, v0, v20
	v_lshlrev_b32_e32 v2, 2, v2
	v_lshlrev_b32_e32 v3, 2, v3
	v_sub_nc_u16 v23, v23, v81
	v_lshrrev_b32_e32 v81, 16, v0
	s_waitcnt lgkmcnt(1)
	v_ashrrev_i32_e32 v6, s18, v6
	v_and_b32_e32 v2, 0x4040404, v2
	v_and_b32_e32 v3, 0x4040404, v3
	v_ashrrev_i32_e32 v7, s18, v7
	v_sub_nc_u16 v196, v81, v87
	v_lshrrev_b16 v81, 8, v0
	v_lshrrev_b16 v0, 8, v20
	v_lshlrev_b32_e32 v20, 2, v24
	v_bfe_u32 v24, v8, 24, 2
	v_and_b32_e32 v8, 0x3030303, v8
	v_lshlrev_b32_e32 v6, 2, v6
	v_sub_nc_u16 v0, v81, v0
	v_and_b32_e32 v20, 0x4040404, v20
	v_lshlrev_b32_e32 v7, 2, v7
	v_lshlrev_b16 v1, 8, v1
	v_and_b32_e32 v6, 0x4040404, v6
	v_lshlrev_b16 v0, 8, v0
	v_lshrrev_b32_e32 v81, 24, v20
	v_lshrrev_b32_e32 v87, 16, v20
	v_sub_nc_u16 v211, v8, v20
	v_and_b32_e32 v7, 0x4040404, v7
	s_delay_alu instid0(VALU_DEP_4) | instskip(SKIP_1) | instid1(VALU_DEP_1)
	v_sub_nc_u16 v24, v24, v81
	v_lshrrev_b32_e32 v81, 16, v8
	v_sub_nc_u16 v210, v81, v87
	v_lshrrev_b16 v81, 8, v8
	v_lshrrev_b16 v8, 8, v20
	v_lshlrev_b32_e32 v20, 2, v25
	v_bfe_u32 v25, v9, 24, 2
	v_and_b32_e32 v9, 0x3030303, v9
	s_delay_alu instid0(VALU_DEP_4) | instskip(NEXT) | instid1(VALU_DEP_4)
	v_sub_nc_u16 v8, v81, v8
	v_and_b32_e32 v20, 0x4040404, v20
	s_delay_alu instid0(VALU_DEP_1) | instskip(SKIP_2) | instid1(VALU_DEP_3)
	v_lshrrev_b32_e32 v81, 24, v20
	v_lshrrev_b32_e32 v87, 16, v20
	v_sub_nc_u16 v213, v9, v20
	v_sub_nc_u16 v25, v25, v81
	v_lshrrev_b32_e32 v81, 16, v9
	s_delay_alu instid0(VALU_DEP_1)
	v_sub_nc_u16 v212, v81, v87
	v_lshrrev_b16 v81, 8, v9
	v_lshrrev_b16 v9, 8, v20
	v_lshlrev_b32_e32 v20, 2, v26
	v_bfe_u32 v26, v10, 24, 2
	v_and_b32_e32 v10, 0x3030303, v10
	s_delay_alu instid0(VALU_DEP_4) | instskip(NEXT) | instid1(VALU_DEP_4)
	v_sub_nc_u16 v9, v81, v9
	v_and_b32_e32 v20, 0x4040404, v20
	s_delay_alu instid0(VALU_DEP_1) | instskip(SKIP_2) | instid1(VALU_DEP_3)
	v_lshrrev_b32_e32 v81, 24, v20
	v_lshrrev_b32_e32 v87, 16, v20
	v_sub_nc_u16 v207, v10, v20
	v_sub_nc_u16 v26, v26, v81
	v_lshrrev_b32_e32 v81, 16, v10
	s_delay_alu instid0(VALU_DEP_1)
	;; [unrolled: 16-line block ×7, first 2 shown]
	v_sub_nc_u16 v208, v81, v87
	v_lshrrev_b16 v81, 8, v15
	v_lshrrev_b16 v15, 8, v20
	v_bfe_u32 v20, v16, 24, 2
	v_and_b32_e32 v16, 0x3030303, v16
	v_lshrrev_b32_e32 v87, 16, v2
	s_delay_alu instid0(VALU_DEP_4) | instskip(SKIP_1) | instid1(VALU_DEP_4)
	v_sub_nc_u16 v15, v81, v15
	v_lshrrev_b32_e32 v81, 24, v2
	v_sub_nc_u16 v228, v16, v2
	v_lshrrev_b16 v2, 8, v2
	s_delay_alu instid0(VALU_DEP_3) | instskip(SKIP_1) | instid1(VALU_DEP_1)
	v_sub_nc_u16 v20, v20, v81
	v_lshrrev_b32_e32 v81, 16, v16
	v_sub_nc_u16 v226, v81, v87
	v_lshrrev_b16 v81, 8, v16
	v_bfe_u32 v16, v17, 24, 2
	v_and_b32_e32 v17, 0x3030303, v17
	v_lshrrev_b32_e32 v87, 16, v3
	s_delay_alu instid0(VALU_DEP_4) | instskip(SKIP_1) | instid1(VALU_DEP_4)
	v_sub_nc_u16 v2, v81, v2
	v_lshrrev_b32_e32 v81, 24, v3
	v_sub_nc_u16 v233, v17, v3
	v_lshrrev_b16 v3, 8, v3
	s_delay_alu instid0(VALU_DEP_3) | instskip(SKIP_1) | instid1(VALU_DEP_1)
	v_sub_nc_u16 v16, v16, v81
	v_lshrrev_b32_e32 v81, 16, v17
	v_sub_nc_u16 v232, v81, v87
	;; [unrolled: 13-line block ×4, first 2 shown]
	v_lshrrev_b16 v81, 8, v19
	v_lshlrev_b16 v19, 8, v72
	v_and_b32_e32 v72, 0xff, v202
	s_delay_alu instid0(VALU_DEP_3) | instskip(NEXT) | instid1(VALU_DEP_2)
	v_sub_nc_u16 v7, v81, v7
	v_or_b32_e32 v59, v72, v19
	v_and_b32_e32 v19, 0xff, v203
	s_delay_alu instid0(VALU_DEP_1)
	v_or_b32_e32 v60, v19, v5
	v_lshlrev_b16 v5, 8, v21
	v_and_b32_e32 v19, 0xff, v204
	scratch_store_b32 off, v60, off offset:112 ; 4-byte Folded Spill
	v_or_b32_e32 v248, v19, v5
	v_and_b32_e32 v5, 0xff, v205
	s_delay_alu instid0(VALU_DEP_1) | instskip(SKIP_2) | instid1(VALU_DEP_1)
	v_or_b32_e32 v251, v5, v4
	v_lshlrev_b16 v4, 8, v22
	v_and_b32_e32 v5, 0xff, v198
	v_or_b32_e32 v19, v5, v4
	v_and_b32_e32 v4, 0xff, v199
	s_delay_alu instid0(VALU_DEP_1)
	v_or_b32_e32 v21, v4, v1
	v_lshlrev_b16 v1, 8, v23
	v_and_b32_e32 v4, 0xff, v196
	scratch_store_b32 off, v21, off offset:80 ; 4-byte Folded Spill
	v_or_b32_e32 v4, v4, v1
	v_and_b32_e32 v1, 0xff, v197
	s_delay_alu instid0(VALU_DEP_1)
	v_or_b32_e32 v5, v1, v0
	v_lshlrev_b16 v0, 8, v24
	v_and_b32_e32 v1, 0xff, v210
	scratch_store_b32 off, v4, off offset:52 ; 4-byte Folded Spill
	v_or_b32_e32 v255, v1, v0
	v_lshlrev_b16 v0, 8, v8
	v_and_b32_e32 v1, 0xff, v211
	s_delay_alu instid0(VALU_DEP_1) | instskip(SKIP_2) | instid1(VALU_DEP_1)
	v_or_b32_e32 v243, v1, v0
	v_lshlrev_b16 v0, 8, v25
	v_and_b32_e32 v1, 0xff, v212
	v_or_b32_e32 v242, v1, v0
	v_lshlrev_b16 v0, 8, v9
	v_and_b32_e32 v1, 0xff, v213
	s_delay_alu instid0(VALU_DEP_1) | instskip(SKIP_2) | instid1(VALU_DEP_1)
	v_or_b32_e32 v238, v1, v0
	v_lshlrev_b16 v0, 8, v26
	v_and_b32_e32 v1, 0xff, v206
	;; [unrolled: 7-line block ×3, first 2 shown]
	v_or_b32_e32 v8, v1, v0
	v_lshlrev_b16 v0, 8, v11
	v_and_b32_e32 v1, 0xff, v201
	scratch_store_b32 off, v5, off offset:56 ; 4-byte Folded Spill
	v_or_b32_e32 v9, v1, v0
	scratch_store_b32 off, v8, off offset:60 ; 4-byte Folded Spill
	v_lshlrev_b16 v0, 8, v53
	v_and_b32_e32 v1, 0xff, v218
	v_mov_b32_e32 v53, v82
	s_delay_alu instid0(VALU_DEP_2) | instskip(SKIP_2) | instid1(VALU_DEP_1)
	v_or_b32_e32 v234, v1, v0
	v_lshlrev_b16 v0, 8, v12
	v_and_b32_e32 v1, 0xff, v219
	v_or_b32_e32 v231, v1, v0
	v_lshlrev_b16 v0, 8, v66
	v_dual_mov_b32 v66, v229 :: v_dual_and_b32 v1, 0xff, v220
	v_mov_b32_e32 v229, v83
	s_delay_alu instid0(VALU_DEP_2) | instskip(SKIP_2) | instid1(VALU_DEP_1)
	v_or_b32_e32 v87, v1, v0
	v_lshlrev_b16 v0, 8, v13
	v_and_b32_e32 v1, 0xff, v221
	v_or_b32_e32 v81, v1, v0
	v_lshlrev_b16 v0, 8, v68
	v_and_b32_e32 v1, 0xff, v214
	s_delay_alu instid0(VALU_DEP_1)
	v_or_b32_e32 v12, v1, v0
	v_lshlrev_b16 v0, 8, v14
	v_and_b32_e32 v1, 0xff, v215
	scratch_store_b32 off, v23, off offset:96 ; 4-byte Folded Spill
	v_or_b32_e32 v13, v1, v0
	scratch_store_b32 off, v12, off offset:100 ; 4-byte Folded Spill
	v_lshlrev_b16 v0, 8, v70
	v_and_b32_e32 v1, 0xff, v208
	s_clause 0x1
	scratch_store_b32 off, v59, off offset:108
	scratch_store_b32 off, v13, off offset:104
	v_or_b32_e32 v10, v1, v0
	v_lshlrev_b16 v0, 8, v15
	v_and_b32_e32 v1, 0xff, v209
	scratch_store_b32 off, v9, off offset:64 ; 4-byte Folded Spill
	v_or_b32_e32 v11, v1, v0
	scratch_store_b32 off, v10, off offset:68 ; 4-byte Folded Spill
	v_lshlrev_b16 v0, 8, v20
	v_and_b32_e32 v1, 0xff, v226
	s_clause 0x1
	scratch_store_b32 off, v19, off offset:76
	scratch_store_b32 off, v11, off offset:72
	v_or_b32_e32 v94, v1, v0
	v_lshlrev_b16 v0, 8, v2
	v_and_b32_e32 v1, 0xff, v228
	s_delay_alu instid0(VALU_DEP_1) | instskip(SKIP_2) | instid1(VALU_DEP_1)
	v_or_b32_e32 v89, v1, v0
	v_lshlrev_b16 v0, 8, v16
	v_and_b32_e32 v1, 0xff, v232
	v_or_b32_e32 v98, v1, v0
	v_lshlrev_b16 v0, 8, v3
	v_and_b32_e32 v1, 0xff, v233
	s_delay_alu instid0(VALU_DEP_1) | instskip(SKIP_2) | instid1(VALU_DEP_1)
	v_or_b32_e32 v97, v1, v0
	v_lshlrev_b16 v0, 8, v17
	v_and_b32_e32 v1, 0xff, v222
	;; [unrolled: 7-line block ×3, first 2 shown]
	v_or_b32_e32 v2, v1, v0
	v_lshlrev_b16 v0, 8, v7
	v_and_b32_e32 v1, 0xff, v217
	s_delay_alu instid0(VALU_DEP_1)
	v_or_b32_e32 v3, v1, v0
	v_perm_b32 v0, v60, v203, 0xc0c0500
	v_perm_b32 v1, v59, v202, 0x5000c0c
	s_clause 0x2
	scratch_store_b32 off, v2, off offset:84
	scratch_store_b32 off, v22, off offset:92
	;; [unrolled: 1-line block ×3, first 2 shown]
	v_or_b32_e32 v72, v1, v0
	v_perm_b32 v0, v251, v205, 0xc0c0500
	v_perm_b32 v1, v248, v204, 0x5000c0c
	s_delay_alu instid0(VALU_DEP_1) | instskip(SKIP_2) | instid1(VALU_DEP_1)
	v_or_b32_e32 v113, v1, v0
	v_perm_b32 v0, v21, v199, 0xc0c0500
	v_perm_b32 v1, v19, v198, 0x5000c0c
	v_or_b32_e32 v138, v1, v0
	v_perm_b32 v0, v5, v197, 0xc0c0500
	v_perm_b32 v1, v4, v196, 0x5000c0c
	s_delay_alu instid0(VALU_DEP_1) | instskip(SKIP_2) | instid1(VALU_DEP_1)
	v_or_b32_e32 v180, v1, v0
	v_perm_b32 v0, v243, v211, 0xc0c0500
	v_perm_b32 v1, v255, v210, 0x5000c0c
	;; [unrolled: 7-line block ×4, first 2 shown]
	v_or_b32_e32 v96, v1, v0
	v_perm_b32 v0, v81, v221, 0xc0c0500
	v_perm_b32 v1, v87, v220, 0x5000c0c
	;; [unrolled: 1-line block ×4, first 2 shown]
	s_delay_alu instid0(VALU_DEP_3) | instskip(SKIP_2) | instid1(VALU_DEP_1)
	v_or_b32_e32 v101, v1, v0
	v_perm_b32 v0, v13, v215, 0xc0c0500
	v_perm_b32 v1, v12, v214, 0x5000c0c
	v_or_b32_e32 v107, v1, v0
	v_perm_b32 v0, v11, v209, 0xc0c0500
	v_perm_b32 v1, v10, v208, 0x5000c0c
	s_delay_alu instid0(VALU_DEP_1) | instskip(SKIP_4) | instid1(VALU_DEP_3)
	v_or_b32_e32 v109, v1, v0
	v_perm_b32 v0, v89, v228, 0xc0c0500
	v_perm_b32 v1, v94, v226, 0x5000c0c
	;; [unrolled: 1-line block ×4, first 2 shown]
	v_or_b32_e32 v111, v1, v0
	v_perm_b32 v0, v97, v233, 0xc0c0500
	v_perm_b32 v1, v98, v232, 0x5000c0c
	;; [unrolled: 1-line block ×4, first 2 shown]
	s_delay_alu instid0(VALU_DEP_3) | instskip(SKIP_2) | instid1(VALU_DEP_1)
	v_or_b32_e32 v112, v1, v0
	v_perm_b32 v0, v253, v223, 0xc0c0500
	v_perm_b32 v1, v252, v222, 0x5000c0c
	v_or_b32_e32 v114, v1, v0
	v_perm_b32 v0, v3, v217, 0xc0c0500
	v_perm_b32 v1, v2, v216, 0x5000c0c
	s_delay_alu instid0(VALU_DEP_1)
	v_or_b32_e32 v116, v1, v0
	ds_load_b128 v[4:7], v192 offset:1024
	ds_load_b128 v[0:3], v192 offset:1040
	s_waitcnt lgkmcnt(1)
	v_dot4_i32_iu8 v8, v4, v72, 0 neg_lo:[1,1,0]
	v_dot4_i32_iu8 v9, v4, v79, 0 neg_lo:[1,1,0]
	v_dot4_i32_iu8 v10, v4, v96, 0 neg_lo:[1,1,0]
	v_dot4_i32_iu8 v4, v4, v111, 0 neg_lo:[1,1,0]
	s_delay_alu instid0(VALU_DEP_4) | instskip(NEXT) | instid1(VALU_DEP_4)
	v_dot4_i32_iu8 v8, v5, v113, v8 neg_lo:[1,1,0]
	v_dot4_i32_iu8 v9, v5, v82, v9 neg_lo:[1,1,0]
	s_delay_alu instid0(VALU_DEP_4) | instskip(NEXT) | instid1(VALU_DEP_4)
	v_dot4_i32_iu8 v10, v5, v101, v10 neg_lo:[1,1,0]
	v_dot4_i32_iu8 v4, v5, v112, v4 neg_lo:[1,1,0]
	s_delay_alu instid0(VALU_DEP_4) | instskip(NEXT) | instid1(VALU_DEP_4)
	v_dot4_i32_iu8 v5, v6, v138, v8 neg_lo:[1,1,0]
	v_dot4_i32_iu8 v8, v6, v86, v9 neg_lo:[1,1,0]
	s_delay_alu instid0(VALU_DEP_4) | instskip(NEXT) | instid1(VALU_DEP_4)
	v_dot4_i32_iu8 v9, v6, v107, v10 neg_lo:[1,1,0]
	v_dot4_i32_iu8 v4, v6, v114, v4 neg_lo:[1,1,0]
	s_delay_alu instid0(VALU_DEP_4) | instskip(NEXT) | instid1(VALU_DEP_4)
	v_dot4_i32_iu8 v108, v7, v180, v5 neg_lo:[1,1,0]
	v_dot4_i32_iu8 v250, v7, v91, v8 neg_lo:[1,1,0]
	s_delay_alu instid0(VALU_DEP_4) | instskip(NEXT) | instid1(VALU_DEP_4)
	v_dot4_i32_iu8 v241, v7, v109, v9 neg_lo:[1,1,0]
	v_dot4_i32_iu8 v237, v7, v116, v4 neg_lo:[1,1,0]
	ds_load_b128 v[8:11], v192 offset:2048
	ds_load_b128 v[4:7], v192 offset:2064
	s_waitcnt lgkmcnt(1)
	v_dot4_i32_iu8 v12, v8, v72, 0 neg_lo:[1,1,0]
	v_dot4_i32_iu8 v13, v8, v79, 0 neg_lo:[1,1,0]
	v_dot4_i32_iu8 v14, v8, v96, 0 neg_lo:[1,1,0]
	v_dot4_i32_iu8 v8, v8, v111, 0 neg_lo:[1,1,0]
	s_delay_alu instid0(VALU_DEP_4) | instskip(NEXT) | instid1(VALU_DEP_4)
	v_dot4_i32_iu8 v12, v9, v113, v12 neg_lo:[1,1,0]
	v_dot4_i32_iu8 v13, v9, v82, v13 neg_lo:[1,1,0]
	s_delay_alu instid0(VALU_DEP_4) | instskip(NEXT) | instid1(VALU_DEP_4)
	v_dot4_i32_iu8 v14, v9, v101, v14 neg_lo:[1,1,0]
	v_dot4_i32_iu8 v8, v9, v112, v8 neg_lo:[1,1,0]
	s_delay_alu instid0(VALU_DEP_4) | instskip(NEXT) | instid1(VALU_DEP_4)
	v_dot4_i32_iu8 v9, v10, v138, v12 neg_lo:[1,1,0]
	v_dot4_i32_iu8 v12, v10, v86, v13 neg_lo:[1,1,0]
	s_delay_alu instid0(VALU_DEP_4) | instskip(NEXT) | instid1(VALU_DEP_4)
	v_dot4_i32_iu8 v13, v10, v107, v14 neg_lo:[1,1,0]
	v_dot4_i32_iu8 v8, v10, v114, v8 neg_lo:[1,1,0]
	s_delay_alu instid0(VALU_DEP_4) | instskip(NEXT) | instid1(VALU_DEP_4)
	v_dot4_i32_iu8 v95, v11, v180, v9 neg_lo:[1,1,0]
	v_dot4_i32_iu8 v110, v11, v91, v12 neg_lo:[1,1,0]
	s_delay_alu instid0(VALU_DEP_4) | instskip(NEXT) | instid1(VALU_DEP_4)
	v_dot4_i32_iu8 v249, v11, v109, v13 neg_lo:[1,1,0]
	v_dot4_i32_iu8 v239, v11, v116, v8 neg_lo:[1,1,0]
	;; [unrolled: 25-line block ×6, first 2 shown]
	ds_load_b128 v[185:188], v192 offset:7168
	ds_load_b128 v[24:27], v192 offset:7184
	s_waitcnt lgkmcnt(1)
	v_dot4_i32_iu8 v79, v185, v79, 0 neg_lo:[1,1,0]
	v_dot4_i32_iu8 v72, v185, v72, 0 neg_lo:[1,1,0]
	s_delay_alu instid0(VALU_DEP_2) | instskip(SKIP_1) | instid1(VALU_DEP_3)
	v_dot4_i32_iu8 v79, v186, v82, v79 neg_lo:[1,1,0]
	v_dot4_i32_iu8 v82, v185, v96, 0 neg_lo:[1,1,0]
	;; [unrolled: 1-line block ×4, first 2 shown]
	v_ashrrev_i32_e32 v111, s19, v39
	v_dot4_i32_iu8 v79, v187, v86, v79 neg_lo:[1,1,0]
	v_dot4_i32_iu8 v82, v186, v101, v82 neg_lo:[1,1,0]
	;; [unrolled: 1-line block ×4, first 2 shown]
	v_ashrrev_i32_e32 v112, s19, v40
	v_ashrrev_i32_e32 v185, s18, v43
	v_dot4_i32_iu8 v82, v187, v107, v82 neg_lo:[1,1,0]
	v_dot4_i32_iu8 v180, v188, v180, v72 neg_lo:[1,1,0]
	;; [unrolled: 1-line block ×3, first 2 shown]
	v_ashrrev_i32_e32 v79, s19, v31
	v_dot4_i32_iu8 v86, v187, v114, v96 neg_lo:[1,1,0]
	v_dot4_i32_iu8 v138, v188, v109, v82 neg_lo:[1,1,0]
	v_ashrrev_i32_e32 v82, s19, v32
	ds_load_2addr_b32 v[31:32], v183 offset0:4 offset1:5
	v_ashrrev_i32_e32 v91, s19, v34
	v_dot4_i32_iu8 v113, v188, v116, v86 neg_lo:[1,1,0]
	v_ashrrev_i32_e32 v86, s19, v33
	s_waitcnt vmcnt(0)
	v_add_nc_u32_e32 v33, s19, v67
	v_add_nc_u32_e32 v34, 0x4218, v182
	v_ashrrev_i32_e32 v107, s19, v41
	v_ashrrev_i32_e32 v109, s19, v42
	;; [unrolled: 1-line block ×6, first 2 shown]
	s_waitcnt lgkmcnt(0)
	v_ashrrev_i32_e32 v96, s19, v31
	v_ashrrev_i32_e32 v101, s19, v32
	ds_load_2addr_b32 v[31:32], v184 offset0:4 offset1:5
	v_ashrrev_i32_e32 v184, s19, v190
	v_ashrrev_i32_e32 v190, s18, v36
	v_add_nc_u32_e32 v36, 0x4218, v181
	s_waitcnt lgkmcnt(0)
	v_ashrrev_i32_e32 v114, s19, v31
	scratch_load_b32 v31, off, off offset:124 ; 4-byte Folded Reload
	v_ashrrev_i32_e32 v116, s19, v32
	v_add_nc_u32_e32 v32, 0x4210, v182
	s_add_i32 s19, s19, 2
	s_waitcnt vmcnt(0)
	v_add3_u32 v31, v31, s21, v33
	ds_load_u16 v31, v31 offset:34560
	ds_load_2addr_b32 v[39:40], v32 offset1:1
	ds_load_2addr_b32 v[41:42], v34 offset1:1
	scratch_load_b32 v32, off, off offset:116 ; 4-byte Folded Reload
	v_add_nc_u32_e32 v34, 0x4210, v181
	s_waitcnt lgkmcnt(1)
	v_ashrrev_i32_e32 v182, s18, v39
	s_waitcnt lgkmcnt(0)
	v_ashrrev_i32_e32 v186, s18, v42
	v_ashrrev_i32_e32 v40, s18, v40
	;; [unrolled: 1-line block ×3, first 2 shown]
	s_delay_alu instid0(VALU_DEP_2) | instskip(NEXT) | instid1(VALU_DEP_1)
	v_lshlrev_b32_e32 v40, 2, v40
	v_and_b32_e32 v40, 0x4040404, v40
	s_waitcnt vmcnt(0)
	v_add3_u32 v32, v32, s21, v33
	ds_load_u16 v32, v32 offset:36608
	ds_load_2addr_b32 v[34:35], v34 offset1:1
	ds_load_2addr_b32 v[36:37], v36 offset1:1
	s_waitcnt lgkmcnt(1)
	v_ashrrev_i32_e32 v181, s18, v34
	v_lshlrev_b32_e32 v34, 2, v45
	v_ashrrev_i32_e32 v117, s18, v35
	s_waitcnt lgkmcnt(0)
	v_ashrrev_i32_e32 v121, s18, v36
	v_bfe_u32 v35, v79, 24, 2
	v_ashrrev_i32_e32 v122, s18, v37
	v_and_b32_e32 v34, 0x4040404, v34
	v_lshlrev_b32_e32 v181, 2, v181
	v_lshlrev_b32_e32 v117, 2, v117
	;; [unrolled: 1-line block ×4, first 2 shown]
	v_lshrrev_b32_e32 v36, 24, v34
	v_lshrrev_b32_e32 v37, 16, v34
	v_and_b32_e32 v181, 0x4040404, v181
	v_and_b32_e32 v117, 0x4040404, v117
	;; [unrolled: 1-line block ×3, first 2 shown]
	v_sub_nc_u16 v124, v35, v36
	v_and_b32_e32 v35, 0x3030303, v79
	v_lshrrev_b32_e32 v142, 24, v181
	v_lshrrev_b32_e32 v143, 16, v181
	;; [unrolled: 1-line block ×5, first 2 shown]
	v_sub_nc_u16 v39, v35, v34
	v_lshrrev_b16 v34, 8, v34
	v_lshrrev_b32_e32 v146, 24, v121
	v_lshrrev_b32_e32 v147, 16, v121
	v_sub_nc_u16 v38, v36, v37
	v_lshrrev_b16 v36, 8, v35
	v_bfe_u32 v35, v82, 24, 2
	v_and_b32_e32 v122, 0x4040404, v122
	v_lshlrev_b16 v124, 8, v124
	s_add_i32 s18, s18, 1
	v_sub_nc_u16 v79, v36, v34
	v_lshlrev_b32_e32 v34, 2, v46
	v_lshrrev_b32_e32 v148, 24, v122
	v_lshrrev_b32_e32 v149, 16, v122
	s_delay_alu instid0(VALU_DEP_4) | instskip(NEXT) | instid1(VALU_DEP_4)
	v_lshlrev_b16 v79, 8, v79
	v_and_b32_e32 v34, 0x4040404, v34
	s_delay_alu instid0(VALU_DEP_1) | instskip(SKIP_1) | instid1(VALU_DEP_2)
	v_lshrrev_b32_e32 v36, 24, v34
	v_lshrrev_b32_e32 v37, 16, v34
	v_sub_nc_u16 v46, v35, v36
	v_and_b32_e32 v35, 0x3030303, v82
	s_delay_alu instid0(VALU_DEP_2) | instskip(NEXT) | instid1(VALU_DEP_2)
	v_lshlrev_b16 v46, 8, v46
	v_lshrrev_b32_e32 v36, 16, v35
	v_sub_nc_u16 v43, v35, v34
	v_lshrrev_b16 v34, 8, v34
	s_delay_alu instid0(VALU_DEP_3) | instskip(SKIP_2) | instid1(VALU_DEP_2)
	v_sub_nc_u16 v42, v36, v37
	v_lshrrev_b16 v36, 8, v35
	v_bfe_u32 v35, v86, 24, 2
	v_sub_nc_u16 v82, v36, v34
	v_lshlrev_b32_e32 v34, 2, v185
	s_delay_alu instid0(VALU_DEP_2) | instskip(NEXT) | instid1(VALU_DEP_2)
	v_lshlrev_b16 v82, 8, v82
	v_and_b32_e32 v34, 0x4040404, v34
	s_delay_alu instid0(VALU_DEP_1) | instskip(SKIP_1) | instid1(VALU_DEP_2)
	v_lshrrev_b32_e32 v36, 24, v34
	v_lshrrev_b32_e32 v37, 16, v34
	v_sub_nc_u16 v185, v35, v36
	v_and_b32_e32 v35, 0x3030303, v86
	s_delay_alu instid0(VALU_DEP_2) | instskip(NEXT) | instid1(VALU_DEP_2)
	v_lshlrev_b16 v185, 8, v185
	v_lshrrev_b32_e32 v36, 16, v35
	v_lshrrev_b16 v45, 8, v35
	s_delay_alu instid0(VALU_DEP_2) | instskip(SKIP_2) | instid1(VALU_DEP_1)
	v_sub_nc_u16 v36, v36, v37
	v_sub_nc_u16 v37, v35, v34
	v_lshrrev_b16 v34, 8, v34
	v_sub_nc_u16 v86, v45, v34
	v_lshlrev_b32_e32 v34, 2, v44
	s_delay_alu instid0(VALU_DEP_2) | instskip(NEXT) | instid1(VALU_DEP_2)
	v_lshlrev_b16 v86, 8, v86
	v_and_b32_e32 v44, 0x4040404, v34
	v_bfe_u32 v34, v91, 24, 2
	s_delay_alu instid0(VALU_DEP_2) | instskip(SKIP_1) | instid1(VALU_DEP_2)
	v_lshrrev_b32_e32 v35, 24, v44
	v_lshrrev_b32_e32 v45, 16, v44
	v_sub_nc_u16 v125, v34, v35
	v_and_b32_e32 v35, 0x3030303, v91
	s_delay_alu instid0(VALU_DEP_2) | instskip(NEXT) | instid1(VALU_DEP_2)
	v_lshlrev_b16 v125, 8, v125
	v_lshrrev_b32_e32 v34, 16, v35
	s_delay_alu instid0(VALU_DEP_1) | instskip(SKIP_3) | instid1(VALU_DEP_1)
	v_sub_nc_u16 v34, v34, v45
	v_lshrrev_b16 v45, 8, v35
	v_sub_nc_u16 v35, v35, v44
	v_lshrrev_b16 v44, 8, v44
	v_sub_nc_u16 v91, v45, v44
	v_lshlrev_b32_e32 v44, 2, v182
	v_bfe_u32 v45, v96, 24, 2
	s_delay_alu instid0(VALU_DEP_3) | instskip(NEXT) | instid1(VALU_DEP_3)
	v_lshlrev_b16 v91, 8, v91
	v_and_b32_e32 v44, 0x4040404, v44
	s_delay_alu instid0(VALU_DEP_1) | instskip(SKIP_1) | instid1(VALU_DEP_2)
	v_lshrrev_b32_e32 v182, 24, v44
	v_lshrrev_b32_e32 v126, 16, v44
	v_sub_nc_u16 v182, v45, v182
	v_and_b32_e32 v45, 0x3030303, v96
	s_delay_alu instid0(VALU_DEP_2) | instskip(NEXT) | instid1(VALU_DEP_2)
	v_lshlrev_b16 v182, 8, v182
	v_lshrrev_b32_e32 v96, 16, v45
	v_sub_nc_u16 v135, v45, v44
	v_lshrrev_b16 v44, 8, v44
	s_delay_alu instid0(VALU_DEP_3) | instskip(SKIP_2) | instid1(VALU_DEP_2)
	v_sub_nc_u16 v96, v96, v126
	v_lshrrev_b16 v126, 8, v45
	v_lshrrev_b32_e32 v45, 24, v40
	v_sub_nc_u16 v126, v126, v44
	v_bfe_u32 v44, v101, 24, 2
	s_delay_alu instid0(VALU_DEP_2) | instskip(NEXT) | instid1(VALU_DEP_2)
	v_lshlrev_b16 v126, 8, v126
	v_sub_nc_u16 v136, v44, v45
	v_and_b32_e32 v44, 0x3030303, v101
	v_lshrrev_b32_e32 v101, 16, v40
	s_delay_alu instid0(VALU_DEP_3) | instskip(NEXT) | instid1(VALU_DEP_3)
	v_lshlrev_b16 v136, 8, v136
	v_lshrrev_b32_e32 v45, 16, v44
	v_sub_nc_u16 v63, v44, v40
	v_lshrrev_b16 v40, 8, v40
	s_delay_alu instid0(VALU_DEP_3) | instskip(SKIP_1) | instid1(VALU_DEP_1)
	v_sub_nc_u16 v101, v45, v101
	v_lshrrev_b16 v45, 8, v44
	v_sub_nc_u16 v83, v45, v40
	v_lshlrev_b32_e32 v40, 2, v41
	v_bfe_u32 v41, v47, 24, 2
	s_delay_alu instid0(VALU_DEP_3) | instskip(NEXT) | instid1(VALU_DEP_3)
	v_lshlrev_b16 v83, 8, v83
	v_and_b32_e32 v40, 0x4040404, v40
	s_delay_alu instid0(VALU_DEP_1) | instskip(SKIP_1) | instid1(VALU_DEP_2)
	v_lshrrev_b32_e32 v44, 24, v40
	v_lshrrev_b32_e32 v45, 16, v40
	v_sub_nc_u16 v77, v41, v44
	v_and_b32_e32 v41, 0x3030303, v47
	s_delay_alu instid0(VALU_DEP_2) | instskip(NEXT) | instid1(VALU_DEP_2)
	v_lshlrev_b16 v77, 8, v77
	v_lshrrev_b32_e32 v44, 16, v41
	v_lshrrev_b16 v47, 8, v41
	s_delay_alu instid0(VALU_DEP_2) | instskip(SKIP_2) | instid1(VALU_DEP_1)
	v_sub_nc_u16 v44, v44, v45
	v_sub_nc_u16 v45, v41, v40
	v_lshrrev_b16 v40, 8, v40
	v_sub_nc_u16 v47, v47, v40
	v_lshlrev_b32_e32 v40, 2, v186
	s_delay_alu instid0(VALU_DEP_2) | instskip(NEXT) | instid1(VALU_DEP_2)
	v_lshlrev_b16 v47, 8, v47
	v_and_b32_e32 v186, 0x4040404, v40
	v_bfe_u32 v40, v48, 24, 2
	s_delay_alu instid0(VALU_DEP_2) | instskip(NEXT) | instid1(VALU_DEP_1)
	v_lshrrev_b32_e32 v41, 24, v186
	v_sub_nc_u16 v78, v40, v41
	v_and_b32_e32 v41, 0x3030303, v48
	v_lshrrev_b32_e32 v48, 16, v186
	s_delay_alu instid0(VALU_DEP_3) | instskip(NEXT) | instid1(VALU_DEP_3)
	v_lshlrev_b16 v78, 8, v78
	v_lshrrev_b32_e32 v40, 16, v41
	s_delay_alu instid0(VALU_DEP_1) | instskip(SKIP_3) | instid1(VALU_DEP_1)
	v_sub_nc_u16 v40, v40, v48
	v_lshrrev_b16 v48, 8, v41
	v_sub_nc_u16 v41, v41, v186
	v_lshrrev_b16 v186, 8, v186
	v_sub_nc_u16 v48, v48, v186
	v_lshlrev_b32_e32 v186, 2, v187
	v_bfe_u32 v187, v107, 24, 2
	v_and_b32_e32 v107, 0x3030303, v107
	s_delay_alu instid0(VALU_DEP_4) | instskip(NEXT) | instid1(VALU_DEP_4)
	v_lshlrev_b16 v48, 8, v48
	v_and_b32_e32 v186, 0x4040404, v186
	s_delay_alu instid0(VALU_DEP_1) | instskip(SKIP_1) | instid1(VALU_DEP_2)
	v_lshrrev_b32_e32 v30, 24, v186
	v_lshrrev_b32_e32 v130, 16, v186
	v_sub_nc_u16 v30, v187, v30
	v_lshrrev_b32_e32 v187, 16, v107
	s_delay_alu instid0(VALU_DEP_2) | instskip(NEXT) | instid1(VALU_DEP_2)
	v_lshlrev_b16 v30, 8, v30
	v_sub_nc_u16 v130, v187, v130
	v_lshrrev_b16 v187, 8, v107
	v_sub_nc_u16 v107, v107, v186
	v_lshrrev_b16 v186, 8, v186
	s_delay_alu instid0(VALU_DEP_1) | instskip(SKIP_3) | instid1(VALU_DEP_4)
	v_sub_nc_u16 v186, v187, v186
	v_lshlrev_b32_e32 v187, 2, v188
	v_bfe_u32 v188, v109, 24, 2
	v_and_b32_e32 v109, 0x3030303, v109
	v_lshlrev_b16 v186, 8, v186
	s_delay_alu instid0(VALU_DEP_4) | instskip(NEXT) | instid1(VALU_DEP_1)
	v_and_b32_e32 v187, 0x4040404, v187
	v_lshrrev_b32_e32 v131, 24, v187
	v_lshrrev_b32_e32 v132, 16, v187
	s_delay_alu instid0(VALU_DEP_2) | instskip(SKIP_1) | instid1(VALU_DEP_2)
	v_sub_nc_u16 v131, v188, v131
	v_lshrrev_b32_e32 v188, 16, v109
	v_lshlrev_b16 v131, 8, v131
	s_delay_alu instid0(VALU_DEP_2) | instskip(SKIP_3) | instid1(VALU_DEP_1)
	v_sub_nc_u16 v132, v188, v132
	v_lshrrev_b16 v188, 8, v109
	v_sub_nc_u16 v109, v109, v187
	v_lshrrev_b16 v187, 8, v187
	v_sub_nc_u16 v187, v188, v187
	v_lshlrev_b32_e32 v188, 2, v189
	v_bfe_u32 v189, v111, 24, 2
	v_and_b32_e32 v111, 0x3030303, v111
	s_delay_alu instid0(VALU_DEP_4) | instskip(NEXT) | instid1(VALU_DEP_4)
	v_lshlrev_b16 v187, 8, v187
	v_and_b32_e32 v188, 0x4040404, v188
	s_delay_alu instid0(VALU_DEP_1) | instskip(SKIP_1) | instid1(VALU_DEP_2)
	v_lshrrev_b32_e32 v54, 24, v188
	v_lshrrev_b32_e32 v139, 16, v188
	v_sub_nc_u16 v54, v189, v54
	v_lshrrev_b32_e32 v189, 16, v111
	s_delay_alu instid0(VALU_DEP_2) | instskip(NEXT) | instid1(VALU_DEP_2)
	v_lshlrev_b16 v54, 8, v54
	v_sub_nc_u16 v139, v189, v139
	v_lshrrev_b16 v189, 8, v111
	v_sub_nc_u16 v111, v111, v188
	v_lshrrev_b16 v188, 8, v188
	s_delay_alu instid0(VALU_DEP_1) | instskip(SKIP_3) | instid1(VALU_DEP_4)
	v_sub_nc_u16 v188, v189, v188
	v_lshlrev_b32_e32 v189, 2, v190
	v_bfe_u32 v190, v112, 24, 2
	v_and_b32_e32 v112, 0x3030303, v112
	v_lshlrev_b16 v188, 8, v188
	s_delay_alu instid0(VALU_DEP_4) | instskip(NEXT) | instid1(VALU_DEP_1)
	v_and_b32_e32 v189, 0x4040404, v189
	v_lshrrev_b32_e32 v140, 24, v189
	v_lshrrev_b32_e32 v141, 16, v189
	s_delay_alu instid0(VALU_DEP_2) | instskip(SKIP_1) | instid1(VALU_DEP_2)
	v_sub_nc_u16 v140, v190, v140
	v_lshrrev_b32_e32 v190, 16, v112
	v_lshlrev_b16 v140, 8, v140
	s_delay_alu instid0(VALU_DEP_2) | instskip(SKIP_3) | instid1(VALU_DEP_1)
	v_sub_nc_u16 v141, v190, v141
	v_lshrrev_b16 v190, 8, v112
	v_sub_nc_u16 v112, v112, v189
	v_lshrrev_b16 v189, 8, v189
	v_sub_nc_u16 v189, v190, v189
	v_bfe_u32 v190, v114, 24, 2
	v_and_b32_e32 v114, 0x3030303, v114
	s_delay_alu instid0(VALU_DEP_3) | instskip(NEXT) | instid1(VALU_DEP_3)
	v_lshlrev_b16 v189, 8, v189
	v_sub_nc_u16 v142, v190, v142
	s_delay_alu instid0(VALU_DEP_3) | instskip(NEXT) | instid1(VALU_DEP_2)
	v_lshrrev_b32_e32 v190, 16, v114
	v_lshlrev_b16 v142, 8, v142
	s_delay_alu instid0(VALU_DEP_2) | instskip(SKIP_3) | instid1(VALU_DEP_1)
	v_sub_nc_u16 v143, v190, v143
	v_lshrrev_b16 v190, 8, v114
	v_sub_nc_u16 v114, v114, v181
	v_lshrrev_b16 v181, 8, v181
	v_sub_nc_u16 v181, v190, v181
	v_bfe_u32 v190, v116, 24, 2
	v_and_b32_e32 v116, 0x3030303, v116
	s_delay_alu instid0(VALU_DEP_3) | instskip(NEXT) | instid1(VALU_DEP_3)
	v_lshlrev_b16 v181, 8, v181
	v_sub_nc_u16 v144, v190, v144
	s_delay_alu instid0(VALU_DEP_3) | instskip(NEXT) | instid1(VALU_DEP_2)
	;; [unrolled: 14-line block ×4, first 2 shown]
	v_lshrrev_b32_e32 v190, 16, v184
	v_lshlrev_b16 v148, 8, v148
	s_delay_alu instid0(VALU_DEP_2) | instskip(SKIP_3) | instid1(VALU_DEP_1)
	v_sub_nc_u16 v149, v190, v149
	v_lshrrev_b16 v190, 8, v184
	v_sub_nc_u16 v184, v184, v122
	v_lshrrev_b16 v122, 8, v122
	v_sub_nc_u16 v122, v190, v122
	v_and_b32_e32 v190, 0xff, v38
	s_delay_alu instid0(VALU_DEP_2) | instskip(NEXT) | instid1(VALU_DEP_2)
	v_lshlrev_b16 v122, 8, v122
	v_or_b32_e32 v124, v190, v124
	v_and_b32_e32 v190, 0xff, v39
	s_delay_alu instid0(VALU_DEP_2) | instskip(NEXT) | instid1(VALU_DEP_2)
	v_perm_b32 v150, v124, v38, 0x5000c0c
	v_or_b32_e32 v79, v190, v79
	v_and_b32_e32 v190, 0xff, v42
	s_delay_alu instid0(VALU_DEP_1) | instskip(SKIP_1) | instid1(VALU_DEP_2)
	v_or_b32_e32 v46, v190, v46
	v_and_b32_e32 v190, 0xff, v43
	v_perm_b32 v151, v46, v42, 0x5000c0c
	s_delay_alu instid0(VALU_DEP_2) | instskip(SKIP_1) | instid1(VALU_DEP_1)
	v_or_b32_e32 v82, v190, v82
	v_and_b32_e32 v190, 0xff, v36
	v_or_b32_e32 v185, v190, v185
	v_and_b32_e32 v190, 0xff, v37
	s_delay_alu instid0(VALU_DEP_2) | instskip(NEXT) | instid1(VALU_DEP_2)
	v_perm_b32 v152, v185, v36, 0x5000c0c
	v_or_b32_e32 v86, v190, v86
	v_and_b32_e32 v190, 0xff, v34
	s_delay_alu instid0(VALU_DEP_1) | instskip(SKIP_1) | instid1(VALU_DEP_2)
	v_or_b32_e32 v125, v190, v125
	v_and_b32_e32 v190, 0xff, v35
	v_perm_b32 v153, v125, v34, 0x5000c0c
	s_delay_alu instid0(VALU_DEP_2) | instskip(SKIP_1) | instid1(VALU_DEP_1)
	v_or_b32_e32 v91, v190, v91
	v_and_b32_e32 v190, 0xff, v96
	;; [unrolled: 13-line block ×4, first 2 shown]
	v_or_b32_e32 v30, v190, v30
	v_and_b32_e32 v190, 0xff, v107
	s_delay_alu instid0(VALU_DEP_2) | instskip(NEXT) | instid1(VALU_DEP_2)
	v_perm_b32 v191, v30, v130, 0x5000c0c
	v_or_b32_e32 v186, v190, v186
	v_and_b32_e32 v190, 0xff, v132
	v_perm_b32 v30, v107, v30, 0x4010c0c
	s_delay_alu instid0(VALU_DEP_2) | instskip(SKIP_1) | instid1(VALU_DEP_2)
	v_or_b32_e32 v131, v190, v131
	v_and_b32_e32 v190, 0xff, v109
	v_perm_b32 v28, v131, v132, 0x5000c0c
	s_delay_alu instid0(VALU_DEP_2) | instskip(SKIP_1) | instid1(VALU_DEP_1)
	v_or_b32_e32 v187, v190, v187
	v_and_b32_e32 v190, 0xff, v139
	v_or_b32_e32 v54, v190, v54
	v_and_b32_e32 v190, 0xff, v111
	s_delay_alu instid0(VALU_DEP_1) | instskip(SKIP_1) | instid1(VALU_DEP_2)
	v_or_b32_e32 v188, v190, v188
	v_and_b32_e32 v190, 0xff, v141
	v_perm_b32 v29, v188, v111, 0xc0c0500
	s_delay_alu instid0(VALU_DEP_2) | instskip(SKIP_1) | instid1(VALU_DEP_2)
	v_or_b32_e32 v140, v190, v140
	v_and_b32_e32 v190, 0xff, v112
	v_perm_b32 v170, v140, v141, 0x5000c0c
	s_delay_alu instid0(VALU_DEP_2) | instskip(SKIP_1) | instid1(VALU_DEP_1)
	v_or_b32_e32 v189, v190, v189
	v_and_b32_e32 v190, 0xff, v143
	v_or_b32_e32 v142, v190, v142
	v_and_b32_e32 v190, 0xff, v114
	s_delay_alu instid0(VALU_DEP_2) | instskip(NEXT) | instid1(VALU_DEP_2)
	v_perm_b32 v171, v142, v143, 0x5000c0c
	v_or_b32_e32 v181, v190, v181
	v_and_b32_e32 v190, 0xff, v145
	s_delay_alu instid0(VALU_DEP_1) | instskip(SKIP_1) | instid1(VALU_DEP_2)
	v_or_b32_e32 v144, v190, v144
	v_and_b32_e32 v190, 0xff, v116
	v_perm_b32 v172, v144, v145, 0x5000c0c
	s_delay_alu instid0(VALU_DEP_2) | instskip(SKIP_1) | instid1(VALU_DEP_1)
	v_or_b32_e32 v117, v190, v117
	v_and_b32_e32 v190, 0xff, v147
	v_or_b32_e32 v146, v190, v146
	v_and_b32_e32 v190, 0xff, v183
	s_delay_alu instid0(VALU_DEP_2) | instskip(NEXT) | instid1(VALU_DEP_2)
	v_perm_b32 v173, v146, v147, 0x5000c0c
	v_or_b32_e32 v121, v190, v121
	v_and_b32_e32 v190, 0xff, v149
	s_delay_alu instid0(VALU_DEP_1) | instskip(SKIP_1) | instid1(VALU_DEP_2)
	v_or_b32_e32 v148, v190, v148
	v_and_b32_e32 v190, 0xff, v184
	v_perm_b32 v175, v148, v149, 0x5000c0c
	s_delay_alu instid0(VALU_DEP_2) | instskip(SKIP_1) | instid1(VALU_DEP_1)
	v_or_b32_e32 v122, v190, v122
	v_perm_b32 v190, v79, v39, 0xc0c0500
	v_or_b32_e32 v150, v150, v190
	v_perm_b32 v190, v82, v43, 0xc0c0500
	s_delay_alu instid0(VALU_DEP_1) | instskip(SKIP_1) | instid1(VALU_DEP_1)
	v_or_b32_e32 v151, v151, v190
	v_perm_b32 v190, v86, v37, 0xc0c0500
	v_or_b32_e32 v152, v152, v190
	v_perm_b32 v190, v91, v35, 0xc0c0500
	s_delay_alu instid0(VALU_DEP_1) | instskip(SKIP_1) | instid1(VALU_DEP_1)
	v_or_b32_e32 v153, v153, v190
	v_perm_b32 v190, v126, v135, 0xc0c0500
	v_or_b32_e32 v154, v154, v190
	v_perm_b32 v190, v83, v63, 0xc0c0500
	s_delay_alu instid0(VALU_DEP_2) | instskip(NEXT) | instid1(VALU_DEP_2)
	v_dot4_i32_iu8 v176, v0, v154, 0 neg_lo:[1,1,0]
	v_or_b32_e32 v155, v155, v190
	v_perm_b32 v190, v47, v45, 0xc0c0500
	s_delay_alu instid0(VALU_DEP_2) | instskip(NEXT) | instid1(VALU_DEP_2)
	v_dot4_i32_iu8 v176, v1, v155, v176 neg_lo:[1,1,0]
	;; [unrolled: 4-line block ×8, first 2 shown]
	v_or_b32_e32 v171, v171, v191
	v_perm_b32 v191, v117, v116, 0xc0c0500
	s_delay_alu instid0(VALU_DEP_1) | instskip(SKIP_1) | instid1(VALU_DEP_1)
	v_or_b32_e32 v172, v172, v191
	v_perm_b32 v191, v121, v183, 0xc0c0500
	v_or_b32_e32 v173, v173, v191
	v_perm_b32 v191, v122, v184, 0xc0c0500
	s_delay_alu instid0(VALU_DEP_1) | instskip(SKIP_2) | instid1(VALU_DEP_2)
	v_or_b32_e32 v175, v175, v191
	v_dot4_i32_iu8 v191, v0, v150, 0 neg_lo:[1,1,0]
	v_dot4_i32_iu8 v0, v0, v171, 0 neg_lo:[1,1,0]
	;; [unrolled: 1-line block ×3, first 2 shown]
	s_delay_alu instid0(VALU_DEP_2) | instskip(NEXT) | instid1(VALU_DEP_2)
	v_dot4_i32_iu8 v0, v1, v172, v0 neg_lo:[1,1,0]
	v_dot4_i32_iu8 v1, v2, v152, v191 neg_lo:[1,1,0]
	s_delay_alu instid0(VALU_DEP_2) | instskip(SKIP_1) | instid1(VALU_DEP_3)
	v_dot4_i32_iu8 v0, v2, v173, v0 neg_lo:[1,1,0]
	v_dot4_i32_iu8 v2, v4, v190, 0 neg_lo:[1,1,0]
	;; [unrolled: 1-line block ×3, first 2 shown]
	s_delay_alu instid0(VALU_DEP_3) | instskip(SKIP_4) | instid1(VALU_DEP_4)
	v_dot4_i32_iu8 v178, v3, v175, v0 neg_lo:[1,1,0]
	v_dot4_i32_iu8 v0, v4, v150, 0 neg_lo:[1,1,0]
	v_dot4_i32_iu8 v1, v4, v154, 0 neg_lo:[1,1,0]
	v_dot4_i32_iu8 v3, v4, v171, 0 neg_lo:[1,1,0]
	v_dot4_i32_iu8 v2, v5, v28, v2 neg_lo:[1,1,0]
	v_dot4_i32_iu8 v0, v5, v151, v0 neg_lo:[1,1,0]
	s_delay_alu instid0(VALU_DEP_4) | instskip(NEXT) | instid1(VALU_DEP_4)
	v_dot4_i32_iu8 v1, v5, v155, v1 neg_lo:[1,1,0]
	v_dot4_i32_iu8 v3, v5, v172, v3 neg_lo:[1,1,0]
	s_delay_alu instid0(VALU_DEP_4) | instskip(NEXT) | instid1(VALU_DEP_4)
	v_dot4_i32_iu8 v2, v6, v29, v2 neg_lo:[1,1,0]
	v_dot4_i32_iu8 v0, v6, v152, v0 neg_lo:[1,1,0]
	;; [unrolled: 3-line block ×3, first 2 shown]
	s_delay_alu instid0(VALU_DEP_4)
	v_dot4_i32_iu8 v158, v7, v170, v2 neg_lo:[1,1,0]
	v_dot4_i32_iu8 v2, v8, v190, 0 neg_lo:[1,1,0]
	v_dot4_i32_iu8 v156, v7, v153, v0 neg_lo:[1,1,0]
	v_dot4_i32_iu8 v157, v7, v174, v1 neg_lo:[1,1,0]
	v_dot4_i32_iu8 v159, v7, v175, v3 neg_lo:[1,1,0]
	v_dot4_i32_iu8 v0, v8, v150, 0 neg_lo:[1,1,0]
	v_dot4_i32_iu8 v1, v8, v154, 0 neg_lo:[1,1,0]
	v_dot4_i32_iu8 v3, v8, v171, 0 neg_lo:[1,1,0]
	v_dot4_i32_iu8 v2, v9, v28, v2 neg_lo:[1,1,0]
	s_delay_alu instid0(VALU_DEP_4) | instskip(NEXT) | instid1(VALU_DEP_4)
	v_dot4_i32_iu8 v0, v9, v151, v0 neg_lo:[1,1,0]
	v_dot4_i32_iu8 v1, v9, v155, v1 neg_lo:[1,1,0]
	s_delay_alu instid0(VALU_DEP_4) | instskip(NEXT) | instid1(VALU_DEP_4)
	v_dot4_i32_iu8 v3, v9, v172, v3 neg_lo:[1,1,0]
	v_dot4_i32_iu8 v2, v10, v29, v2 neg_lo:[1,1,0]
	s_delay_alu instid0(VALU_DEP_4) | instskip(NEXT) | instid1(VALU_DEP_4)
	v_dot4_i32_iu8 v0, v10, v152, v0 neg_lo:[1,1,0]
	v_dot4_i32_iu8 v1, v10, v169, v1 neg_lo:[1,1,0]
	s_delay_alu instid0(VALU_DEP_4) | instskip(NEXT) | instid1(VALU_DEP_4)
	v_dot4_i32_iu8 v3, v10, v173, v3 neg_lo:[1,1,0]
	v_dot4_i32_iu8 v161, v11, v170, v2 neg_lo:[1,1,0]
	v_dot4_i32_iu8 v2, v12, v190, 0 neg_lo:[1,1,0]
	v_dot4_i32_iu8 v8, v11, v153, v0 neg_lo:[1,1,0]
	v_dot4_i32_iu8 v160, v11, v174, v1 neg_lo:[1,1,0]
	v_dot4_i32_iu8 v162, v11, v175, v3 neg_lo:[1,1,0]
	v_dot4_i32_iu8 v0, v12, v150, 0 neg_lo:[1,1,0]
	v_dot4_i32_iu8 v1, v12, v154, 0 neg_lo:[1,1,0]
	v_dot4_i32_iu8 v3, v12, v171, 0 neg_lo:[1,1,0]
	v_dot4_i32_iu8 v2, v13, v28, v2 neg_lo:[1,1,0]
	s_delay_alu instid0(VALU_DEP_4) | instskip(NEXT) | instid1(VALU_DEP_4)
	v_dot4_i32_iu8 v0, v13, v151, v0 neg_lo:[1,1,0]
	v_dot4_i32_iu8 v1, v13, v155, v1 neg_lo:[1,1,0]
	s_delay_alu instid0(VALU_DEP_4) | instskip(NEXT) | instid1(VALU_DEP_4)
	v_dot4_i32_iu8 v3, v13, v172, v3 neg_lo:[1,1,0]
	v_dot4_i32_iu8 v2, v14, v29, v2 neg_lo:[1,1,0]
	s_delay_alu instid0(VALU_DEP_4) | instskip(NEXT) | instid1(VALU_DEP_4)
	v_dot4_i32_iu8 v0, v14, v152, v0 neg_lo:[1,1,0]
	v_dot4_i32_iu8 v1, v14, v169, v1 neg_lo:[1,1,0]
	s_delay_alu instid0(VALU_DEP_4) | instskip(NEXT) | instid1(VALU_DEP_4)
	v_dot4_i32_iu8 v3, v14, v173, v3 neg_lo:[1,1,0]
	;; [unrolled: 20-line block ×4, first 2 shown]
	v_dot4_i32_iu8 v168, v23, v170, v2 neg_lo:[1,1,0]
	v_dot4_i32_iu8 v2, v24, v190, 0 neg_lo:[1,1,0]
	;; [unrolled: 1-line block ×9, first 2 shown]
	v_perm_b32 v22, v210, v243, 0xc0c0401
	v_dot4_i32_iu8 v0, v25, v151, v0 neg_lo:[1,1,0]
	v_dot4_i32_iu8 v1, v25, v155, v1 neg_lo:[1,1,0]
	;; [unrolled: 1-line block ×4, first 2 shown]
	v_perm_b32 v23, v211, v255, 0x4010c0c
	v_dot4_i32_iu8 v0, v26, v152, v0 neg_lo:[1,1,0]
	v_dot4_i32_iu8 v1, v26, v169, v1 neg_lo:[1,1,0]
	;; [unrolled: 1-line block ×4, first 2 shown]
	v_perm_b32 v24, v212, v238, 0xc0c0401
	v_dot4_i32_iu8 v12, v27, v153, v0 neg_lo:[1,1,0]
	v_dot4_i32_iu8 v18, v27, v174, v1 neg_lo:[1,1,0]
	;; [unrolled: 1-line block ×3, first 2 shown]
	ds_load_b128 v[0:3], v192
	ds_load_b128 v[4:7], v192 offset:16
	s_clause 0x1
	scratch_load_b32 v15, off, off
	scratch_load_b32 v19, off, off offset:4
	v_perm_b32 v25, v213, v242, 0x4010c0c
	v_perm_b32 v27, v218, v231, 0xc0c0401
	v_add_nc_u32_e32 v192, 32, v192
	s_waitcnt lgkmcnt(1)
	v_perm_b32 v13, v0, v0, 0x30201
	v_perm_b32 v14, v1, v1, 0x30201
	s_clause 0x1
	scratch_load_b32 v0, off, off offset:128
	scratch_load_b32 v1, off, off offset:120
	s_waitcnt lgkmcnt(0)
	v_perm_b32 v4, v4, v4, 0x30201
	v_perm_b32 v5, v5, v5, 0x30201
	v_perm_b32 v2, v2, v2, 0x30201
	v_perm_b32 v6, v6, v6, 0x30201
	v_perm_b32 v3, v3, v3, 0x30201
	v_perm_b32 v7, v7, v7, 0x30201
	s_waitcnt vmcnt(3)
	v_add_nc_u32_e32 v15, s20, v15
	s_waitcnt vmcnt(2)
	v_add_nc_u32_e32 v19, s20, v19
	s_add_i32 s20, s1, s19
	s_delay_alu instid0(SALU_CYCLE_1)
	s_cmp_lt_u32 s20, s15
	ds_load_b32 v15, v15
	s_waitcnt vmcnt(1)
	v_add3_u32 v0, v0, s21, v33
	s_waitcnt vmcnt(0)
	v_add3_u32 v1, v1, s21, v33
	ds_load_b32 v19, v19
	ds_load_u16 v20, v0 offset:33536
	ds_load_u16 v21, v1 offset:35584
	ds_load_2addr_b32 v[0:1], v247 offset1:32
	v_perm_b32 v33, v219, v234, 0x4010c0c
	s_waitcnt lgkmcnt(0)
	v_mul_f32_e32 v29, v0, v194
	v_mul_f32_e32 v150, v0, v15
	v_mul_f32_e32 v151, v0, v195
	v_dual_mul_f32 v152, v0, v19 :: v_dual_mul_f32 v153, v194, v1
	v_mul_f32_e32 v154, v15, v1
	v_mul_f32_e32 v155, v195, v1
	v_mul_f32_e32 v169, v19, v1
	ds_load_2addr_b32 v[0:1], v247 offset0:64 offset1:96
	s_waitcnt lgkmcnt(0)
	v_mul_f32_e32 v170, v194, v0
	v_mul_f32_e32 v171, v15, v0
	v_mul_f32_e32 v172, v195, v0
	v_dual_mul_f32 v173, v19, v0 :: v_dual_mul_f32 v174, v194, v1
	v_mul_f32_e32 v175, v15, v1
	v_mul_f32_e32 v190, v195, v1
	v_mul_f32_e32 v50, v19, v1
	ds_load_2addr_b32 v[0:1], v247 offset0:128 offset1:160
	;; [unrolled: 9-line block ×3, first 2 shown]
	v_add_nc_u32_e32 v247, 4, v247
	s_waitcnt lgkmcnt(0)
	v_mul_f32_e32 v61, v194, v0
	v_mul_f32_e32 v194, v194, v1
	;; [unrolled: 1-line block ×8, first 2 shown]
	s_clause 0x1
	scratch_load_b32 v0, off, off offset:112
	scratch_load_b32 v1, off, off offset:108
	v_perm_b32 v15, v204, v251, 0xc0c0401
	v_perm_b32 v19, v205, v248, 0x4010c0c
	s_waitcnt vmcnt(1)
	v_perm_b32 v0, v202, v0, 0xc0c0401
	s_waitcnt vmcnt(0)
	v_perm_b32 v1, v203, v1, 0x4010c0c
	s_delay_alu instid0(VALU_DEP_1)
	v_or_b32_e32 v0, v1, v0
	v_or_b32_e32 v1, v19, v15
	;; [unrolled: 1-line block ×8, first 2 shown]
	v_dot4_i32_iu8 v0, v0, v13, 0 neg_lo:[1,1,0]
	v_dot4_i32_iu8 v15, v15, v13, 0 neg_lo:[1,1,0]
	;; [unrolled: 1-line block ×4, first 2 shown]
	v_perm_b32 v24, v96, v126, 0xc0c0401
	v_dot4_i32_iu8 v0, v1, v14, v0 neg_lo:[1,1,0]
	v_dot4_i32_iu8 v1, v19, v14, v15 neg_lo:[1,1,0]
	v_dot4_i32_iu8 v15, v23, v14, v22 neg_lo:[1,1,0]
	v_dot4_i32_iu8 v13, v25, v14, v13 neg_lo:[1,1,0]
	v_perm_b32 v14, v38, v79, 0xc0c0401
	v_perm_b32 v19, v39, v124, 0x4010c0c
	;; [unrolled: 1-line block ×14, first 2 shown]
	v_or_b32_e32 v14, v19, v14
	v_or_b32_e32 v19, v23, v22
	;; [unrolled: 1-line block ×8, first 2 shown]
	v_dot4_i32_iu8 v14, v14, v4, 0 neg_lo:[1,1,0]
	v_dot4_i32_iu8 v22, v22, v4, 0 neg_lo:[1,1,0]
	;; [unrolled: 1-line block ×4, first 2 shown]
	scratch_load_b32 v27, off, off offset:104 ; 4-byte Folded Reload
	v_dot4_i32_iu8 v14, v19, v5, v14 neg_lo:[1,1,0]
	v_dot4_i32_iu8 v19, v23, v5, v22 neg_lo:[1,1,0]
	;; [unrolled: 1-line block ×4, first 2 shown]
	s_clause 0x4
	scratch_load_b32 v30, off, off offset:100
	scratch_load_b32 v5, off, off offset:80
	;; [unrolled: 1-line block ×5, first 2 shown]
	v_perm_b32 v33, v222, v253, 0xc0c0401
	v_perm_b32 v38, v223, v252, 0x4010c0c
	v_mov_b32_e32 v89, v90
	scratch_load_b32 v90, off, off offset:48 ; 4-byte Folded Reload
	v_mov_b32_e32 v87, v134
	v_mov_b32_e32 v83, v229
	v_dual_mov_b32 v82, v53 :: v_dual_mov_b32 v81, v230
	v_mov_b32_e32 v229, v66
	s_waitcnt vmcnt(6)
	v_perm_b32 v27, v214, v27, 0xc0c0401
	s_waitcnt vmcnt(5)
	v_perm_b32 v30, v215, v30, 0x4010c0c
	;; [unrolled: 2-line block ×6, first 2 shown]
	s_delay_alu instid0(VALU_DEP_2) | instskip(NEXT) | instid1(VALU_DEP_2)
	v_or_b32_e32 v5, v23, v5
	v_or_b32_e32 v23, v25, v24
	;; [unrolled: 1-line block ×4, first 2 shown]
	v_perm_b32 v27, v111, v54, 0x4010c0c
	v_dot4_i32_iu8 v0, v5, v2, v0 neg_lo:[1,1,0]
	v_dot4_i32_iu8 v1, v23, v2, v1 neg_lo:[1,1,0]
	;; [unrolled: 1-line block ×4, first 2 shown]
	v_perm_b32 v13, v36, v86, 0xc0c0401
	v_perm_b32 v15, v37, v185, 0x4010c0c
	;; [unrolled: 1-line block ×7, first 2 shown]
	v_or_b32_e32 v13, v15, v13
	v_or_b32_e32 v15, v24, v23
	;; [unrolled: 1-line block ×3, first 2 shown]
	scratch_load_b32 v25, off, off offset:68 ; 4-byte Folded Reload
	v_or_b32_e32 v24, v33, v30
	v_dot4_i32_iu8 v13, v13, v6, v14 neg_lo:[1,1,0]
	v_dot4_i32_iu8 v14, v15, v6, v19 neg_lo:[1,1,0]
	;; [unrolled: 1-line block ×3, first 2 shown]
	scratch_load_b32 v22, off, off offset:64 ; 4-byte Folded Reload
	v_dot4_i32_iu8 v4, v24, v6, v4 neg_lo:[1,1,0]
	s_clause 0x5
	scratch_load_b32 v6, off, off offset:56
	scratch_load_b32 v23, off, off offset:60
	;; [unrolled: 1-line block ×6, first 2 shown]
	v_bfe_i32 v37, v32, 0, 8
	v_mov_b32_e32 v54, v84
	v_mov_b32_e32 v86, v88
	;; [unrolled: 1-line block ×3, first 2 shown]
	v_dual_mov_b32 v84, v235 :: v_dual_mov_b32 v77, v225
	s_waitcnt vmcnt(7)
	v_perm_b32 v25, v209, v25, 0x4010c0c
	s_waitcnt vmcnt(6)
	v_perm_b32 v22, v200, v22, 0xc0c0401
	;; [unrolled: 2-line block ×8, first 2 shown]
	v_or_b32_e32 v6, v19, v6
	v_or_b32_e32 v19, v23, v22
	;; [unrolled: 1-line block ×3, first 2 shown]
	s_delay_alu instid0(VALU_DEP_4)
	v_or_b32_e32 v23, v30, v27
	v_perm_b32 v24, v149, v122, 0xc0c0401
	v_dot4_i32_iu8 v0, v6, v3, v0 neg_lo:[1,1,0]
	v_dot4_i32_iu8 v19, v19, v3, v1 neg_lo:[1,1,0]
	;; [unrolled: 1-line block ×4, first 2 shown]
	v_perm_b32 v1, v34, v91, 0xc0c0401
	v_perm_b32 v2, v35, v125, 0x4010c0c
	;; [unrolled: 1-line block ×6, first 2 shown]
	v_or_b32_e32 v1, v2, v1
	v_perm_b32 v25, v184, v148, 0x4010c0c
	v_or_b32_e32 v2, v5, v3
	v_mov_b32_e32 v78, v227
	v_or_b32_e32 v3, v23, v6
	v_dot4_i32_iu8 v6, v1, v7, v13 neg_lo:[1,1,0]
	v_lshrrev_b16 v1, 8, v20
	v_dot4_i32_iu8 v13, v2, v7, v14 neg_lo:[1,1,0]
	v_bfe_i32 v14, v20, 0, 8
	v_dot4_i32_iu8 v23, v3, v7, v15 neg_lo:[1,1,0]
	v_or_b32_e32 v5, v25, v24
	v_bfe_i32 v15, v1, 0, 8
	v_bfe_i32 v20, v31, 0, 8
	v_mul_lo_u32 v0, v0, v14
	v_bfe_i32 v25, v21, 0, 8
	v_dot4_i32_iu8 v30, v5, v7, v4 neg_lo:[1,1,0]
	s_delay_alu instid0(VALU_DEP_3) | instskip(SKIP_1) | instid1(VALU_DEP_1)
	v_mad_u64_u32 v[1:2], null, v6, v15, v[0:1]
	v_mul_lo_u32 v0, v108, v14
	v_mad_u64_u32 v[2:3], null, v191, v15, v[0:1]
	v_mul_lo_u32 v0, v95, v14
	s_delay_alu instid0(VALU_DEP_1) | instskip(SKIP_1) | instid1(VALU_DEP_1)
	v_mad_u64_u32 v[3:4], null, v156, v15, v[0:1]
	v_mul_lo_u32 v0, v104, v14
	v_mad_u64_u32 v[4:5], null, v8, v15, v[0:1]
	v_mul_lo_u32 v0, v133, v14
	s_delay_alu instid0(VALU_DEP_1) | instskip(SKIP_1) | instid1(VALU_DEP_1)
	;; [unrolled: 5-line block ×3, first 2 shown]
	v_mad_u64_u32 v[7:8], null, v11, v15, v[0:1]
	v_mul_lo_u32 v0, v180, v14
	v_mad_u64_u32 v[8:9], null, v12, v15, v[0:1]
	v_lshrrev_b16 v0, 8, v31
	s_delay_alu instid0(VALU_DEP_1) | instskip(SKIP_1) | instid1(VALU_DEP_1)
	v_bfe_i32 v24, v0, 0, 8
	v_mul_lo_u32 v0, v19, v20
	v_mad_u64_u32 v[9:10], null, v13, v24, v[0:1]
	v_mul_lo_u32 v0, v250, v20
	s_delay_alu instid0(VALU_DEP_1) | instskip(SKIP_1) | instid1(VALU_DEP_1)
	v_mad_u64_u32 v[10:11], null, v176, v24, v[0:1]
	v_mul_lo_u32 v0, v110, v20
	v_mad_u64_u32 v[11:12], null, v157, v24, v[0:1]
	v_mul_lo_u32 v0, v93, v20
	s_delay_alu instid0(VALU_DEP_1) | instskip(SKIP_1) | instid1(VALU_DEP_1)
	v_mad_u64_u32 v[12:13], null, v160, v24, v[0:1]
	;; [unrolled: 5-line block ×3, first 2 shown]
	v_mul_lo_u32 v0, v68, v20
	v_mad_u64_u32 v[15:16], null, v17, v24, v[0:1]
	v_mul_lo_u32 v0, v72, v20
	v_mov_b32_e32 v72, v245
	s_delay_alu instid0(VALU_DEP_2) | instskip(SKIP_1) | instid1(VALU_DEP_1)
	v_mad_u64_u32 v[16:17], null, v18, v24, v[0:1]
	v_lshrrev_b16 v0, 8, v21
	v_bfe_i32 v31, v0, 0, 8
	v_mul_lo_u32 v0, v22, v25
	s_delay_alu instid0(VALU_DEP_1) | instskip(SKIP_1) | instid1(VALU_DEP_1)
	v_mad_u64_u32 v[17:18], null, v23, v31, v[0:1]
	v_mul_lo_u32 v0, v241, v25
	v_mad_u64_u32 v[18:19], null, v177, v31, v[0:1]
	v_mul_lo_u32 v0, v249, v25
	s_delay_alu instid0(VALU_DEP_1) | instskip(SKIP_1) | instid1(VALU_DEP_1)
	v_mad_u64_u32 v[19:20], null, v158, v31, v[0:1]
	v_mul_lo_u32 v0, v118, v25
	v_mad_u64_u32 v[20:21], null, v161, v31, v[0:1]
	v_mul_lo_u32 v0, v99, v25
	s_delay_alu instid0(VALU_DEP_1) | instskip(SKIP_1) | instid1(VALU_DEP_1)
	v_mad_u64_u32 v[21:22], null, v164, v31, v[0:1]
	v_mul_lo_u32 v0, v102, v25
	v_mad_u64_u32 v[22:23], null, v166, v31, v[0:1]
	v_mul_lo_u32 v0, v127, v25
	s_delay_alu instid0(VALU_DEP_1) | instskip(SKIP_1) | instid1(VALU_DEP_1)
	v_mad_u64_u32 v[23:24], null, v168, v31, v[0:1]
	v_mul_lo_u32 v0, v138, v25
	v_mad_u64_u32 v[24:25], null, v26, v31, v[0:1]
	v_lshrrev_b16 v0, 8, v32
	s_delay_alu instid0(VALU_DEP_1) | instskip(SKIP_1) | instid1(VALU_DEP_1)
	v_bfe_i32 v38, v0, 0, 8
	v_mul_lo_u32 v0, v27, v37
	v_mad_u64_u32 v[25:26], null, v30, v38, v[0:1]
	v_mul_lo_u32 v0, v237, v37
	v_mov_b32_e32 v30, v74
	v_mov_b32_e32 v74, v240
	s_delay_alu instid0(VALU_DEP_3) | instskip(SKIP_1) | instid1(VALU_DEP_1)
	v_mad_u64_u32 v[26:27], null, v178, v38, v[0:1]
	v_mul_lo_u32 v0, v239, v37
	v_mad_u64_u32 v[31:32], null, v159, v38, v[0:1]
	v_mul_lo_u32 v0, v246, v37
	s_delay_alu instid0(VALU_DEP_1) | instskip(SKIP_1) | instid1(VALU_DEP_1)
	v_mad_u64_u32 v[32:33], null, v162, v38, v[0:1]
	v_mul_lo_u32 v0, v254, v37
	v_mad_u64_u32 v[33:34], null, v165, v38, v[0:1]
	v_mul_lo_u32 v0, v106, v37
	s_delay_alu instid0(VALU_DEP_1) | instskip(SKIP_1) | instid1(VALU_DEP_1)
	v_mad_u64_u32 v[34:35], null, v167, v38, v[0:1]
	v_mul_lo_u32 v0, v100, v37
	v_mad_u64_u32 v[35:36], null, v49, v38, v[0:1]
	v_mul_lo_u32 v0, v113, v37
	v_mov_b32_e32 v49, v75
	s_delay_alu instid0(VALU_DEP_2) | instskip(SKIP_2) | instid1(VALU_DEP_2)
	v_mad_u64_u32 v[36:37], null, v28, v38, v[0:1]
	v_cvt_f32_i32_e32 v0, v1
	v_dual_mov_b32 v28, v71 :: v_dual_mov_b32 v71, v244
	v_fmac_f32_e32 v54, v29, v0
	v_cvt_f32_i32_e32 v0, v9
	v_mov_b32_e32 v29, v73
	v_mov_b32_e32 v73, v236
	s_delay_alu instid0(VALU_DEP_3) | instskip(SKIP_1) | instid1(VALU_DEP_1)
	v_fmac_f32_e32 v71, v150, v0
	v_cvt_f32_i32_e32 v0, v17
	v_fmac_f32_e32 v89, v151, v0
	v_cvt_f32_i32_e32 v0, v25
	s_delay_alu instid0(VALU_DEP_1) | instskip(SKIP_1) | instid1(VALU_DEP_1)
	v_fmac_f32_e32 v74, v152, v0
	v_cvt_f32_i32_e32 v0, v2
	v_fmac_f32_e32 v88, v153, v0
	v_cvt_f32_i32_e32 v0, v10
	s_delay_alu instid0(VALU_DEP_1) | instskip(SKIP_1) | instid1(VALU_DEP_1)
	;; [unrolled: 5-line block ×6, first 2 shown]
	v_fmac_f32_e32 v78, v175, v0
	v_cvt_f32_i32_e32 v0, v20
	v_fmac_f32_e32 v77, v190, v0
	v_cvt_f32_i32_e32 v0, v32
	s_delay_alu instid0(VALU_DEP_1)
	v_fmac_f32_e32 v224, v50, v0
	v_cvt_f32_i32_e32 v0, v5
	v_mov_b32_e32 v50, v76
	scratch_load_b32 v76, off, off offset:36 ; 4-byte Folded Reload
	v_fmac_f32_e32 v193, v51, v0
	v_cvt_f32_i32_e32 v0, v13
	v_mov_b32_e32 v51, v80
	scratch_load_b32 v80, off, off offset:40 ; 4-byte Folded Reload
	v_fmac_f32_e32 v137, v52, v0
	v_cvt_f32_i32_e32 v0, v21
	v_mov_b32_e32 v52, v85
	scratch_load_b32 v85, off, off offset:44 ; 4-byte Folded Reload
	v_fmac_f32_e32 v72, v55, v0
	v_cvt_f32_i32_e32 v0, v33
	s_delay_alu instid0(VALU_DEP_1) | instskip(SKIP_1) | instid1(VALU_DEP_1)
	v_fmac_f32_e32 v128, v56, v0
	v_cvt_f32_i32_e32 v0, v6
	v_fmac_f32_e32 v123, v57, v0
	v_cvt_f32_i32_e32 v0, v14
	s_delay_alu instid0(VALU_DEP_1) | instskip(SKIP_1) | instid1(VALU_DEP_1)
	v_fmac_f32_e32 v120, v58, v0
	v_cvt_f32_i32_e32 v0, v22
	v_fmac_f32_e32 v119, v59, v0
	v_cvt_f32_i32_e32 v0, v34
	scratch_load_b32 v59, off, off offset:12 ; 4-byte Folded Reload
	v_fmac_f32_e32 v115, v60, v0
	scratch_load_b32 v60, off, off offset:16 ; 4-byte Folded Reload
	v_cvt_f32_i32_e32 v0, v7
	s_delay_alu instid0(VALU_DEP_1) | instskip(SKIP_2) | instid1(VALU_DEP_1)
	v_fmac_f32_e32 v105, v61, v0
	scratch_load_b32 v61, off, off offset:20 ; 4-byte Folded Reload
	v_cvt_f32_i32_e32 v0, v15
	v_fmac_f32_e32 v52, v62, v0
	scratch_load_b32 v62, off, off offset:24 ; 4-byte Folded Reload
	v_cvt_f32_i32_e32 v0, v23
	s_delay_alu instid0(VALU_DEP_1) | instskip(SKIP_1) | instid1(VALU_DEP_1)
	v_fmac_f32_e32 v51, v65, v0
	v_cvt_f32_i32_e32 v0, v35
	v_fmac_f32_e32 v50, v67, v0
	v_cvt_f32_i32_e32 v0, v8
	s_delay_alu instid0(VALU_DEP_1) | instskip(SKIP_1) | instid1(VALU_DEP_1)
	v_fmac_f32_e32 v49, v194, v0
	v_cvt_f32_i32_e32 v0, v16
	v_fmac_f32_e32 v30, v64, v0
	scratch_load_b32 v64, off, off offset:28 ; 4-byte Folded Reload
	v_cvt_f32_i32_e32 v0, v24
	s_delay_alu instid0(VALU_DEP_1) | instskip(SKIP_1) | instid1(VALU_DEP_1)
	v_fmac_f32_e32 v29, v195, v0
	v_cvt_f32_i32_e32 v0, v36
	v_fmac_f32_e32 v28, v69, v0
	s_clause 0x1
	scratch_load_b32 v69, off, off offset:32
	scratch_load_b32 v67, off, off offset:8
	s_cbranch_scc1 .LBB129_10
; %bb.11:                               ;   in Loop: Header=BB129_8 Depth=2
	scratch_load_b32 v0, off, off offset:152 ; 4-byte Folded Reload
	s_waitcnt vmcnt(0)
	s_waitcnt_vscnt null, 0x0
	s_barrier
	buffer_gl0_inv
	s_add_i32 s14, s14, 2
	s_mov_b32 s17, 4
	s_lshl_b32 s18, s14, 3
	scratch_load_b64 v[19:20], off, off offset:156 ; 8-byte Folded Reload
	v_lshl_add_u32 v0, s16, 5, v0
	s_delay_alu instid0(VALU_DEP_1) | instskip(NEXT) | instid1(VALU_DEP_1)
	v_lshrrev_b32_e32 v0, 3, v0
	v_add_nc_u32_e32 v12, s0, v0
	scratch_load_b32 v0, off, off offset:148 ; 4-byte Folded Reload
	s_waitcnt vmcnt(0)
	v_lshl_add_u32 v13, s16, 2, v0
	scratch_load_b32 v0, off, off offset:168 ; 4-byte Folded Reload
	s_mov_b32 s16, 0
	s_waitcnt vmcnt(0)
	v_add_nc_u32_e32 v2, v12, v0
	scratch_load_b32 v0, off, off offset:176 ; 4-byte Folded Reload
	s_waitcnt vmcnt(0)
	v_add_nc_u32_e32 v4, v12, v0
	scratch_load_b32 v0, off, off offset:184 ; 4-byte Folded Reload
	s_waitcnt vmcnt(0)
	v_add_nc_u32_e32 v6, v12, v0
	scratch_load_b32 v0, off, off offset:192 ; 4-byte Folded Reload
	s_waitcnt vmcnt(0)
	v_add_nc_u32_e32 v8, v12, v0
	scratch_load_b32 v0, off, off offset:200 ; 4-byte Folded Reload
	s_waitcnt vmcnt(0)
	v_add_nc_u32_e32 v10, v12, v0
	v_mad_i64_i32 v[0:1], null, v2, 36, v[19:20]
	v_mad_i64_i32 v[2:3], null, v4, 36, v[19:20]
	v_mad_i64_i32 v[4:5], null, v6, 36, v[19:20]
	v_mad_i64_i32 v[6:7], null, v8, 36, v[19:20]
	v_mad_i64_i32 v[8:9], null, v10, 36, v[19:20]
	scratch_load_b32 v10, off, off offset:208 ; 4-byte Folded Reload
	s_waitcnt vmcnt(0)
	v_add_nc_u32_e32 v14, v12, v10
	scratch_load_b32 v10, off, off offset:216 ; 4-byte Folded Reload
	s_waitcnt vmcnt(0)
	v_add_nc_u32_e32 v16, v12, v10
	v_mad_u64_u32 v[10:11], null, v13, 36, s[2:3]
	scratch_load_b32 v13, off, off offset:224 ; 4-byte Folded Reload
	s_waitcnt vmcnt(0)
	v_add_nc_u32_e32 v18, v12, v13
	v_mad_i64_i32 v[12:13], null, v14, 36, v[19:20]
	v_mad_i64_i32 v[14:15], null, v16, 36, v[19:20]
	s_delay_alu instid0(VALU_DEP_3)
	v_mad_i64_i32 v[16:17], null, v18, 36, v[19:20]
	s_clause 0x8
	global_load_b32 v10, v[10:11], off
	global_load_b32 v2, v[2:3], off offset:4
	global_load_b32 v3, v[4:5], off offset:4
	;; [unrolled: 1-line block ×8, first 2 shown]
	s_clause 0x2
	scratch_load_b32 v192, off, off offset:236
	scratch_load_b32 v238, off, off offset:232
	;; [unrolled: 1-line block ×3, first 2 shown]
	s_waitcnt vmcnt(11)
	v_cvt_f32_f16_e32 v1, v10
	s_waitcnt vmcnt(0)
	ds_store_b32 v9, v2
	scratch_load_b32 v2, off, off offset:188 ; 4-byte Folded Reload
	s_waitcnt vmcnt(0)
	ds_store_b32 v2, v3
	scratch_load_b32 v2, off, off offset:196 ; 4-byte Folded Reload
	;; [unrolled: 3-line block ×8, first 2 shown]
	s_waitcnt vmcnt(0)
	ds_store_b32 v0, v1
	s_waitcnt lgkmcnt(0)
	s_barrier
	buffer_gl0_inv
.LBB129_12:                             ;   Parent Loop BB129_6 Depth=1
                                        ;     Parent Loop BB129_8 Depth=2
                                        ; =>    This Inner Loop Header: Depth=3
	s_add_i32 s20, s1, s16
	s_clause 0x5
	scratch_store_b32 off, v28, off offset:72
	scratch_store_b32 off, v128, off offset:68
	scratch_store_b32 off, v30, off offset:64
	scratch_store_b32 off, v193, off offset:60
	scratch_store_b32 off, v29, off offset:56
	scratch_store_b32 off, v137, off offset:52
	s_add_i32 s20, s20, 8
	v_mov_b32_e32 v236, v71
	s_and_b32 s19, s20, 0x3ffffff8
	s_lshr_b32 s21, s20, 4
	s_lshl_b32 s19, s19, 2
	s_lshl_b32 s20, s21, 2
	v_dual_mov_b32 v137, v224 :: v_dual_add_nc_u32 v4, s19, v60
	v_dual_mov_b32 v128, v49 :: v_dual_add_nc_u32 v183, s19, v64
	;; [unrolled: 1-line block ×3, first 2 shown]
	ds_load_2addr_b32 v[0:1], v4 offset1:1
	ds_load_2addr_b32 v[2:3], v4 offset0:2 offset1:3
	ds_load_2addr_b32 v[31:32], v4 offset0:4 offset1:5
	;; [unrolled: 1-line block ×3, first 2 shown]
	v_add_nc_u32_e32 v12, s19, v76
	v_dual_mov_b32 v75, v89 :: v_dual_add_nc_u32 v184, s19, v90
	s_lshl_b32 s19, s21, 3
	v_mov_b32_e32 v71, v84
	v_add_lshl_u32 v181, v85, s19, 2
	v_mov_b32_e32 v85, v87
	v_add_lshl_u32 v182, v62, s19, 2
	v_mov_b32_e32 v108, v50
	v_dual_mov_b32 v106, v51 :: v_dual_mov_b32 v193, v78
	v_dual_mov_b32 v235, v86 :: v_dual_mov_b32 v134, v72
	v_mov_b32_e32 v98, v81
	v_mov_b32_e32 v84, v54
	;; [unrolled: 1-line block ×3, first 2 shown]
	s_waitcnt lgkmcnt(3)
	v_ashrrev_i32_e32 v5, s16, v0
	v_ashrrev_i32_e32 v4, s16, v1
	s_waitcnt lgkmcnt(2)
	v_ashrrev_i32_e32 v1, s16, v2
	v_ashrrev_i32_e32 v0, s16, v3
	ds_load_2addr_b32 v[2:3], v183 offset0:2 offset1:3
	ds_load_b32 v194, v6
	ds_load_2addr_b32 v[6:7], v183 offset1:1
	v_bfe_u32 v50, v5, 24, 2
	v_dual_mov_b32 v234, v83 :: v_dual_and_b32 v5, 0x3030303, v5
	v_mov_b32_e32 v230, v82
	s_waitcnt lgkmcnt(2)
	v_ashrrev_i32_e32 v10, s16, v2
	v_ashrrev_i32_e32 v11, s16, v3
	s_waitcnt lgkmcnt(0)
	v_ashrrev_i32_e32 v8, s16, v6
	v_ashrrev_i32_e32 v9, s16, v7
	ds_load_2addr_b32 v[2:3], v12 offset1:1
	ds_load_2addr_b32 v[6:7], v12 offset0:2 offset1:3
	ds_load_2addr_b32 v[41:42], v12 offset0:4 offset1:5
	;; [unrolled: 1-line block ×3, first 2 shown]
	s_waitcnt lgkmcnt(3)
	v_ashrrev_i32_e32 v12, s16, v2
	s_waitcnt lgkmcnt(2)
	v_ashrrev_i32_e32 v14, s16, v6
	v_add_nc_u32_e32 v6, s20, v80
	v_ashrrev_i32_e32 v13, s16, v3
	v_ashrrev_i32_e32 v15, s16, v7
	ds_load_2addr_b32 v[2:3], v184 offset0:2 offset1:3
	ds_load_b32 v195, v6
	ds_load_2addr_b32 v[6:7], v184 offset1:1
	s_waitcnt lgkmcnt(2)
	v_ashrrev_i32_e32 v18, s16, v2
	v_add_lshl_u32 v2, v59, s19, 2
	v_ashrrev_i32_e32 v19, s16, v3
	s_waitcnt lgkmcnt(0)
	v_ashrrev_i32_e32 v16, s16, v6
	v_ashrrev_i32_e32 v17, s16, v7
	v_add_nc_u32_e32 v3, 0x4200, v2
	v_add_nc_u32_e32 v6, 0x4208, v2
	;; [unrolled: 1-line block ×4, first 2 shown]
	ds_load_2addr_b32 v[2:3], v3 offset1:1
	ds_load_2addr_b32 v[6:7], v6 offset1:1
	;; [unrolled: 1-line block ×4, first 2 shown]
	s_waitcnt lgkmcnt(3)
	v_ashrrev_i32_e32 v20, s17, v2
	v_ashrrev_i32_e32 v21, s17, v3
	v_add_nc_u32_e32 v2, 0x4200, v182
	s_waitcnt lgkmcnt(2)
	v_ashrrev_i32_e32 v22, s17, v6
	v_add_nc_u32_e32 v6, 0x4208, v182
	v_lshlrev_b32_e32 v20, 2, v20
	v_ashrrev_i32_e32 v23, s17, v7
	ds_load_2addr_b32 v[2:3], v2 offset1:1
	ds_load_2addr_b32 v[6:7], v6 offset1:1
	ds_load_2addr_b32 v[47:48], v183 offset0:6 offset1:7
	s_waitcnt lgkmcnt(4)
	v_ashrrev_i32_e32 v45, s17, v45
	v_and_b32_e32 v20, 0x4040404, v20
	v_ashrrev_i32_e32 v46, s17, v46
	s_waitcnt lgkmcnt(3)
	v_ashrrev_i32_e32 v44, s17, v44
	s_delay_alu instid0(VALU_DEP_3) | instskip(SKIP_2) | instid1(VALU_DEP_3)
	v_lshrrev_b32_e32 v51, 24, v20
	v_lshrrev_b32_e32 v52, 16, v20
	v_sub_nc_u16 v203, v5, v20
	v_sub_nc_u16 v50, v50, v51
	v_lshrrev_b32_e32 v51, 16, v5
	s_delay_alu instid0(VALU_DEP_1)
	v_sub_nc_u16 v202, v51, v52
	v_lshrrev_b16 v51, 8, v5
	v_lshrrev_b16 v5, 8, v20
	v_lshlrev_b32_e32 v20, 2, v21
	v_bfe_u32 v21, v4, 24, 2
	v_and_b32_e32 v4, 0x3030303, v4
	s_waitcnt lgkmcnt(2)
	v_ashrrev_i32_e32 v24, s17, v2
	v_sub_nc_u16 v5, v51, v5
	v_and_b32_e32 v20, 0x4040404, v20
	v_add_lshl_u32 v2, v69, s19, 2
	v_ashrrev_i32_e32 v25, s17, v3
	s_waitcnt lgkmcnt(1)
	v_ashrrev_i32_e32 v26, s17, v6
	v_ashrrev_i32_e32 v27, s17, v7
	v_lshrrev_b32_e32 v51, 24, v20
	v_lshrrev_b32_e32 v52, 16, v20
	v_sub_nc_u16 v205, v4, v20
	v_add_nc_u32_e32 v3, 0x4200, v2
	v_add_nc_u32_e32 v6, 0x4208, v2
	v_sub_nc_u16 v21, v21, v51
	v_lshrrev_b32_e32 v51, 16, v4
	v_add_nc_u32_e32 v28, 0x4210, v2
	v_add_nc_u32_e32 v29, 0x4218, v2
	ds_load_2addr_b32 v[2:3], v3 offset1:1
	ds_load_2addr_b32 v[6:7], v6 offset1:1
	;; [unrolled: 1-line block ×4, first 2 shown]
	v_sub_nc_u16 v204, v51, v52
	v_lshrrev_b16 v51, 8, v4
	v_lshrrev_b16 v4, 8, v20
	v_lshlrev_b32_e32 v20, 2, v22
	v_bfe_u32 v22, v1, 24, 2
	v_and_b32_e32 v1, 0x3030303, v1
	v_lshlrev_b16 v5, 8, v5
	v_sub_nc_u16 v4, v51, v4
	v_and_b32_e32 v20, 0x4040404, v20
	s_and_b32 s19, s15, -16
	s_waitcnt lgkmcnt(4)
	v_ashrrev_i32_e32 v47, s16, v47
	v_ashrrev_i32_e32 v48, s16, v48
	v_lshlrev_b16 v4, 8, v4
	v_lshrrev_b32_e32 v51, 24, v20
	v_lshrrev_b32_e32 v52, 16, v20
	v_sub_nc_u16 v199, v1, v20
	s_waitcnt lgkmcnt(3)
	v_ashrrev_i32_e32 v28, s17, v2
	v_add_nc_u32_e32 v2, 0x4200, v181
	v_sub_nc_u16 v22, v22, v51
	v_lshrrev_b32_e32 v51, 16, v1
	s_waitcnt lgkmcnt(2)
	v_ashrrev_i32_e32 v30, s17, v6
	v_add_nc_u32_e32 v6, 0x4208, v181
	v_ashrrev_i32_e32 v29, s17, v3
	v_ashrrev_i32_e32 v49, s17, v7
	v_sub_nc_u16 v198, v51, v52
	v_lshrrev_b16 v51, 8, v1
	v_lshrrev_b16 v1, 8, v20
	v_lshlrev_b32_e32 v20, 2, v23
	v_bfe_u32 v23, v0, 24, 2
	v_and_b32_e32 v0, 0x3030303, v0
	ds_load_2addr_b32 v[2:3], v2 offset1:1
	ds_load_2addr_b32 v[6:7], v6 offset1:1
	ds_load_2addr_b32 v[189:190], v184 offset0:6 offset1:7
	v_sub_nc_u16 v1, v51, v1
	v_and_b32_e32 v20, 0x4040404, v20
	s_waitcnt lgkmcnt(3)
	v_ashrrev_i32_e32 v69, s17, v36
	v_add_nc_u32_e32 v36, 0x4218, v181
	s_add_i32 s15, s15, 2
	v_lshlrev_b16 v1, 8, v1
	v_lshrrev_b32_e32 v51, 24, v20
	v_lshrrev_b32_e32 v52, 16, v20
	v_sub_nc_u16 v197, v0, v20
	v_lshlrev_b32_e32 v69, 2, v69
	s_delay_alu instid0(VALU_DEP_4) | instskip(SKIP_1) | instid1(VALU_DEP_3)
	v_sub_nc_u16 v23, v23, v51
	v_lshrrev_b32_e32 v51, 16, v0
	v_and_b32_e32 v69, 0x4040404, v69
	s_delay_alu instid0(VALU_DEP_2)
	v_sub_nc_u16 v196, v51, v52
	v_lshrrev_b16 v51, 8, v0
	v_lshrrev_b16 v0, 8, v20
	v_lshlrev_b32_e32 v20, 2, v24
	v_bfe_u32 v24, v8, 24, 2
	v_and_b32_e32 v8, 0x3030303, v8
	s_waitcnt lgkmcnt(2)
	v_ashrrev_i32_e32 v3, s17, v3
	v_sub_nc_u16 v0, v51, v0
	v_and_b32_e32 v20, 0x4040404, v20
	v_ashrrev_i32_e32 v2, s17, v2
	s_waitcnt lgkmcnt(1)
	v_ashrrev_i32_e32 v6, s17, v6
	v_lshlrev_b32_e32 v3, 2, v3
	v_ashrrev_i32_e32 v7, s17, v7
	v_lshrrev_b32_e32 v51, 24, v20
	v_lshrrev_b32_e32 v52, 16, v20
	v_sub_nc_u16 v211, v8, v20
	v_lshlrev_b32_e32 v2, 2, v2
	v_and_b32_e32 v3, 0x4040404, v3
	v_sub_nc_u16 v24, v24, v51
	v_lshrrev_b32_e32 v51, 16, v8
	v_lshlrev_b32_e32 v6, 2, v6
	v_and_b32_e32 v2, 0x4040404, v2
	v_lshlrev_b32_e32 v7, 2, v7
	v_lshlrev_b16 v0, 8, v0
	v_sub_nc_u16 v210, v51, v52
	v_lshrrev_b16 v51, 8, v8
	v_lshrrev_b16 v8, 8, v20
	v_lshlrev_b32_e32 v20, 2, v25
	v_bfe_u32 v25, v9, 24, 2
	v_and_b32_e32 v9, 0x3030303, v9
	v_and_b32_e32 v6, 0x4040404, v6
	v_sub_nc_u16 v8, v51, v8
	v_and_b32_e32 v20, 0x4040404, v20
	v_and_b32_e32 v7, 0x4040404, v7
	v_lshrrev_b32_e32 v125, 24, v69
	v_lshrrev_b32_e32 v126, 16, v69
	s_delay_alu instid0(VALU_DEP_4) | instskip(SKIP_2) | instid1(VALU_DEP_3)
	v_lshrrev_b32_e32 v51, 24, v20
	v_lshrrev_b32_e32 v52, 16, v20
	v_sub_nc_u16 v213, v9, v20
	v_sub_nc_u16 v25, v25, v51
	v_lshrrev_b32_e32 v51, 16, v9
	s_delay_alu instid0(VALU_DEP_1)
	v_sub_nc_u16 v212, v51, v52
	v_lshrrev_b16 v51, 8, v9
	v_lshrrev_b16 v9, 8, v20
	v_lshlrev_b32_e32 v20, 2, v26
	v_bfe_u32 v26, v10, 24, 2
	v_and_b32_e32 v10, 0x3030303, v10
	s_delay_alu instid0(VALU_DEP_4) | instskip(NEXT) | instid1(VALU_DEP_4)
	v_sub_nc_u16 v9, v51, v9
	v_and_b32_e32 v20, 0x4040404, v20
	s_delay_alu instid0(VALU_DEP_1) | instskip(SKIP_2) | instid1(VALU_DEP_3)
	v_lshrrev_b32_e32 v51, 24, v20
	v_lshrrev_b32_e32 v52, 16, v20
	v_sub_nc_u16 v207, v10, v20
	v_sub_nc_u16 v26, v26, v51
	v_lshrrev_b32_e32 v51, 16, v10
	s_delay_alu instid0(VALU_DEP_1)
	v_sub_nc_u16 v206, v51, v52
	v_lshrrev_b16 v51, 8, v10
	v_lshrrev_b16 v10, 8, v20
	v_lshlrev_b32_e32 v20, 2, v27
	v_bfe_u32 v27, v11, 24, 2
	v_and_b32_e32 v11, 0x3030303, v11
	s_delay_alu instid0(VALU_DEP_4) | instskip(NEXT) | instid1(VALU_DEP_4)
	v_sub_nc_u16 v10, v51, v10
	v_and_b32_e32 v20, 0x4040404, v20
	s_delay_alu instid0(VALU_DEP_1) | instskip(SKIP_2) | instid1(VALU_DEP_3)
	;; [unrolled: 16-line block ×6, first 2 shown]
	v_lshrrev_b32_e32 v51, 24, v20
	v_lshrrev_b32_e32 v52, 16, v20
	v_sub_nc_u16 v209, v15, v20
	v_sub_nc_u16 v49, v49, v51
	v_lshrrev_b32_e32 v51, 16, v15
	s_delay_alu instid0(VALU_DEP_1)
	v_sub_nc_u16 v208, v51, v52
	v_lshrrev_b16 v51, 8, v15
	v_lshrrev_b16 v15, 8, v20
	v_bfe_u32 v20, v16, 24, 2
	v_and_b32_e32 v16, 0x3030303, v16
	v_lshrrev_b32_e32 v52, 16, v2
	s_delay_alu instid0(VALU_DEP_4) | instskip(SKIP_1) | instid1(VALU_DEP_4)
	v_sub_nc_u16 v15, v51, v15
	v_lshrrev_b32_e32 v51, 24, v2
	v_sub_nc_u16 v228, v16, v2
	v_lshrrev_b16 v2, 8, v2
	s_delay_alu instid0(VALU_DEP_3) | instskip(SKIP_1) | instid1(VALU_DEP_1)
	v_sub_nc_u16 v20, v20, v51
	v_lshrrev_b32_e32 v51, 16, v16
	v_sub_nc_u16 v226, v51, v52
	v_lshrrev_b16 v51, 8, v16
	v_bfe_u32 v16, v17, 24, 2
	v_and_b32_e32 v17, 0x3030303, v17
	v_lshrrev_b32_e32 v52, 16, v3
	s_delay_alu instid0(VALU_DEP_4) | instskip(SKIP_1) | instid1(VALU_DEP_4)
	v_sub_nc_u16 v2, v51, v2
	v_lshrrev_b32_e32 v51, 24, v3
	v_sub_nc_u16 v233, v17, v3
	v_lshrrev_b16 v3, 8, v3
	s_delay_alu instid0(VALU_DEP_3) | instskip(SKIP_1) | instid1(VALU_DEP_1)
	v_sub_nc_u16 v16, v16, v51
	v_lshrrev_b32_e32 v51, 16, v17
	v_sub_nc_u16 v232, v51, v52
	;; [unrolled: 13-line block ×4, first 2 shown]
	v_lshrrev_b16 v51, 8, v19
	v_lshlrev_b16 v19, 8, v50
	v_and_b32_e32 v50, 0xff, v202
	s_delay_alu instid0(VALU_DEP_3) | instskip(NEXT) | instid1(VALU_DEP_2)
	v_sub_nc_u16 v7, v51, v7
	v_or_b32_e32 v245, v50, v19
	v_and_b32_e32 v19, 0xff, v203
	s_delay_alu instid0(VALU_DEP_1) | instskip(SKIP_2) | instid1(VALU_DEP_1)
	v_or_b32_e32 v247, v19, v5
	v_lshlrev_b16 v5, 8, v21
	v_and_b32_e32 v19, 0xff, v204
	v_or_b32_e32 v248, v19, v5
	v_and_b32_e32 v5, 0xff, v205
	s_delay_alu instid0(VALU_DEP_1) | instskip(SKIP_2) | instid1(VALU_DEP_1)
	v_or_b32_e32 v251, v5, v4
	v_lshlrev_b16 v4, 8, v22
	v_and_b32_e32 v5, 0xff, v198
	v_or_b32_e32 v19, v5, v4
	v_and_b32_e32 v4, 0xff, v199
	s_delay_alu instid0(VALU_DEP_1)
	v_or_b32_e32 v21, v4, v1
	v_lshlrev_b16 v1, 8, v23
	v_and_b32_e32 v4, 0xff, v196
	scratch_store_b32 off, v21, off offset:104 ; 4-byte Folded Spill
	v_or_b32_e32 v4, v4, v1
	v_and_b32_e32 v1, 0xff, v197
	s_delay_alu instid0(VALU_DEP_1)
	v_or_b32_e32 v5, v1, v0
	v_lshlrev_b16 v0, 8, v24
	v_and_b32_e32 v1, 0xff, v210
	scratch_store_b32 off, v4, off offset:76 ; 4-byte Folded Spill
	v_or_b32_e32 v231, v1, v0
	v_lshlrev_b16 v0, 8, v8
	v_and_b32_e32 v1, 0xff, v211
	s_delay_alu instid0(VALU_DEP_1) | instskip(SKIP_2) | instid1(VALU_DEP_1)
	v_or_b32_e32 v227, v1, v0
	v_lshlrev_b16 v0, 8, v25
	v_and_b32_e32 v1, 0xff, v212
	v_or_b32_e32 v225, v1, v0
	v_lshlrev_b16 v0, 8, v9
	v_and_b32_e32 v1, 0xff, v213
	s_delay_alu instid0(VALU_DEP_1) | instskip(SKIP_2) | instid1(VALU_DEP_1)
	v_or_b32_e32 v224, v1, v0
	v_lshlrev_b16 v0, 8, v26
	v_and_b32_e32 v1, 0xff, v206
	v_or_b32_e32 v22, v1, v0
	v_lshlrev_b16 v0, 8, v10
	v_and_b32_e32 v1, 0xff, v207
	s_delay_alu instid0(VALU_DEP_1)
	v_or_b32_e32 v23, v1, v0
	v_lshlrev_b16 v0, 8, v27
	v_and_b32_e32 v1, 0xff, v200
	s_clause 0x1
	scratch_store_b32 off, v22, off offset:108
	scratch_store_b32 off, v23, off offset:112
	v_or_b32_e32 v8, v1, v0
	v_lshlrev_b16 v0, 8, v11
	v_and_b32_e32 v1, 0xff, v201
	scratch_store_b32 off, v5, off offset:80 ; 4-byte Folded Spill
	v_or_b32_e32 v9, v1, v0
	scratch_store_b32 off, v8, off offset:84 ; 4-byte Folded Spill
	v_lshlrev_b16 v0, 8, v28
	v_and_b32_e32 v1, 0xff, v218
	s_delay_alu instid0(VALU_DEP_1) | instskip(SKIP_2) | instid1(VALU_DEP_1)
	v_or_b32_e32 v94, v1, v0
	v_lshlrev_b16 v0, 8, v12
	v_and_b32_e32 v1, 0xff, v219
	v_or_b32_e32 v97, v1, v0
	v_lshlrev_b16 v0, 8, v29
	v_and_b32_e32 v1, 0xff, v220
	s_delay_alu instid0(VALU_DEP_1) | instskip(SKIP_2) | instid1(VALU_DEP_1)
	v_or_b32_e32 v81, v1, v0
	v_lshlrev_b16 v0, 8, v13
	v_and_b32_e32 v1, 0xff, v221
	v_or_b32_e32 v53, v1, v0
	;; [unrolled: 7-line block ×3, first 2 shown]
	v_lshlrev_b16 v0, 8, v49
	v_and_b32_e32 v1, 0xff, v208
	s_delay_alu instid0(VALU_DEP_1)
	v_or_b32_e32 v10, v1, v0
	v_lshlrev_b16 v0, 8, v15
	v_and_b32_e32 v1, 0xff, v209
	scratch_store_b32 off, v9, off offset:88 ; 4-byte Folded Spill
	v_or_b32_e32 v11, v1, v0
	scratch_store_b32 off, v10, off offset:92 ; 4-byte Folded Spill
	v_lshlrev_b16 v0, 8, v20
	v_and_b32_e32 v1, 0xff, v226
	s_clause 0x1
	scratch_store_b32 off, v19, off offset:100
	scratch_store_b32 off, v11, off offset:96
	v_or_b32_e32 v89, v1, v0
	v_lshlrev_b16 v0, 8, v2
	v_and_b32_e32 v1, 0xff, v228
	s_delay_alu instid0(VALU_DEP_1) | instskip(SKIP_2) | instid1(VALU_DEP_1)
	v_or_b32_e32 v87, v1, v0
	v_lshlrev_b16 v0, 8, v16
	v_and_b32_e32 v1, 0xff, v232
	v_or_b32_e32 v110, v1, v0
	v_lshlrev_b16 v0, 8, v3
	v_and_b32_e32 v1, 0xff, v233
	s_delay_alu instid0(VALU_DEP_1) | instskip(SKIP_2) | instid1(VALU_DEP_1)
	v_or_b32_e32 v118, v1, v0
	v_lshlrev_b16 v0, 8, v17
	v_and_b32_e32 v1, 0xff, v222
	;; [unrolled: 7-line block ×3, first 2 shown]
	v_or_b32_e32 v240, v1, v0
	v_lshlrev_b16 v0, 8, v7
	v_and_b32_e32 v1, 0xff, v217
	s_delay_alu instid0(VALU_DEP_1) | instskip(SKIP_2) | instid1(VALU_DEP_1)
	v_or_b32_e32 v243, v1, v0
	v_perm_b32 v0, v247, v203, 0xc0c0500
	v_perm_b32 v1, v245, v202, 0x5000c0c
	v_or_b32_e32 v28, v1, v0
	v_perm_b32 v0, v251, v205, 0xc0c0500
	v_perm_b32 v1, v248, v204, 0x5000c0c
	s_delay_alu instid0(VALU_DEP_1) | instskip(SKIP_2) | instid1(VALU_DEP_1)
	v_or_b32_e32 v29, v1, v0
	v_perm_b32 v0, v21, v199, 0xc0c0500
	v_perm_b32 v1, v19, v198, 0x5000c0c
	v_or_b32_e32 v30, v1, v0
	v_perm_b32 v0, v5, v197, 0xc0c0500
	v_perm_b32 v1, v4, v196, 0x5000c0c
	;; [unrolled: 7-line block ×5, first 2 shown]
	v_perm_b32 v53, v220, v53, 0xc0c0401
	v_perm_b32 v81, v221, v81, 0x4010c0c
	s_delay_alu instid0(VALU_DEP_3) | instskip(SKIP_2) | instid1(VALU_DEP_1)
	v_or_b32_e32 v56, v1, v0
	v_perm_b32 v0, v244, v215, 0xc0c0500
	v_perm_b32 v1, v242, v214, 0x5000c0c
	v_or_b32_e32 v57, v1, v0
	v_perm_b32 v0, v11, v209, 0xc0c0500
	v_perm_b32 v1, v10, v208, 0x5000c0c
	s_delay_alu instid0(VALU_DEP_1) | instskip(SKIP_4) | instid1(VALU_DEP_3)
	v_or_b32_e32 v58, v1, v0
	v_perm_b32 v0, v87, v228, 0xc0c0500
	v_perm_b32 v1, v89, v226, 0x5000c0c
	;; [unrolled: 1-line block ×4, first 2 shown]
	v_or_b32_e32 v59, v1, v0
	v_perm_b32 v0, v118, v233, 0xc0c0500
	v_perm_b32 v1, v110, v232, 0x5000c0c
	s_delay_alu instid0(VALU_DEP_1) | instskip(SKIP_2) | instid1(VALU_DEP_1)
	v_or_b32_e32 v60, v1, v0
	v_perm_b32 v0, v253, v223, 0xc0c0500
	v_perm_b32 v1, v252, v222, 0x5000c0c
	v_or_b32_e32 v61, v1, v0
	v_perm_b32 v0, v243, v217, 0xc0c0500
	v_perm_b32 v1, v240, v216, 0x5000c0c
	s_delay_alu instid0(VALU_DEP_1)
	v_or_b32_e32 v62, v1, v0
	ds_load_b128 v[4:7], v192 offset:1024
	ds_load_b128 v[0:3], v192 offset:1040
	s_waitcnt lgkmcnt(1)
	v_dot4_i32_iu8 v8, v4, v28, 0 neg_lo:[1,1,0]
	v_dot4_i32_iu8 v9, v4, v50, 0 neg_lo:[1,1,0]
	v_dot4_i32_iu8 v10, v4, v55, 0 neg_lo:[1,1,0]
	v_dot4_i32_iu8 v4, v4, v59, 0 neg_lo:[1,1,0]
	s_delay_alu instid0(VALU_DEP_4) | instskip(NEXT) | instid1(VALU_DEP_4)
	v_dot4_i32_iu8 v8, v5, v29, v8 neg_lo:[1,1,0]
	v_dot4_i32_iu8 v9, v5, v51, v9 neg_lo:[1,1,0]
	s_delay_alu instid0(VALU_DEP_4) | instskip(NEXT) | instid1(VALU_DEP_4)
	v_dot4_i32_iu8 v10, v5, v56, v10 neg_lo:[1,1,0]
	v_dot4_i32_iu8 v4, v5, v60, v4 neg_lo:[1,1,0]
	s_delay_alu instid0(VALU_DEP_4) | instskip(NEXT) | instid1(VALU_DEP_4)
	v_dot4_i32_iu8 v5, v6, v30, v8 neg_lo:[1,1,0]
	v_dot4_i32_iu8 v8, v6, v52, v9 neg_lo:[1,1,0]
	s_delay_alu instid0(VALU_DEP_4) | instskip(NEXT) | instid1(VALU_DEP_4)
	v_dot4_i32_iu8 v9, v6, v57, v10 neg_lo:[1,1,0]
	v_dot4_i32_iu8 v4, v6, v61, v4 neg_lo:[1,1,0]
	s_delay_alu instid0(VALU_DEP_4) | instskip(NEXT) | instid1(VALU_DEP_4)
	v_dot4_i32_iu8 v76, v7, v49, v5 neg_lo:[1,1,0]
	v_dot4_i32_iu8 v250, v7, v54, v8 neg_lo:[1,1,0]
	s_delay_alu instid0(VALU_DEP_4) | instskip(NEXT) | instid1(VALU_DEP_4)
	v_dot4_i32_iu8 v241, v7, v58, v9 neg_lo:[1,1,0]
	v_dot4_i32_iu8 v237, v7, v62, v4 neg_lo:[1,1,0]
	ds_load_b128 v[8:11], v192 offset:2048
	ds_load_b128 v[4:7], v192 offset:2064
	s_waitcnt lgkmcnt(1)
	v_dot4_i32_iu8 v12, v8, v28, 0 neg_lo:[1,1,0]
	v_dot4_i32_iu8 v13, v8, v50, 0 neg_lo:[1,1,0]
	v_dot4_i32_iu8 v14, v8, v55, 0 neg_lo:[1,1,0]
	v_dot4_i32_iu8 v8, v8, v59, 0 neg_lo:[1,1,0]
	s_delay_alu instid0(VALU_DEP_4) | instskip(NEXT) | instid1(VALU_DEP_4)
	v_dot4_i32_iu8 v12, v9, v29, v12 neg_lo:[1,1,0]
	v_dot4_i32_iu8 v13, v9, v51, v13 neg_lo:[1,1,0]
	s_delay_alu instid0(VALU_DEP_4) | instskip(NEXT) | instid1(VALU_DEP_4)
	v_dot4_i32_iu8 v14, v9, v56, v14 neg_lo:[1,1,0]
	v_dot4_i32_iu8 v8, v9, v60, v8 neg_lo:[1,1,0]
	s_delay_alu instid0(VALU_DEP_4) | instskip(NEXT) | instid1(VALU_DEP_4)
	v_dot4_i32_iu8 v9, v10, v30, v12 neg_lo:[1,1,0]
	v_dot4_i32_iu8 v12, v10, v52, v13 neg_lo:[1,1,0]
	s_delay_alu instid0(VALU_DEP_4) | instskip(NEXT) | instid1(VALU_DEP_4)
	v_dot4_i32_iu8 v13, v10, v57, v14 neg_lo:[1,1,0]
	v_dot4_i32_iu8 v8, v10, v61, v8 neg_lo:[1,1,0]
	s_delay_alu instid0(VALU_DEP_4) | instskip(NEXT) | instid1(VALU_DEP_4)
	v_dot4_i32_iu8 v95, v11, v49, v9 neg_lo:[1,1,0]
	v_dot4_i32_iu8 v80, v11, v54, v12 neg_lo:[1,1,0]
	s_delay_alu instid0(VALU_DEP_4) | instskip(NEXT) | instid1(VALU_DEP_4)
	v_dot4_i32_iu8 v249, v11, v58, v13 neg_lo:[1,1,0]
	v_dot4_i32_iu8 v239, v11, v62, v8 neg_lo:[1,1,0]
	;; [unrolled: 25-line block ×5, first 2 shown]
	ds_load_b128 v[24:27], v192 offset:6144
	ds_load_b128 v[20:23], v192 offset:6160
	s_waitcnt lgkmcnt(1)
	v_dot4_i32_iu8 v63, v24, v28, 0 neg_lo:[1,1,0]
	v_dot4_i32_iu8 v64, v24, v50, 0 neg_lo:[1,1,0]
	;; [unrolled: 1-line block ×4, first 2 shown]
	s_delay_alu instid0(VALU_DEP_4) | instskip(NEXT) | instid1(VALU_DEP_4)
	v_dot4_i32_iu8 v63, v25, v29, v63 neg_lo:[1,1,0]
	v_dot4_i32_iu8 v64, v25, v51, v64 neg_lo:[1,1,0]
	s_delay_alu instid0(VALU_DEP_4) | instskip(NEXT) | instid1(VALU_DEP_4)
	v_dot4_i32_iu8 v65, v25, v56, v65 neg_lo:[1,1,0]
	v_dot4_i32_iu8 v24, v25, v60, v24 neg_lo:[1,1,0]
	;; [unrolled: 3-line block ×4, first 2 shown]
	v_ashrrev_i32_e32 v65, s17, v38
	v_dot4_i32_iu8 v179, v27, v49, v25 neg_lo:[1,1,0]
	v_dot4_i32_iu8 v68, v27, v54, v63 neg_lo:[1,1,0]
	;; [unrolled: 1-line block ×4, first 2 shown]
	ds_load_b128 v[185:188], v192 offset:7168
	ds_load_b128 v[24:27], v192 offset:7184
	v_ashrrev_i32_e32 v64, s17, v37
	v_lshlrev_b32_e32 v65, 2, v65
	s_delay_alu instid0(VALU_DEP_1) | instskip(NEXT) | instid1(VALU_DEP_1)
	v_and_b32_e32 v65, 0x4040404, v65
	v_lshrrev_b32_e32 v117, 24, v65
	v_lshrrev_b32_e32 v121, 16, v65
	s_waitcnt lgkmcnt(1)
	v_dot4_i32_iu8 v28, v185, v28, 0 neg_lo:[1,1,0]
	s_delay_alu instid0(VALU_DEP_1) | instskip(SKIP_3) | instid1(VALU_DEP_4)
	v_dot4_i32_iu8 v28, v186, v29, v28 neg_lo:[1,1,0]
	v_dot4_i32_iu8 v29, v185, v50, 0 neg_lo:[1,1,0]
	;; [unrolled: 1-line block ×3, first 2 shown]
	v_ashrrev_i32_e32 v55, s16, v39
	v_dot4_i32_iu8 v28, v187, v30, v28 neg_lo:[1,1,0]
	s_delay_alu instid0(VALU_DEP_4)
	v_dot4_i32_iu8 v29, v186, v51, v29 neg_lo:[1,1,0]
	v_dot4_i32_iu8 v51, v185, v59, 0 neg_lo:[1,1,0]
	;; [unrolled: 1-line block ×3, first 2 shown]
	v_ashrrev_i32_e32 v56, s16, v40
	v_dot4_i32_iu8 v180, v188, v49, v28 neg_lo:[1,1,0]
	v_dot4_i32_iu8 v29, v187, v52, v29 neg_lo:[1,1,0]
	v_ashrrev_i32_e32 v28, s16, v31
	v_dot4_i32_iu8 v51, v186, v60, v51 neg_lo:[1,1,0]
	v_dot4_i32_iu8 v30, v187, v57, v50 neg_lo:[1,1,0]
	v_ashrrev_i32_e32 v49, s16, v34
	v_dot4_i32_iu8 v72, v188, v54, v29 neg_lo:[1,1,0]
	v_ashrrev_i32_e32 v29, s16, v32
	ds_load_2addr_b32 v[31:32], v183 offset0:4 offset1:5
	v_dot4_i32_iu8 v50, v187, v61, v51 neg_lo:[1,1,0]
	v_dot4_i32_iu8 v138, v188, v58, v30 neg_lo:[1,1,0]
	v_ashrrev_i32_e32 v30, s16, v33
	v_add_nc_u32_e32 v33, s16, v67
	v_add_nc_u32_e32 v34, 0x4218, v182
	v_dot4_i32_iu8 v113, v188, v62, v50 neg_lo:[1,1,0]
	v_ashrrev_i32_e32 v52, s16, v41
	v_ashrrev_i32_e32 v54, s16, v42
	;; [unrolled: 1-line block ×6, first 2 shown]
	s_delay_alu instid0(VALU_DEP_4) | instskip(NEXT) | instid1(VALU_DEP_1)
	v_lshlrev_b32_e32 v67, 2, v67
	v_and_b32_e32 v67, 0x4040404, v67
	s_waitcnt lgkmcnt(0)
	v_ashrrev_i32_e32 v50, s16, v31
	v_ashrrev_i32_e32 v51, s16, v32
	ds_load_2addr_b32 v[31:32], v184 offset0:4 offset1:5
	v_lshrrev_b32_e32 v122, 24, v67
	v_lshrrev_b32_e32 v124, 16, v67
	s_waitcnt lgkmcnt(0)
	v_ashrrev_i32_e32 v57, s16, v31
	scratch_load_b32 v31, off, off offset:140 ; 4-byte Folded Reload
	v_ashrrev_i32_e32 v58, s16, v32
	v_add_nc_u32_e32 v32, 0x4210, v182
	s_add_i32 s16, s16, 2
	s_waitcnt vmcnt(0)
	v_add3_u32 v31, v31, s19, v33
	ds_load_u16 v31, v31
	ds_load_2addr_b32 v[39:40], v32 offset1:1
	ds_load_2addr_b32 v[41:42], v34 offset1:1
	scratch_load_b32 v32, off, off offset:132 ; 4-byte Folded Reload
	v_add_nc_u32_e32 v34, 0x4210, v181
	s_waitcnt lgkmcnt(1)
	v_ashrrev_i32_e32 v62, s17, v39
	s_waitcnt lgkmcnt(0)
	v_ashrrev_i32_e32 v63, s17, v42
	v_ashrrev_i32_e32 v40, s17, v40
	;; [unrolled: 1-line block ×3, first 2 shown]
	s_delay_alu instid0(VALU_DEP_2) | instskip(NEXT) | instid1(VALU_DEP_1)
	v_lshlrev_b32_e32 v40, 2, v40
	v_and_b32_e32 v40, 0x4040404, v40
	s_waitcnt vmcnt(0)
	v_add3_u32 v32, v32, s19, v33
	ds_load_u16 v32, v32
	ds_load_2addr_b32 v[34:35], v34 offset1:1
	ds_load_2addr_b32 v[36:37], v36 offset1:1
	s_waitcnt lgkmcnt(1)
	v_ashrrev_i32_e32 v77, s17, v34
	v_lshlrev_b32_e32 v34, 2, v45
	v_ashrrev_i32_e32 v78, s17, v35
	s_waitcnt lgkmcnt(0)
	v_ashrrev_i32_e32 v79, s17, v36
	v_bfe_u32 v35, v28, 24, 2
	v_and_b32_e32 v28, 0x3030303, v28
	v_and_b32_e32 v34, 0x4040404, v34
	v_ashrrev_i32_e32 v82, s17, v37
	v_lshlrev_b32_e32 v77, 2, v77
	v_lshlrev_b32_e32 v78, 2, v78
	;; [unrolled: 1-line block ×3, first 2 shown]
	v_lshrrev_b32_e32 v36, 24, v34
	v_sub_nc_u16 v39, v28, v34
	v_and_b32_e32 v77, 0x4040404, v77
	v_and_b32_e32 v78, 0x4040404, v78
	;; [unrolled: 1-line block ×3, first 2 shown]
	v_sub_nc_u16 v83, v35, v36
	v_lshrrev_b32_e32 v35, 16, v28
	v_lshrrev_b32_e32 v36, 16, v34
	;; [unrolled: 1-line block ×6, first 2 shown]
	v_sub_nc_u16 v38, v35, v36
	v_lshrrev_b16 v35, 8, v28
	v_lshrrev_b16 v28, 8, v34
	v_lshlrev_b32_e32 v34, 2, v46
	v_lshrrev_b32_e32 v136, 24, v79
	v_lshrrev_b32_e32 v139, 16, v79
	v_lshlrev_b32_e32 v82, 2, v82
	v_sub_nc_u16 v28, v35, v28
	v_and_b32_e32 v34, 0x4040404, v34
	v_bfe_u32 v35, v29, 24, 2
	v_and_b32_e32 v29, 0x3030303, v29
	v_and_b32_e32 v82, 0x4040404, v82
	v_lshlrev_b16 v83, 8, v83
	v_lshrrev_b32_e32 v36, 24, v34
	v_lshlrev_b16 v28, 8, v28
	v_sub_nc_u16 v43, v29, v34
	v_lshrrev_b32_e32 v140, 24, v82
	v_lshrrev_b32_e32 v141, 16, v82
	v_sub_nc_u16 v46, v35, v36
	v_lshrrev_b32_e32 v35, 16, v29
	v_lshrrev_b32_e32 v36, 16, v34
	s_add_i32 s17, s17, 1
	s_delay_alu instid0(VALU_DEP_3) | instskip(NEXT) | instid1(VALU_DEP_2)
	v_lshlrev_b16 v46, 8, v46
	v_sub_nc_u16 v42, v35, v36
	v_lshrrev_b16 v35, 8, v29
	v_lshrrev_b16 v29, 8, v34
	v_lshlrev_b32_e32 v34, 2, v61
	s_delay_alu instid0(VALU_DEP_2) | instskip(NEXT) | instid1(VALU_DEP_2)
	v_sub_nc_u16 v29, v35, v29
	v_and_b32_e32 v34, 0x4040404, v34
	v_bfe_u32 v35, v30, 24, 2
	v_and_b32_e32 v30, 0x3030303, v30
	s_delay_alu instid0(VALU_DEP_4) | instskip(NEXT) | instid1(VALU_DEP_4)
	v_lshlrev_b16 v29, 8, v29
	v_lshrrev_b32_e32 v36, 24, v34
	s_delay_alu instid0(VALU_DEP_3) | instskip(NEXT) | instid1(VALU_DEP_2)
	v_sub_nc_u16 v37, v30, v34
	v_sub_nc_u16 v61, v35, v36
	v_lshrrev_b32_e32 v35, 16, v30
	v_lshrrev_b32_e32 v36, 16, v34
	s_delay_alu instid0(VALU_DEP_3) | instskip(NEXT) | instid1(VALU_DEP_2)
	v_lshlrev_b16 v61, 8, v61
	v_sub_nc_u16 v36, v35, v36
	v_lshrrev_b16 v35, 8, v30
	v_lshrrev_b16 v30, 8, v34
	v_lshlrev_b32_e32 v34, 2, v44
	s_delay_alu instid0(VALU_DEP_2) | instskip(NEXT) | instid1(VALU_DEP_2)
	v_sub_nc_u16 v30, v35, v30
	v_and_b32_e32 v44, 0x4040404, v34
	v_bfe_u32 v34, v49, 24, 2
	s_delay_alu instid0(VALU_DEP_3) | instskip(NEXT) | instid1(VALU_DEP_3)
	v_lshlrev_b16 v30, 8, v30
	v_lshrrev_b32_e32 v35, 24, v44
	v_lshrrev_b32_e32 v45, 16, v44
	s_delay_alu instid0(VALU_DEP_2) | instskip(SKIP_1) | instid1(VALU_DEP_2)
	v_sub_nc_u16 v86, v34, v35
	v_and_b32_e32 v35, 0x3030303, v49
	v_lshlrev_b16 v86, 8, v86
	s_delay_alu instid0(VALU_DEP_2) | instskip(NEXT) | instid1(VALU_DEP_1)
	v_lshrrev_b32_e32 v34, 16, v35
	v_sub_nc_u16 v34, v34, v45
	v_lshrrev_b16 v45, 8, v35
	v_sub_nc_u16 v35, v35, v44
	v_lshrrev_b16 v44, 8, v44
	s_delay_alu instid0(VALU_DEP_1) | instskip(SKIP_2) | instid1(VALU_DEP_3)
	v_sub_nc_u16 v49, v45, v44
	v_lshlrev_b32_e32 v44, 2, v62
	v_bfe_u32 v45, v50, 24, 2
	v_lshlrev_b16 v49, 8, v49
	s_delay_alu instid0(VALU_DEP_3) | instskip(NEXT) | instid1(VALU_DEP_1)
	v_and_b32_e32 v44, 0x4040404, v44
	v_lshrrev_b32_e32 v62, 24, v44
	v_lshrrev_b32_e32 v91, 16, v44
	s_delay_alu instid0(VALU_DEP_2) | instskip(SKIP_1) | instid1(VALU_DEP_2)
	v_sub_nc_u16 v62, v45, v62
	v_and_b32_e32 v45, 0x3030303, v50
	v_lshlrev_b16 v62, 8, v62
	s_delay_alu instid0(VALU_DEP_2) | instskip(SKIP_2) | instid1(VALU_DEP_3)
	v_lshrrev_b32_e32 v50, 16, v45
	v_sub_nc_u16 v96, v45, v44
	v_lshrrev_b16 v44, 8, v44
	v_sub_nc_u16 v50, v50, v91
	v_lshrrev_b16 v91, 8, v45
	v_lshrrev_b32_e32 v45, 24, v40
	s_delay_alu instid0(VALU_DEP_2) | instskip(SKIP_1) | instid1(VALU_DEP_2)
	v_sub_nc_u16 v91, v91, v44
	v_bfe_u32 v44, v51, 24, 2
	v_lshlrev_b16 v91, 8, v91
	s_delay_alu instid0(VALU_DEP_2) | instskip(SKIP_2) | instid1(VALU_DEP_3)
	v_sub_nc_u16 v101, v44, v45
	v_and_b32_e32 v44, 0x3030303, v51
	v_lshrrev_b32_e32 v51, 16, v40
	v_lshlrev_b16 v101, 8, v101
	s_delay_alu instid0(VALU_DEP_3) | instskip(SKIP_2) | instid1(VALU_DEP_3)
	v_lshrrev_b32_e32 v45, 16, v44
	v_sub_nc_u16 v107, v44, v40
	v_lshrrev_b16 v40, 8, v40
	v_sub_nc_u16 v51, v45, v51
	v_lshrrev_b16 v45, 8, v44
	s_delay_alu instid0(VALU_DEP_1) | instskip(SKIP_2) | instid1(VALU_DEP_3)
	v_sub_nc_u16 v109, v45, v40
	v_lshlrev_b32_e32 v40, 2, v41
	v_bfe_u32 v41, v47, 24, 2
	v_lshlrev_b16 v109, 8, v109
	s_delay_alu instid0(VALU_DEP_3) | instskip(NEXT) | instid1(VALU_DEP_1)
	v_and_b32_e32 v40, 0x4040404, v40
	v_lshrrev_b32_e32 v44, 24, v40
	v_lshrrev_b32_e32 v45, 16, v40
	s_delay_alu instid0(VALU_DEP_2) | instskip(SKIP_1) | instid1(VALU_DEP_2)
	v_sub_nc_u16 v111, v41, v44
	v_and_b32_e32 v41, 0x3030303, v47
	v_lshlrev_b16 v111, 8, v111
	s_delay_alu instid0(VALU_DEP_2) | instskip(SKIP_1) | instid1(VALU_DEP_2)
	v_lshrrev_b32_e32 v44, 16, v41
	v_lshrrev_b16 v47, 8, v41
	v_sub_nc_u16 v44, v44, v45
	v_sub_nc_u16 v45, v41, v40
	v_lshrrev_b16 v40, 8, v40
	s_delay_alu instid0(VALU_DEP_1) | instskip(SKIP_1) | instid1(VALU_DEP_2)
	v_sub_nc_u16 v47, v47, v40
	v_lshlrev_b32_e32 v40, 2, v63
	v_lshlrev_b16 v47, 8, v47
	s_delay_alu instid0(VALU_DEP_2) | instskip(SKIP_1) | instid1(VALU_DEP_2)
	v_and_b32_e32 v63, 0x4040404, v40
	v_bfe_u32 v40, v48, 24, 2
	v_lshrrev_b32_e32 v41, 24, v63
	s_delay_alu instid0(VALU_DEP_1) | instskip(SKIP_2) | instid1(VALU_DEP_3)
	v_sub_nc_u16 v112, v40, v41
	v_and_b32_e32 v41, 0x3030303, v48
	v_lshrrev_b32_e32 v48, 16, v63
	v_lshlrev_b16 v112, 8, v112
	s_delay_alu instid0(VALU_DEP_3) | instskip(NEXT) | instid1(VALU_DEP_1)
	v_lshrrev_b32_e32 v40, 16, v41
	v_sub_nc_u16 v40, v40, v48
	v_lshrrev_b16 v48, 8, v41
	v_sub_nc_u16 v41, v41, v63
	v_lshrrev_b16 v63, 8, v63
	s_delay_alu instid0(VALU_DEP_1) | instskip(SKIP_3) | instid1(VALU_DEP_4)
	v_sub_nc_u16 v48, v48, v63
	v_lshlrev_b32_e32 v63, 2, v64
	v_bfe_u32 v64, v52, 24, 2
	v_and_b32_e32 v52, 0x3030303, v52
	v_lshlrev_b16 v48, 8, v48
	s_delay_alu instid0(VALU_DEP_4) | instskip(NEXT) | instid1(VALU_DEP_1)
	v_and_b32_e32 v63, 0x4040404, v63
	v_lshrrev_b32_e32 v114, 24, v63
	v_lshrrev_b32_e32 v116, 16, v63
	s_delay_alu instid0(VALU_DEP_2) | instskip(SKIP_1) | instid1(VALU_DEP_2)
	v_sub_nc_u16 v64, v64, v114
	v_lshrrev_b32_e32 v114, 16, v52
	v_lshlrev_b16 v64, 8, v64
	s_delay_alu instid0(VALU_DEP_2) | instskip(SKIP_3) | instid1(VALU_DEP_1)
	v_sub_nc_u16 v114, v114, v116
	v_lshrrev_b16 v116, 8, v52
	v_sub_nc_u16 v52, v52, v63
	v_lshrrev_b16 v63, 8, v63
	v_sub_nc_u16 v63, v116, v63
	v_bfe_u32 v116, v54, 24, 2
	v_and_b32_e32 v54, 0x3030303, v54
	s_delay_alu instid0(VALU_DEP_3) | instskip(NEXT) | instid1(VALU_DEP_3)
	v_lshlrev_b16 v63, 8, v63
	v_sub_nc_u16 v116, v116, v117
	s_delay_alu instid0(VALU_DEP_3) | instskip(NEXT) | instid1(VALU_DEP_2)
	v_lshrrev_b32_e32 v117, 16, v54
	v_lshlrev_b16 v116, 8, v116
	s_delay_alu instid0(VALU_DEP_2) | instskip(SKIP_3) | instid1(VALU_DEP_1)
	v_sub_nc_u16 v117, v117, v121
	v_lshrrev_b16 v121, 8, v54
	v_sub_nc_u16 v54, v54, v65
	v_lshrrev_b16 v65, 8, v65
	v_sub_nc_u16 v65, v121, v65
	v_bfe_u32 v121, v55, 24, 2
	v_and_b32_e32 v55, 0x3030303, v55
	s_delay_alu instid0(VALU_DEP_3) | instskip(NEXT) | instid1(VALU_DEP_3)
	v_lshlrev_b16 v65, 8, v65
	v_sub_nc_u16 v121, v121, v122
	s_delay_alu instid0(VALU_DEP_3) | instskip(NEXT) | instid1(VALU_DEP_2)
	;; [unrolled: 14-line block ×7, first 2 shown]
	v_lshrrev_b32_e32 v140, 16, v60
	v_lshlrev_b16 v139, 8, v139
	s_delay_alu instid0(VALU_DEP_2) | instskip(SKIP_3) | instid1(VALU_DEP_1)
	v_sub_nc_u16 v140, v140, v141
	v_lshrrev_b16 v141, 8, v60
	v_sub_nc_u16 v60, v60, v82
	v_lshrrev_b16 v82, 8, v82
	v_sub_nc_u16 v82, v141, v82
	v_and_b32_e32 v141, 0xff, v38
	s_delay_alu instid0(VALU_DEP_2) | instskip(NEXT) | instid1(VALU_DEP_2)
	v_lshlrev_b16 v82, 8, v82
	v_or_b32_e32 v83, v141, v83
	v_and_b32_e32 v141, 0xff, v39
	s_delay_alu instid0(VALU_DEP_2) | instskip(NEXT) | instid1(VALU_DEP_2)
	v_perm_b32 v142, v83, v38, 0x5000c0c
	v_or_b32_e32 v28, v141, v28
	v_and_b32_e32 v141, 0xff, v42
	s_delay_alu instid0(VALU_DEP_1) | instskip(SKIP_1) | instid1(VALU_DEP_2)
	v_or_b32_e32 v46, v141, v46
	v_and_b32_e32 v141, 0xff, v43
	v_perm_b32 v143, v46, v42, 0x5000c0c
	s_delay_alu instid0(VALU_DEP_2) | instskip(SKIP_1) | instid1(VALU_DEP_1)
	v_or_b32_e32 v29, v141, v29
	v_and_b32_e32 v141, 0xff, v36
	v_or_b32_e32 v61, v141, v61
	v_and_b32_e32 v141, 0xff, v37
	s_delay_alu instid0(VALU_DEP_2) | instskip(NEXT) | instid1(VALU_DEP_2)
	v_perm_b32 v144, v61, v36, 0x5000c0c
	v_or_b32_e32 v30, v141, v30
	v_and_b32_e32 v141, 0xff, v34
	s_delay_alu instid0(VALU_DEP_1) | instskip(SKIP_1) | instid1(VALU_DEP_2)
	v_or_b32_e32 v86, v141, v86
	v_and_b32_e32 v141, 0xff, v35
	v_perm_b32 v145, v86, v34, 0x5000c0c
	s_delay_alu instid0(VALU_DEP_2) | instskip(SKIP_1) | instid1(VALU_DEP_1)
	v_or_b32_e32 v49, v141, v49
	v_and_b32_e32 v141, 0xff, v50
	;; [unrolled: 13-line block ×7, first 2 shown]
	v_or_b32_e32 v135, v141, v135
	v_and_b32_e32 v141, 0xff, v59
	s_delay_alu instid0(VALU_DEP_2) | instskip(NEXT) | instid1(VALU_DEP_2)
	v_perm_b32 v156, v135, v136, 0x5000c0c
	v_or_b32_e32 v79, v141, v79
	v_and_b32_e32 v141, 0xff, v140
	s_delay_alu instid0(VALU_DEP_1) | instskip(SKIP_1) | instid1(VALU_DEP_2)
	v_or_b32_e32 v139, v141, v139
	v_and_b32_e32 v141, 0xff, v60
	v_perm_b32 v157, v139, v140, 0x5000c0c
	s_delay_alu instid0(VALU_DEP_2) | instskip(SKIP_1) | instid1(VALU_DEP_1)
	v_or_b32_e32 v82, v141, v82
	v_perm_b32 v141, v28, v39, 0xc0c0500
	v_or_b32_e32 v141, v142, v141
	v_perm_b32 v142, v29, v43, 0xc0c0500
	s_delay_alu instid0(VALU_DEP_1) | instskip(SKIP_1) | instid1(VALU_DEP_1)
	v_or_b32_e32 v142, v143, v142
	v_perm_b32 v143, v30, v37, 0xc0c0500
	v_or_b32_e32 v143, v144, v143
	v_perm_b32 v144, v49, v35, 0xc0c0500
	s_delay_alu instid0(VALU_DEP_1) | instskip(SKIP_1) | instid1(VALU_DEP_1)
	v_or_b32_e32 v144, v145, v144
	v_perm_b32 v145, v91, v96, 0xc0c0500
	v_or_b32_e32 v145, v146, v145
	v_perm_b32 v146, v109, v107, 0xc0c0500
	s_delay_alu instid0(VALU_DEP_2) | instskip(NEXT) | instid1(VALU_DEP_2)
	v_dot4_i32_iu8 v158, v0, v145, 0 neg_lo:[1,1,0]
	v_or_b32_e32 v146, v147, v146
	v_perm_b32 v147, v47, v45, 0xc0c0500
	s_delay_alu instid0(VALU_DEP_2) | instskip(NEXT) | instid1(VALU_DEP_2)
	v_dot4_i32_iu8 v158, v1, v146, v158 neg_lo:[1,1,0]
	v_or_b32_e32 v147, v148, v147
	v_perm_b32 v148, v48, v41, 0xc0c0500
	s_delay_alu instid0(VALU_DEP_1) | instskip(SKIP_1) | instid1(VALU_DEP_1)
	v_or_b32_e32 v148, v149, v148
	v_perm_b32 v149, v63, v52, 0xc0c0500
	v_or_b32_e32 v149, v150, v149
	v_perm_b32 v150, v65, v54, 0xc0c0500
	s_delay_alu instid0(VALU_DEP_2) | instskip(NEXT) | instid1(VALU_DEP_2)
	v_dot4_i32_iu8 v159, v0, v149, 0 neg_lo:[1,1,0]
	v_or_b32_e32 v150, v151, v150
	v_perm_b32 v151, v67, v55, 0xc0c0500
	s_delay_alu instid0(VALU_DEP_2) | instskip(NEXT) | instid1(VALU_DEP_2)
	v_dot4_i32_iu8 v159, v1, v150, v159 neg_lo:[1,1,0]
	v_or_b32_e32 v151, v152, v151
	v_perm_b32 v152, v69, v56, 0xc0c0500
	s_delay_alu instid0(VALU_DEP_1) | instskip(SKIP_1) | instid1(VALU_DEP_1)
	v_or_b32_e32 v152, v153, v152
	v_perm_b32 v153, v77, v57, 0xc0c0500
	v_or_b32_e32 v153, v154, v153
	v_perm_b32 v154, v78, v58, 0xc0c0500
	s_delay_alu instid0(VALU_DEP_1) | instskip(SKIP_1) | instid1(VALU_DEP_1)
	v_or_b32_e32 v154, v155, v154
	v_perm_b32 v155, v79, v59, 0xc0c0500
	v_or_b32_e32 v155, v156, v155
	v_perm_b32 v156, v82, v60, 0xc0c0500
	s_delay_alu instid0(VALU_DEP_1) | instskip(SKIP_2) | instid1(VALU_DEP_2)
	v_or_b32_e32 v156, v157, v156
	v_dot4_i32_iu8 v157, v0, v141, 0 neg_lo:[1,1,0]
	v_dot4_i32_iu8 v0, v0, v153, 0 neg_lo:[1,1,0]
	;; [unrolled: 1-line block ×3, first 2 shown]
	s_delay_alu instid0(VALU_DEP_2) | instskip(NEXT) | instid1(VALU_DEP_2)
	v_dot4_i32_iu8 v0, v1, v154, v0 neg_lo:[1,1,0]
	v_dot4_i32_iu8 v1, v2, v143, v157 neg_lo:[1,1,0]
	;; [unrolled: 1-line block ×4, first 2 shown]
	s_delay_alu instid0(VALU_DEP_4)
	v_dot4_i32_iu8 v0, v2, v155, v0 neg_lo:[1,1,0]
	v_dot4_i32_iu8 v2, v4, v149, 0 neg_lo:[1,1,0]
	v_dot4_i32_iu8 v159, v3, v144, v1 neg_lo:[1,1,0]
	v_dot4_i32_iu8 v157, v3, v148, v157 neg_lo:[1,1,0]
	v_dot4_i32_iu8 v158, v3, v152, v158 neg_lo:[1,1,0]
	v_dot4_i32_iu8 v160, v3, v156, v0 neg_lo:[1,1,0]
	v_dot4_i32_iu8 v0, v4, v141, 0 neg_lo:[1,1,0]
	v_dot4_i32_iu8 v1, v4, v145, 0 neg_lo:[1,1,0]
	v_dot4_i32_iu8 v3, v4, v153, 0 neg_lo:[1,1,0]
	v_dot4_i32_iu8 v2, v5, v150, v2 neg_lo:[1,1,0]
	s_delay_alu instid0(VALU_DEP_4) | instskip(NEXT) | instid1(VALU_DEP_4)
	v_dot4_i32_iu8 v0, v5, v142, v0 neg_lo:[1,1,0]
	v_dot4_i32_iu8 v1, v5, v146, v1 neg_lo:[1,1,0]
	s_delay_alu instid0(VALU_DEP_4) | instskip(NEXT) | instid1(VALU_DEP_4)
	v_dot4_i32_iu8 v3, v5, v154, v3 neg_lo:[1,1,0]
	v_dot4_i32_iu8 v2, v6, v151, v2 neg_lo:[1,1,0]
	s_delay_alu instid0(VALU_DEP_4) | instskip(NEXT) | instid1(VALU_DEP_4)
	v_dot4_i32_iu8 v0, v6, v143, v0 neg_lo:[1,1,0]
	v_dot4_i32_iu8 v1, v6, v147, v1 neg_lo:[1,1,0]
	s_delay_alu instid0(VALU_DEP_4) | instskip(NEXT) | instid1(VALU_DEP_4)
	v_dot4_i32_iu8 v3, v6, v155, v3 neg_lo:[1,1,0]
	v_dot4_i32_iu8 v163, v7, v152, v2 neg_lo:[1,1,0]
	v_dot4_i32_iu8 v2, v8, v149, 0 neg_lo:[1,1,0]
	v_dot4_i32_iu8 v161, v7, v144, v0 neg_lo:[1,1,0]
	v_dot4_i32_iu8 v162, v7, v148, v1 neg_lo:[1,1,0]
	v_dot4_i32_iu8 v164, v7, v156, v3 neg_lo:[1,1,0]
	v_dot4_i32_iu8 v0, v8, v141, 0 neg_lo:[1,1,0]
	v_dot4_i32_iu8 v1, v8, v145, 0 neg_lo:[1,1,0]
	v_dot4_i32_iu8 v3, v8, v153, 0 neg_lo:[1,1,0]
	v_dot4_i32_iu8 v2, v9, v150, v2 neg_lo:[1,1,0]
	s_delay_alu instid0(VALU_DEP_4) | instskip(NEXT) | instid1(VALU_DEP_4)
	v_dot4_i32_iu8 v0, v9, v142, v0 neg_lo:[1,1,0]
	v_dot4_i32_iu8 v1, v9, v146, v1 neg_lo:[1,1,0]
	s_delay_alu instid0(VALU_DEP_4) | instskip(NEXT) | instid1(VALU_DEP_4)
	v_dot4_i32_iu8 v3, v9, v154, v3 neg_lo:[1,1,0]
	v_dot4_i32_iu8 v2, v10, v151, v2 neg_lo:[1,1,0]
	s_delay_alu instid0(VALU_DEP_4) | instskip(NEXT) | instid1(VALU_DEP_4)
	v_dot4_i32_iu8 v0, v10, v143, v0 neg_lo:[1,1,0]
	v_dot4_i32_iu8 v1, v10, v147, v1 neg_lo:[1,1,0]
	s_delay_alu instid0(VALU_DEP_4) | instskip(NEXT) | instid1(VALU_DEP_4)
	;; [unrolled: 20-line block ×5, first 2 shown]
	v_dot4_i32_iu8 v3, v22, v155, v3 neg_lo:[1,1,0]
	v_dot4_i32_iu8 v173, v23, v152, v2 neg_lo:[1,1,0]
	;; [unrolled: 1-line block ×10, first 2 shown]
	v_perm_b32 v22, v210, v227, 0xc0c0401
	v_dot4_i32_iu8 v0, v25, v142, v0 neg_lo:[1,1,0]
	v_dot4_i32_iu8 v1, v25, v146, v1 neg_lo:[1,1,0]
	;; [unrolled: 1-line block ×4, first 2 shown]
	v_perm_b32 v23, v211, v231, 0x4010c0c
	v_dot4_i32_iu8 v0, v26, v143, v0 neg_lo:[1,1,0]
	v_dot4_i32_iu8 v1, v26, v147, v1 neg_lo:[1,1,0]
	;; [unrolled: 1-line block ×4, first 2 shown]
	v_perm_b32 v24, v212, v224, 0xc0c0401
	v_dot4_i32_iu8 v12, v27, v144, v0 neg_lo:[1,1,0]
	v_dot4_i32_iu8 v18, v27, v148, v1 neg_lo:[1,1,0]
	;; [unrolled: 1-line block ×3, first 2 shown]
	ds_load_b128 v[0:3], v192
	ds_load_b128 v[4:7], v192 offset:16
	s_clause 0x1
	scratch_load_b32 v15, off, off
	scratch_load_b32 v19, off, off offset:4
	v_perm_b32 v25, v213, v225, 0x4010c0c
	v_perm_b32 v27, v218, v97, 0xc0c0401
	;; [unrolled: 1-line block ×3, first 2 shown]
	v_mov_b32_e32 v224, v137
	v_add_nc_u32_e32 v192, 32, v192
	s_waitcnt lgkmcnt(1)
	v_perm_b32 v13, v0, v0, 0x30201
	v_perm_b32 v14, v1, v1, 0x30201
	s_clause 0x1
	scratch_load_b32 v0, off, off offset:144
	scratch_load_b32 v1, off, off offset:136
	s_waitcnt lgkmcnt(0)
	v_perm_b32 v4, v4, v4, 0x30201
	v_perm_b32 v5, v5, v5, 0x30201
	;; [unrolled: 1-line block ×6, first 2 shown]
	s_waitcnt vmcnt(3)
	v_add_nc_u32_e32 v15, s20, v15
	s_waitcnt vmcnt(2)
	v_add_nc_u32_e32 v19, s20, v19
	ds_load_b32 v15, v15
	s_waitcnt vmcnt(1)
	v_add3_u32 v0, v0, s19, v33
	s_waitcnt vmcnt(0)
	v_add3_u32 v1, v1, s19, v33
	ds_load_b32 v19, v19
	ds_load_u16 v20, v0
	ds_load_u16 v21, v1
	ds_load_2addr_b32 v[0:1], v238 offset1:32
	v_perm_b32 v33, v219, v94, 0x4010c0c
	v_perm_b32 v94, v232, v118, 0xc0c0401
	s_add_i32 s19, s1, s16
	s_delay_alu instid0(SALU_CYCLE_1) | instskip(NEXT) | instid1(SALU_CYCLE_1)
	s_add_i32 s19, s19, 8
	s_cmp_lt_u32 s19, s18
	s_waitcnt lgkmcnt(0)
	v_mul_f32_e32 v142, v0, v194
	v_mul_f32_e32 v143, v0, v15
	v_mul_f32_e32 v144, v0, v195
	v_dual_mul_f32 v145, v0, v19 :: v_dual_mul_f32 v146, v194, v1
	v_mul_f32_e32 v147, v15, v1
	v_mul_f32_e32 v148, v195, v1
	v_mul_f32_e32 v149, v19, v1
	ds_load_2addr_b32 v[0:1], v238 offset0:64 offset1:96
	s_waitcnt lgkmcnt(0)
	v_mul_f32_e32 v150, v194, v0
	v_mul_f32_e32 v151, v15, v0
	v_mul_f32_e32 v152, v195, v0
	v_dual_mul_f32 v153, v19, v0 :: v_dual_mul_f32 v154, v194, v1
	v_mul_f32_e32 v155, v15, v1
	v_mul_f32_e32 v156, v195, v1
	v_mul_f32_e32 v175, v19, v1
	ds_load_2addr_b32 v[0:1], v238 offset0:128 offset1:160
	;; [unrolled: 9-line block ×3, first 2 shown]
	v_add_nc_u32_e32 v238, 4, v238
	s_waitcnt lgkmcnt(0)
	v_mul_f32_e32 v186, v194, v0
	v_dual_mul_f32 v187, v194, v1 :: v_dual_mul_f32 v188, v15, v0
	v_mul_f32_e32 v189, v15, v1
	v_mul_f32_e32 v190, v195, v0
	;; [unrolled: 1-line block ×5, first 2 shown]
	v_perm_b32 v0, v202, v247, 0xc0c0401
	v_perm_b32 v1, v203, v245, 0x4010c0c
	;; [unrolled: 1-line block ×4, first 2 shown]
	s_delay_alu instid0(VALU_DEP_3) | instskip(NEXT) | instid1(VALU_DEP_2)
	v_or_b32_e32 v0, v1, v0
	v_or_b32_e32 v1, v19, v15
	v_or_b32_e32 v15, v23, v22
	v_or_b32_e32 v19, v25, v24
	v_or_b32_e32 v22, v33, v27
	v_or_b32_e32 v24, v89, v87
	v_or_b32_e32 v23, v81, v53
	v_or_b32_e32 v25, v97, v94
	v_dot4_i32_iu8 v0, v0, v13, 0 neg_lo:[1,1,0]
	v_dot4_i32_iu8 v15, v15, v13, 0 neg_lo:[1,1,0]
	;; [unrolled: 1-line block ×4, first 2 shown]
	v_perm_b32 v24, v50, v91, 0xc0c0401
	v_dot4_i32_iu8 v0, v1, v14, v0 neg_lo:[1,1,0]
	v_dot4_i32_iu8 v1, v19, v14, v15 neg_lo:[1,1,0]
	;; [unrolled: 1-line block ×4, first 2 shown]
	v_perm_b32 v14, v38, v28, 0xc0c0401
	v_perm_b32 v19, v39, v83, 0x4010c0c
	;; [unrolled: 1-line block ×15, first 2 shown]
	v_or_b32_e32 v14, v19, v14
	v_or_b32_e32 v19, v23, v22
	;; [unrolled: 1-line block ×8, first 2 shown]
	v_dot4_i32_iu8 v14, v14, v4, 0 neg_lo:[1,1,0]
	v_dot4_i32_iu8 v22, v22, v4, 0 neg_lo:[1,1,0]
	;; [unrolled: 1-line block ×4, first 2 shown]
	v_perm_b32 v27, v214, v244, 0xc0c0401
	v_dot4_i32_iu8 v14, v19, v5, v14 neg_lo:[1,1,0]
	v_dot4_i32_iu8 v19, v23, v5, v22 neg_lo:[1,1,0]
	;; [unrolled: 1-line block ×4, first 2 shown]
	s_clause 0x3
	scratch_load_b32 v5, off, off offset:104
	scratch_load_b32 v25, off, off offset:108
	;; [unrolled: 1-line block ×4, first 2 shown]
	v_perm_b32 v28, v215, v242, 0x4010c0c
	v_perm_b32 v29, v222, v253, 0xc0c0401
	;; [unrolled: 1-line block ×3, first 2 shown]
	v_mov_b32_e32 v87, v85
	s_clause 0x2
	scratch_load_b32 v85, off, off offset:44
	scratch_load_b32 v62, off, off offset:24
	;; [unrolled: 1-line block ×3, first 2 shown]
	v_mov_b32_e32 v78, v193
	v_mov_b32_e32 v54, v84
	v_dual_mov_b32 v84, v71 :: v_dual_mov_b32 v71, v236
	v_mov_b32_e32 v89, v75
	v_mov_b32_e32 v83, v234
	;; [unrolled: 1-line block ×3, first 2 shown]
	v_dual_mov_b32 v77, v66 :: v_dual_mov_b32 v52, v99
	v_dual_mov_b32 v51, v106 :: v_dual_mov_b32 v50, v108
	s_waitcnt vmcnt(6)
	v_perm_b32 v5, v198, v5, 0xc0c0401
	s_waitcnt vmcnt(5)
	v_perm_b32 v25, v207, v25, 0x4010c0c
	;; [unrolled: 2-line block ×4, first 2 shown]
	s_delay_alu instid0(VALU_DEP_2) | instskip(NEXT) | instid1(VALU_DEP_2)
	v_or_b32_e32 v5, v23, v5
	v_or_b32_e32 v23, v25, v24
	;; [unrolled: 1-line block ×4, first 2 shown]
	v_perm_b32 v27, v55, v121, 0x4010c0c
	v_dot4_i32_iu8 v0, v5, v2, v0 neg_lo:[1,1,0]
	v_dot4_i32_iu8 v1, v23, v2, v1 neg_lo:[1,1,0]
	;; [unrolled: 1-line block ×4, first 2 shown]
	v_perm_b32 v13, v36, v30, 0xc0c0401
	v_perm_b32 v15, v37, v61, 0x4010c0c
	;; [unrolled: 1-line block ×7, first 2 shown]
	v_or_b32_e32 v13, v15, v13
	v_or_b32_e32 v15, v24, v23
	;; [unrolled: 1-line block ×3, first 2 shown]
	scratch_load_b32 v25, off, off offset:92 ; 4-byte Folded Reload
	v_or_b32_e32 v24, v29, v28
	v_dot4_i32_iu8 v13, v13, v6, v14 neg_lo:[1,1,0]
	v_dot4_i32_iu8 v14, v15, v6, v19 neg_lo:[1,1,0]
	;; [unrolled: 1-line block ×3, first 2 shown]
	scratch_load_b32 v22, off, off offset:88 ; 4-byte Folded Reload
	v_dot4_i32_iu8 v4, v24, v6, v4 neg_lo:[1,1,0]
	s_clause 0x3
	scratch_load_b32 v6, off, off offset:80
	scratch_load_b32 v23, off, off offset:84
	;; [unrolled: 1-line block ×4, first 2 shown]
	v_perm_b32 v27, v216, v243, 0xc0c0401
	v_perm_b32 v28, v217, v240, 0x4010c0c
	s_clause 0x1
	scratch_load_b32 v67, off, off offset:8
	scratch_load_b32 v59, off, off offset:12
	s_waitcnt vmcnt(7)
	v_perm_b32 v25, v209, v25, 0x4010c0c
	s_waitcnt vmcnt(6)
	v_perm_b32 v22, v200, v22, 0xc0c0401
	;; [unrolled: 2-line block ×6, first 2 shown]
	s_delay_alu instid0(VALU_DEP_2) | instskip(SKIP_1) | instid1(VALU_DEP_3)
	v_or_b32_e32 v6, v19, v6
	v_or_b32_e32 v19, v23, v22
	;; [unrolled: 1-line block ×4, first 2 shown]
	v_perm_b32 v24, v140, v82, 0xc0c0401
	v_dot4_i32_iu8 v0, v6, v3, v0 neg_lo:[1,1,0]
	v_dot4_i32_iu8 v19, v19, v3, v1 neg_lo:[1,1,0]
	;; [unrolled: 1-line block ×4, first 2 shown]
	v_perm_b32 v1, v34, v49, 0xc0c0401
	v_perm_b32 v2, v35, v86, 0x4010c0c
	;; [unrolled: 1-line block ×6, first 2 shown]
	v_or_b32_e32 v1, v2, v1
	v_perm_b32 v25, v60, v139, 0x4010c0c
	scratch_load_b32 v60, off, off offset:16 ; 4-byte Folded Reload
	v_or_b32_e32 v2, v5, v3
	v_or_b32_e32 v3, v23, v6
	v_dot4_i32_iu8 v6, v1, v7, v13 neg_lo:[1,1,0]
	v_lshrrev_b16 v1, 8, v20
	v_or_b32_e32 v5, v25, v24
	v_dot4_i32_iu8 v13, v2, v7, v14 neg_lo:[1,1,0]
	v_bfe_i32 v14, v20, 0, 8
	v_dot4_i32_iu8 v23, v3, v7, v15 neg_lo:[1,1,0]
	v_bfe_i32 v15, v1, 0, 8
	;; [unrolled: 2-line block ×3, first 2 shown]
	v_mul_lo_u32 v0, v0, v14
	v_bfe_i32 v25, v21, 0, 8
	v_mov_b32_e32 v49, v128
	scratch_load_b32 v69, off, off offset:32 ; 4-byte Folded Reload
	v_mov_b32_e32 v86, v235
	v_mov_b32_e32 v82, v230
	v_mad_u64_u32 v[1:2], null, v6, v15, v[0:1]
	v_mul_lo_u32 v0, v76, v14
	s_clause 0x1
	scratch_load_b32 v76, off, off offset:36
	scratch_load_b32 v61, off, off offset:20
	v_mad_u64_u32 v[2:3], null, v159, v15, v[0:1]
	v_mul_lo_u32 v0, v95, v14
	s_delay_alu instid0(VALU_DEP_1) | instskip(SKIP_1) | instid1(VALU_DEP_1)
	v_mad_u64_u32 v[3:4], null, v161, v15, v[0:1]
	v_mul_lo_u32 v0, v104, v14
	v_mad_u64_u32 v[4:5], null, v8, v15, v[0:1]
	v_mul_lo_u32 v0, v133, v14
	s_delay_alu instid0(VALU_DEP_1) | instskip(SKIP_1) | instid1(VALU_DEP_1)
	v_mad_u64_u32 v[5:6], null, v9, v15, v[0:1]
	v_mul_lo_u32 v0, v70, v14
	;; [unrolled: 5-line block ×3, first 2 shown]
	v_mad_u64_u32 v[8:9], null, v12, v15, v[0:1]
	v_lshrrev_b16 v0, 8, v31
	s_delay_alu instid0(VALU_DEP_1) | instskip(SKIP_1) | instid1(VALU_DEP_1)
	v_bfe_i32 v24, v0, 0, 8
	v_mul_lo_u32 v0, v19, v20
	v_mad_u64_u32 v[9:10], null, v13, v24, v[0:1]
	v_mul_lo_u32 v0, v250, v20
	s_delay_alu instid0(VALU_DEP_1) | instskip(SKIP_4) | instid1(VALU_DEP_1)
	v_mad_u64_u32 v[10:11], null, v157, v24, v[0:1]
	v_mul_lo_u32 v0, v80, v20
	scratch_load_b32 v80, off, off offset:40 ; 4-byte Folded Reload
	v_mad_u64_u32 v[11:12], null, v162, v24, v[0:1]
	v_mul_lo_u32 v0, v93, v20
	v_mad_u64_u32 v[12:13], null, v165, v24, v[0:1]
	v_mul_lo_u32 v0, v103, v20
	s_delay_alu instid0(VALU_DEP_1) | instskip(SKIP_1) | instid1(VALU_DEP_1)
	v_mad_u64_u32 v[13:14], null, v168, v24, v[0:1]
	v_mul_lo_u32 v0, v129, v20
	v_mad_u64_u32 v[14:15], null, v16, v24, v[0:1]
	v_mul_lo_u32 v0, v68, v20
	s_delay_alu instid0(VALU_DEP_1) | instskip(SKIP_2) | instid1(VALU_DEP_2)
	v_mad_u64_u32 v[15:16], null, v17, v24, v[0:1]
	v_mul_lo_u32 v0, v72, v20
	v_mov_b32_e32 v72, v134
	v_mad_u64_u32 v[16:17], null, v18, v24, v[0:1]
	v_lshrrev_b16 v0, 8, v21
	s_delay_alu instid0(VALU_DEP_1) | instskip(SKIP_1) | instid1(VALU_DEP_1)
	v_bfe_i32 v29, v0, 0, 8
	v_mul_lo_u32 v0, v22, v25
	v_mad_u64_u32 v[17:18], null, v23, v29, v[0:1]
	v_mul_lo_u32 v0, v241, v25
	s_delay_alu instid0(VALU_DEP_1) | instskip(SKIP_1) | instid1(VALU_DEP_1)
	v_mad_u64_u32 v[18:19], null, v158, v29, v[0:1]
	v_mul_lo_u32 v0, v249, v25
	v_mad_u64_u32 v[19:20], null, v163, v29, v[0:1]
	v_mul_lo_u32 v0, v255, v25
	s_delay_alu instid0(VALU_DEP_1) | instskip(SKIP_1) | instid1(VALU_DEP_1)
	v_mad_u64_u32 v[20:21], null, v166, v29, v[0:1]
	;; [unrolled: 5-line block ×3, first 2 shown]
	v_mul_lo_u32 v0, v127, v25
	v_mad_u64_u32 v[23:24], null, v173, v29, v[0:1]
	v_mul_lo_u32 v0, v138, v25
	s_delay_alu instid0(VALU_DEP_1) | instskip(SKIP_2) | instid1(VALU_DEP_2)
	v_mad_u64_u32 v[24:25], null, v26, v29, v[0:1]
	v_lshrrev_b16 v0, 8, v32
	v_bfe_i32 v29, v32, 0, 8
	v_bfe_i32 v30, v0, 0, 8
	s_delay_alu instid0(VALU_DEP_2) | instskip(NEXT) | instid1(VALU_DEP_1)
	v_mul_lo_u32 v0, v27, v29
	v_mad_u64_u32 v[25:26], null, v28, v30, v[0:1]
	v_mul_lo_u32 v0, v237, v29
	s_clause 0x1
	scratch_load_b32 v28, off, off offset:72
	scratch_load_b32 v128, off, off offset:68
	v_mad_u64_u32 v[26:27], null, v160, v30, v[0:1]
	v_mul_lo_u32 v0, v239, v29
	s_delay_alu instid0(VALU_DEP_1) | instskip(SKIP_1) | instid1(VALU_DEP_1)
	v_mad_u64_u32 v[31:32], null, v164, v30, v[0:1]
	v_mul_lo_u32 v0, v246, v29
	v_mad_u64_u32 v[32:33], null, v167, v30, v[0:1]
	v_mul_lo_u32 v0, v254, v29
	s_delay_alu instid0(VALU_DEP_1) | instskip(SKIP_4) | instid1(VALU_DEP_1)
	v_mad_u64_u32 v[33:34], null, v170, v30, v[0:1]
	v_mul_lo_u32 v0, v90, v29
	scratch_load_b32 v90, off, off offset:48 ; 4-byte Folded Reload
	v_mad_u64_u32 v[34:35], null, v172, v30, v[0:1]
	v_mul_lo_u32 v0, v100, v29
	v_mad_u64_u32 v[35:36], null, v174, v30, v[0:1]
	v_mul_lo_u32 v0, v113, v29
	s_clause 0x1
	scratch_load_b32 v29, off, off offset:56
	scratch_load_b32 v137, off, off offset:52
	v_mad_u64_u32 v[36:37], null, v141, v30, v[0:1]
	s_clause 0x1
	scratch_load_b32 v30, off, off offset:64
	scratch_load_b32 v193, off, off offset:60
	v_cvt_f32_i32_e32 v0, v1
	s_delay_alu instid0(VALU_DEP_1) | instskip(SKIP_1) | instid1(VALU_DEP_1)
	v_fmac_f32_e32 v54, v142, v0
	v_cvt_f32_i32_e32 v0, v9
	v_fmac_f32_e32 v71, v143, v0
	v_cvt_f32_i32_e32 v0, v17
	s_delay_alu instid0(VALU_DEP_1) | instskip(SKIP_1) | instid1(VALU_DEP_1)
	v_fmac_f32_e32 v89, v144, v0
	v_cvt_f32_i32_e32 v0, v25
	v_fmac_f32_e32 v74, v145, v0
	v_cvt_f32_i32_e32 v0, v2
	s_delay_alu instid0(VALU_DEP_1) | instskip(SKIP_1) | instid1(VALU_DEP_1)
	v_fmac_f32_e32 v88, v146, v0
	v_cvt_f32_i32_e32 v0, v10
	v_fmac_f32_e32 v87, v147, v0
	v_cvt_f32_i32_e32 v0, v18
	s_delay_alu instid0(VALU_DEP_1) | instskip(SKIP_1) | instid1(VALU_DEP_1)
	v_fmac_f32_e32 v73, v148, v0
	v_cvt_f32_i32_e32 v0, v26
	v_fmac_f32_e32 v86, v149, v0
	v_cvt_f32_i32_e32 v0, v3
	s_delay_alu instid0(VALU_DEP_1) | instskip(SKIP_1) | instid1(VALU_DEP_1)
	v_fmac_f32_e32 v84, v150, v0
	v_cvt_f32_i32_e32 v0, v11
	v_fmac_f32_e32 v83, v151, v0
	v_cvt_f32_i32_e32 v0, v19
	s_delay_alu instid0(VALU_DEP_1) | instskip(SKIP_1) | instid1(VALU_DEP_1)
	v_fmac_f32_e32 v82, v152, v0
	v_cvt_f32_i32_e32 v0, v31
	v_fmac_f32_e32 v81, v153, v0
	v_cvt_f32_i32_e32 v0, v4
	s_delay_alu instid0(VALU_DEP_1) | instskip(SKIP_1) | instid1(VALU_DEP_1)
	v_fmac_f32_e32 v229, v154, v0
	v_cvt_f32_i32_e32 v0, v12
	v_fmac_f32_e32 v78, v155, v0
	v_cvt_f32_i32_e32 v0, v20
	s_delay_alu instid0(VALU_DEP_1) | instskip(SKIP_1) | instid1(VALU_DEP_1)
	v_fmac_f32_e32 v77, v156, v0
	v_cvt_f32_i32_e32 v0, v32
	v_fmac_f32_e32 v224, v175, v0
	v_cvt_f32_i32_e32 v0, v5
	s_waitcnt vmcnt(0)
	s_delay_alu instid0(VALU_DEP_1) | instskip(SKIP_1) | instid1(VALU_DEP_1)
	v_fmac_f32_e32 v193, v176, v0
	v_cvt_f32_i32_e32 v0, v13
	v_fmac_f32_e32 v137, v177, v0
	v_cvt_f32_i32_e32 v0, v21
	s_delay_alu instid0(VALU_DEP_1) | instskip(SKIP_1) | instid1(VALU_DEP_1)
	v_fmac_f32_e32 v72, v178, v0
	v_cvt_f32_i32_e32 v0, v33
	v_fmac_f32_e32 v128, v181, v0
	v_cvt_f32_i32_e32 v0, v6
	;; [unrolled: 5-line block ×7, first 2 shown]
	s_delay_alu instid0(VALU_DEP_1) | instskip(SKIP_1) | instid1(VALU_DEP_1)
	v_fmac_f32_e32 v29, v191, v0
	v_cvt_f32_i32_e32 v0, v36
	v_fmac_f32_e32 v28, v195, v0
	s_cbranch_scc1 .LBB129_12
; %bb.13:                               ;   in Loop: Header=BB129_8 Depth=2
	s_waitcnt_vscnt null, 0x0
	s_barrier
	buffer_gl0_inv
	s_clause 0x9
	scratch_load_b32 v65, off, off
	scratch_load_b32 v91, off, off offset:4
	scratch_load_b32 v92, off, off offset:116
	;; [unrolled: 1-line block ×9, first 2 shown]
	s_add_i32 s1, s1, 16
	s_cmp_eq_u32 s14, 4
	s_cselect_b32 s15, -1, 0
	s_delay_alu instid0(SALU_CYCLE_1)
	s_and_b32 vcc_lo, exec_lo, s15
	s_cbranch_vccz .LBB129_8
	s_branch .LBB129_5
.LBB129_14:
	s_clause 0x2
	scratch_load_b32 v1, off, off offset:516
	scratch_load_b32 v0, off, off offset:152
	;; [unrolled: 1-line block ×3, first 2 shown]
.LBB129_15:
	s_mov_b32 s0, exec_lo
	s_waitcnt vmcnt(0)
	v_cmpx_gt_u32_e64 s4, v2
	s_cbranch_execz .LBB129_66
; %bb.16:
	v_add_nc_u32_e32 v0, s10, v0
	v_mul_lo_u32 v5, v2, s6
	s_delay_alu instid0(VALU_DEP_2)
	v_cmp_gt_u32_e32 vcc_lo, s6, v0
	s_and_saveexec_b32 s1, vcc_lo
	s_cbranch_execz .LBB129_18
; %bb.17:
	s_delay_alu instid0(VALU_DEP_2) | instskip(NEXT) | instid1(VALU_DEP_1)
	v_dual_mov_b32 v3, 0 :: v_dual_add_nc_u32 v2, v0, v5
	v_lshlrev_b64 v[2:3], 2, v[2:3]
	s_waitcnt lgkmcnt(0)
	s_delay_alu instid0(VALU_DEP_1) | instskip(NEXT) | instid1(VALU_DEP_1)
	v_add_co_u32 v2, s0, s8, v2
	v_add_co_ci_u32_e64 v3, s0, s9, v3, s0
	global_store_b32 v[2:3], v54, off
.LBB129_18:
	s_or_b32 exec_lo, exec_lo, s1
	v_add_nc_u32_e32 v2, 32, v0
	s_delay_alu instid0(VALU_DEP_1) | instskip(NEXT) | instid1(VALU_DEP_1)
	v_cmp_gt_u32_e64 s0, s6, v2
	s_and_saveexec_b32 s2, s0
	s_cbranch_execz .LBB129_20
; %bb.19:
	v_dual_mov_b32 v4, 0 :: v_dual_add_nc_u32 v3, v2, v5
	s_delay_alu instid0(VALU_DEP_1) | instskip(SKIP_1) | instid1(VALU_DEP_1)
	v_lshlrev_b64 v[3:4], 2, v[3:4]
	s_waitcnt lgkmcnt(0)
	v_add_co_u32 v3, s1, s8, v3
	s_delay_alu instid0(VALU_DEP_1)
	v_add_co_ci_u32_e64 v4, s1, s9, v4, s1
	global_store_b32 v[3:4], v71, off
.LBB129_20:
	s_or_b32 exec_lo, exec_lo, s2
	v_add_nc_u32_e32 v3, 64, v0
	s_delay_alu instid0(VALU_DEP_1) | instskip(NEXT) | instid1(VALU_DEP_1)
	v_cmp_gt_u32_e64 s1, s6, v3
	s_and_saveexec_b32 s3, s1
	s_cbranch_execz .LBB129_22
; %bb.21:
	v_dual_mov_b32 v7, 0 :: v_dual_add_nc_u32 v6, v3, v5
	s_delay_alu instid0(VALU_DEP_1) | instskip(SKIP_1) | instid1(VALU_DEP_1)
	v_lshlrev_b64 v[6:7], 2, v[6:7]
	s_waitcnt lgkmcnt(0)
	v_add_co_u32 v6, s2, s8, v6
	s_delay_alu instid0(VALU_DEP_1)
	v_add_co_ci_u32_e64 v7, s2, s9, v7, s2
	global_store_b32 v[6:7], v89, off
.LBB129_22:
	;; [unrolled: 16-line block ×3, first 2 shown]
	s_or_b32 exec_lo, exec_lo, s5
	v_add3_u32 v5, v1, s7, 8
	s_delay_alu instid0(VALU_DEP_1) | instskip(NEXT) | instid1(VALU_DEP_1)
	v_cmp_gt_u32_e64 s3, s4, v5
	s_and_b32 exec_lo, exec_lo, s3
	s_cbranch_execz .LBB129_66
; %bb.25:
	v_mul_lo_u32 v5, v5, s6
	s_and_saveexec_b32 s5, vcc_lo
	s_cbranch_execnz .LBB129_67
; %bb.26:
	s_or_b32 exec_lo, exec_lo, s5
	s_and_saveexec_b32 s5, s0
	s_cbranch_execnz .LBB129_68
.LBB129_27:
	s_or_b32 exec_lo, exec_lo, s5
	s_and_saveexec_b32 s5, s1
	s_cbranch_execnz .LBB129_69
.LBB129_28:
	s_or_b32 exec_lo, exec_lo, s5
	s_and_saveexec_b32 s5, s2
	s_cbranch_execz .LBB129_30
.LBB129_29:
	v_dual_mov_b32 v6, 0 :: v_dual_add_nc_u32 v5, v5, v4
	s_delay_alu instid0(VALU_DEP_1) | instskip(SKIP_1) | instid1(VALU_DEP_1)
	v_lshlrev_b64 v[5:6], 2, v[5:6]
	s_waitcnt lgkmcnt(0)
	v_add_co_u32 v5, s3, s8, v5
	s_delay_alu instid0(VALU_DEP_1)
	v_add_co_ci_u32_e64 v6, s3, s9, v6, s3
	global_store_b32 v[5:6], v86, off
.LBB129_30:
	s_or_b32 exec_lo, exec_lo, s5
	v_add3_u32 v5, v1, s7, 16
	s_delay_alu instid0(VALU_DEP_1) | instskip(NEXT) | instid1(VALU_DEP_1)
	v_cmp_gt_u32_e64 s3, s4, v5
	s_and_b32 exec_lo, exec_lo, s3
	s_cbranch_execz .LBB129_66
; %bb.31:
	v_mul_lo_u32 v5, v5, s6
	s_and_saveexec_b32 s5, vcc_lo
	s_cbranch_execnz .LBB129_70
; %bb.32:
	s_or_b32 exec_lo, exec_lo, s5
	s_and_saveexec_b32 s5, s0
	s_cbranch_execnz .LBB129_71
.LBB129_33:
	s_or_b32 exec_lo, exec_lo, s5
	s_and_saveexec_b32 s5, s1
	s_cbranch_execnz .LBB129_72
.LBB129_34:
	s_or_b32 exec_lo, exec_lo, s5
	s_and_saveexec_b32 s5, s2
	s_cbranch_execz .LBB129_36
.LBB129_35:
	v_dual_mov_b32 v6, 0 :: v_dual_add_nc_u32 v5, v5, v4
	s_delay_alu instid0(VALU_DEP_1) | instskip(SKIP_1) | instid1(VALU_DEP_1)
	v_lshlrev_b64 v[5:6], 2, v[5:6]
	s_waitcnt lgkmcnt(0)
	v_add_co_u32 v5, s3, s8, v5
	s_delay_alu instid0(VALU_DEP_1)
	v_add_co_ci_u32_e64 v6, s3, s9, v6, s3
	global_store_b32 v[5:6], v81, off
.LBB129_36:
	s_or_b32 exec_lo, exec_lo, s5
	v_add3_u32 v5, v1, s7, 24
	s_delay_alu instid0(VALU_DEP_1) | instskip(NEXT) | instid1(VALU_DEP_1)
	v_cmp_gt_u32_e64 s3, s4, v5
	s_and_b32 exec_lo, exec_lo, s3
	s_cbranch_execz .LBB129_66
; %bb.37:
	v_mul_lo_u32 v5, v5, s6
	s_and_saveexec_b32 s5, vcc_lo
	s_cbranch_execnz .LBB129_73
; %bb.38:
	s_or_b32 exec_lo, exec_lo, s5
	s_and_saveexec_b32 s5, s0
	s_cbranch_execnz .LBB129_74
.LBB129_39:
	s_or_b32 exec_lo, exec_lo, s5
	s_and_saveexec_b32 s5, s1
	s_cbranch_execnz .LBB129_75
.LBB129_40:
	s_or_b32 exec_lo, exec_lo, s5
	s_and_saveexec_b32 s5, s2
	s_cbranch_execz .LBB129_42
.LBB129_41:
	v_dual_mov_b32 v6, 0 :: v_dual_add_nc_u32 v5, v5, v4
	s_delay_alu instid0(VALU_DEP_1) | instskip(SKIP_1) | instid1(VALU_DEP_1)
	v_lshlrev_b64 v[5:6], 2, v[5:6]
	s_waitcnt lgkmcnt(0)
	v_add_co_u32 v5, s3, s8, v5
	s_delay_alu instid0(VALU_DEP_1)
	v_add_co_ci_u32_e64 v6, s3, s9, v6, s3
	global_store_b32 v[5:6], v224, off
.LBB129_42:
	s_or_b32 exec_lo, exec_lo, s5
	v_add3_u32 v5, v1, s7, 32
	s_delay_alu instid0(VALU_DEP_1) | instskip(NEXT) | instid1(VALU_DEP_1)
	v_cmp_gt_u32_e64 s3, s4, v5
	s_and_b32 exec_lo, exec_lo, s3
	s_cbranch_execz .LBB129_66
; %bb.43:
	v_mul_lo_u32 v5, v5, s6
	s_and_saveexec_b32 s5, vcc_lo
	s_cbranch_execnz .LBB129_76
; %bb.44:
	s_or_b32 exec_lo, exec_lo, s5
	s_and_saveexec_b32 s5, s0
	s_cbranch_execnz .LBB129_77
.LBB129_45:
	s_or_b32 exec_lo, exec_lo, s5
	s_and_saveexec_b32 s5, s1
	s_cbranch_execnz .LBB129_78
.LBB129_46:
	s_or_b32 exec_lo, exec_lo, s5
	s_and_saveexec_b32 s5, s2
	s_cbranch_execz .LBB129_48
.LBB129_47:
	v_dual_mov_b32 v6, 0 :: v_dual_add_nc_u32 v5, v5, v4
	s_delay_alu instid0(VALU_DEP_1) | instskip(SKIP_1) | instid1(VALU_DEP_1)
	v_lshlrev_b64 v[5:6], 2, v[5:6]
	s_waitcnt lgkmcnt(0)
	v_add_co_u32 v5, s3, s8, v5
	s_delay_alu instid0(VALU_DEP_1)
	v_add_co_ci_u32_e64 v6, s3, s9, v6, s3
	global_store_b32 v[5:6], v128, off
.LBB129_48:
	s_or_b32 exec_lo, exec_lo, s5
	v_add3_u32 v5, v1, s7, 40
	s_delay_alu instid0(VALU_DEP_1) | instskip(NEXT) | instid1(VALU_DEP_1)
	v_cmp_gt_u32_e64 s3, s4, v5
	s_and_b32 exec_lo, exec_lo, s3
	s_cbranch_execz .LBB129_66
; %bb.49:
	v_mul_lo_u32 v5, v5, s6
	s_and_saveexec_b32 s5, vcc_lo
	s_cbranch_execnz .LBB129_79
; %bb.50:
	s_or_b32 exec_lo, exec_lo, s5
	s_and_saveexec_b32 s5, s0
	s_cbranch_execnz .LBB129_80
.LBB129_51:
	s_or_b32 exec_lo, exec_lo, s5
	s_and_saveexec_b32 s5, s1
	s_cbranch_execnz .LBB129_81
.LBB129_52:
	s_or_b32 exec_lo, exec_lo, s5
	s_and_saveexec_b32 s5, s2
	s_cbranch_execz .LBB129_54
.LBB129_53:
	v_dual_mov_b32 v6, 0 :: v_dual_add_nc_u32 v5, v5, v4
	s_delay_alu instid0(VALU_DEP_1) | instskip(SKIP_1) | instid1(VALU_DEP_1)
	v_lshlrev_b64 v[5:6], 2, v[5:6]
	s_waitcnt lgkmcnt(0)
	v_add_co_u32 v5, s3, s8, v5
	s_delay_alu instid0(VALU_DEP_1)
	v_add_co_ci_u32_e64 v6, s3, s9, v6, s3
	global_store_b32 v[5:6], v115, off
.LBB129_54:
	s_or_b32 exec_lo, exec_lo, s5
	v_add3_u32 v5, v1, s7, 48
	s_delay_alu instid0(VALU_DEP_1) | instskip(NEXT) | instid1(VALU_DEP_1)
	v_cmp_gt_u32_e64 s3, s4, v5
	s_and_b32 exec_lo, exec_lo, s3
	s_cbranch_execz .LBB129_66
; %bb.55:
	v_mul_lo_u32 v5, v5, s6
	s_and_saveexec_b32 s5, vcc_lo
	s_cbranch_execnz .LBB129_82
; %bb.56:
	s_or_b32 exec_lo, exec_lo, s5
	s_and_saveexec_b32 s5, s0
	s_cbranch_execnz .LBB129_83
.LBB129_57:
	s_or_b32 exec_lo, exec_lo, s5
	s_and_saveexec_b32 s5, s1
	s_cbranch_execnz .LBB129_84
.LBB129_58:
	s_or_b32 exec_lo, exec_lo, s5
	s_and_saveexec_b32 s5, s2
	s_cbranch_execz .LBB129_60
.LBB129_59:
	v_dual_mov_b32 v6, 0 :: v_dual_add_nc_u32 v5, v5, v4
	s_delay_alu instid0(VALU_DEP_1) | instskip(SKIP_1) | instid1(VALU_DEP_1)
	v_lshlrev_b64 v[5:6], 2, v[5:6]
	s_waitcnt lgkmcnt(0)
	v_add_co_u32 v5, s3, s8, v5
	s_delay_alu instid0(VALU_DEP_1)
	v_add_co_ci_u32_e64 v6, s3, s9, v6, s3
	global_store_b32 v[5:6], v50, off
.LBB129_60:
	s_or_b32 exec_lo, exec_lo, s5
	v_add3_u32 v1, v1, s7, 56
	s_delay_alu instid0(VALU_DEP_1) | instskip(NEXT) | instid1(VALU_DEP_1)
	v_cmp_gt_u32_e64 s3, s4, v1
	s_and_b32 exec_lo, exec_lo, s3
	s_cbranch_execz .LBB129_66
; %bb.61:
	v_mul_lo_u32 v1, v1, s6
	s_and_saveexec_b32 s3, vcc_lo
	s_cbranch_execnz .LBB129_85
; %bb.62:
	s_or_b32 exec_lo, exec_lo, s3
	s_and_saveexec_b32 s3, s0
	s_cbranch_execnz .LBB129_86
.LBB129_63:
	s_or_b32 exec_lo, exec_lo, s3
	s_and_saveexec_b32 s0, s1
	s_cbranch_execnz .LBB129_87
.LBB129_64:
	s_or_b32 exec_lo, exec_lo, s0
	s_delay_alu instid0(SALU_CYCLE_1)
	s_and_b32 exec_lo, exec_lo, s2
	s_cbranch_execz .LBB129_66
.LBB129_65:
	v_dual_mov_b32 v1, 0 :: v_dual_add_nc_u32 v0, v1, v4
	s_delay_alu instid0(VALU_DEP_1) | instskip(SKIP_1) | instid1(VALU_DEP_1)
	v_lshlrev_b64 v[0:1], 2, v[0:1]
	s_waitcnt lgkmcnt(0)
	v_add_co_u32 v0, vcc_lo, s8, v0
	s_delay_alu instid0(VALU_DEP_2)
	v_add_co_ci_u32_e32 v1, vcc_lo, s9, v1, vcc_lo
	global_store_b32 v[0:1], v28, off
.LBB129_66:
	s_endpgm
.LBB129_67:
	s_delay_alu instid0(VALU_DEP_1) | instskip(NEXT) | instid1(VALU_DEP_1)
	v_dual_mov_b32 v7, 0 :: v_dual_add_nc_u32 v6, v5, v0
	v_lshlrev_b64 v[6:7], 2, v[6:7]
	s_waitcnt lgkmcnt(0)
	s_delay_alu instid0(VALU_DEP_1) | instskip(NEXT) | instid1(VALU_DEP_1)
	v_add_co_u32 v6, s3, s8, v6
	v_add_co_ci_u32_e64 v7, s3, s9, v7, s3
	global_store_b32 v[6:7], v88, off
	s_or_b32 exec_lo, exec_lo, s5
	s_and_saveexec_b32 s5, s0
	s_cbranch_execz .LBB129_27
.LBB129_68:
	s_delay_alu instid0(VALU_DEP_1) | instskip(NEXT) | instid1(VALU_DEP_1)
	v_dual_mov_b32 v7, 0 :: v_dual_add_nc_u32 v6, v5, v2
	v_lshlrev_b64 v[6:7], 2, v[6:7]
	s_waitcnt lgkmcnt(0)
	s_delay_alu instid0(VALU_DEP_1) | instskip(NEXT) | instid1(VALU_DEP_1)
	v_add_co_u32 v6, s3, s8, v6
	v_add_co_ci_u32_e64 v7, s3, s9, v7, s3
	global_store_b32 v[6:7], v87, off
	s_or_b32 exec_lo, exec_lo, s5
	s_and_saveexec_b32 s5, s1
	s_cbranch_execz .LBB129_28
.LBB129_69:
	v_dual_mov_b32 v7, 0 :: v_dual_add_nc_u32 v6, v5, v3
	s_delay_alu instid0(VALU_DEP_1) | instskip(SKIP_1) | instid1(VALU_DEP_1)
	v_lshlrev_b64 v[6:7], 2, v[6:7]
	s_waitcnt lgkmcnt(0)
	v_add_co_u32 v6, s3, s8, v6
	s_delay_alu instid0(VALU_DEP_1)
	v_add_co_ci_u32_e64 v7, s3, s9, v7, s3
	global_store_b32 v[6:7], v73, off
	s_or_b32 exec_lo, exec_lo, s5
	s_and_saveexec_b32 s5, s2
	s_cbranch_execnz .LBB129_29
	s_branch .LBB129_30
.LBB129_70:
	s_delay_alu instid0(VALU_DEP_1) | instskip(NEXT) | instid1(VALU_DEP_1)
	v_dual_mov_b32 v7, 0 :: v_dual_add_nc_u32 v6, v5, v0
	v_lshlrev_b64 v[6:7], 2, v[6:7]
	s_waitcnt lgkmcnt(0)
	s_delay_alu instid0(VALU_DEP_1) | instskip(NEXT) | instid1(VALU_DEP_1)
	v_add_co_u32 v6, s3, s8, v6
	v_add_co_ci_u32_e64 v7, s3, s9, v7, s3
	global_store_b32 v[6:7], v84, off
	s_or_b32 exec_lo, exec_lo, s5
	s_and_saveexec_b32 s5, s0
	s_cbranch_execz .LBB129_33
.LBB129_71:
	s_delay_alu instid0(VALU_DEP_1) | instskip(NEXT) | instid1(VALU_DEP_1)
	v_dual_mov_b32 v7, 0 :: v_dual_add_nc_u32 v6, v5, v2
	v_lshlrev_b64 v[6:7], 2, v[6:7]
	s_waitcnt lgkmcnt(0)
	s_delay_alu instid0(VALU_DEP_1) | instskip(NEXT) | instid1(VALU_DEP_1)
	v_add_co_u32 v6, s3, s8, v6
	v_add_co_ci_u32_e64 v7, s3, s9, v7, s3
	global_store_b32 v[6:7], v83, off
	s_or_b32 exec_lo, exec_lo, s5
	s_and_saveexec_b32 s5, s1
	s_cbranch_execz .LBB129_34
.LBB129_72:
	v_dual_mov_b32 v7, 0 :: v_dual_add_nc_u32 v6, v5, v3
	s_delay_alu instid0(VALU_DEP_1) | instskip(SKIP_1) | instid1(VALU_DEP_1)
	v_lshlrev_b64 v[6:7], 2, v[6:7]
	s_waitcnt lgkmcnt(0)
	v_add_co_u32 v6, s3, s8, v6
	s_delay_alu instid0(VALU_DEP_1)
	v_add_co_ci_u32_e64 v7, s3, s9, v7, s3
	global_store_b32 v[6:7], v82, off
	s_or_b32 exec_lo, exec_lo, s5
	s_and_saveexec_b32 s5, s2
	s_cbranch_execnz .LBB129_35
	s_branch .LBB129_36
.LBB129_73:
	s_delay_alu instid0(VALU_DEP_1) | instskip(NEXT) | instid1(VALU_DEP_1)
	v_dual_mov_b32 v7, 0 :: v_dual_add_nc_u32 v6, v5, v0
	v_lshlrev_b64 v[6:7], 2, v[6:7]
	s_waitcnt lgkmcnt(0)
	s_delay_alu instid0(VALU_DEP_1) | instskip(NEXT) | instid1(VALU_DEP_1)
	v_add_co_u32 v6, s3, s8, v6
	v_add_co_ci_u32_e64 v7, s3, s9, v7, s3
	global_store_b32 v[6:7], v229, off
	s_or_b32 exec_lo, exec_lo, s5
	s_and_saveexec_b32 s5, s0
	s_cbranch_execz .LBB129_39
.LBB129_74:
	s_delay_alu instid0(VALU_DEP_1) | instskip(NEXT) | instid1(VALU_DEP_1)
	v_dual_mov_b32 v7, 0 :: v_dual_add_nc_u32 v6, v5, v2
	v_lshlrev_b64 v[6:7], 2, v[6:7]
	s_waitcnt lgkmcnt(0)
	s_delay_alu instid0(VALU_DEP_1) | instskip(NEXT) | instid1(VALU_DEP_1)
	v_add_co_u32 v6, s3, s8, v6
	v_add_co_ci_u32_e64 v7, s3, s9, v7, s3
	global_store_b32 v[6:7], v78, off
	s_or_b32 exec_lo, exec_lo, s5
	s_and_saveexec_b32 s5, s1
	s_cbranch_execz .LBB129_40
.LBB129_75:
	v_dual_mov_b32 v7, 0 :: v_dual_add_nc_u32 v6, v5, v3
	s_delay_alu instid0(VALU_DEP_1) | instskip(SKIP_1) | instid1(VALU_DEP_1)
	v_lshlrev_b64 v[6:7], 2, v[6:7]
	s_waitcnt lgkmcnt(0)
	v_add_co_u32 v6, s3, s8, v6
	s_delay_alu instid0(VALU_DEP_1)
	v_add_co_ci_u32_e64 v7, s3, s9, v7, s3
	global_store_b32 v[6:7], v77, off
	s_or_b32 exec_lo, exec_lo, s5
	s_and_saveexec_b32 s5, s2
	s_cbranch_execnz .LBB129_41
	s_branch .LBB129_42
.LBB129_76:
	s_delay_alu instid0(VALU_DEP_1) | instskip(NEXT) | instid1(VALU_DEP_1)
	v_dual_mov_b32 v7, 0 :: v_dual_add_nc_u32 v6, v5, v0
	v_lshlrev_b64 v[6:7], 2, v[6:7]
	s_waitcnt lgkmcnt(0)
	s_delay_alu instid0(VALU_DEP_1) | instskip(NEXT) | instid1(VALU_DEP_1)
	v_add_co_u32 v6, s3, s8, v6
	v_add_co_ci_u32_e64 v7, s3, s9, v7, s3
	global_store_b32 v[6:7], v193, off
	s_or_b32 exec_lo, exec_lo, s5
	s_and_saveexec_b32 s5, s0
	s_cbranch_execz .LBB129_45
.LBB129_77:
	s_delay_alu instid0(VALU_DEP_1) | instskip(NEXT) | instid1(VALU_DEP_1)
	v_dual_mov_b32 v7, 0 :: v_dual_add_nc_u32 v6, v5, v2
	v_lshlrev_b64 v[6:7], 2, v[6:7]
	s_waitcnt lgkmcnt(0)
	s_delay_alu instid0(VALU_DEP_1) | instskip(NEXT) | instid1(VALU_DEP_1)
	v_add_co_u32 v6, s3, s8, v6
	v_add_co_ci_u32_e64 v7, s3, s9, v7, s3
	global_store_b32 v[6:7], v137, off
	s_or_b32 exec_lo, exec_lo, s5
	s_and_saveexec_b32 s5, s1
	s_cbranch_execz .LBB129_46
.LBB129_78:
	v_dual_mov_b32 v7, 0 :: v_dual_add_nc_u32 v6, v5, v3
	s_delay_alu instid0(VALU_DEP_1) | instskip(SKIP_1) | instid1(VALU_DEP_1)
	v_lshlrev_b64 v[6:7], 2, v[6:7]
	s_waitcnt lgkmcnt(0)
	v_add_co_u32 v6, s3, s8, v6
	s_delay_alu instid0(VALU_DEP_1)
	v_add_co_ci_u32_e64 v7, s3, s9, v7, s3
	global_store_b32 v[6:7], v72, off
	s_or_b32 exec_lo, exec_lo, s5
	s_and_saveexec_b32 s5, s2
	s_cbranch_execnz .LBB129_47
	s_branch .LBB129_48
.LBB129_79:
	s_delay_alu instid0(VALU_DEP_1) | instskip(NEXT) | instid1(VALU_DEP_1)
	v_dual_mov_b32 v7, 0 :: v_dual_add_nc_u32 v6, v5, v0
	v_lshlrev_b64 v[6:7], 2, v[6:7]
	s_waitcnt lgkmcnt(0)
	s_delay_alu instid0(VALU_DEP_1) | instskip(NEXT) | instid1(VALU_DEP_1)
	v_add_co_u32 v6, s3, s8, v6
	v_add_co_ci_u32_e64 v7, s3, s9, v7, s3
	global_store_b32 v[6:7], v123, off
	s_or_b32 exec_lo, exec_lo, s5
	s_and_saveexec_b32 s5, s0
	s_cbranch_execz .LBB129_51
.LBB129_80:
	s_delay_alu instid0(VALU_DEP_1) | instskip(NEXT) | instid1(VALU_DEP_1)
	v_dual_mov_b32 v7, 0 :: v_dual_add_nc_u32 v6, v5, v2
	v_lshlrev_b64 v[6:7], 2, v[6:7]
	s_waitcnt lgkmcnt(0)
	s_delay_alu instid0(VALU_DEP_1) | instskip(NEXT) | instid1(VALU_DEP_1)
	v_add_co_u32 v6, s3, s8, v6
	v_add_co_ci_u32_e64 v7, s3, s9, v7, s3
	global_store_b32 v[6:7], v120, off
	s_or_b32 exec_lo, exec_lo, s5
	s_and_saveexec_b32 s5, s1
	s_cbranch_execz .LBB129_52
.LBB129_81:
	v_dual_mov_b32 v7, 0 :: v_dual_add_nc_u32 v6, v5, v3
	s_delay_alu instid0(VALU_DEP_1) | instskip(SKIP_1) | instid1(VALU_DEP_1)
	v_lshlrev_b64 v[6:7], 2, v[6:7]
	s_waitcnt lgkmcnt(0)
	v_add_co_u32 v6, s3, s8, v6
	s_delay_alu instid0(VALU_DEP_1)
	v_add_co_ci_u32_e64 v7, s3, s9, v7, s3
	global_store_b32 v[6:7], v119, off
	s_or_b32 exec_lo, exec_lo, s5
	s_and_saveexec_b32 s5, s2
	s_cbranch_execnz .LBB129_53
	s_branch .LBB129_54
.LBB129_82:
	s_delay_alu instid0(VALU_DEP_1) | instskip(NEXT) | instid1(VALU_DEP_1)
	v_dual_mov_b32 v7, 0 :: v_dual_add_nc_u32 v6, v5, v0
	v_lshlrev_b64 v[6:7], 2, v[6:7]
	s_waitcnt lgkmcnt(0)
	s_delay_alu instid0(VALU_DEP_1) | instskip(NEXT) | instid1(VALU_DEP_1)
	v_add_co_u32 v6, s3, s8, v6
	v_add_co_ci_u32_e64 v7, s3, s9, v7, s3
	global_store_b32 v[6:7], v105, off
	s_or_b32 exec_lo, exec_lo, s5
	s_and_saveexec_b32 s5, s0
	s_cbranch_execz .LBB129_57
.LBB129_83:
	s_delay_alu instid0(VALU_DEP_1) | instskip(NEXT) | instid1(VALU_DEP_1)
	v_dual_mov_b32 v7, 0 :: v_dual_add_nc_u32 v6, v5, v2
	v_lshlrev_b64 v[6:7], 2, v[6:7]
	s_waitcnt lgkmcnt(0)
	s_delay_alu instid0(VALU_DEP_1) | instskip(NEXT) | instid1(VALU_DEP_1)
	v_add_co_u32 v6, s3, s8, v6
	v_add_co_ci_u32_e64 v7, s3, s9, v7, s3
	global_store_b32 v[6:7], v52, off
	s_or_b32 exec_lo, exec_lo, s5
	s_and_saveexec_b32 s5, s1
	s_cbranch_execz .LBB129_58
.LBB129_84:
	v_dual_mov_b32 v7, 0 :: v_dual_add_nc_u32 v6, v5, v3
	s_delay_alu instid0(VALU_DEP_1) | instskip(SKIP_1) | instid1(VALU_DEP_1)
	v_lshlrev_b64 v[6:7], 2, v[6:7]
	s_waitcnt lgkmcnt(0)
	v_add_co_u32 v6, s3, s8, v6
	s_delay_alu instid0(VALU_DEP_1)
	v_add_co_ci_u32_e64 v7, s3, s9, v7, s3
	global_store_b32 v[6:7], v51, off
	s_or_b32 exec_lo, exec_lo, s5
	s_and_saveexec_b32 s5, s2
	s_cbranch_execnz .LBB129_59
	s_branch .LBB129_60
.LBB129_85:
	s_delay_alu instid0(VALU_DEP_1) | instskip(NEXT) | instid1(VALU_DEP_1)
	v_dual_mov_b32 v6, 0 :: v_dual_add_nc_u32 v5, v1, v0
	v_lshlrev_b64 v[5:6], 2, v[5:6]
	s_waitcnt lgkmcnt(0)
	s_delay_alu instid0(VALU_DEP_1) | instskip(NEXT) | instid1(VALU_DEP_2)
	v_add_co_u32 v5, vcc_lo, s8, v5
	v_add_co_ci_u32_e32 v6, vcc_lo, s9, v6, vcc_lo
	global_store_b32 v[5:6], v49, off
	s_or_b32 exec_lo, exec_lo, s3
	s_and_saveexec_b32 s3, s0
	s_cbranch_execz .LBB129_63
.LBB129_86:
	s_delay_alu instid0(VALU_DEP_1) | instskip(NEXT) | instid1(VALU_DEP_1)
	v_dual_mov_b32 v6, 0 :: v_dual_add_nc_u32 v5, v1, v2
	v_lshlrev_b64 v[5:6], 2, v[5:6]
	s_waitcnt lgkmcnt(0)
	s_delay_alu instid0(VALU_DEP_1) | instskip(NEXT) | instid1(VALU_DEP_2)
	v_add_co_u32 v5, vcc_lo, s8, v5
	v_add_co_ci_u32_e32 v6, vcc_lo, s9, v6, vcc_lo
	global_store_b32 v[5:6], v30, off
	s_or_b32 exec_lo, exec_lo, s3
	s_and_saveexec_b32 s0, s1
	s_cbranch_execz .LBB129_64
.LBB129_87:
	v_dual_mov_b32 v3, 0 :: v_dual_add_nc_u32 v2, v1, v3
	s_delay_alu instid0(VALU_DEP_1) | instskip(SKIP_1) | instid1(VALU_DEP_1)
	v_lshlrev_b64 v[2:3], 2, v[2:3]
	s_waitcnt lgkmcnt(0)
	v_add_co_u32 v2, vcc_lo, s8, v2
	s_delay_alu instid0(VALU_DEP_2) | instskip(SKIP_2) | instid1(SALU_CYCLE_1)
	v_add_co_ci_u32_e32 v3, vcc_lo, s9, v3, vcc_lo
	global_store_b32 v[2:3], v29, off
	s_or_b32 exec_lo, exec_lo, s0
	s_and_b32 exec_lo, exec_lo, s2
	s_cbranch_execnz .LBB129_65
	s_branch .LBB129_66
	.section	.rodata,"a",@progbits
	.p2align	6, 0x0
	.amdhsa_kernel _ZL12mul_mat_q3_KIfLb0EEvPKvS1_PT_iiiii
		.amdhsa_group_segment_fixed_size 39840
		.amdhsa_private_segment_fixed_size 528
		.amdhsa_kernarg_size 44
		.amdhsa_user_sgpr_count 14
		.amdhsa_user_sgpr_dispatch_ptr 0
		.amdhsa_user_sgpr_queue_ptr 0
		.amdhsa_user_sgpr_kernarg_segment_ptr 1
		.amdhsa_user_sgpr_dispatch_id 0
		.amdhsa_user_sgpr_private_segment_size 0
		.amdhsa_wavefront_size32 1
		.amdhsa_uses_dynamic_stack 0
		.amdhsa_enable_private_segment 1
		.amdhsa_system_sgpr_workgroup_id_x 1
		.amdhsa_system_sgpr_workgroup_id_y 1
		.amdhsa_system_sgpr_workgroup_id_z 0
		.amdhsa_system_sgpr_workgroup_info 0
		.amdhsa_system_vgpr_workitem_id 1
		.amdhsa_next_free_vgpr 256
		.amdhsa_next_free_sgpr 23
		.amdhsa_reserve_vcc 1
		.amdhsa_float_round_mode_32 0
		.amdhsa_float_round_mode_16_64 0
		.amdhsa_float_denorm_mode_32 3
		.amdhsa_float_denorm_mode_16_64 3
		.amdhsa_dx10_clamp 1
		.amdhsa_ieee_mode 1
		.amdhsa_fp16_overflow 0
		.amdhsa_workgroup_processor_mode 1
		.amdhsa_memory_ordered 1
		.amdhsa_forward_progress 0
		.amdhsa_shared_vgpr_count 0
		.amdhsa_exception_fp_ieee_invalid_op 0
		.amdhsa_exception_fp_denorm_src 0
		.amdhsa_exception_fp_ieee_div_zero 0
		.amdhsa_exception_fp_ieee_overflow 0
		.amdhsa_exception_fp_ieee_underflow 0
		.amdhsa_exception_fp_ieee_inexact 0
		.amdhsa_exception_int_div_zero 0
	.end_amdhsa_kernel
	.section	.text._ZL12mul_mat_q3_KIfLb0EEvPKvS1_PT_iiiii,"axG",@progbits,_ZL12mul_mat_q3_KIfLb0EEvPKvS1_PT_iiiii,comdat
.Lfunc_end129:
	.size	_ZL12mul_mat_q3_KIfLb0EEvPKvS1_PT_iiiii, .Lfunc_end129-_ZL12mul_mat_q3_KIfLb0EEvPKvS1_PT_iiiii
                                        ; -- End function
	.section	.AMDGPU.csdata,"",@progbits
; Kernel info:
; codeLenInByte = 33380
; NumSgprs: 25
; NumVgprs: 256
; ScratchSize: 528
; MemoryBound: 0
; FloatMode: 240
; IeeeMode: 1
; LDSByteSize: 39840 bytes/workgroup (compile time only)
; SGPRBlocks: 3
; VGPRBlocks: 31
; NumSGPRsForWavesPerEU: 25
; NumVGPRsForWavesPerEU: 256
; Occupancy: 5
; WaveLimiterHint : 0
; COMPUTE_PGM_RSRC2:SCRATCH_EN: 1
; COMPUTE_PGM_RSRC2:USER_SGPR: 14
; COMPUTE_PGM_RSRC2:TRAP_HANDLER: 0
; COMPUTE_PGM_RSRC2:TGID_X_EN: 1
; COMPUTE_PGM_RSRC2:TGID_Y_EN: 1
; COMPUTE_PGM_RSRC2:TGID_Z_EN: 0
; COMPUTE_PGM_RSRC2:TIDIG_COMP_CNT: 1
	.section	.text._ZL12mul_mat_q3_KIfLb1EEvPKvS1_PT_iiiii,"axG",@progbits,_ZL12mul_mat_q3_KIfLb1EEvPKvS1_PT_iiiii,comdat
	.globl	_ZL12mul_mat_q3_KIfLb1EEvPKvS1_PT_iiiii ; -- Begin function _ZL12mul_mat_q3_KIfLb1EEvPKvS1_PT_iiiii
	.p2align	8
	.type	_ZL12mul_mat_q3_KIfLb1EEvPKvS1_PT_iiiii,@function
_ZL12mul_mat_q3_KIfLb1EEvPKvS1_PT_iiiii: ; @_ZL12mul_mat_q3_KIfLb1EEvPKvS1_PT_iiiii
; %bb.0:
	s_clause 0x1
	s_load_b128 s[4:7], s[0:1], 0x18
	s_load_b32 s10, s[0:1], 0x28
	v_bfe_u32 v1, v0, 10, 10
	s_lshl_b32 s11, s15, 6
	scratch_store_b32 off, v1, off offset:580 ; 4-byte Folded Spill
	v_and_b32_e32 v1, 0x3ff, v0
	scratch_store_b32 off, v1, off offset:152 ; 4-byte Folded Spill
	s_waitcnt lgkmcnt(0)
	s_cmpk_gt_i32 s4, 0xff
	s_cbranch_scc1 .LBB130_2
; %bb.1:
	v_bfe_u32 v1, v0, 10, 10
	v_and_b32_e32 v0, 0x3ff, v0
	s_mov_b32 s2, 0
	s_mov_b32 s3, 0
	s_delay_alu instid0(VALU_DEP_2)
	v_add_nc_u32_e32 v2, s11, v1
	s_branch .LBB130_3
.LBB130_2:
	s_mov_b32 s2, -1
                                        ; implicit-def: $sgpr3
                                        ; implicit-def: $vgpr1
                                        ; implicit-def: $vgpr0
                                        ; implicit-def: $vgpr2
.LBB130_3:
	s_load_b64 s[8:9], s[0:1], 0x10
	v_dual_mov_b32 v107, s3 :: v_dual_mov_b32 v128, s3
	v_dual_mov_b32 v117, s3 :: v_dual_mov_b32 v112, s3
	;; [unrolled: 1-line block ×15, first 2 shown]
	v_mov_b32_e32 v67, s3
	v_mov_b32_e32 v83, s3
	s_and_not1_b32 vcc_lo, exec_lo, s2
	s_lshl_b32 s12, s14, 7
	s_cbranch_vccnz .LBB130_15
; %bb.4:
	s_clause 0x1
	scratch_load_b32 v29, off, off offset:152
	scratch_load_b32 v28, off, off offset:580
	s_load_b128 s[0:3], s[0:1], 0x0
	s_ashr_i32 s13, s4, 31
	s_ashr_i32 s14, s7, 31
	s_lshr_b32 s13, s13, 24
	v_mov_b32_e32 v108, 0
	s_add_i32 s4, s4, s13
	s_lshr_b32 s13, s14, 27
	s_ashr_i32 s4, s4, 8
	s_add_i32 s7, s7, s13
	s_mul_i32 s13, s4, s12
	s_ashr_i32 s14, s7, 5
	s_mul_i32 s7, s13, 0x6e
	s_mul_hi_i32 s13, s13, 0x6e
	v_mov_b32_e32 v83, 0
	v_dual_mov_b32 v93, 0 :: v_dual_mov_b32 v88, 0
	v_dual_mov_b32 v87, 0 :: v_dual_mov_b32 v124, 0
	;; [unrolled: 1-line block ×3, first 2 shown]
	s_waitcnt lgkmcnt(0)
	s_add_u32 s7, s0, s7
	s_addc_u32 s13, s1, s13
	s_not_b32 s0, s12
	s_add_i32 s1, s6, -1
	s_add_i32 s0, s0, s5
	s_mov_b32 s5, 0
	v_mov_b32_e32 v193, 0
	v_dual_mov_b32 v119, 0 :: v_dual_mov_b32 v114, 0
	v_dual_mov_b32 v82, 0 :: v_dual_mov_b32 v77, 0
	v_mov_b32_e32 v91, 0
	v_mov_b32_e32 v85, 0
	;; [unrolled: 1-line block ×3, first 2 shown]
	v_dual_mov_b32 v75, 0 :: v_dual_mov_b32 v66, 0
	v_dual_mov_b32 v107, 0 :: v_dual_mov_b32 v136, 0
	;; [unrolled: 1-line block ×3, first 2 shown]
	v_mov_b32_e32 v122, 0
	v_mov_b32_e32 v92, 0
	;; [unrolled: 1-line block ×4, first 2 shown]
	s_waitcnt vmcnt(1)
	v_dual_mov_b32 v128, 0 :: v_dual_and_b32 v1, 15, v29
	s_waitcnt vmcnt(0)
	v_min_i32_e32 v2, s0, v28
	v_add_nc_u32_e32 v20, 8, v28
	v_lshlrev_b32_e32 v0, 2, v29
	v_add_nc_u32_e32 v21, 16, v28
	v_add_nc_u32_e32 v16, s11, v28
	v_mul_lo_u32 v5, v2, s4
	v_min_i32_e32 v3, s0, v20
	v_add_nc_u32_e32 v22, 24, v28
	v_min_i32_e32 v4, s0, v21
	v_add_nc_u32_e32 v23, 32, v28
	v_add_nc_u32_e32 v24, 40, v28
	;; [unrolled: 1-line block ×4, first 2 shown]
	s_clause 0x1
	scratch_store_b32 off, v5, off offset:248
	scratch_store_b32 off, v16, off offset:584
	v_mad_u64_u32 v[5:6], null, 0x84, v2, v[0:1]
	v_mul_lo_u32 v2, v3, s4
	v_lshlrev_b32_e32 v27, 4, v28
	v_lshrrev_b32_e32 v48, 1, v29
	v_lshrrev_b32_e32 v31, 4, v29
	v_cmp_lt_u32_e32 vcc_lo, 7, v1
	v_lshlrev_b32_e32 v32, 2, v1
	scratch_store_b64 off, v[5:6], off offset:252 ; 8-byte Folded Spill
	v_mad_u64_u32 v[5:6], null, 0x84, v3, v[0:1]
	scratch_store_b32 off, v2, off offset:260 ; 4-byte Folded Spill
	v_mul_lo_u32 v2, v4, s4
	v_min_i32_e32 v3, s0, v23
	v_add_nc_u32_e32 v11, 24, v16
	v_add_nc_u32_e32 v12, 32, v16
	;; [unrolled: 1-line block ×3, first 2 shown]
	scratch_store_b64 off, v[5:6], off offset:264 ; 8-byte Folded Spill
	v_mad_u64_u32 v[5:6], null, 0x84, v4, v[0:1]
	scratch_store_b32 off, v2, off offset:272 ; 4-byte Folded Spill
	v_min_i32_e32 v2, s0, v22
	v_add_nc_u32_e32 v15, 48, v16
	v_add_nc_u32_e32 v47, 56, v16
	v_and_b32_e32 v44, 7, v29
	v_lshlrev_b32_e32 v68, 5, v29
	v_mul_lo_u32 v4, v2, s4
	scratch_store_b64 off, v[5:6], off offset:276 ; 8-byte Folded Spill
	v_mul_u32_u24_e32 v73, 0x84, v29
	v_lshlrev_b32_e32 v33, 2, v44
	v_and_b32_e32 v100, 0xfc, v29
	scratch_store_b32 off, v4, off offset:284 ; 4-byte Folded Spill
	v_mad_u64_u32 v[4:5], null, 0x84, v2, v[0:1]
	v_mul_lo_u32 v2, v3, s4
	v_add_nc_u32_e32 v104, 0x8308, v100
	scratch_store_b64 off, v[4:5], off offset:288 ; 8-byte Folded Spill
	v_mad_u64_u32 v[4:5], null, 0x84, v3, v[0:1]
	scratch_store_b32 off, v2, off offset:296 ; 4-byte Folded Spill
	v_min_i32_e32 v2, s0, v24
	s_delay_alu instid0(VALU_DEP_1)
	v_mul_lo_u32 v3, v2, s4
	scratch_store_b64 off, v[4:5], off offset:300 ; 8-byte Folded Spill
	v_mad_u64_u32 v[4:5], null, 0x84, v2, v[0:1]
	v_min_i32_e32 v2, s0, v26
	scratch_store_b32 off, v3, off offset:308 ; 4-byte Folded Spill
	v_min_i32_e32 v3, s0, v25
	scratch_store_b64 off, v[4:5], off offset:312 ; 8-byte Folded Spill
	v_add_nc_u32_e32 v4, 64, v28
	v_mul_lo_u32 v5, v3, s4
	scratch_store_b32 off, v5, off offset:320 ; 4-byte Folded Spill
	v_mad_u64_u32 v[5:6], null, 0x84, v3, v[0:1]
	v_mul_lo_u32 v3, v2, s4
	scratch_store_b64 off, v[5:6], off offset:324 ; 8-byte Folded Spill
	v_mad_u64_u32 v[5:6], null, 0x84, v2, v[0:1]
	scratch_store_b32 off, v3, off offset:332 ; 4-byte Folded Spill
	v_min_i32_e32 v3, s0, v4
	v_add_nc_u32_e32 v4, 0x48, v28
	s_delay_alu instid0(VALU_DEP_2)
	v_mul_lo_u32 v2, v3, s4
	scratch_store_b64 off, v[5:6], off offset:336 ; 8-byte Folded Spill
	v_mad_u64_u32 v[6:7], null, 0x84, v3, v[0:1]
	v_add_nc_u32_e32 v5, v48, v27
	scratch_store_b32 off, v2, off offset:344 ; 4-byte Folded Spill
	v_min_i32_e32 v2, s0, v4
	v_add_nc_u32_e32 v4, 0x50, v28
	v_and_b32_e32 v5, 0x7f, v5
	s_delay_alu instid0(VALU_DEP_3)
	v_mul_lo_u32 v3, v2, s4
	scratch_store_b64 off, v[6:7], off offset:348 ; 8-byte Folded Spill
	v_mad_u64_u32 v[6:7], null, 0x84, v2, v[0:1]
	v_min_i32_e32 v5, s0, v5
	scratch_store_b32 off, v3, off offset:356 ; 4-byte Folded Spill
	v_min_i32_e32 v3, s0, v4
	v_add_nc_u32_e32 v4, 0x58, v28
	v_lshlrev_b32_e32 v50, 3, v5
	s_delay_alu instid0(VALU_DEP_3)
	v_mul_lo_u32 v2, v3, s4
	scratch_store_b64 off, v[6:7], off offset:360 ; 8-byte Folded Spill
	v_mad_u64_u32 v[6:7], null, 0x84, v3, v[0:1]
	scratch_store_b32 off, v2, off offset:368 ; 4-byte Folded Spill
	v_min_i32_e32 v2, s0, v4
	v_add_nc_u32_e32 v4, 0x60, v28
	s_delay_alu instid0(VALU_DEP_2)
	v_mul_lo_u32 v3, v2, s4
	scratch_store_b64 off, v[6:7], off offset:372 ; 8-byte Folded Spill
	v_mad_u64_u32 v[7:8], null, 0x84, v2, v[0:1]
	v_ashrrev_i32_e32 v6, 31, v5
	scratch_store_b32 off, v3, off offset:380 ; 4-byte Folded Spill
	v_min_i32_e32 v3, s0, v4
	v_add_nc_u32_e32 v4, 0x68, v28
	v_lshrrev_b32_e32 v6, 28, v6
	s_delay_alu instid0(VALU_DEP_3)
	v_mul_lo_u32 v2, v3, s4
	scratch_store_b64 off, v[7:8], off offset:384 ; 8-byte Folded Spill
	v_mad_u64_u32 v[7:8], null, 0x84, v3, v[0:1]
	v_add_nc_u32_e32 v6, v5, v6
	scratch_store_b32 off, v2, off offset:392 ; 4-byte Folded Spill
	v_min_i32_e32 v2, s0, v4
	v_add_nc_u32_e32 v4, 0x70, v28
	s_delay_alu instid0(VALU_DEP_2)
	v_mul_lo_u32 v3, v2, s4
	scratch_store_b64 off, v[7:8], off offset:396 ; 8-byte Folded Spill
	v_mad_u64_u32 v[7:8], null, 0x84, v2, v[0:1]
	scratch_store_b32 off, v3, off offset:404 ; 4-byte Folded Spill
	v_min_i32_e32 v3, s0, v4
	v_add_nc_u32_e32 v4, 0x78, v28
	s_delay_alu instid0(VALU_DEP_2)
	v_mul_lo_u32 v2, v3, s4
	scratch_store_b64 off, v[7:8], off offset:408 ; 8-byte Folded Spill
	v_mad_u64_u32 v[8:9], null, 0x84, v3, v[0:1]
	v_and_b32_e32 v7, 1, v29
	scratch_store_b32 off, v2, off offset:416 ; 4-byte Folded Spill
	v_min_i32_e32 v2, s0, v4
	v_ashrrev_i32_e32 v4, 4, v6
	v_lshl_add_u32 v6, v28, 1, v31
	scratch_store_b32 off, v7, off offset:420 ; 4-byte Folded Spill
	v_mul_lo_u32 v3, v2, s4
	scratch_store_b64 off, v[8:9], off offset:424 ; 8-byte Folded Spill
	v_mad_u64_u32 v[8:9], null, 0x84, v2, v[0:1]
	v_add_nc_u32_e32 v2, 16, v6
	v_cndmask_b32_e64 v1, 0, 1, vcc_lo
	v_add_nc_u32_e32 v10, 0x70, v6
	v_cmp_lt_u32_e32 vcc_lo, 3, v44
	scratch_store_b32 off, v3, off offset:432 ; 4-byte Folded Spill
	v_lshlrev_b32_e32 v3, 2, v4
	scratch_store_b64 off, v[8:9], off offset:436 ; 8-byte Folded Spill
	v_mul_lo_u32 v8, v5, s4
	v_lshlrev_b32_e32 v4, 2, v7
	v_min_i32_e32 v7, s0, v6
	v_min_i32_e32 v2, s0, v2
	;; [unrolled: 1-line block ×3, first 2 shown]
	v_and_b32_e32 v0, 28, v0
	v_add3_u32 v49, v3, v4, 0x9380
	v_add_nc_u32_e32 v4, 32, v6
	scratch_store_b32 off, v8, off offset:444 ; 4-byte Folded Spill
	v_mul_lo_u32 v5, v7, s4
	scratch_store_b32 off, v1, off offset:448 ; 4-byte Folded Spill
	v_lshrrev_b32_e32 v1, 31, v2
	v_lshrrev_b32_e32 v8, 31, v7
	v_min_i32_e32 v4, s0, v4
	v_lshlrev_b32_e32 v52, 6, v7
	v_lshlrev_b32_e32 v54, 6, v2
	v_add_lshl_u32 v1, v2, v1, 1
	v_add_lshl_u32 v3, v7, v8, 1
	v_add_nc_u32_e32 v7, 64, v6
	v_mul_lo_u32 v8, v2, s4
	scratch_store_b32 off, v5, off offset:456 ; 4-byte Folded Spill
	v_and_b32_e32 v1, -4, v1
	v_lshrrev_b32_e32 v5, 31, v4
	v_and_b32_e32 v3, -4, v3
	v_lshlrev_b32_e32 v56, 6, v4
	v_lshrrev_b32_e32 v18, 31, v45
	v_add3_u32 v53, v1, v32, 0x4200
	v_add_lshl_u32 v1, v4, v5, 1
	v_min_i32_e32 v5, s0, v7
	v_add_nc_u32_e32 v7, 0x50, v6
	v_add3_u32 v51, v3, v32, 0x4200
	v_add_nc_u32_e32 v3, 48, v6
	v_and_b32_e32 v1, -4, v1
	v_lshrrev_b32_e32 v2, 31, v5
	v_min_i32_e32 v17, s0, v7
	scratch_store_b32 off, v8, off offset:460 ; 4-byte Folded Spill
	v_min_i32_e32 v3, s0, v3
	v_add3_u32 v55, v1, v32, 0x4200
	v_add_lshl_u32 v1, v5, v2, 1
	v_lshrrev_b32_e32 v2, 31, v17
	v_lshlrev_b32_e32 v63, 6, v17
	v_lshrrev_b32_e32 v8, 31, v3
	v_lshlrev_b32_e32 v58, 6, v3
	v_and_b32_e32 v1, -4, v1
	v_add_lshl_u32 v2, v17, v2, 1
	v_lshlrev_b32_e32 v60, 6, v5
	v_add_lshl_u32 v7, v3, v8, 1
	v_mul_lo_u32 v8, v4, s4
	v_add3_u32 v59, v1, v32, 0x4200
	v_and_b32_e32 v1, -4, v2
	v_add_nc_u32_e32 v2, 0x60, v6
	v_mul_lo_u32 v4, v3, s4
	v_mul_lo_u32 v3, v5, s4
	v_and_b32_e32 v7, -4, v7
	v_add_nc_u32_e32 v5, 8, v16
	v_min_i32_e32 v19, s0, v2
	scratch_store_b32 off, v8, off offset:464 ; 4-byte Folded Spill
	v_add3_u32 v61, v1, v32, 0x4200
	v_add3_u32 v57, v7, v32, 0x4200
	s_clause 0x1
	scratch_store_b32 off, v4, off offset:468
	scratch_store_b32 off, v3, off offset:472
	v_lshrrev_b32_e32 v9, 31, v19
	v_mul_lo_u32 v3, v17, s4
	v_mul_lo_u32 v17, v19, s4
	v_add_nc_u32_e32 v7, 16, v16
	v_cvt_f64_i32_e32 v[1:2], s1
	v_add_lshl_u32 v13, v19, v9, 1
	v_cvt_f64_u32_e32 v[5:6], v5
	v_cvt_f64_u32_e32 v[9:10], v11
	;; [unrolled: 1-line block ×3, first 2 shown]
	s_clause 0x1
	scratch_store_b32 off, v3, off offset:476
	scratch_store_b32 off, v17, off offset:480
	v_cvt_f64_u32_e32 v[3:4], v16
	v_cvt_f64_u32_e32 v[11:12], v12
	v_and_b32_e32 v46, -4, v13
	v_cvt_f64_u32_e32 v[13:14], v14
	v_cvt_f64_u32_e32 v[15:16], v15
	v_add_lshl_u32 v62, v45, v18, 1
	v_cvt_f64_u32_e32 v[17:18], v47
	v_mul_lo_u32 v30, v45, s4
	v_add3_u32 v64, v46, v32, 0x4200
	v_lshrrev_b32_e32 v47, 3, v29
	v_and_b32_e32 v46, -4, v62
	v_lshlrev_b32_e32 v62, 6, v19
	v_and_b32_e32 v19, 3, v29
	s_clause 0x1
	scratch_store_b32 off, v30, off offset:484
	scratch_store_b32 off, v32, off offset:244
	v_lshlrev_b32_e32 v67, 6, v45
	v_add_nc_u16 v45, v19, -2
	v_cndmask_b32_e64 v30, 0, 1, vcc_lo
	v_cmp_gt_u32_e32 vcc_lo, 2, v19
	v_add3_u32 v65, v46, v32, 0x4200
	v_lshl_add_u32 v46, v28, 2, v47
	v_cndmask_b32_e32 v44, v45, v19, vcc_lo
	v_cmp_lt_u32_e32 vcc_lo, 1, v19
	s_delay_alu instid0(VALU_DEP_3) | instskip(SKIP_1) | instid1(VALU_DEP_4)
	v_min_i32_e32 v45, s0, v46
	v_add_nc_u32_e32 v69, 32, v46
	v_and_b32_e32 v44, 0xff, v44
	v_cndmask_b32_e64 v47, 0, 1, vcc_lo
	s_delay_alu instid0(VALU_DEP_4)
	v_ashrrev_i32_e32 v70, 31, v45
	v_lshlrev_b32_e32 v71, 5, v45
	v_min_f64 v[5:6], v[5:6], v[1:2]
	v_min_f64 v[9:10], v[9:10], v[1:2]
	;; [unrolled: 1-line block ×8, first 2 shown]
	v_lshlrev_b32_e32 v17, 1, v19
	scratch_store_b32 off, v30, off offset:488 ; 4-byte Folded Spill
	v_lshlrev_b32_e32 v30, 2, v47
	v_min_i32_e32 v47, s0, v69
	scratch_store_b32 off, v30, off offset:492 ; 4-byte Folded Spill
	v_lshlrev_b32_e32 v30, 2, v44
	v_lshrrev_b32_e32 v44, 30, v70
	v_add_nc_u32_e32 v70, 64, v46
	v_ashrrev_i32_e32 v69, 31, v47
	v_add_nc_u32_e32 v46, 0x60, v46
	v_lshlrev_b32_e32 v72, 5, v47
	v_add_nc_u32_e32 v44, v45, v44
	v_min_i32_e32 v70, s0, v70
	v_lshrrev_b32_e32 v69, 30, v69
	s_delay_alu instid0(VALU_DEP_2) | instskip(NEXT) | instid1(VALU_DEP_1)
	v_ashrrev_i32_e32 v18, 31, v70
	v_lshrrev_b32_e32 v18, 30, v18
	v_cvt_i32_f64_e32 v5, v[5:6]
	v_mul_lo_u32 v6, v70, s4
	scratch_store_b32 off, v30, off offset:496 ; 4-byte Folded Spill
	v_mul_lo_u32 v30, v45, s4
	scratch_store_b32 off, v17, off offset:500 ; 4-byte Folded Spill
	v_cvt_i32_f64_e32 v3, v[3:4]
	v_and_b32_e32 v17, -4, v44
	v_min_i32_e32 v44, s0, v46
	v_add_nc_u32_e32 v46, v47, v69
	scratch_store_b32 off, v6, off offset:512 ; 4-byte Folded Spill
	v_lshrrev_b32_e32 v6, 2, v29
	scratch_store_b32 off, v30, off offset:504 ; 4-byte Folded Spill
	v_cvt_i32_f64_e32 v1, v[1:2]
	v_ashrrev_i32_e32 v69, 31, v44
	v_add_nc_u32_e32 v18, v70, v18
	v_cvt_i32_f64_e32 v7, v[7:8]
	v_lshl_add_u32 v6, v28, 3, v6
	v_mul_lo_u32 v30, v47, s4
	v_lshrrev_b32_e32 v45, 30, v69
	v_cvt_i32_f64_e32 v11, v[11:12]
	v_mul_lo_u32 v12, v44, s4
	v_and_b32_e32 v46, -4, v46
	v_and_b32_e32 v4, -4, v18
	v_add_nc_u32_e32 v18, v44, v45
	v_and_b32_e32 v6, 63, v6
	v_cvt_i32_f64_e32 v9, v[9:10]
	scratch_store_b32 off, v30, off offset:508 ; 4-byte Folded Spill
	v_add3_u32 v69, v46, v33, 0x8300
	v_and_b32_e32 v8, -4, v18
	v_or_b32_e32 v2, s11, v6
	v_mov_b32_e32 v46, 0
	s_clause 0x1
	scratch_store_b32 off, v12, off offset:516
	scratch_store_b32 off, v33, off offset:452
	v_cvt_i32_f64_e32 v12, v[13:14]
	v_cvt_i32_f64_e32 v13, v[15:16]
	v_lshlrev_b32_e32 v16, 2, v19
	v_and_b32_e32 v15, 31, v29
	v_add_co_u32 v32, s0, s2, v0
	v_add3_u32 v17, v17, v33, 0x8300
	v_add3_u32 v4, v4, v33, 0x8300
	;; [unrolled: 1-line block ×3, first 2 shown]
	v_add_co_ci_u32_e64 v33, null, s3, 0, s0
	v_min_i32_e32 v0, s1, v2
	v_lshl_or_b32 v2, v6, 4, v16
	v_lshlrev_b32_e32 v15, 2, v15
	v_lshlrev_b32_e32 v18, 7, v28
	;; [unrolled: 1-line block ×3, first 2 shown]
	s_movk_i32 s0, 0x1080
	v_lshlrev_b32_e32 v14, 5, v44
	v_mul_lo_u32 v1, s14, v1
	scratch_store_b64 off, v[32:33], off offset:156 ; 8-byte Folded Spill
	v_mad_u64_u32 v[32:33], null, v0, s14, v[19:20]
	v_add_nc_u32_e32 v0, 0x97a0, v2
	v_mul_lo_u32 v2, s14, v3
	v_or_b32_e32 v6, v18, v15
	v_mul_lo_u32 v3, s14, v5
	s_clause 0x1
	scratch_store_b32 off, v1, off offset:224
	scratch_store_b32 off, v0, off offset:164
	v_lshl_or_b32 v0, v20, 7, v15
	v_add_nc_u32_e32 v1, 64, v29
	v_mad_u32_u24 v80, 0x84, v29, s0
	scratch_store_b32 off, v2, off offset:168 ; 4-byte Folded Spill
	v_add_nc_u32_e32 v2, 0x6300, v6
	v_add_nc_u32_e32 v0, 0x6300, v0
	v_lshlrev_b32_e32 v6, 2, v31
	v_lshrrev_b32_e32 v5, 1, v1
	s_movk_i32 s0, 0x2100
	scratch_store_b32 off, v2, off offset:172 ; 4-byte Folded Spill
	v_lshl_or_b32 v2, v21, 7, v15
	v_mad_u32_u24 v89, 0x84, v29, s0
	s_movk_i32 s0, 0x3180
	v_lshl_add_u32 v70, v29, 4, v48
	v_lshl_add_u32 v86, v1, 4, v5
	v_add_nc_u32_e32 v2, 0x6300, v2
	scratch_store_b32 off, v3, off offset:176 ; 4-byte Folded Spill
	v_mul_lo_u32 v3, s14, v7
	scratch_store_b32 off, v0, off offset:180 ; 4-byte Folded Spill
	v_lshl_or_b32 v0, v22, 7, v15
	v_lshlrev_b32_e32 v7, 3, v29
	v_mad_u32_u24 v95, 0x84, v29, s0
	v_dual_mov_b32 v45, 0 :: v_dual_and_b32 v98, 0x1fc, v1
	s_delay_alu instid0(VALU_DEP_4)
	v_add_nc_u32_e32 v0, 0x6300, v0
	scratch_store_b32 off, v3, off offset:184 ; 4-byte Folded Spill
	v_mul_lo_u32 v3, s14, v9
	scratch_store_b32 off, v2, off offset:188 ; 4-byte Folded Spill
	v_lshl_or_b32 v2, v23, 7, v15
	v_add3_u32 v74, v6, v7, 0x9380
	v_add_nc_u32_e32 v102, 0x8b08, v98
	s_delay_alu instid0(VALU_DEP_3) | instskip(SKIP_4) | instid1(VALU_DEP_1)
	v_add_nc_u32_e32 v2, 0x6300, v2
	scratch_store_b32 off, v3, off offset:192 ; 4-byte Folded Spill
	v_mul_lo_u32 v3, s14, v11
	scratch_store_b32 off, v0, off offset:196 ; 4-byte Folded Spill
	v_lshl_or_b32 v0, v24, 7, v15
	v_add_nc_u32_e32 v0, 0x6300, v0
	scratch_store_b32 off, v3, off offset:200 ; 4-byte Folded Spill
	v_mul_lo_u32 v3, s14, v12
	scratch_store_b32 off, v2, off offset:204 ; 4-byte Folded Spill
	v_lshl_or_b32 v2, v25, 7, v15
	s_delay_alu instid0(VALU_DEP_1) | instskip(SKIP_4) | instid1(VALU_DEP_1)
	v_add_nc_u32_e32 v2, 0x6300, v2
	scratch_store_b32 off, v0, off offset:212 ; 4-byte Folded Spill
	v_mul_lo_u32 v0, s14, v13
	scratch_store_b32 off, v3, off offset:208 ; 4-byte Folded Spill
	v_add_nc_u32_e32 v3, 0x60, v29
	v_lshrrev_b32_e32 v11, 1, v3
	scratch_store_b32 off, v0, off offset:216 ; 4-byte Folded Spill
	v_lshl_or_b32 v0, v26, 7, v15
	v_and_b32_e32 v97, 0x1fc, v3
	v_lshl_add_u32 v94, v3, 4, v11
	s_delay_alu instid0(VALU_DEP_3)
	v_add_nc_u32_e32 v0, 0x6300, v0
	scratch_store_b32 off, v2, off offset:220 ; 4-byte Folded Spill
	v_dual_mov_b32 v29, 0 :: v_dual_add_nc_u32 v2, 32, v29
	v_add_nc_u32_e32 v101, 0x8f08, v97
	scratch_store_b32 off, v0, off offset:228 ; 4-byte Folded Spill
	v_lshrrev_b32_e32 v0, 1, v2
	v_lshrrev_b32_e32 v9, 2, v2
	v_lshlrev_b32_e32 v7, 3, v2
	v_and_b32_e32 v99, 0x1fc, v2
	s_delay_alu instid0(VALU_DEP_4) | instskip(NEXT) | instid1(VALU_DEP_4)
	v_lshl_add_u32 v76, v2, 4, v0
	v_and_b32_e32 v6, 0x7c, v9
	v_lshrrev_b32_e32 v0, 2, v1
	s_delay_alu instid0(VALU_DEP_4) | instskip(NEXT) | instid1(VALU_DEP_3)
	v_add_nc_u32_e32 v103, 0x8708, v99
	v_add3_u32 v84, v7, v6, 0x9380
	s_delay_alu instid0(VALU_DEP_3) | instskip(SKIP_2) | instid1(VALU_DEP_2)
	v_and_b32_e32 v0, 0x7c, v0
	v_lshlrev_b32_e32 v7, 3, v1
	v_lshrrev_b32_e32 v6, 2, v3
	v_add3_u32 v90, v7, v0, 0x9380
	v_add_nc_u32_e32 v0, 0x97a0, v27
	scratch_store_b64 off, v[32:33], off offset:520 ; 8-byte Folded Spill
	v_and_b32_e32 v5, 0x7c, v6
	v_lshlrev_b32_e32 v6, 3, v3
	scratch_store_b32 off, v0, off offset:232 ; 4-byte Folded Spill
	v_add_nc_u32_e32 v0, 0x6300, v18
	v_add3_u32 v96, v6, v5, 0x9380
	scratch_store_b32 off, v0, off offset:236 ; 4-byte Folded Spill
	v_add_nc_u32_e32 v0, v49, v50
	scratch_store_b32 off, v31, off offset:240 ; 4-byte Folded Spill
	v_mov_b32_e32 v31, 0
	scratch_store_b32 off, v0, off offset:528 ; 4-byte Folded Spill
	v_add_nc_u32_e32 v0, v51, v52
	scratch_store_b32 off, v0, off offset:532 ; 4-byte Folded Spill
	v_add_nc_u32_e32 v0, v53, v54
	;; [unrolled: 2-line block ×7, first 2 shown]
	scratch_store_b32 off, v0, off offset:556 ; 4-byte Folded Spill
	v_dual_mov_b32 v67, 0 :: v_dual_add_nc_u32 v0, v65, v67
	scratch_store_b32 off, v0, off offset:560 ; 4-byte Folded Spill
	v_add_nc_u32_e32 v0, v17, v71
	scratch_store_b32 off, v0, off offset:564 ; 4-byte Folded Spill
	v_add_nc_u32_e32 v0, v69, v72
	;; [unrolled: 2-line block ×4, first 2 shown]
	s_clause 0x15
	scratch_store_b32 off, v0, off offset:576
	scratch_store_b32 off, v68, off offset:8
	;; [unrolled: 1-line block ×20, first 2 shown]
	scratch_store_b32 off, v84, off
	scratch_store_b32 off, v96, off offset:4
	s_branch .LBB130_6
.LBB130_5:                              ;   in Loop: Header=BB130_6 Depth=1
	s_add_i32 s5, s5, 2
	s_delay_alu instid0(SALU_CYCLE_1)
	s_cmp_ge_i32 s5, s4
	s_cbranch_scc1 .LBB130_14
.LBB130_6:                              ; =>This Loop Header: Depth=1
                                        ;     Child Loop BB130_8 Depth 2
                                        ;       Child Loop BB130_10 Depth 3
                                        ;       Child Loop BB130_12 Depth 3
	s_clause 0x4
	scratch_load_b32 v2, off, off offset:240
	scratch_load_b32 v4, off, off offset:248
	;; [unrolled: 1-line block ×5, first 2 shown]
	s_mul_i32 s0, s5, 0x6e
	s_mul_hi_u32 s1, s5, 0x6e
	s_add_u32 s0, s7, s0
	s_addc_u32 s1, s13, s1
	s_mov_b32 s14, 0
	s_clause 0x3
	scratch_load_b32 v6, off, off offset:260
	scratch_load_b32 v10, off, off offset:284
	;; [unrolled: 1-line block ×4, first 2 shown]
	s_waitcnt vmcnt(8)
	v_mad_u64_u32 v[0:1], null, 0x6e, v2, s[0:1]
	scratch_load_b32 v2, off, off offset:244 ; 4-byte Folded Reload
	s_waitcnt vmcnt(0)
	v_add_co_u32 v0, vcc_lo, v0, v2
	v_add_co_ci_u32_e32 v1, vcc_lo, 0, v1, vcc_lo
	s_delay_alu instid0(VALU_DEP_2) | instskip(NEXT) | instid1(VALU_DEP_2)
	v_add_co_u32 v0, vcc_lo, v0, 32
	v_add_co_ci_u32_e32 v1, vcc_lo, 0, v1, vcc_lo
	s_delay_alu instid0(VALU_DEP_1)
	v_mad_i64_i32 v[2:3], null, 0x6e, v4, v[0:1]
	v_mad_i64_i32 v[4:5], null, 0x6e, v6, v[0:1]
	;; [unrolled: 1-line block ×8, first 2 shown]
	s_clause 0x7
	global_load_b32 v57, v[2:3], off
	global_load_b32 v58, v[4:5], off
	;; [unrolled: 1-line block ×8, first 2 shown]
	s_clause 0x10
	scratch_load_b32 v4, off, off offset:344
	scratch_load_b32 v6, off, off offset:356
	scratch_load_b32 v8, off, off offset:368
	scratch_load_b32 v10, off, off offset:380
	scratch_load_b32 v12, off, off offset:392
	scratch_load_b32 v16, off, off offset:404
	scratch_load_b32 v18, off, off offset:416
	scratch_load_b32 v22, off, off offset:432
	scratch_load_b32 v14, off, off offset:448
	scratch_load_b32 v26, off, off offset:464
	scratch_load_b32 v30, off, off offset:488
	scratch_load_b32 v20, off, off offset:444
	scratch_load_b32 v49, off, off offset:468
	scratch_load_b32 v28, off, off offset:504
	scratch_load_b32 v24, off, off offset:460
	scratch_load_b32 v53, off, off offset:476
	scratch_load_b32 v51, off, off offset:472
	s_waitcnt vmcnt(16)
	v_mad_i64_i32 v[2:3], null, 0x6e, v4, v[0:1]
	s_waitcnt vmcnt(15)
	v_mad_i64_i32 v[4:5], null, 0x6e, v6, v[0:1]
	;; [unrolled: 2-line block ×5, first 2 shown]
	s_waitcnt vmcnt(8)
	v_mad_u64_u32 v[12:13], null, 0x6e, v14, s[0:1]
	v_mad_i64_i32 v[14:15], null, 0x6e, v16, v[0:1]
	v_mad_i64_i32 v[16:17], null, 0x6e, v18, v[0:1]
	s_waitcnt vmcnt(5)
	v_mad_i64_i32 v[18:19], null, 0x6e, v20, s[0:1]
	scratch_load_b32 v20, off, off offset:452 ; 4-byte Folded Reload
	s_waitcnt vmcnt(0)
	v_add_co_u32 v12, vcc_lo, v12, v20
	v_mad_i64_i32 v[20:21], null, 0x6e, v22, v[0:1]
	scratch_load_b32 v22, off, off offset:420 ; 4-byte Folded Reload
	v_add_co_ci_u32_e32 v13, vcc_lo, 0, v13, vcc_lo
	s_delay_alu instid0(VALU_DEP_1)
	v_mad_i64_i32 v[47:48], null, 0x6e, v49, v[12:13]
	v_mad_i64_i32 v[49:50], null, 0x6e, v51, v[12:13]
	;; [unrolled: 1-line block ×3, first 2 shown]
	s_waitcnt vmcnt(0)
	v_mad_u64_u32 v[0:1], null, 0x6e, v22, v[18:19]
	scratch_load_b32 v22, off, off offset:456 ; 4-byte Folded Reload
	s_waitcnt vmcnt(0)
	v_mad_i64_i32 v[18:19], null, 0x6e, v22, v[12:13]
	v_mad_i64_i32 v[22:23], null, 0x6e, v24, v[12:13]
	;; [unrolled: 1-line block ×3, first 2 shown]
	v_mad_u64_u32 v[26:27], null, 0x6e, v30, s[0:1]
	scratch_load_b32 v30, off, off offset:480 ; 4-byte Folded Reload
	s_lshl_b32 s0, s5, 3
	s_mov_b32 s1, 0
	v_add_co_u32 v26, vcc_lo, 0x60, v26
	v_add_co_ci_u32_e32 v27, vcc_lo, 0, v27, vcc_lo
	s_waitcnt vmcnt(0)
	v_mad_i64_i32 v[53:54], null, 0x6e, v30, v[12:13]
	scratch_load_b32 v30, off, off offset:484 ; 4-byte Folded Reload
	s_waitcnt vmcnt(0)
	v_mad_i64_i32 v[55:56], null, 0x6e, v30, v[12:13]
	v_mad_i64_i32 v[12:13], null, 0x6e, v28, v[26:27]
	s_clause 0x8
	global_load_u16 v65, v[0:1], off offset:108
	global_load_b32 v78, v[18:19], off
	global_load_b32 v79, v[22:23], off
	;; [unrolled: 1-line block ×8, first 2 shown]
	s_clause 0x3
	scratch_load_b32 v28, off, off offset:496
	scratch_load_b32 v22, off, off offset:508
	;; [unrolled: 1-line block ×4, first 2 shown]
	s_waitcnt vmcnt(3)
	v_add_co_u32 v0, vcc_lo, v12, v28
	s_waitcnt vmcnt(2)
	v_mad_i64_i32 v[18:19], null, 0x6e, v22, v[26:27]
	s_waitcnt vmcnt(1)
	v_mad_i64_i32 v[22:23], null, 0x6e, v24, v[26:27]
	;; [unrolled: 2-line block ×3, first 2 shown]
	v_add_co_ci_u32_e32 v1, vcc_lo, 0, v13, vcc_lo
	s_clause 0xc
	global_load_b32 v26, v[2:3], off
	global_load_b32 v27, v[4:5], off
	;; [unrolled: 1-line block ×8, first 2 shown]
	global_load_b32 v14, v[24:25], off offset:8
	global_load_b32 v15, v[22:23], off offset:8
	;; [unrolled: 1-line block ×3, first 2 shown]
	global_load_b32 v17, v[0:1], off
	global_load_b32 v12, v[12:13], off offset:8
	v_add_co_u32 v0, vcc_lo, v18, v28
	v_add_co_ci_u32_e32 v1, vcc_lo, 0, v19, vcc_lo
	v_add_co_u32 v2, vcc_lo, v22, v28
	v_add_co_ci_u32_e32 v3, vcc_lo, 0, v23, vcc_lo
	;; [unrolled: 2-line block ×3, first 2 shown]
	s_clause 0x2
	global_load_b32 v0, v[0:1], off
	global_load_b32 v1, v[2:3], off
	;; [unrolled: 1-line block ×3, first 2 shown]
	s_clause 0x1
	scratch_load_b64 v[3:4], off, off offset:520
	scratch_load_b64 v[23:24], off, off offset:252
	s_waitcnt vmcnt(1)
	v_not_b32_e32 v4, v78
	v_not_b32_e32 v5, v79
	;; [unrolled: 1-line block ×8, first 2 shown]
	v_add_nc_u32_e32 v3, s0, v3
	s_waitcnt vmcnt(0)
	ds_store_b32 v23, v57
	scratch_load_b64 v[23:24], off, off offset:264 ; 8-byte Folded Reload
	scratch_store_b32 off, v3, off offset:148 ; 4-byte Folded Spill
	v_cvt_f32_f16_e32 v3, v65
	s_waitcnt vmcnt(0)
	ds_store_b32 v23, v58
	scratch_load_b64 v[23:24], off, off offset:276 ; 8-byte Folded Reload
	s_waitcnt vmcnt(0)
	ds_store_b32 v23, v59
	scratch_load_b64 v[23:24], off, off offset:288 ; 8-byte Folded Reload
	;; [unrolled: 3-line block ×11, first 2 shown]
	s_waitcnt vmcnt(0)
	ds_store_b32 v6, v8
	s_clause 0x1
	scratch_load_b64 v[6:7], off, off offset:408
	scratch_load_b32 v8, off, off offset:500
	s_waitcnt vmcnt(1)
	ds_store_b32 v6, v9
	scratch_load_b64 v[6:7], off, off offset:424 ; 8-byte Folded Reload
	s_waitcnt vmcnt(0)
	ds_store_b32 v6, v10
	s_clause 0x1
	scratch_load_b64 v[6:7], off, off offset:436
	scratch_load_b32 v7, off, off offset:492
	s_waitcnt vmcnt(1)
	ds_store_b32 v6, v11
	scratch_load_b32 v6, off, off offset:528 ; 4-byte Folded Reload
	s_waitcnt vmcnt(1)
	v_ashrrev_i32_e32 v0, v7, v0
	v_ashrrev_i32_e32 v1, v7, v1
	;; [unrolled: 1-line block ×3, first 2 shown]
	s_delay_alu instid0(VALU_DEP_3) | instskip(NEXT) | instid1(VALU_DEP_3)
	v_and_b32_e32 v0, 0xf0f0f0f, v0
	v_and_b32_e32 v1, 0xf0f0f0f, v1
	s_delay_alu instid0(VALU_DEP_3) | instskip(SKIP_4) | instid1(VALU_DEP_1)
	v_and_b32_e32 v2, 0xf0f0f0f, v2
	s_waitcnt vmcnt(0)
	ds_store_b32 v6, v3
	scratch_load_b32 v3, off, off offset:532 ; 4-byte Folded Reload
	v_ashrrev_i32_e32 v6, v8, v15
	v_lshlrev_b32_e32 v6, 4, v6
	s_delay_alu instid0(VALU_DEP_1) | instskip(NEXT) | instid1(VALU_DEP_1)
	v_and_or_b32 v1, 0x30303030, v6, v1
	v_and_b32_e32 v9, 0x3f00, v1
	s_waitcnt vmcnt(0)
	ds_store_b32 v3, v4
	scratch_load_b32 v3, off, off offset:536 ; 4-byte Folded Reload
	v_ashrrev_i32_e32 v4, v8, v12
	s_delay_alu instid0(VALU_DEP_1) | instskip(SKIP_4) | instid1(VALU_DEP_1)
	v_lshlrev_b32_e32 v4, 4, v4
	s_waitcnt vmcnt(0)
	ds_store_b32 v3, v5
	scratch_load_b32 v3, off, off offset:540 ; 4-byte Folded Reload
	v_ashrrev_i32_e32 v5, v8, v16
	v_lshlrev_b32_e32 v5, 4, v5
	s_delay_alu instid0(VALU_DEP_1) | instskip(NEXT) | instid1(VALU_DEP_1)
	v_and_or_b32 v0, 0x30303030, v5, v0
	v_lshrrev_b32_e32 v6, 16, v0
	s_waitcnt vmcnt(0)
	ds_store_b32 v3, v13
	scratch_load_b32 v3, off, off offset:544 ; 4-byte Folded Reload
	v_and_b32_e32 v13, 0x3f00, v6
	v_lshlrev_b16 v6, 8, v6
	s_delay_alu instid0(VALU_DEP_1)
	v_add_nc_u16 v6, v6, 0xe000
	s_waitcnt vmcnt(0)
	ds_store_b32 v3, v18
	scratch_load_b32 v3, off, off offset:548 ; 4-byte Folded Reload
	s_waitcnt vmcnt(0)
	ds_store_b32 v3, v19
	v_ashrrev_i32_e32 v3, v7, v17
	v_ashrrev_i32_e32 v7, v8, v14
	v_lshrrev_b32_e32 v8, 16, v1
	v_lshlrev_b16 v1, 8, v1
	s_delay_alu instid0(VALU_DEP_4) | instskip(NEXT) | instid1(VALU_DEP_4)
	v_and_b32_e32 v3, 0xf0f0f0f, v3
	v_lshlrev_b32_e32 v7, 4, v7
	s_delay_alu instid0(VALU_DEP_4)
	v_and_b32_e32 v14, 0x3f00, v8
	v_lshlrev_b16 v8, 8, v8
	v_add_nc_u16 v1, v1, 0xe000
	v_and_or_b32 v3, 0x30303030, v4, v3
	scratch_load_b32 v4, off, off offset:552 ; 4-byte Folded Reload
	v_and_or_b32 v2, 0x30303030, v7, v2
	v_add_nc_u16 v8, v8, 0xe000
	v_and_b32_e32 v7, 0x3f00, v0
	v_and_b32_e32 v5, 0x3f00, v3
	v_lshlrev_b16 v0, 8, v0
	v_lshrrev_b16 v1, 8, v1
	v_lshrrev_b32_e32 v10, 16, v2
	v_and_b32_e32 v11, 0x3f00, v2
	v_lshlrev_b16 v2, 8, v2
	v_add_nc_u16 v0, v0, 0xe000
	v_or_b32_e32 v1, v9, v1
	v_and_b32_e32 v15, 0x3f00, v10
	v_lshlrev_b16 v10, 8, v10
	v_add_nc_u16 v2, v2, 0xe000
	v_lshrrev_b16 v0, 8, v0
	v_add_nc_u16 v1, v1, 0xe000
	s_delay_alu instid0(VALU_DEP_4) | instskip(NEXT) | instid1(VALU_DEP_4)
	v_add_nc_u16 v10, v10, 0xe000
	v_lshrrev_b16 v2, 8, v2
	s_delay_alu instid0(VALU_DEP_4) | instskip(NEXT) | instid1(VALU_DEP_4)
	v_or_b32_e32 v0, v7, v0
	v_and_b32_e32 v1, 0xffff, v1
	s_delay_alu instid0(VALU_DEP_4) | instskip(NEXT) | instid1(VALU_DEP_4)
	v_lshrrev_b16 v7, 8, v10
	v_or_b32_e32 v2, v11, v2
	s_delay_alu instid0(VALU_DEP_4) | instskip(NEXT) | instid1(VALU_DEP_3)
	v_add_nc_u16 v0, v0, 0xe000
	v_or_b32_e32 v7, v15, v7
	s_delay_alu instid0(VALU_DEP_3) | instskip(NEXT) | instid1(VALU_DEP_3)
	v_add_nc_u16 v2, v2, 0xe000
	v_and_b32_e32 v0, 0xffff, v0
	s_delay_alu instid0(VALU_DEP_3) | instskip(NEXT) | instid1(VALU_DEP_3)
	v_add_nc_u16 v7, v7, 0xe000
	v_and_b32_e32 v2, 0xffff, v2
	s_delay_alu instid0(VALU_DEP_2) | instskip(NEXT) | instid1(VALU_DEP_1)
	v_lshlrev_b32_e32 v7, 16, v7
	v_or_b32_e32 v2, v2, v7
	s_waitcnt vmcnt(0)
	ds_store_b32 v4, v20
	v_lshrrev_b32_e32 v4, 16, v3
	v_lshlrev_b16 v3, 8, v3
	s_delay_alu instid0(VALU_DEP_2) | instskip(SKIP_1) | instid1(VALU_DEP_3)
	v_and_b32_e32 v12, 0x3f00, v4
	v_lshlrev_b16 v4, 8, v4
	v_add_nc_u16 v3, v3, 0xe000
	s_delay_alu instid0(VALU_DEP_2) | instskip(NEXT) | instid1(VALU_DEP_2)
	v_add_nc_u16 v4, v4, 0xe000
	v_lshrrev_b16 v3, 8, v3
	s_delay_alu instid0(VALU_DEP_2) | instskip(NEXT) | instid1(VALU_DEP_2)
	v_lshrrev_b16 v4, 8, v4
	v_or_b32_e32 v3, v5, v3
	v_lshrrev_b16 v5, 8, v6
	v_lshrrev_b16 v6, 8, v8
	scratch_load_b32 v8, off, off offset:556 ; 4-byte Folded Reload
	v_or_b32_e32 v4, v12, v4
	v_add_nc_u16 v3, v3, 0xe000
	v_or_b32_e32 v5, v13, v5
	v_or_b32_e32 v6, v14, v6
	s_delay_alu instid0(VALU_DEP_4) | instskip(NEXT) | instid1(VALU_DEP_4)
	v_add_nc_u16 v4, v4, 0xe000
	v_and_b32_e32 v3, 0xffff, v3
	s_delay_alu instid0(VALU_DEP_4) | instskip(NEXT) | instid1(VALU_DEP_4)
	v_add_nc_u16 v5, v5, 0xe000
	v_add_nc_u16 v6, v6, 0xe000
	s_delay_alu instid0(VALU_DEP_4) | instskip(NEXT) | instid1(VALU_DEP_3)
	v_lshlrev_b32_e32 v4, 16, v4
	v_lshlrev_b32_e32 v5, 16, v5
	s_delay_alu instid0(VALU_DEP_3) | instskip(NEXT) | instid1(VALU_DEP_3)
	v_lshlrev_b32_e32 v6, 16, v6
	v_or_b32_e32 v3, v3, v4
	scratch_load_b32 v4, off, off offset:560 ; 4-byte Folded Reload
	v_or_b32_e32 v0, v0, v5
	v_or_b32_e32 v1, v1, v6
	s_waitcnt vmcnt(1)
	ds_store_b32 v8, v21
	s_waitcnt vmcnt(0)
	ds_store_b32 v4, v22
	scratch_load_b32 v4, off, off offset:564 ; 4-byte Folded Reload
	s_waitcnt vmcnt(0)
	ds_store_b32 v4, v3
	scratch_load_b32 v3, off, off offset:568 ; 4-byte Folded Reload
	;; [unrolled: 3-line block ×4, first 2 shown]
	s_waitcnt vmcnt(0)
	ds_store_b32 v0, v2
	s_branch .LBB130_8
.LBB130_7:                              ;   in Loop: Header=BB130_8 Depth=2
                                        ; implicit-def: $sgpr14
                                        ; implicit-def: $sgpr1
	s_cbranch_execnz .LBB130_5
.LBB130_8:                              ;   Parent Loop BB130_6 Depth=1
                                        ; =>  This Loop Header: Depth=2
                                        ;       Child Loop BB130_10 Depth 3
                                        ;       Child Loop BB130_12 Depth 3
	s_lshr_b32 s15, s14, 1
	s_delay_alu instid0(SALU_CYCLE_1) | instskip(NEXT) | instid1(SALU_CYCLE_1)
	s_or_b32 s15, s15, s5
	s_cmp_lt_i32 s15, s4
	s_cbranch_scc0 .LBB130_7
; %bb.9:                                ;   in Loop: Header=BB130_8 Depth=2
	scratch_load_b32 v0, off, off offset:152 ; 4-byte Folded Reload
	s_or_b32 s16, s14, 1
	s_lshl_b32 s17, s14, 3
	s_mov_b32 s18, 0
	s_mov_b32 s19, 0
	s_lshl_b32 s15, s16, 3
	scratch_load_b64 v[19:20], off, off offset:156 ; 8-byte Folded Reload
	s_waitcnt vmcnt(1)
	v_lshl_add_u32 v0, s14, 5, v0
	s_delay_alu instid0(VALU_DEP_1) | instskip(NEXT) | instid1(VALU_DEP_1)
	v_lshrrev_b32_e32 v0, 3, v0
	v_add_nc_u32_e32 v12, s0, v0
	scratch_load_b32 v0, off, off offset:148 ; 4-byte Folded Reload
	s_waitcnt vmcnt(0)
	v_lshl_add_u32 v13, s14, 2, v0
	scratch_load_b32 v0, off, off offset:168 ; 4-byte Folded Reload
	s_waitcnt vmcnt(0)
	v_add_nc_u32_e32 v2, v12, v0
	scratch_load_b32 v0, off, off offset:176 ; 4-byte Folded Reload
	s_waitcnt vmcnt(0)
	v_add_nc_u32_e32 v4, v12, v0
	;; [unrolled: 3-line block ×7, first 2 shown]
	v_mad_i64_i32 v[0:1], null, v2, 36, v[19:20]
	v_mad_i64_i32 v[2:3], null, v4, 36, v[19:20]
	;; [unrolled: 1-line block ×5, first 2 shown]
	v_mad_u64_u32 v[10:11], null, v13, 36, s[2:3]
	scratch_load_b32 v13, off, off offset:224 ; 4-byte Folded Reload
	s_waitcnt vmcnt(0)
	v_add_nc_u32_e32 v18, v12, v13
	v_mad_i64_i32 v[12:13], null, v14, 36, v[19:20]
	v_mad_i64_i32 v[14:15], null, v16, 36, v[19:20]
	s_delay_alu instid0(VALU_DEP_3)
	v_mad_i64_i32 v[16:17], null, v18, 36, v[19:20]
	s_clause 0x8
	global_load_b32 v10, v[10:11], off
	global_load_b32 v2, v[2:3], off offset:4
	global_load_b32 v3, v[4:5], off offset:4
	;; [unrolled: 1-line block ×8, first 2 shown]
	s_clause 0x2
	scratch_load_b32 v192, off, off offset:236
	scratch_load_b32 v245, off, off offset:232
	;; [unrolled: 1-line block ×3, first 2 shown]
	s_waitcnt vmcnt(11)
	v_cvt_f32_f16_e32 v1, v10
	s_waitcnt vmcnt(0)
	ds_store_b32 v9, v2
	scratch_load_b32 v2, off, off offset:188 ; 4-byte Folded Reload
	s_waitcnt vmcnt(0)
	ds_store_b32 v2, v3
	scratch_load_b32 v2, off, off offset:196 ; 4-byte Folded Reload
	;; [unrolled: 3-line block ×8, first 2 shown]
	s_waitcnt vmcnt(0)
	ds_store_b32 v0, v1
	s_waitcnt lgkmcnt(0)
	s_waitcnt_vscnt null, 0x0
	s_barrier
	buffer_gl0_inv
.LBB130_10:                             ;   Parent Loop BB130_6 Depth=1
                                        ;     Parent Loop BB130_8 Depth=2
                                        ; =>    This Inner Loop Header: Depth=3
	s_add_i32 s20, s1, s19
	scratch_store_b32 off, v83, off offset:52 ; 4-byte Folded Spill
	s_and_b32 s21, s20, 0x3ffffff8
	s_lshr_b32 s22, s20, 4
	s_lshl_b32 s21, s21, 2
	s_lshl_b32 s20, s22, 2
	s_waitcnt vmcnt(7)
	v_dual_mov_b32 v231, v82 :: v_dual_add_nc_u32 v4, s21, v73
	s_waitcnt vmcnt(4)
	v_dual_mov_b32 v243, v85 :: v_dual_add_nc_u32 v178, s21, v80
	v_add_nc_u32_e32 v6, s20, v74
	ds_load_2addr_b32 v[0:1], v4 offset1:1
	ds_load_2addr_b32 v[2:3], v4 offset0:2 offset1:3
	ds_load_2addr_b32 v[47:48], v4 offset0:4 offset1:5
	;; [unrolled: 1-line block ×3, first 2 shown]
	s_waitcnt vmcnt(0)
	v_add_nc_u32_e32 v12, s21, v89
	v_dual_mov_b32 v244, v93 :: v_dual_add_nc_u32 v179, s21, v95
	s_lshl_b32 s21, s22, 3
	v_mov_b32_e32 v109, v29
	v_add_lshl_u32 v99, v76, s21, 2
	v_add_lshl_u32 v137, v94, s21, 2
	v_mov_b32_e32 v234, v92
	v_dual_mov_b32 v230, v77 :: v_dual_mov_b32 v111, v31
	v_mov_b32_e32 v225, v46
	v_dual_mov_b32 v227, v66 :: v_dual_mov_b32 v224, v45
	s_waitcnt lgkmcnt(3)
	v_ashrrev_i32_e32 v5, s19, v0
	v_ashrrev_i32_e32 v4, s19, v1
	s_waitcnt lgkmcnt(2)
	v_ashrrev_i32_e32 v1, s19, v2
	v_ashrrev_i32_e32 v0, s19, v3
	ds_load_2addr_b32 v[2:3], v178 offset0:2 offset1:3
	ds_load_b32 v194, v6
	ds_load_2addr_b32 v[6:7], v178 offset1:1
	v_bfe_u32 v82, v5, 24, 2
	v_and_b32_e32 v5, 0x3030303, v5
	s_waitcnt lgkmcnt(2)
	v_ashrrev_i32_e32 v10, s19, v2
	v_ashrrev_i32_e32 v11, s19, v3
	s_waitcnt lgkmcnt(0)
	v_ashrrev_i32_e32 v8, s19, v6
	v_ashrrev_i32_e32 v9, s19, v7
	ds_load_2addr_b32 v[2:3], v12 offset1:1
	ds_load_2addr_b32 v[6:7], v12 offset0:2 offset1:3
	ds_load_2addr_b32 v[57:58], v12 offset0:4 offset1:5
	;; [unrolled: 1-line block ×3, first 2 shown]
	s_waitcnt lgkmcnt(3)
	v_ashrrev_i32_e32 v12, s19, v2
	s_waitcnt lgkmcnt(2)
	v_ashrrev_i32_e32 v14, s19, v6
	v_add_nc_u32_e32 v6, s20, v90
	v_ashrrev_i32_e32 v13, s19, v3
	v_ashrrev_i32_e32 v15, s19, v7
	ds_load_2addr_b32 v[2:3], v179 offset0:2 offset1:3
	ds_load_b32 v195, v6
	ds_load_2addr_b32 v[6:7], v179 offset1:1
	s_waitcnt lgkmcnt(2)
	v_ashrrev_i32_e32 v18, s19, v2
	v_add_lshl_u32 v2, v70, s21, 2
	v_ashrrev_i32_e32 v19, s19, v3
	s_waitcnt lgkmcnt(0)
	v_ashrrev_i32_e32 v16, s19, v6
	v_ashrrev_i32_e32 v17, s19, v7
	v_add_nc_u32_e32 v3, 0x4200, v2
	v_add_nc_u32_e32 v6, 0x4208, v2
	;; [unrolled: 1-line block ×4, first 2 shown]
	ds_load_2addr_b32 v[2:3], v3 offset1:1
	ds_load_2addr_b32 v[6:7], v6 offset1:1
	;; [unrolled: 1-line block ×4, first 2 shown]
	s_waitcnt lgkmcnt(3)
	v_ashrrev_i32_e32 v20, s18, v2
	v_ashrrev_i32_e32 v21, s18, v3
	s_waitcnt lgkmcnt(2)
	v_ashrrev_i32_e32 v22, s18, v6
	v_add_nc_u32_e32 v2, 0x4200, v99
	v_add_nc_u32_e32 v6, 0x4208, v99
	v_lshlrev_b32_e32 v20, 2, v20
	v_ashrrev_i32_e32 v23, s18, v7
	ds_load_2addr_b32 v[2:3], v2 offset1:1
	ds_load_2addr_b32 v[6:7], v6 offset1:1
	ds_load_2addr_b32 v[63:64], v178 offset0:6 offset1:7
	s_waitcnt lgkmcnt(4)
	v_ashrrev_i32_e32 v61, s18, v61
	v_and_b32_e32 v20, 0x4040404, v20
	v_ashrrev_i32_e32 v62, s18, v62
	s_waitcnt lgkmcnt(3)
	v_ashrrev_i32_e32 v60, s18, v60
	s_delay_alu instid0(VALU_DEP_3) | instskip(SKIP_2) | instid1(VALU_DEP_3)
	v_lshrrev_b32_e32 v83, 24, v20
	v_lshrrev_b32_e32 v85, 16, v20
	v_sub_nc_u16 v203, v5, v20
	v_sub_nc_u16 v82, v82, v83
	v_lshrrev_b32_e32 v83, 16, v5
	s_delay_alu instid0(VALU_DEP_1)
	v_sub_nc_u16 v202, v83, v85
	v_lshrrev_b16 v83, 8, v5
	v_lshrrev_b16 v5, 8, v20
	v_lshlrev_b32_e32 v20, 2, v21
	v_bfe_u32 v21, v4, 24, 2
	v_and_b32_e32 v4, 0x3030303, v4
	s_waitcnt lgkmcnt(2)
	v_ashrrev_i32_e32 v24, s18, v2
	v_sub_nc_u16 v5, v83, v5
	v_and_b32_e32 v20, 0x4040404, v20
	v_ashrrev_i32_e32 v25, s18, v3
	v_add_lshl_u32 v2, v86, s21, 2
	s_waitcnt lgkmcnt(1)
	v_ashrrev_i32_e32 v26, s18, v6
	v_ashrrev_i32_e32 v27, s18, v7
	v_lshrrev_b32_e32 v83, 24, v20
	v_lshrrev_b32_e32 v85, 16, v20
	v_sub_nc_u16 v205, v4, v20
	v_add_nc_u32_e32 v3, 0x4200, v2
	v_add_nc_u32_e32 v6, 0x4208, v2
	v_sub_nc_u16 v21, v21, v83
	v_lshrrev_b32_e32 v83, 16, v4
	v_add_nc_u32_e32 v51, 0x4210, v2
	v_add_nc_u32_e32 v52, 0x4218, v2
	ds_load_2addr_b32 v[2:3], v3 offset1:1
	ds_load_2addr_b32 v[6:7], v6 offset1:1
	;; [unrolled: 1-line block ×4, first 2 shown]
	v_sub_nc_u16 v204, v83, v85
	v_lshrrev_b16 v83, 8, v4
	v_lshrrev_b16 v4, 8, v20
	v_lshlrev_b32_e32 v20, 2, v22
	v_bfe_u32 v22, v1, 24, 2
	v_and_b32_e32 v1, 0x3030303, v1
	v_lshlrev_b16 v5, 8, v5
	v_sub_nc_u16 v4, v83, v4
	v_and_b32_e32 v20, 0x4040404, v20
	s_and_b32 s21, s17, -16
	s_waitcnt lgkmcnt(4)
	v_ashrrev_i32_e32 v63, s19, v63
	v_ashrrev_i32_e32 v64, s19, v64
	v_lshlrev_b16 v4, 8, v4
	v_lshrrev_b32_e32 v83, 24, v20
	v_lshrrev_b32_e32 v85, 16, v20
	v_sub_nc_u16 v199, v1, v20
	s_waitcnt lgkmcnt(3)
	v_ashrrev_i32_e32 v65, s18, v2
	v_ashrrev_i32_e32 v78, s18, v3
	v_sub_nc_u16 v22, v22, v83
	v_lshrrev_b32_e32 v83, 16, v1
	s_waitcnt lgkmcnt(2)
	v_ashrrev_i32_e32 v79, s18, v6
	v_add_nc_u32_e32 v2, 0x4200, v137
	v_add_nc_u32_e32 v6, 0x4208, v137
	v_ashrrev_i32_e32 v81, s18, v7
	v_sub_nc_u16 v198, v83, v85
	v_lshrrev_b16 v83, 8, v1
	v_lshrrev_b16 v1, 8, v20
	v_lshlrev_b32_e32 v20, 2, v23
	v_bfe_u32 v23, v0, 24, 2
	v_and_b32_e32 v0, 0x3030303, v0
	ds_load_2addr_b32 v[2:3], v2 offset1:1
	ds_load_2addr_b32 v[6:7], v6 offset1:1
	ds_load_2addr_b32 v[184:185], v179 offset0:6 offset1:7
	v_sub_nc_u16 v1, v83, v1
	v_and_b32_e32 v20, 0x4040404, v20
	s_add_i32 s17, s17, 2
	s_delay_alu instid0(VALU_DEP_2) | instskip(NEXT) | instid1(VALU_DEP_2)
	v_lshlrev_b16 v1, 8, v1
	v_lshrrev_b32_e32 v83, 24, v20
	v_lshrrev_b32_e32 v85, 16, v20
	v_sub_nc_u16 v197, v0, v20
	s_delay_alu instid0(VALU_DEP_3) | instskip(SKIP_1) | instid1(VALU_DEP_1)
	v_sub_nc_u16 v23, v23, v83
	v_lshrrev_b32_e32 v83, 16, v0
	v_sub_nc_u16 v196, v83, v85
	v_lshrrev_b16 v83, 8, v0
	v_lshrrev_b16 v0, 8, v20
	v_lshlrev_b32_e32 v20, 2, v24
	v_bfe_u32 v24, v8, 24, 2
	v_and_b32_e32 v8, 0x3030303, v8
	s_waitcnt lgkmcnt(2)
	v_ashrrev_i32_e32 v2, s18, v2
	v_sub_nc_u16 v0, v83, v0
	v_and_b32_e32 v20, 0x4040404, v20
	v_ashrrev_i32_e32 v3, s18, v3
	s_waitcnt lgkmcnt(1)
	v_ashrrev_i32_e32 v6, s18, v6
	v_lshlrev_b32_e32 v2, 2, v2
	v_ashrrev_i32_e32 v7, s18, v7
	v_lshrrev_b32_e32 v83, 24, v20
	v_lshrrev_b32_e32 v85, 16, v20
	v_sub_nc_u16 v211, v8, v20
	v_and_b32_e32 v2, 0x4040404, v2
	v_lshlrev_b32_e32 v3, 2, v3
	v_sub_nc_u16 v24, v24, v83
	v_lshrrev_b32_e32 v83, 16, v8
	v_lshlrev_b32_e32 v6, 2, v6
	v_lshlrev_b32_e32 v7, 2, v7
	v_and_b32_e32 v3, 0x4040404, v3
	v_lshlrev_b16 v0, 8, v0
	v_sub_nc_u16 v210, v83, v85
	v_lshrrev_b16 v83, 8, v8
	v_lshrrev_b16 v8, 8, v20
	v_lshlrev_b32_e32 v20, 2, v25
	v_bfe_u32 v25, v9, 24, 2
	v_and_b32_e32 v9, 0x3030303, v9
	v_and_b32_e32 v6, 0x4040404, v6
	v_sub_nc_u16 v8, v83, v8
	v_and_b32_e32 v20, 0x4040404, v20
	v_and_b32_e32 v7, 0x4040404, v7
	s_delay_alu instid0(VALU_DEP_2) | instskip(SKIP_2) | instid1(VALU_DEP_3)
	v_lshrrev_b32_e32 v83, 24, v20
	v_lshrrev_b32_e32 v85, 16, v20
	v_sub_nc_u16 v213, v9, v20
	v_sub_nc_u16 v25, v25, v83
	v_lshrrev_b32_e32 v83, 16, v9
	s_delay_alu instid0(VALU_DEP_1)
	v_sub_nc_u16 v212, v83, v85
	v_lshrrev_b16 v83, 8, v9
	v_lshrrev_b16 v9, 8, v20
	v_lshlrev_b32_e32 v20, 2, v26
	v_bfe_u32 v26, v10, 24, 2
	v_and_b32_e32 v10, 0x3030303, v10
	s_delay_alu instid0(VALU_DEP_4) | instskip(NEXT) | instid1(VALU_DEP_4)
	v_sub_nc_u16 v9, v83, v9
	v_and_b32_e32 v20, 0x4040404, v20
	s_delay_alu instid0(VALU_DEP_1) | instskip(SKIP_2) | instid1(VALU_DEP_3)
	v_lshrrev_b32_e32 v83, 24, v20
	v_lshrrev_b32_e32 v85, 16, v20
	v_sub_nc_u16 v207, v10, v20
	v_sub_nc_u16 v26, v26, v83
	v_lshrrev_b32_e32 v83, 16, v10
	s_delay_alu instid0(VALU_DEP_1)
	v_sub_nc_u16 v206, v83, v85
	v_lshrrev_b16 v83, 8, v10
	v_lshrrev_b16 v10, 8, v20
	v_lshlrev_b32_e32 v20, 2, v27
	v_bfe_u32 v27, v11, 24, 2
	v_and_b32_e32 v11, 0x3030303, v11
	s_delay_alu instid0(VALU_DEP_4) | instskip(NEXT) | instid1(VALU_DEP_4)
	v_sub_nc_u16 v10, v83, v10
	v_and_b32_e32 v20, 0x4040404, v20
	s_delay_alu instid0(VALU_DEP_1) | instskip(SKIP_2) | instid1(VALU_DEP_3)
	;; [unrolled: 16-line block ×4, first 2 shown]
	v_lshrrev_b32_e32 v83, 24, v20
	v_lshrrev_b32_e32 v85, 16, v20
	v_sub_nc_u16 v221, v13, v20
	v_sub_nc_u16 v83, v78, v83
	v_lshrrev_b32_e32 v78, 16, v13
	s_delay_alu instid0(VALU_DEP_1) | instskip(SKIP_3) | instid1(VALU_DEP_2)
	v_sub_nc_u16 v220, v78, v85
	v_lshrrev_b16 v78, 8, v13
	v_lshrrev_b16 v13, 8, v20
	v_lshlrev_b32_e32 v20, 2, v79
	v_sub_nc_u16 v13, v78, v13
	s_delay_alu instid0(VALU_DEP_2) | instskip(SKIP_2) | instid1(VALU_DEP_3)
	v_and_b32_e32 v20, 0x4040404, v20
	v_bfe_u32 v78, v14, 24, 2
	v_and_b32_e32 v14, 0x3030303, v14
	v_lshrrev_b32_e32 v79, 24, v20
	s_delay_alu instid0(VALU_DEP_2) | instskip(NEXT) | instid1(VALU_DEP_2)
	v_sub_nc_u16 v215, v14, v20
	v_sub_nc_u16 v85, v78, v79
	v_lshrrev_b32_e32 v78, 16, v14
	v_lshrrev_b32_e32 v79, 16, v20
	s_delay_alu instid0(VALU_DEP_1) | instskip(SKIP_3) | instid1(VALU_DEP_2)
	v_sub_nc_u16 v214, v78, v79
	v_lshrrev_b16 v78, 8, v14
	v_lshrrev_b16 v14, 8, v20
	v_lshlrev_b32_e32 v20, 2, v81
	v_sub_nc_u16 v14, v78, v14
	s_delay_alu instid0(VALU_DEP_2) | instskip(SKIP_2) | instid1(VALU_DEP_3)
	v_and_b32_e32 v20, 0x4040404, v20
	v_bfe_u32 v78, v15, 24, 2
	v_and_b32_e32 v15, 0x3030303, v15
	v_lshrrev_b32_e32 v79, 24, v20
	s_delay_alu instid0(VALU_DEP_2) | instskip(NEXT) | instid1(VALU_DEP_2)
	v_sub_nc_u16 v209, v15, v20
	v_sub_nc_u16 v81, v78, v79
	v_lshrrev_b32_e32 v78, 16, v15
	v_lshrrev_b32_e32 v79, 16, v20
	s_delay_alu instid0(VALU_DEP_1)
	v_sub_nc_u16 v208, v78, v79
	v_lshrrev_b16 v78, 8, v15
	v_lshrrev_b16 v15, 8, v20
	v_bfe_u32 v20, v16, 24, 2
	v_and_b32_e32 v16, 0x3030303, v16
	v_lshrrev_b32_e32 v79, 16, v2
	s_delay_alu instid0(VALU_DEP_4) | instskip(SKIP_1) | instid1(VALU_DEP_4)
	v_sub_nc_u16 v15, v78, v15
	v_lshrrev_b32_e32 v78, 24, v2
	v_sub_nc_u16 v228, v16, v2
	v_lshrrev_b16 v2, 8, v2
	s_delay_alu instid0(VALU_DEP_3) | instskip(SKIP_1) | instid1(VALU_DEP_1)
	v_sub_nc_u16 v20, v20, v78
	v_lshrrev_b32_e32 v78, 16, v16
	v_sub_nc_u16 v226, v78, v79
	v_lshrrev_b16 v78, 8, v16
	v_bfe_u32 v16, v17, 24, 2
	v_and_b32_e32 v17, 0x3030303, v17
	v_lshrrev_b32_e32 v79, 16, v3
	s_delay_alu instid0(VALU_DEP_4) | instskip(SKIP_1) | instid1(VALU_DEP_4)
	v_sub_nc_u16 v2, v78, v2
	v_lshrrev_b32_e32 v78, 24, v3
	v_sub_nc_u16 v233, v17, v3
	v_lshrrev_b16 v3, 8, v3
	s_delay_alu instid0(VALU_DEP_3) | instskip(SKIP_1) | instid1(VALU_DEP_1)
	v_sub_nc_u16 v16, v16, v78
	v_lshrrev_b32_e32 v78, 16, v17
	v_sub_nc_u16 v232, v78, v79
	;; [unrolled: 13-line block ×4, first 2 shown]
	v_lshrrev_b16 v78, 8, v19
	v_lshlrev_b16 v19, 8, v82
	s_delay_alu instid0(VALU_DEP_2) | instskip(SKIP_1) | instid1(VALU_DEP_1)
	v_sub_nc_u16 v7, v78, v7
	v_and_b32_e32 v78, 0xff, v202
	v_or_b32_e32 v28, v78, v19
	v_and_b32_e32 v19, 0xff, v203
	s_delay_alu instid0(VALU_DEP_1) | instskip(SKIP_2) | instid1(VALU_DEP_1)
	v_or_b32_e32 v247, v19, v5
	v_lshlrev_b16 v5, 8, v21
	v_and_b32_e32 v19, 0xff, v204
	v_or_b32_e32 v248, v19, v5
	v_and_b32_e32 v5, 0xff, v205
	s_delay_alu instid0(VALU_DEP_1) | instskip(SKIP_2) | instid1(VALU_DEP_1)
	v_or_b32_e32 v251, v5, v4
	v_lshlrev_b16 v4, 8, v22
	v_and_b32_e32 v5, 0xff, v198
	v_or_b32_e32 v19, v5, v4
	v_and_b32_e32 v4, 0xff, v199
	s_delay_alu instid0(VALU_DEP_1)
	v_or_b32_e32 v21, v4, v1
	v_lshlrev_b16 v1, 8, v23
	v_and_b32_e32 v4, 0xff, v196
	scratch_store_b32 off, v21, off offset:84 ; 4-byte Folded Spill
	v_or_b32_e32 v4, v4, v1
	v_and_b32_e32 v1, 0xff, v197
	s_delay_alu instid0(VALU_DEP_1)
	v_or_b32_e32 v5, v1, v0
	v_lshlrev_b16 v0, 8, v24
	v_and_b32_e32 v1, 0xff, v210
	scratch_store_b32 off, v4, off offset:56 ; 4-byte Folded Spill
	v_or_b32_e32 v255, v1, v0
	v_lshlrev_b16 v0, 8, v8
	v_and_b32_e32 v1, 0xff, v211
	s_delay_alu instid0(VALU_DEP_1) | instskip(SKIP_2) | instid1(VALU_DEP_1)
	v_or_b32_e32 v240, v1, v0
	v_lshlrev_b16 v0, 8, v25
	v_and_b32_e32 v1, 0xff, v212
	v_or_b32_e32 v242, v1, v0
	v_lshlrev_b16 v0, 8, v9
	v_and_b32_e32 v1, 0xff, v213
	s_delay_alu instid0(VALU_DEP_1) | instskip(SKIP_2) | instid1(VALU_DEP_1)
	v_or_b32_e32 v238, v1, v0
	v_lshlrev_b16 v0, 8, v26
	v_and_b32_e32 v1, 0xff, v206
	;; [unrolled: 7-line block ×3, first 2 shown]
	v_or_b32_e32 v8, v1, v0
	v_lshlrev_b16 v0, 8, v11
	v_and_b32_e32 v1, 0xff, v201
	scratch_store_b32 off, v5, off offset:60 ; 4-byte Folded Spill
	v_or_b32_e32 v9, v1, v0
	scratch_store_b32 off, v8, off offset:64 ; 4-byte Folded Spill
	v_lshlrev_b16 v0, 8, v65
	v_and_b32_e32 v1, 0xff, v218
	v_mov_b32_e32 v65, v75
	s_delay_alu instid0(VALU_DEP_2) | instskip(SKIP_2) | instid1(VALU_DEP_1)
	v_or_b32_e32 v236, v1, v0
	v_lshlrev_b16 v0, 8, v12
	v_and_b32_e32 v1, 0xff, v219
	v_or_b32_e32 v235, v1, v0
	v_lshlrev_b16 v0, 8, v83
	v_and_b32_e32 v1, 0xff, v220
	s_delay_alu instid0(VALU_DEP_1) | instskip(SKIP_2) | instid1(VALU_DEP_1)
	v_or_b32_e32 v79, v1, v0
	v_lshlrev_b16 v0, 8, v13
	v_and_b32_e32 v1, 0xff, v221
	v_or_b32_e32 v78, v1, v0
	v_lshlrev_b16 v0, 8, v85
	v_and_b32_e32 v1, 0xff, v214
	s_delay_alu instid0(VALU_DEP_1)
	v_or_b32_e32 v12, v1, v0
	v_lshlrev_b16 v0, 8, v14
	v_and_b32_e32 v1, 0xff, v215
	scratch_store_b32 off, v23, off offset:100 ; 4-byte Folded Spill
	v_or_b32_e32 v13, v1, v0
	scratch_store_b32 off, v12, off offset:104 ; 4-byte Folded Spill
	v_lshlrev_b16 v0, 8, v81
	v_and_b32_e32 v1, 0xff, v208
	v_mov_b32_e32 v81, v88
	s_clause 0x1
	scratch_store_b32 off, v13, off offset:108
	scratch_store_b32 off, v28, off offset:112
	v_or_b32_e32 v10, v1, v0
	v_lshlrev_b16 v0, 8, v15
	v_and_b32_e32 v1, 0xff, v209
	scratch_store_b32 off, v9, off offset:68 ; 4-byte Folded Spill
	v_or_b32_e32 v11, v1, v0
	scratch_store_b32 off, v10, off offset:72 ; 4-byte Folded Spill
	v_lshlrev_b16 v0, 8, v20
	v_and_b32_e32 v1, 0xff, v226
	s_clause 0x1
	scratch_store_b32 off, v19, off offset:80
	scratch_store_b32 off, v11, off offset:76
	v_or_b32_e32 v88, v1, v0
	v_lshlrev_b16 v0, 8, v2
	v_and_b32_e32 v1, 0xff, v228
	s_delay_alu instid0(VALU_DEP_1) | instskip(SKIP_2) | instid1(VALU_DEP_1)
	v_or_b32_e32 v82, v1, v0
	v_lshlrev_b16 v0, 8, v16
	v_and_b32_e32 v1, 0xff, v232
	v_or_b32_e32 v93, v1, v0
	v_lshlrev_b16 v0, 8, v3
	v_and_b32_e32 v1, 0xff, v233
	s_delay_alu instid0(VALU_DEP_1) | instskip(SKIP_2) | instid1(VALU_DEP_1)
	v_or_b32_e32 v92, v1, v0
	v_lshlrev_b16 v0, 8, v17
	v_and_b32_e32 v1, 0xff, v222
	;; [unrolled: 7-line block ×3, first 2 shown]
	v_or_b32_e32 v2, v1, v0
	v_lshlrev_b16 v0, 8, v7
	v_and_b32_e32 v1, 0xff, v217
	s_delay_alu instid0(VALU_DEP_1)
	v_or_b32_e32 v3, v1, v0
	v_perm_b32 v0, v247, v203, 0xc0c0500
	v_perm_b32 v1, v28, v202, 0x5000c0c
	s_clause 0x2
	scratch_store_b32 off, v2, off offset:88
	scratch_store_b32 off, v22, off offset:96
	;; [unrolled: 1-line block ×3, first 2 shown]
	v_or_b32_e32 v110, v1, v0
	v_perm_b32 v0, v251, v205, 0xc0c0500
	v_perm_b32 v1, v248, v204, 0x5000c0c
	s_delay_alu instid0(VALU_DEP_1) | instskip(SKIP_2) | instid1(VALU_DEP_1)
	v_or_b32_e32 v125, v1, v0
	v_perm_b32 v0, v21, v199, 0xc0c0500
	v_perm_b32 v1, v19, v198, 0x5000c0c
	v_or_b32_e32 v133, v1, v0
	v_perm_b32 v0, v5, v197, 0xc0c0500
	v_perm_b32 v1, v4, v196, 0x5000c0c
	s_delay_alu instid0(VALU_DEP_1) | instskip(SKIP_2) | instid1(VALU_DEP_1)
	v_or_b32_e32 v135, v1, v0
	v_perm_b32 v0, v240, v211, 0xc0c0500
	v_perm_b32 v1, v255, v210, 0x5000c0c
	;; [unrolled: 7-line block ×4, first 2 shown]
	v_or_b32_e32 v190, v1, v0
	v_perm_b32 v0, v78, v221, 0xc0c0500
	v_perm_b32 v1, v79, v220, 0x5000c0c
	v_perm_b32 v78, v220, v78, 0xc0c0401
	v_perm_b32 v79, v221, v79, 0x4010c0c
	s_delay_alu instid0(VALU_DEP_3) | instskip(SKIP_2) | instid1(VALU_DEP_1)
	v_or_b32_e32 v75, v1, v0
	v_perm_b32 v0, v13, v215, 0xc0c0500
	v_perm_b32 v1, v12, v214, 0x5000c0c
	v_or_b32_e32 v106, v1, v0
	v_perm_b32 v0, v11, v209, 0xc0c0500
	v_perm_b32 v1, v10, v208, 0x5000c0c
	s_delay_alu instid0(VALU_DEP_1) | instskip(SKIP_4) | instid1(VALU_DEP_3)
	v_or_b32_e32 v77, v1, v0
	v_perm_b32 v0, v82, v228, 0xc0c0500
	v_perm_b32 v1, v88, v226, 0x5000c0c
	;; [unrolled: 1-line block ×4, first 2 shown]
	v_or_b32_e32 v28, v1, v0
	v_perm_b32 v0, v92, v233, 0xc0c0500
	v_perm_b32 v1, v93, v232, 0x5000c0c
	;; [unrolled: 1-line block ×4, first 2 shown]
	s_delay_alu instid0(VALU_DEP_3) | instskip(SKIP_2) | instid1(VALU_DEP_1)
	v_or_b32_e32 v29, v1, v0
	v_perm_b32 v0, v253, v223, 0xc0c0500
	v_perm_b32 v1, v252, v222, 0x5000c0c
	v_or_b32_e32 v30, v1, v0
	v_perm_b32 v0, v3, v217, 0xc0c0500
	v_perm_b32 v1, v2, v216, 0x5000c0c
	s_delay_alu instid0(VALU_DEP_1)
	v_or_b32_e32 v31, v1, v0
	ds_load_b128 v[4:7], v192 offset:1024
	ds_load_b128 v[0:3], v192 offset:1040
	s_waitcnt lgkmcnt(1)
	v_dot4_i32_iu8 v8, v4, v110, 0 neg_lo:[1,1,0]
	v_dot4_i32_iu8 v9, v4, v186, 0 neg_lo:[1,1,0]
	v_dot4_i32_iu8 v10, v4, v190, 0 neg_lo:[1,1,0]
	v_dot4_i32_iu8 v4, v4, v28, 0 neg_lo:[1,1,0]
	s_delay_alu instid0(VALU_DEP_4) | instskip(NEXT) | instid1(VALU_DEP_4)
	v_dot4_i32_iu8 v8, v5, v125, v8 neg_lo:[1,1,0]
	v_dot4_i32_iu8 v9, v5, v187, v9 neg_lo:[1,1,0]
	s_delay_alu instid0(VALU_DEP_4) | instskip(NEXT) | instid1(VALU_DEP_4)
	v_dot4_i32_iu8 v10, v5, v75, v10 neg_lo:[1,1,0]
	v_dot4_i32_iu8 v4, v5, v29, v4 neg_lo:[1,1,0]
	s_delay_alu instid0(VALU_DEP_4) | instskip(NEXT) | instid1(VALU_DEP_4)
	v_dot4_i32_iu8 v5, v6, v133, v8 neg_lo:[1,1,0]
	v_dot4_i32_iu8 v8, v6, v188, v9 neg_lo:[1,1,0]
	s_delay_alu instid0(VALU_DEP_4) | instskip(NEXT) | instid1(VALU_DEP_4)
	v_dot4_i32_iu8 v9, v6, v106, v10 neg_lo:[1,1,0]
	v_dot4_i32_iu8 v4, v6, v30, v4 neg_lo:[1,1,0]
	s_delay_alu instid0(VALU_DEP_4) | instskip(NEXT) | instid1(VALU_DEP_4)
	v_dot4_i32_iu8 v103, v7, v135, v5 neg_lo:[1,1,0]
	v_dot4_i32_iu8 v250, v7, v189, v8 neg_lo:[1,1,0]
	s_delay_alu instid0(VALU_DEP_4) | instskip(NEXT) | instid1(VALU_DEP_4)
	v_dot4_i32_iu8 v241, v7, v77, v9 neg_lo:[1,1,0]
	v_dot4_i32_iu8 v237, v7, v31, v4 neg_lo:[1,1,0]
	ds_load_b128 v[8:11], v192 offset:2048
	ds_load_b128 v[4:7], v192 offset:2064
	s_waitcnt lgkmcnt(1)
	v_dot4_i32_iu8 v12, v8, v110, 0 neg_lo:[1,1,0]
	v_dot4_i32_iu8 v13, v8, v186, 0 neg_lo:[1,1,0]
	v_dot4_i32_iu8 v14, v8, v190, 0 neg_lo:[1,1,0]
	v_dot4_i32_iu8 v8, v8, v28, 0 neg_lo:[1,1,0]
	s_delay_alu instid0(VALU_DEP_4) | instskip(NEXT) | instid1(VALU_DEP_4)
	v_dot4_i32_iu8 v12, v9, v125, v12 neg_lo:[1,1,0]
	v_dot4_i32_iu8 v13, v9, v187, v13 neg_lo:[1,1,0]
	s_delay_alu instid0(VALU_DEP_4) | instskip(NEXT) | instid1(VALU_DEP_4)
	v_dot4_i32_iu8 v14, v9, v75, v14 neg_lo:[1,1,0]
	v_dot4_i32_iu8 v8, v9, v29, v8 neg_lo:[1,1,0]
	s_delay_alu instid0(VALU_DEP_4) | instskip(NEXT) | instid1(VALU_DEP_4)
	v_dot4_i32_iu8 v9, v10, v133, v12 neg_lo:[1,1,0]
	v_dot4_i32_iu8 v12, v10, v188, v13 neg_lo:[1,1,0]
	s_delay_alu instid0(VALU_DEP_4) | instskip(NEXT) | instid1(VALU_DEP_4)
	v_dot4_i32_iu8 v13, v10, v106, v14 neg_lo:[1,1,0]
	v_dot4_i32_iu8 v8, v10, v30, v8 neg_lo:[1,1,0]
	s_delay_alu instid0(VALU_DEP_4) | instskip(NEXT) | instid1(VALU_DEP_4)
	v_dot4_i32_iu8 v83, v11, v135, v9 neg_lo:[1,1,0]
	v_dot4_i32_iu8 v105, v11, v189, v12 neg_lo:[1,1,0]
	s_delay_alu instid0(VALU_DEP_4) | instskip(NEXT) | instid1(VALU_DEP_4)
	v_dot4_i32_iu8 v249, v11, v77, v13 neg_lo:[1,1,0]
	v_dot4_i32_iu8 v239, v11, v31, v8 neg_lo:[1,1,0]
	;; [unrolled: 25-line block ×6, first 2 shown]
	ds_load_b128 v[180:183], v192 offset:7168
	ds_load_b128 v[24:27], v192 offset:7184
	s_waitcnt lgkmcnt(1)
	v_dot4_i32_iu8 v110, v180, v110, 0 neg_lo:[1,1,0]
	v_dot4_i32_iu8 v28, v180, v28, 0 neg_lo:[1,1,0]
	s_delay_alu instid0(VALU_DEP_2) | instskip(SKIP_1) | instid1(VALU_DEP_3)
	v_dot4_i32_iu8 v110, v181, v125, v110 neg_lo:[1,1,0]
	v_dot4_i32_iu8 v125, v180, v186, 0 neg_lo:[1,1,0]
	;; [unrolled: 1-line block ×4, first 2 shown]
	v_ashrrev_i32_e32 v180, s19, v55
	v_dot4_i32_iu8 v29, v182, v133, v110 neg_lo:[1,1,0]
	v_dot4_i32_iu8 v125, v181, v187, v125 neg_lo:[1,1,0]
	v_dot4_i32_iu8 v28, v182, v30, v28 neg_lo:[1,1,0]
	v_dot4_i32_iu8 v75, v181, v75, v186 neg_lo:[1,1,0]
	v_ashrrev_i32_e32 v30, s19, v49
	v_dot4_i32_iu8 v135, v183, v135, v29 neg_lo:[1,1,0]
	v_dot4_i32_iu8 v110, v182, v188, v125 neg_lo:[1,1,0]
	v_ashrrev_i32_e32 v29, s19, v48
	v_dot4_i32_iu8 v75, v182, v106, v75 neg_lo:[1,1,0]
	v_add_nc_u32_e32 v49, s19, v68
	v_ashrrev_i32_e32 v106, s19, v57
	v_dot4_i32_iu8 v133, v183, v189, v110 neg_lo:[1,1,0]
	v_dot4_i32_iu8 v110, v183, v31, v28 neg_lo:[1,1,0]
	v_ashrrev_i32_e32 v28, s19, v47
	ds_load_2addr_b32 v[47:48], v178 offset0:4 offset1:5
	v_dot4_i32_iu8 v125, v183, v77, v75 neg_lo:[1,1,0]
	v_ashrrev_i32_e32 v31, s19, v50
	v_add_nc_u32_e32 v50, 0x4218, v99
	v_ashrrev_i32_e32 v178, s19, v58
	v_ashrrev_i32_e32 v181, s19, v56
	;; [unrolled: 1-line block ×3, first 2 shown]
	v_add_nc_u32_e32 v52, 0x4218, v137
	v_ashrrev_i32_e32 v187, s18, v53
	v_ashrrev_i32_e32 v189, s18, v51
	;; [unrolled: 1-line block ×6, first 2 shown]
	s_waitcnt lgkmcnt(0)
	v_ashrrev_i32_e32 v75, s19, v47
	v_ashrrev_i32_e32 v77, s19, v48
	ds_load_2addr_b32 v[47:48], v179 offset0:4 offset1:5
	s_waitcnt lgkmcnt(0)
	v_ashrrev_i32_e32 v179, s19, v47
	scratch_load_b32 v47, off, off offset:124 ; 4-byte Folded Reload
	v_ashrrev_i32_e32 v182, s19, v48
	v_add_nc_u32_e32 v48, 0x4210, v99
	s_add_i32 s19, s19, 2
	s_waitcnt vmcnt(0)
	v_add3_u32 v47, v47, s21, v49
	ds_load_u16 v47, v47 offset:34560
	ds_load_2addr_b32 v[55:56], v48 offset1:1
	ds_load_2addr_b32 v[57:58], v50 offset1:1
	scratch_load_b32 v48, off, off offset:116 ; 4-byte Folded Reload
	v_add_nc_u32_e32 v50, 0x4210, v137
	s_waitcnt lgkmcnt(1)
	v_ashrrev_i32_e32 v99, s18, v55
	s_waitcnt lgkmcnt(0)
	v_ashrrev_i32_e32 v186, s18, v58
	v_ashrrev_i32_e32 v56, s18, v56
	;; [unrolled: 1-line block ×3, first 2 shown]
	s_delay_alu instid0(VALU_DEP_2) | instskip(NEXT) | instid1(VALU_DEP_1)
	v_lshlrev_b32_e32 v56, 2, v56
	v_and_b32_e32 v56, 0x4040404, v56
	s_waitcnt vmcnt(0)
	v_add3_u32 v48, v48, s21, v49
	ds_load_u16 v48, v48 offset:36608
	ds_load_2addr_b32 v[50:51], v50 offset1:1
	ds_load_2addr_b32 v[52:53], v52 offset1:1
	s_waitcnt lgkmcnt(1)
	v_ashrrev_i32_e32 v137, s18, v50
	v_lshlrev_b32_e32 v50, 2, v61
	v_ashrrev_i32_e32 v32, s18, v51
	s_waitcnt lgkmcnt(0)
	v_ashrrev_i32_e32 v33, s18, v52
	v_bfe_u32 v51, v28, 24, 2
	v_and_b32_e32 v28, 0x3030303, v28
	v_and_b32_e32 v50, 0x4040404, v50
	v_ashrrev_i32_e32 v34, s18, v53
	v_lshlrev_b32_e32 v137, 2, v137
	v_lshlrev_b32_e32 v32, 2, v32
	;; [unrolled: 1-line block ×3, first 2 shown]
	v_lshrrev_b32_e32 v52, 24, v50
	v_sub_nc_u16 v55, v28, v50
	v_and_b32_e32 v137, 0x4040404, v137
	v_and_b32_e32 v32, 0x4040404, v32
	;; [unrolled: 1-line block ×3, first 2 shown]
	v_sub_nc_u16 v35, v51, v52
	v_lshrrev_b32_e32 v51, 16, v28
	v_lshrrev_b32_e32 v52, 16, v50
	;; [unrolled: 1-line block ×6, first 2 shown]
	v_sub_nc_u16 v54, v51, v52
	v_lshrrev_b16 v51, 8, v28
	v_lshrrev_b16 v28, 8, v50
	v_lshlrev_b32_e32 v50, 2, v62
	v_lshrrev_b32_e32 v145, 24, v33
	v_lshrrev_b32_e32 v146, 16, v33
	v_lshlrev_b32_e32 v34, 2, v34
	v_sub_nc_u16 v28, v51, v28
	v_and_b32_e32 v50, 0x4040404, v50
	v_bfe_u32 v51, v29, 24, 2
	v_and_b32_e32 v29, 0x3030303, v29
	v_and_b32_e32 v34, 0x4040404, v34
	v_lshlrev_b16 v35, 8, v35
	v_lshrrev_b32_e32 v52, 24, v50
	v_lshlrev_b16 v28, 8, v28
	v_sub_nc_u16 v59, v29, v50
	v_lshrrev_b32_e32 v147, 24, v34
	v_lshrrev_b32_e32 v148, 16, v34
	v_sub_nc_u16 v62, v51, v52
	v_lshrrev_b32_e32 v51, 16, v29
	v_lshrrev_b32_e32 v52, 16, v50
	s_add_i32 s18, s18, 1
	s_delay_alu instid0(VALU_DEP_3) | instskip(NEXT) | instid1(VALU_DEP_2)
	v_lshlrev_b16 v62, 8, v62
	v_sub_nc_u16 v58, v51, v52
	v_lshrrev_b16 v51, 8, v29
	v_lshrrev_b16 v29, 8, v50
	v_lshlrev_b32_e32 v50, 2, v185
	s_delay_alu instid0(VALU_DEP_2) | instskip(NEXT) | instid1(VALU_DEP_2)
	v_sub_nc_u16 v29, v51, v29
	v_and_b32_e32 v50, 0x4040404, v50
	v_bfe_u32 v51, v30, 24, 2
	v_and_b32_e32 v30, 0x3030303, v30
	s_delay_alu instid0(VALU_DEP_4) | instskip(NEXT) | instid1(VALU_DEP_4)
	v_lshlrev_b16 v29, 8, v29
	v_lshrrev_b32_e32 v52, 24, v50
	s_delay_alu instid0(VALU_DEP_3) | instskip(NEXT) | instid1(VALU_DEP_2)
	v_sub_nc_u16 v53, v30, v50
	v_sub_nc_u16 v185, v51, v52
	v_lshrrev_b32_e32 v51, 16, v30
	v_lshrrev_b32_e32 v52, 16, v50
	s_delay_alu instid0(VALU_DEP_3) | instskip(NEXT) | instid1(VALU_DEP_2)
	v_lshlrev_b16 v185, 8, v185
	v_sub_nc_u16 v52, v51, v52
	v_lshrrev_b16 v51, 8, v30
	v_lshrrev_b16 v30, 8, v50
	v_lshlrev_b32_e32 v50, 2, v60
	s_delay_alu instid0(VALU_DEP_2) | instskip(NEXT) | instid1(VALU_DEP_2)
	v_sub_nc_u16 v30, v51, v30
	v_and_b32_e32 v60, 0x4040404, v50
	v_bfe_u32 v50, v31, 24, 2
	v_and_b32_e32 v31, 0x3030303, v31
	s_delay_alu instid0(VALU_DEP_4) | instskip(NEXT) | instid1(VALU_DEP_4)
	v_lshlrev_b16 v30, 8, v30
	v_lshrrev_b32_e32 v51, 24, v60
	s_delay_alu instid0(VALU_DEP_3) | instskip(NEXT) | instid1(VALU_DEP_2)
	v_lshrrev_b16 v61, 8, v31
	v_sub_nc_u16 v36, v50, v51
	v_lshrrev_b32_e32 v50, 16, v31
	v_lshrrev_b32_e32 v51, 16, v60
	s_delay_alu instid0(VALU_DEP_3) | instskip(NEXT) | instid1(VALU_DEP_2)
	v_lshlrev_b16 v36, 8, v36
	v_sub_nc_u16 v50, v50, v51
	v_sub_nc_u16 v51, v31, v60
	v_lshrrev_b16 v31, 8, v60
	v_lshlrev_b32_e32 v60, 2, v99
	s_delay_alu instid0(VALU_DEP_2) | instskip(NEXT) | instid1(VALU_DEP_2)
	v_sub_nc_u16 v31, v61, v31
	v_and_b32_e32 v60, 0x4040404, v60
	v_bfe_u32 v61, v75, 24, 2
	s_delay_alu instid0(VALU_DEP_3) | instskip(NEXT) | instid1(VALU_DEP_3)
	v_lshlrev_b16 v31, 8, v31
	v_lshrrev_b32_e32 v99, 24, v60
	v_lshrrev_b32_e32 v37, 16, v60
	s_delay_alu instid0(VALU_DEP_2) | instskip(SKIP_1) | instid1(VALU_DEP_2)
	v_sub_nc_u16 v99, v61, v99
	v_and_b32_e32 v61, 0x3030303, v75
	v_lshlrev_b16 v99, 8, v99
	s_delay_alu instid0(VALU_DEP_2) | instskip(SKIP_2) | instid1(VALU_DEP_3)
	v_lshrrev_b32_e32 v75, 16, v61
	v_sub_nc_u16 v38, v61, v60
	v_lshrrev_b16 v60, 8, v60
	v_sub_nc_u16 v37, v75, v37
	v_lshrrev_b16 v75, 8, v61
	v_lshrrev_b32_e32 v61, 24, v56
	s_delay_alu instid0(VALU_DEP_2) | instskip(SKIP_1) | instid1(VALU_DEP_2)
	v_sub_nc_u16 v75, v75, v60
	v_bfe_u32 v60, v77, 24, 2
	v_lshlrev_b16 v75, 8, v75
	s_delay_alu instid0(VALU_DEP_2) | instskip(SKIP_2) | instid1(VALU_DEP_3)
	v_sub_nc_u16 v39, v60, v61
	v_and_b32_e32 v60, 0x3030303, v77
	v_lshrrev_b32_e32 v77, 16, v56
	v_lshlrev_b16 v39, 8, v39
	s_delay_alu instid0(VALU_DEP_3) | instskip(SKIP_2) | instid1(VALU_DEP_3)
	v_lshrrev_b32_e32 v61, 16, v60
	v_sub_nc_u16 v40, v60, v56
	v_lshrrev_b16 v56, 8, v56
	v_sub_nc_u16 v77, v61, v77
	v_lshrrev_b16 v61, 8, v60
	s_delay_alu instid0(VALU_DEP_1) | instskip(SKIP_2) | instid1(VALU_DEP_3)
	v_sub_nc_u16 v41, v61, v56
	v_lshlrev_b32_e32 v56, 2, v57
	v_bfe_u32 v57, v63, 24, 2
	v_lshlrev_b16 v41, 8, v41
	s_delay_alu instid0(VALU_DEP_3) | instskip(NEXT) | instid1(VALU_DEP_1)
	v_and_b32_e32 v56, 0x4040404, v56
	v_lshrrev_b32_e32 v60, 24, v56
	v_lshrrev_b32_e32 v61, 16, v56
	s_delay_alu instid0(VALU_DEP_2) | instskip(SKIP_1) | instid1(VALU_DEP_2)
	v_sub_nc_u16 v42, v57, v60
	v_and_b32_e32 v57, 0x3030303, v63
	v_lshlrev_b16 v42, 8, v42
	s_delay_alu instid0(VALU_DEP_2) | instskip(SKIP_1) | instid1(VALU_DEP_2)
	v_lshrrev_b32_e32 v60, 16, v57
	v_lshrrev_b16 v63, 8, v57
	v_sub_nc_u16 v60, v60, v61
	v_sub_nc_u16 v61, v57, v56
	v_lshrrev_b16 v56, 8, v56
	s_delay_alu instid0(VALU_DEP_1) | instskip(SKIP_1) | instid1(VALU_DEP_2)
	v_sub_nc_u16 v63, v63, v56
	v_lshlrev_b32_e32 v56, 2, v186
	v_lshlrev_b16 v63, 8, v63
	s_delay_alu instid0(VALU_DEP_2) | instskip(SKIP_1) | instid1(VALU_DEP_2)
	v_and_b32_e32 v186, 0x4040404, v56
	v_bfe_u32 v56, v64, 24, 2
	v_lshrrev_b32_e32 v57, 24, v186
	s_delay_alu instid0(VALU_DEP_1) | instskip(SKIP_2) | instid1(VALU_DEP_3)
	v_sub_nc_u16 v43, v56, v57
	v_and_b32_e32 v57, 0x3030303, v64
	v_lshrrev_b32_e32 v64, 16, v186
	v_lshlrev_b16 v43, 8, v43
	s_delay_alu instid0(VALU_DEP_3) | instskip(NEXT) | instid1(VALU_DEP_1)
	v_lshrrev_b32_e32 v56, 16, v57
	v_sub_nc_u16 v56, v56, v64
	v_lshrrev_b16 v64, 8, v57
	v_sub_nc_u16 v57, v57, v186
	v_lshrrev_b16 v186, 8, v186
	s_delay_alu instid0(VALU_DEP_1) | instskip(SKIP_3) | instid1(VALU_DEP_4)
	v_sub_nc_u16 v64, v64, v186
	v_lshlrev_b32_e32 v186, 2, v187
	v_bfe_u32 v187, v106, 24, 2
	v_and_b32_e32 v106, 0x3030303, v106
	v_lshlrev_b16 v64, 8, v64
	s_delay_alu instid0(VALU_DEP_4) | instskip(NEXT) | instid1(VALU_DEP_1)
	v_and_b32_e32 v186, 0x4040404, v186
	v_lshrrev_b32_e32 v46, 24, v186
	v_lshrrev_b32_e32 v129, 16, v186
	s_delay_alu instid0(VALU_DEP_2) | instskip(SKIP_1) | instid1(VALU_DEP_2)
	v_sub_nc_u16 v46, v187, v46
	v_lshrrev_b32_e32 v187, 16, v106
	v_lshlrev_b16 v46, 8, v46
	s_delay_alu instid0(VALU_DEP_2) | instskip(SKIP_3) | instid1(VALU_DEP_1)
	v_sub_nc_u16 v129, v187, v129
	v_lshrrev_b16 v187, 8, v106
	v_sub_nc_u16 v106, v106, v186
	v_lshrrev_b16 v186, 8, v186
	v_sub_nc_u16 v186, v187, v186
	v_lshlrev_b32_e32 v187, 2, v188
	v_bfe_u32 v188, v178, 24, 2
	v_and_b32_e32 v178, 0x3030303, v178
	s_delay_alu instid0(VALU_DEP_4) | instskip(NEXT) | instid1(VALU_DEP_4)
	v_lshlrev_b16 v186, 8, v186
	v_and_b32_e32 v187, 0x4040404, v187
	s_delay_alu instid0(VALU_DEP_1) | instskip(SKIP_1) | instid1(VALU_DEP_2)
	v_lshrrev_b32_e32 v130, 24, v187
	v_lshrrev_b32_e32 v131, 16, v187
	v_sub_nc_u16 v130, v188, v130
	v_lshrrev_b32_e32 v188, 16, v178
	s_delay_alu instid0(VALU_DEP_2) | instskip(NEXT) | instid1(VALU_DEP_2)
	v_lshlrev_b16 v130, 8, v130
	v_sub_nc_u16 v131, v188, v131
	v_lshrrev_b16 v188, 8, v178
	v_sub_nc_u16 v178, v178, v187
	v_lshrrev_b16 v187, 8, v187
	s_delay_alu instid0(VALU_DEP_1) | instskip(SKIP_3) | instid1(VALU_DEP_4)
	v_sub_nc_u16 v187, v188, v187
	v_lshlrev_b32_e32 v188, 2, v189
	v_bfe_u32 v189, v180, 24, 2
	v_and_b32_e32 v180, 0x3030303, v180
	v_lshlrev_b16 v187, 8, v187
	s_delay_alu instid0(VALU_DEP_4) | instskip(NEXT) | instid1(VALU_DEP_1)
	v_and_b32_e32 v188, 0x4040404, v188
	v_lshrrev_b32_e32 v66, 24, v188
	v_lshrrev_b32_e32 v138, 16, v188
	s_delay_alu instid0(VALU_DEP_2) | instskip(SKIP_1) | instid1(VALU_DEP_2)
	v_sub_nc_u16 v66, v189, v66
	v_lshrrev_b32_e32 v189, 16, v180
	v_lshlrev_b16 v66, 8, v66
	s_delay_alu instid0(VALU_DEP_2) | instskip(SKIP_3) | instid1(VALU_DEP_1)
	v_sub_nc_u16 v138, v189, v138
	v_lshrrev_b16 v189, 8, v180
	v_sub_nc_u16 v180, v180, v188
	v_lshrrev_b16 v188, 8, v188
	v_sub_nc_u16 v188, v189, v188
	v_lshlrev_b32_e32 v189, 2, v190
	v_bfe_u32 v190, v181, 24, 2
	v_and_b32_e32 v181, 0x3030303, v181
	s_delay_alu instid0(VALU_DEP_4) | instskip(NEXT) | instid1(VALU_DEP_4)
	v_lshlrev_b16 v188, 8, v188
	v_and_b32_e32 v189, 0x4040404, v189
	s_delay_alu instid0(VALU_DEP_1) | instskip(SKIP_1) | instid1(VALU_DEP_2)
	v_lshrrev_b32_e32 v139, 24, v189
	v_lshrrev_b32_e32 v140, 16, v189
	v_sub_nc_u16 v139, v190, v139
	v_lshrrev_b32_e32 v190, 16, v181
	s_delay_alu instid0(VALU_DEP_2) | instskip(NEXT) | instid1(VALU_DEP_2)
	v_lshlrev_b16 v139, 8, v139
	v_sub_nc_u16 v140, v190, v140
	v_lshrrev_b16 v190, 8, v181
	v_sub_nc_u16 v181, v181, v189
	v_lshrrev_b16 v189, 8, v189
	s_delay_alu instid0(VALU_DEP_1) | instskip(SKIP_2) | instid1(VALU_DEP_3)
	v_sub_nc_u16 v189, v190, v189
	v_bfe_u32 v190, v179, 24, 2
	v_and_b32_e32 v179, 0x3030303, v179
	v_lshlrev_b16 v189, 8, v189
	s_delay_alu instid0(VALU_DEP_3) | instskip(NEXT) | instid1(VALU_DEP_3)
	v_sub_nc_u16 v141, v190, v141
	v_lshrrev_b32_e32 v190, 16, v179
	s_delay_alu instid0(VALU_DEP_2) | instskip(NEXT) | instid1(VALU_DEP_2)
	v_lshlrev_b16 v141, 8, v141
	v_sub_nc_u16 v142, v190, v142
	v_lshrrev_b16 v190, 8, v179
	v_sub_nc_u16 v179, v179, v137
	v_lshrrev_b16 v137, 8, v137
	s_delay_alu instid0(VALU_DEP_1) | instskip(SKIP_2) | instid1(VALU_DEP_3)
	v_sub_nc_u16 v137, v190, v137
	v_bfe_u32 v190, v182, 24, 2
	v_and_b32_e32 v182, 0x3030303, v182
	v_lshlrev_b16 v137, 8, v137
	s_delay_alu instid0(VALU_DEP_3) | instskip(NEXT) | instid1(VALU_DEP_3)
	;; [unrolled: 14-line block ×4, first 2 shown]
	v_sub_nc_u16 v147, v190, v147
	v_lshrrev_b32_e32 v190, 16, v184
	s_delay_alu instid0(VALU_DEP_2) | instskip(NEXT) | instid1(VALU_DEP_2)
	v_lshlrev_b16 v147, 8, v147
	v_sub_nc_u16 v148, v190, v148
	v_lshrrev_b16 v190, 8, v184
	v_sub_nc_u16 v184, v184, v34
	v_lshrrev_b16 v34, 8, v34
	s_delay_alu instid0(VALU_DEP_1) | instskip(SKIP_1) | instid1(VALU_DEP_2)
	v_sub_nc_u16 v34, v190, v34
	v_and_b32_e32 v190, 0xff, v54
	v_lshlrev_b16 v34, 8, v34
	s_delay_alu instid0(VALU_DEP_2) | instskip(SKIP_1) | instid1(VALU_DEP_2)
	v_or_b32_e32 v35, v190, v35
	v_and_b32_e32 v190, 0xff, v55
	v_perm_b32 v149, v35, v54, 0x5000c0c
	s_delay_alu instid0(VALU_DEP_2) | instskip(SKIP_1) | instid1(VALU_DEP_1)
	v_or_b32_e32 v28, v190, v28
	v_and_b32_e32 v190, 0xff, v58
	v_or_b32_e32 v62, v190, v62
	v_and_b32_e32 v190, 0xff, v59
	s_delay_alu instid0(VALU_DEP_2) | instskip(NEXT) | instid1(VALU_DEP_2)
	v_perm_b32 v150, v62, v58, 0x5000c0c
	v_or_b32_e32 v29, v190, v29
	v_and_b32_e32 v190, 0xff, v52
	s_delay_alu instid0(VALU_DEP_1) | instskip(SKIP_1) | instid1(VALU_DEP_2)
	v_or_b32_e32 v185, v190, v185
	v_and_b32_e32 v190, 0xff, v53
	v_perm_b32 v151, v185, v52, 0x5000c0c
	s_delay_alu instid0(VALU_DEP_2) | instskip(SKIP_1) | instid1(VALU_DEP_1)
	v_or_b32_e32 v30, v190, v30
	v_and_b32_e32 v190, 0xff, v50
	v_or_b32_e32 v36, v190, v36
	v_and_b32_e32 v190, 0xff, v51
	s_delay_alu instid0(VALU_DEP_2) | instskip(NEXT) | instid1(VALU_DEP_2)
	v_perm_b32 v152, v36, v50, 0x5000c0c
	v_or_b32_e32 v31, v190, v31
	v_and_b32_e32 v190, 0xff, v37
	s_delay_alu instid0(VALU_DEP_1) | instskip(SKIP_1) | instid1(VALU_DEP_2)
	;; [unrolled: 13-line block ×4, first 2 shown]
	v_or_b32_e32 v46, v190, v46
	v_and_b32_e32 v190, 0xff, v106
	v_perm_b32 v191, v46, v129, 0x5000c0c
	s_delay_alu instid0(VALU_DEP_2) | instskip(SKIP_1) | instid1(VALU_DEP_1)
	v_or_b32_e32 v186, v190, v186
	v_and_b32_e32 v190, 0xff, v131
	v_or_b32_e32 v130, v190, v130
	v_and_b32_e32 v190, 0xff, v178
	s_delay_alu instid0(VALU_DEP_2) | instskip(NEXT) | instid1(VALU_DEP_2)
	v_perm_b32 v44, v130, v131, 0x5000c0c
	v_or_b32_e32 v187, v190, v187
	v_and_b32_e32 v190, 0xff, v138
	s_delay_alu instid0(VALU_DEP_1) | instskip(SKIP_1) | instid1(VALU_DEP_1)
	v_or_b32_e32 v66, v190, v66
	v_and_b32_e32 v190, 0xff, v180
	v_or_b32_e32 v188, v190, v188
	v_and_b32_e32 v190, 0xff, v140
	s_delay_alu instid0(VALU_DEP_2) | instskip(NEXT) | instid1(VALU_DEP_2)
	v_perm_b32 v45, v188, v180, 0xc0c0500
	v_or_b32_e32 v139, v190, v139
	v_and_b32_e32 v190, 0xff, v181
	s_delay_alu instid0(VALU_DEP_2) | instskip(NEXT) | instid1(VALU_DEP_2)
	v_perm_b32 v169, v139, v140, 0x5000c0c
	v_or_b32_e32 v189, v190, v189
	v_and_b32_e32 v190, 0xff, v142
	s_delay_alu instid0(VALU_DEP_1) | instskip(SKIP_1) | instid1(VALU_DEP_2)
	v_or_b32_e32 v141, v190, v141
	v_and_b32_e32 v190, 0xff, v179
	v_perm_b32 v170, v141, v142, 0x5000c0c
	s_delay_alu instid0(VALU_DEP_2) | instskip(SKIP_1) | instid1(VALU_DEP_1)
	v_or_b32_e32 v137, v190, v137
	v_and_b32_e32 v190, 0xff, v144
	v_or_b32_e32 v143, v190, v143
	v_and_b32_e32 v190, 0xff, v182
	s_delay_alu instid0(VALU_DEP_2) | instskip(NEXT) | instid1(VALU_DEP_2)
	v_perm_b32 v171, v143, v144, 0x5000c0c
	v_or_b32_e32 v32, v190, v32
	v_and_b32_e32 v190, 0xff, v146
	s_delay_alu instid0(VALU_DEP_1) | instskip(SKIP_1) | instid1(VALU_DEP_2)
	v_or_b32_e32 v145, v190, v145
	v_and_b32_e32 v190, 0xff, v183
	v_perm_b32 v172, v145, v146, 0x5000c0c
	s_delay_alu instid0(VALU_DEP_2) | instskip(SKIP_1) | instid1(VALU_DEP_1)
	v_or_b32_e32 v33, v190, v33
	v_and_b32_e32 v190, 0xff, v148
	v_or_b32_e32 v147, v190, v147
	v_and_b32_e32 v190, 0xff, v184
	s_delay_alu instid0(VALU_DEP_2) | instskip(NEXT) | instid1(VALU_DEP_2)
	v_perm_b32 v174, v147, v148, 0x5000c0c
	v_or_b32_e32 v34, v190, v34
	v_perm_b32 v190, v28, v55, 0xc0c0500
	s_delay_alu instid0(VALU_DEP_1) | instskip(SKIP_1) | instid1(VALU_DEP_1)
	v_or_b32_e32 v149, v149, v190
	v_perm_b32 v190, v29, v59, 0xc0c0500
	v_or_b32_e32 v150, v150, v190
	v_perm_b32 v190, v30, v53, 0xc0c0500
	s_delay_alu instid0(VALU_DEP_1) | instskip(SKIP_1) | instid1(VALU_DEP_1)
	v_or_b32_e32 v151, v151, v190
	v_perm_b32 v190, v31, v51, 0xc0c0500
	v_or_b32_e32 v152, v152, v190
	v_perm_b32 v190, v75, v38, 0xc0c0500
	s_delay_alu instid0(VALU_DEP_1) | instskip(SKIP_1) | instid1(VALU_DEP_2)
	v_or_b32_e32 v153, v153, v190
	v_perm_b32 v190, v41, v40, 0xc0c0500
	v_dot4_i32_iu8 v175, v0, v153, 0 neg_lo:[1,1,0]
	s_delay_alu instid0(VALU_DEP_2) | instskip(SKIP_1) | instid1(VALU_DEP_2)
	v_or_b32_e32 v154, v154, v190
	v_perm_b32 v190, v63, v61, 0xc0c0500
	v_dot4_i32_iu8 v175, v1, v154, v175 neg_lo:[1,1,0]
	s_delay_alu instid0(VALU_DEP_2) | instskip(SKIP_1) | instid1(VALU_DEP_2)
	;; [unrolled: 4-line block ×7, first 2 shown]
	v_or_b32_e32 v169, v169, v191
	v_perm_b32 v191, v137, v179, 0xc0c0500
	v_dot4_i32_iu8 v176, v3, v169, v176 neg_lo:[1,1,0]
	s_delay_alu instid0(VALU_DEP_2) | instskip(SKIP_2) | instid1(VALU_DEP_2)
	v_or_b32_e32 v170, v170, v191
	v_perm_b32 v191, v32, v182, 0xc0c0500
	v_perm_b32 v32, v144, v32, 0xc0c0401
	v_or_b32_e32 v171, v171, v191
	v_perm_b32 v191, v33, v183, 0xc0c0500
	s_delay_alu instid0(VALU_DEP_1) | instskip(SKIP_1) | instid1(VALU_DEP_1)
	v_or_b32_e32 v172, v172, v191
	v_perm_b32 v191, v34, v184, 0xc0c0500
	v_or_b32_e32 v174, v174, v191
	v_dot4_i32_iu8 v191, v0, v149, 0 neg_lo:[1,1,0]
	v_dot4_i32_iu8 v0, v0, v170, 0 neg_lo:[1,1,0]
	s_delay_alu instid0(VALU_DEP_2) | instskip(NEXT) | instid1(VALU_DEP_2)
	v_dot4_i32_iu8 v191, v1, v150, v191 neg_lo:[1,1,0]
	v_dot4_i32_iu8 v0, v1, v171, v0 neg_lo:[1,1,0]
	s_delay_alu instid0(VALU_DEP_2) | instskip(NEXT) | instid1(VALU_DEP_2)
	v_dot4_i32_iu8 v1, v2, v151, v191 neg_lo:[1,1,0]
	v_dot4_i32_iu8 v0, v2, v172, v0 neg_lo:[1,1,0]
	;; [unrolled: 1-line block ×3, first 2 shown]
	s_delay_alu instid0(VALU_DEP_3) | instskip(NEXT) | instid1(VALU_DEP_3)
	v_dot4_i32_iu8 v191, v3, v152, v1 neg_lo:[1,1,0]
	v_dot4_i32_iu8 v177, v3, v174, v0 neg_lo:[1,1,0]
	v_dot4_i32_iu8 v0, v4, v149, 0 neg_lo:[1,1,0]
	v_dot4_i32_iu8 v1, v4, v153, 0 neg_lo:[1,1,0]
	v_dot4_i32_iu8 v3, v4, v170, 0 neg_lo:[1,1,0]
	v_dot4_i32_iu8 v2, v5, v44, v2 neg_lo:[1,1,0]
	s_delay_alu instid0(VALU_DEP_4) | instskip(NEXT) | instid1(VALU_DEP_4)
	v_dot4_i32_iu8 v0, v5, v150, v0 neg_lo:[1,1,0]
	v_dot4_i32_iu8 v1, v5, v154, v1 neg_lo:[1,1,0]
	s_delay_alu instid0(VALU_DEP_4) | instskip(NEXT) | instid1(VALU_DEP_4)
	v_dot4_i32_iu8 v3, v5, v171, v3 neg_lo:[1,1,0]
	v_dot4_i32_iu8 v2, v6, v45, v2 neg_lo:[1,1,0]
	s_delay_alu instid0(VALU_DEP_4) | instskip(NEXT) | instid1(VALU_DEP_4)
	v_dot4_i32_iu8 v0, v6, v151, v0 neg_lo:[1,1,0]
	v_dot4_i32_iu8 v1, v6, v168, v1 neg_lo:[1,1,0]
	s_delay_alu instid0(VALU_DEP_4) | instskip(NEXT) | instid1(VALU_DEP_4)
	v_dot4_i32_iu8 v3, v6, v172, v3 neg_lo:[1,1,0]
	v_dot4_i32_iu8 v157, v7, v169, v2 neg_lo:[1,1,0]
	v_dot4_i32_iu8 v2, v8, v190, 0 neg_lo:[1,1,0]
	v_dot4_i32_iu8 v155, v7, v152, v0 neg_lo:[1,1,0]
	v_dot4_i32_iu8 v156, v7, v173, v1 neg_lo:[1,1,0]
	v_dot4_i32_iu8 v158, v7, v174, v3 neg_lo:[1,1,0]
	v_dot4_i32_iu8 v0, v8, v149, 0 neg_lo:[1,1,0]
	v_dot4_i32_iu8 v1, v8, v153, 0 neg_lo:[1,1,0]
	v_dot4_i32_iu8 v3, v8, v170, 0 neg_lo:[1,1,0]
	v_dot4_i32_iu8 v2, v9, v44, v2 neg_lo:[1,1,0]
	s_delay_alu instid0(VALU_DEP_4) | instskip(NEXT) | instid1(VALU_DEP_4)
	v_dot4_i32_iu8 v0, v9, v150, v0 neg_lo:[1,1,0]
	v_dot4_i32_iu8 v1, v9, v154, v1 neg_lo:[1,1,0]
	s_delay_alu instid0(VALU_DEP_4) | instskip(NEXT) | instid1(VALU_DEP_4)
	v_dot4_i32_iu8 v3, v9, v171, v3 neg_lo:[1,1,0]
	v_dot4_i32_iu8 v2, v10, v45, v2 neg_lo:[1,1,0]
	s_delay_alu instid0(VALU_DEP_4) | instskip(NEXT) | instid1(VALU_DEP_4)
	v_dot4_i32_iu8 v0, v10, v151, v0 neg_lo:[1,1,0]
	v_dot4_i32_iu8 v1, v10, v168, v1 neg_lo:[1,1,0]
	s_delay_alu instid0(VALU_DEP_4) | instskip(NEXT) | instid1(VALU_DEP_4)
	v_dot4_i32_iu8 v3, v10, v172, v3 neg_lo:[1,1,0]
	v_dot4_i32_iu8 v160, v11, v169, v2 neg_lo:[1,1,0]
	v_dot4_i32_iu8 v2, v12, v190, 0 neg_lo:[1,1,0]
	v_dot4_i32_iu8 v8, v11, v152, v0 neg_lo:[1,1,0]
	;; [unrolled: 20-line block ×5, first 2 shown]
	v_dot4_i32_iu8 v17, v23, v173, v1 neg_lo:[1,1,0]
	v_dot4_i32_iu8 v229, v23, v174, v3 neg_lo:[1,1,0]
	;; [unrolled: 1-line block ×6, first 2 shown]
	v_perm_b32 v22, v210, v240, 0xc0c0401
	v_dot4_i32_iu8 v0, v25, v150, v0 neg_lo:[1,1,0]
	v_dot4_i32_iu8 v1, v25, v154, v1 neg_lo:[1,1,0]
	;; [unrolled: 1-line block ×4, first 2 shown]
	v_perm_b32 v23, v211, v255, 0x4010c0c
	v_dot4_i32_iu8 v0, v26, v151, v0 neg_lo:[1,1,0]
	v_dot4_i32_iu8 v1, v26, v168, v1 neg_lo:[1,1,0]
	;; [unrolled: 1-line block ×4, first 2 shown]
	v_perm_b32 v24, v212, v238, 0xc0c0401
	v_dot4_i32_iu8 v12, v27, v152, v0 neg_lo:[1,1,0]
	v_dot4_i32_iu8 v18, v27, v173, v1 neg_lo:[1,1,0]
	;; [unrolled: 1-line block ×3, first 2 shown]
	ds_load_b128 v[0:3], v192
	ds_load_b128 v[4:7], v192 offset:16
	s_clause 0x1
	scratch_load_b32 v15, off, off
	scratch_load_b32 v19, off, off offset:4
	v_perm_b32 v25, v213, v242, 0x4010c0c
	v_perm_b32 v27, v218, v235, 0xc0c0401
	v_add_nc_u32_e32 v192, 32, v192
	s_waitcnt lgkmcnt(1)
	v_perm_b32 v13, v0, v0, 0x30201
	v_perm_b32 v14, v1, v1, 0x30201
	s_clause 0x1
	scratch_load_b32 v0, off, off offset:128
	scratch_load_b32 v1, off, off offset:120
	s_waitcnt lgkmcnt(0)
	v_perm_b32 v4, v4, v4, 0x30201
	v_perm_b32 v5, v5, v5, 0x30201
	;; [unrolled: 1-line block ×6, first 2 shown]
	s_waitcnt vmcnt(3)
	v_add_nc_u32_e32 v15, s20, v15
	s_waitcnt vmcnt(2)
	v_add_nc_u32_e32 v19, s20, v19
	s_add_i32 s20, s1, s19
	s_delay_alu instid0(SALU_CYCLE_1)
	s_cmp_lt_u32 s20, s15
	ds_load_b32 v15, v15
	s_waitcnt vmcnt(1)
	v_add3_u32 v0, v0, s21, v49
	s_waitcnt vmcnt(0)
	v_add3_u32 v1, v1, s21, v49
	ds_load_b32 v19, v19
	ds_load_u16 v20, v0 offset:33536
	ds_load_u16 v21, v1 offset:35584
	ds_load_2addr_b32 v[0:1], v245 offset1:32
	v_perm_b32 v49, v219, v236, 0x4010c0c
	s_waitcnt lgkmcnt(0)
	v_mul_f32_e32 v45, v0, v194
	v_mul_f32_e32 v149, v0, v15
	v_mul_f32_e32 v150, v0, v195
	v_dual_mul_f32 v151, v0, v19 :: v_dual_mul_f32 v152, v194, v1
	v_mul_f32_e32 v153, v15, v1
	v_mul_f32_e32 v154, v195, v1
	v_mul_f32_e32 v168, v19, v1
	ds_load_2addr_b32 v[0:1], v245 offset0:64 offset1:96
	s_waitcnt lgkmcnt(0)
	v_mul_f32_e32 v169, v194, v0
	v_mul_f32_e32 v170, v15, v0
	v_mul_f32_e32 v171, v195, v0
	v_dual_mul_f32 v172, v19, v0 :: v_dual_mul_f32 v173, v194, v1
	v_mul_f32_e32 v174, v15, v1
	v_mul_f32_e32 v190, v195, v1
	v_mul_f32_e32 v68, v19, v1
	ds_load_2addr_b32 v[0:1], v245 offset0:128 offset1:160
	;; [unrolled: 9-line block ×3, first 2 shown]
	s_waitcnt lgkmcnt(0)
	v_dual_mul_f32 v84, v194, v0 :: v_dual_add_nc_u32 v245, 4, v245
	v_mul_f32_e32 v194, v194, v1
	v_mul_f32_e32 v89, v15, v1
	;; [unrolled: 1-line block ×5, first 2 shown]
	scratch_load_b32 v1, off, off offset:112 ; 4-byte Folded Reload
	v_mul_f32_e32 v86, v15, v0
	v_mul_f32_e32 v95, v19, v0
	v_perm_b32 v0, v202, v247, 0xc0c0401
	v_perm_b32 v15, v204, v251, 0xc0c0401
	;; [unrolled: 1-line block ×3, first 2 shown]
	s_waitcnt vmcnt(0)
	v_perm_b32 v1, v203, v1, 0x4010c0c
	s_delay_alu instid0(VALU_DEP_1) | instskip(NEXT) | instid1(VALU_DEP_3)
	v_or_b32_e32 v0, v1, v0
	v_or_b32_e32 v1, v19, v15
	;; [unrolled: 1-line block ×8, first 2 shown]
	v_dot4_i32_iu8 v0, v0, v13, 0 neg_lo:[1,1,0]
	v_dot4_i32_iu8 v15, v15, v13, 0 neg_lo:[1,1,0]
	;; [unrolled: 1-line block ×4, first 2 shown]
	v_perm_b32 v24, v37, v75, 0xc0c0401
	v_dot4_i32_iu8 v0, v1, v14, v0 neg_lo:[1,1,0]
	v_dot4_i32_iu8 v1, v19, v14, v15 neg_lo:[1,1,0]
	;; [unrolled: 1-line block ×4, first 2 shown]
	v_perm_b32 v14, v54, v28, 0xc0c0401
	v_perm_b32 v19, v55, v35, 0x4010c0c
	;; [unrolled: 1-line block ×14, first 2 shown]
	v_or_b32_e32 v14, v19, v14
	v_or_b32_e32 v19, v23, v22
	v_or_b32_e32 v22, v25, v24
	v_or_b32_e32 v23, v28, v27
	v_or_b32_e32 v24, v35, v29
	v_or_b32_e32 v27, v40, v39
	v_or_b32_e32 v25, v38, v37
	v_or_b32_e32 v28, v41, v32
	v_dot4_i32_iu8 v14, v14, v4, 0 neg_lo:[1,1,0]
	v_dot4_i32_iu8 v22, v22, v4, 0 neg_lo:[1,1,0]
	;; [unrolled: 1-line block ×4, first 2 shown]
	scratch_load_b32 v27, off, off offset:108 ; 4-byte Folded Reload
	v_dot4_i32_iu8 v14, v19, v5, v14 neg_lo:[1,1,0]
	v_dot4_i32_iu8 v19, v23, v5, v22 neg_lo:[1,1,0]
	;; [unrolled: 1-line block ×4, first 2 shown]
	s_clause 0x4
	scratch_load_b32 v28, off, off offset:104
	scratch_load_b32 v5, off, off offset:84
	;; [unrolled: 1-line block ×5, first 2 shown]
	v_perm_b32 v29, v222, v253, 0xc0c0401
	v_perm_b32 v32, v223, v252, 0x4010c0c
	v_dual_mov_b32 v93, v244 :: v_dual_mov_b32 v92, v234
	v_mov_b32_e32 v88, v81
	v_dual_mov_b32 v82, v231 :: v_dual_mov_b32 v77, v230
	v_mov_b32_e32 v75, v65
	v_mov_b32_e32 v46, v225
	s_waitcnt vmcnt(5)
	v_perm_b32 v27, v214, v27, 0xc0c0401
	s_waitcnt vmcnt(4)
	v_perm_b32 v28, v215, v28, 0x4010c0c
	;; [unrolled: 2-line block ×6, first 2 shown]
	s_delay_alu instid0(VALU_DEP_2) | instskip(NEXT) | instid1(VALU_DEP_2)
	v_or_b32_e32 v5, v23, v5
	v_or_b32_e32 v23, v25, v24
	;; [unrolled: 1-line block ×4, first 2 shown]
	v_perm_b32 v27, v180, v66, 0x4010c0c
	v_dot4_i32_iu8 v0, v5, v2, v0 neg_lo:[1,1,0]
	v_dot4_i32_iu8 v1, v23, v2, v1 neg_lo:[1,1,0]
	;; [unrolled: 1-line block ×4, first 2 shown]
	v_perm_b32 v13, v52, v30, 0xc0c0401
	v_perm_b32 v15, v53, v185, 0x4010c0c
	;; [unrolled: 1-line block ×7, first 2 shown]
	v_or_b32_e32 v13, v15, v13
	v_or_b32_e32 v15, v24, v23
	v_or_b32_e32 v23, v27, v25
	scratch_load_b32 v27, off, off offset:92 ; 4-byte Folded Reload
	v_or_b32_e32 v24, v29, v28
	scratch_load_b32 v28, off, off offset:88 ; 4-byte Folded Reload
	v_dot4_i32_iu8 v13, v13, v6, v14 neg_lo:[1,1,0]
	v_dot4_i32_iu8 v14, v15, v6, v19 neg_lo:[1,1,0]
	;; [unrolled: 1-line block ×4, first 2 shown]
	s_clause 0x5
	scratch_load_b32 v6, off, off offset:60
	scratch_load_b32 v22, off, off offset:68
	;; [unrolled: 1-line block ×6, first 2 shown]
	v_mov_b32_e32 v66, v227
	s_waitcnt vmcnt(7)
	v_perm_b32 v27, v216, v27, 0xc0c0401
	s_waitcnt vmcnt(6)
	v_perm_b32 v28, v217, v28, 0x4010c0c
	s_waitcnt vmcnt(5)
	v_perm_b32 v6, v196, v6, 0xc0c0401
	s_waitcnt vmcnt(4)
	v_perm_b32 v22, v200, v22, 0xc0c0401
	s_waitcnt vmcnt(3)
	v_perm_b32 v25, v209, v25, 0x4010c0c
	s_waitcnt vmcnt(2)
	v_perm_b32 v23, v201, v23, 0x4010c0c
	s_waitcnt vmcnt(1)
	v_perm_b32 v19, v197, v19, 0x4010c0c
	s_waitcnt vmcnt(0)
	v_perm_b32 v24, v208, v24, 0xc0c0401
	s_delay_alu instid0(VALU_DEP_2) | instskip(SKIP_1) | instid1(VALU_DEP_3)
	v_or_b32_e32 v6, v19, v6
	v_or_b32_e32 v19, v23, v22
	;; [unrolled: 1-line block ×4, first 2 shown]
	v_perm_b32 v24, v148, v34, 0xc0c0401
	v_dot4_i32_iu8 v0, v6, v3, v0 neg_lo:[1,1,0]
	v_dot4_i32_iu8 v19, v19, v3, v1 neg_lo:[1,1,0]
	;; [unrolled: 1-line block ×4, first 2 shown]
	v_perm_b32 v1, v50, v31, 0xc0c0401
	v_perm_b32 v2, v51, v36, 0x4010c0c
	;; [unrolled: 1-line block ×6, first 2 shown]
	v_or_b32_e32 v1, v2, v1
	v_perm_b32 v25, v184, v147, 0x4010c0c
	v_or_b32_e32 v2, v5, v3
	v_mov_b32_e32 v31, v111
	v_or_b32_e32 v3, v23, v6
	v_dot4_i32_iu8 v6, v1, v7, v13 neg_lo:[1,1,0]
	v_lshrrev_b16 v1, 8, v20
	v_dot4_i32_iu8 v13, v2, v7, v14 neg_lo:[1,1,0]
	v_bfe_i32 v14, v20, 0, 8
	v_dot4_i32_iu8 v23, v3, v7, v15 neg_lo:[1,1,0]
	v_or_b32_e32 v5, v25, v24
	v_bfe_i32 v15, v1, 0, 8
	v_bfe_i32 v20, v47, 0, 8
	v_mul_lo_u32 v0, v0, v14
	v_bfe_i32 v25, v21, 0, 8
	v_dot4_i32_iu8 v28, v5, v7, v4 neg_lo:[1,1,0]
	s_delay_alu instid0(VALU_DEP_3) | instskip(SKIP_1) | instid1(VALU_DEP_1)
	v_mad_u64_u32 v[1:2], null, v6, v15, v[0:1]
	v_mul_lo_u32 v0, v103, v14
	v_mad_u64_u32 v[2:3], null, v191, v15, v[0:1]
	v_mul_lo_u32 v0, v83, v14
	scratch_load_b32 v83, off, off offset:52 ; 4-byte Folded Reload
	v_mad_u64_u32 v[3:4], null, v155, v15, v[0:1]
	v_mul_lo_u32 v0, v101, v14
	s_delay_alu instid0(VALU_DEP_1) | instskip(SKIP_1) | instid1(VALU_DEP_1)
	v_mad_u64_u32 v[4:5], null, v8, v15, v[0:1]
	v_mul_lo_u32 v0, v116, v14
	v_mad_u64_u32 v[5:6], null, v9, v15, v[0:1]
	v_mul_lo_u32 v0, v127, v14
	s_delay_alu instid0(VALU_DEP_1) | instskip(SKIP_1) | instid1(VALU_DEP_1)
	v_mad_u64_u32 v[6:7], null, v10, v15, v[0:1]
	v_mul_lo_u32 v0, v134, v14
	v_mad_u64_u32 v[7:8], null, v11, v15, v[0:1]
	v_mul_lo_u32 v0, v135, v14
	s_delay_alu instid0(VALU_DEP_1) | instskip(SKIP_1) | instid1(VALU_DEP_1)
	v_mad_u64_u32 v[8:9], null, v12, v15, v[0:1]
	v_lshrrev_b16 v0, 8, v47
	v_bfe_i32 v24, v0, 0, 8
	v_mul_lo_u32 v0, v19, v20
	s_delay_alu instid0(VALU_DEP_1) | instskip(SKIP_1) | instid1(VALU_DEP_1)
	v_mad_u64_u32 v[9:10], null, v13, v24, v[0:1]
	v_mul_lo_u32 v0, v250, v20
	v_mad_u64_u32 v[10:11], null, v175, v24, v[0:1]
	v_mul_lo_u32 v0, v105, v20
	s_delay_alu instid0(VALU_DEP_1) | instskip(SKIP_2) | instid1(VALU_DEP_2)
	v_mad_u64_u32 v[11:12], null, v156, v24, v[0:1]
	v_mul_lo_u32 v0, v85, v20
	v_mov_b32_e32 v85, v243
	v_mad_u64_u32 v[12:13], null, v159, v24, v[0:1]
	v_mul_lo_u32 v0, v98, v20
	s_delay_alu instid0(VALU_DEP_1) | instskip(SKIP_1) | instid1(VALU_DEP_1)
	v_mad_u64_u32 v[13:14], null, v162, v24, v[0:1]
	v_mul_lo_u32 v0, v115, v20
	v_mad_u64_u32 v[14:15], null, v16, v24, v[0:1]
	v_mul_lo_u32 v0, v126, v20
	s_delay_alu instid0(VALU_DEP_1) | instskip(SKIP_1) | instid1(VALU_DEP_1)
	v_mad_u64_u32 v[15:16], null, v17, v24, v[0:1]
	v_mul_lo_u32 v0, v133, v20
	v_mad_u64_u32 v[16:17], null, v18, v24, v[0:1]
	v_lshrrev_b16 v0, 8, v21
	s_delay_alu instid0(VALU_DEP_1) | instskip(SKIP_1) | instid1(VALU_DEP_1)
	v_bfe_i32 v29, v0, 0, 8
	v_mul_lo_u32 v0, v22, v25
	v_mad_u64_u32 v[17:18], null, v23, v29, v[0:1]
	v_mul_lo_u32 v0, v241, v25
	s_delay_alu instid0(VALU_DEP_1) | instskip(SKIP_1) | instid1(VALU_DEP_1)
	v_mad_u64_u32 v[18:19], null, v176, v29, v[0:1]
	v_mul_lo_u32 v0, v249, v25
	v_mad_u64_u32 v[19:20], null, v157, v29, v[0:1]
	v_mul_lo_u32 v0, v104, v25
	s_delay_alu instid0(VALU_DEP_1) | instskip(SKIP_4) | instid1(VALU_DEP_1)
	v_mad_u64_u32 v[20:21], null, v160, v29, v[0:1]
	v_mul_lo_u32 v0, v94, v25
	scratch_load_b32 v94, off, off offset:44 ; 4-byte Folded Reload
	v_mad_u64_u32 v[21:22], null, v163, v29, v[0:1]
	v_mul_lo_u32 v0, v97, v25
	v_mad_u64_u32 v[22:23], null, v165, v29, v[0:1]
	v_mul_lo_u32 v0, v113, v25
	s_delay_alu instid0(VALU_DEP_1) | instskip(SKIP_1) | instid1(VALU_DEP_1)
	v_mad_u64_u32 v[23:24], null, v167, v29, v[0:1]
	v_mul_lo_u32 v0, v125, v25
	v_mad_u64_u32 v[24:25], null, v26, v29, v[0:1]
	v_lshrrev_b16 v0, 8, v48
	v_bfe_i32 v29, v48, 0, 8
	s_delay_alu instid0(VALU_DEP_2) | instskip(NEXT) | instid1(VALU_DEP_2)
	v_bfe_i32 v30, v0, 0, 8
	v_mul_lo_u32 v0, v27, v29
	s_delay_alu instid0(VALU_DEP_1) | instskip(SKIP_1) | instid1(VALU_DEP_1)
	v_mad_u64_u32 v[25:26], null, v28, v30, v[0:1]
	v_mul_lo_u32 v0, v237, v29
	v_mad_u64_u32 v[26:27], null, v177, v30, v[0:1]
	v_mul_lo_u32 v0, v239, v29
	s_delay_alu instid0(VALU_DEP_1) | instskip(SKIP_1) | instid1(VALU_DEP_1)
	v_mad_u64_u32 v[47:48], null, v158, v30, v[0:1]
	v_mul_lo_u32 v0, v246, v29
	v_mad_u64_u32 v[48:49], null, v161, v30, v[0:1]
	;; [unrolled: 5-line block ×3, first 2 shown]
	v_mul_lo_u32 v0, v96, v29
	s_delay_alu instid0(VALU_DEP_1) | instskip(SKIP_2) | instid1(VALU_DEP_2)
	v_mad_u64_u32 v[51:52], null, v229, v30, v[0:1]
	v_mul_lo_u32 v0, v110, v29
	v_mov_b32_e32 v29, v109
	v_mad_u64_u32 v[52:53], null, v44, v30, v[0:1]
	v_cvt_f32_i32_e32 v0, v1
	s_delay_alu instid0(VALU_DEP_1) | instskip(SKIP_2) | instid1(VALU_DEP_2)
	v_fmac_f32_e32 v108, v45, v0
	v_cvt_f32_i32_e32 v0, v9
	v_mov_b32_e32 v45, v224
	v_fmac_f32_e32 v93, v149, v0
	v_cvt_f32_i32_e32 v0, v17
	s_delay_alu instid0(VALU_DEP_1) | instskip(SKIP_1) | instid1(VALU_DEP_1)
	v_fmac_f32_e32 v92, v150, v0
	v_cvt_f32_i32_e32 v0, v25
	v_fmac_f32_e32 v91, v151, v0
	v_cvt_f32_i32_e32 v0, v2
	s_delay_alu instid0(VALU_DEP_1) | instskip(SKIP_1) | instid1(VALU_DEP_1)
	v_fmac_f32_e32 v88, v152, v0
	v_cvt_f32_i32_e32 v0, v10
	;; [unrolled: 5-line block ×3, first 2 shown]
	v_fmac_f32_e32 v85, v168, v0
	v_cvt_f32_i32_e32 v0, v3
	s_waitcnt vmcnt(1)
	s_delay_alu instid0(VALU_DEP_1) | instskip(SKIP_1) | instid1(VALU_DEP_1)
	v_fmac_f32_e32 v83, v169, v0
	v_cvt_f32_i32_e32 v0, v11
	v_fmac_f32_e32 v82, v170, v0
	v_cvt_f32_i32_e32 v0, v19
	s_delay_alu instid0(VALU_DEP_1) | instskip(SKIP_1) | instid1(VALU_DEP_1)
	v_fmac_f32_e32 v77, v171, v0
	v_cvt_f32_i32_e32 v0, v47
	v_fmac_f32_e32 v75, v172, v0
	v_cvt_f32_i32_e32 v0, v4
	;; [unrolled: 5-line block ×4, first 2 shown]
	scratch_load_b32 v68, off, off offset:8 ; 4-byte Folded Reload
	v_fmac_f32_e32 v193, v69, v0
	v_cvt_f32_i32_e32 v0, v13
	s_delay_alu instid0(VALU_DEP_1) | instskip(SKIP_2) | instid1(VALU_DEP_1)
	v_fmac_f32_e32 v136, v70, v0
	scratch_load_b32 v70, off, off offset:12 ; 4-byte Folded Reload
	v_cvt_f32_i32_e32 v0, v21
	v_fmac_f32_e32 v132, v71, v0
	v_cvt_f32_i32_e32 v0, v49
	s_delay_alu instid0(VALU_DEP_1) | instskip(SKIP_1) | instid1(VALU_DEP_1)
	v_fmac_f32_e32 v128, v72, v0
	v_cvt_f32_i32_e32 v0, v6
	v_fmac_f32_e32 v124, v73, v0
	scratch_load_b32 v73, off, off offset:16 ; 4-byte Folded Reload
	v_cvt_f32_i32_e32 v0, v14
	s_delay_alu instid0(VALU_DEP_1) | instskip(SKIP_2) | instid1(VALU_DEP_1)
	v_fmac_f32_e32 v123, v74, v0
	scratch_load_b32 v74, off, off offset:20 ; 4-byte Folded Reload
	v_cvt_f32_i32_e32 v0, v22
	v_fmac_f32_e32 v122, v76, v0
	scratch_load_b32 v76, off, off offset:24 ; 4-byte Folded Reload
	v_cvt_f32_i32_e32 v0, v50
	s_delay_alu instid0(VALU_DEP_1) | instskip(SKIP_2) | instid1(VALU_DEP_1)
	v_fmac_f32_e32 v121, v80, v0
	scratch_load_b32 v80, off, off offset:28 ; 4-byte Folded Reload
	v_cvt_f32_i32_e32 v0, v7
	v_fmac_f32_e32 v120, v84, v0
	v_cvt_f32_i32_e32 v0, v15
	s_delay_alu instid0(VALU_DEP_1) | instskip(SKIP_2) | instid1(VALU_DEP_1)
	v_fmac_f32_e32 v119, v86, v0
	scratch_load_b32 v86, off, off offset:32 ; 4-byte Folded Reload
	v_cvt_f32_i32_e32 v0, v23
	v_fmac_f32_e32 v118, v90, v0
	v_cvt_f32_i32_e32 v0, v51
	s_delay_alu instid0(VALU_DEP_1)
	v_fmac_f32_e32 v117, v95, v0
	v_cvt_f32_i32_e32 v0, v8
	s_clause 0x1
	scratch_load_b32 v95, off, off offset:48
	scratch_load_b32 v90, off, off offset:40
	v_fmac_f32_e32 v114, v194, v0
	v_cvt_f32_i32_e32 v0, v16
	s_delay_alu instid0(VALU_DEP_1) | instskip(SKIP_2) | instid1(VALU_DEP_1)
	v_fmac_f32_e32 v31, v89, v0
	scratch_load_b32 v89, off, off offset:36 ; 4-byte Folded Reload
	v_cvt_f32_i32_e32 v0, v24
	v_fmac_f32_e32 v112, v195, v0
	v_cvt_f32_i32_e32 v0, v52
	s_delay_alu instid0(VALU_DEP_1)
	v_fmac_f32_e32 v107, v100, v0
	s_cbranch_scc1 .LBB130_10
; %bb.11:                               ;   in Loop: Header=BB130_8 Depth=2
	scratch_load_b32 v0, off, off offset:152 ; 4-byte Folded Reload
	s_waitcnt vmcnt(0)
	s_waitcnt_vscnt null, 0x0
	s_barrier
	buffer_gl0_inv
	s_add_i32 s14, s14, 2
	s_mov_b32 s17, 4
	s_lshl_b32 s18, s14, 3
	scratch_load_b64 v[19:20], off, off offset:156 ; 8-byte Folded Reload
	v_lshl_add_u32 v0, s16, 5, v0
	s_delay_alu instid0(VALU_DEP_1) | instskip(NEXT) | instid1(VALU_DEP_1)
	v_lshrrev_b32_e32 v0, 3, v0
	v_add_nc_u32_e32 v12, s0, v0
	scratch_load_b32 v0, off, off offset:148 ; 4-byte Folded Reload
	s_waitcnt vmcnt(0)
	v_lshl_add_u32 v13, s16, 2, v0
	scratch_load_b32 v0, off, off offset:168 ; 4-byte Folded Reload
	s_mov_b32 s16, 0
	s_waitcnt vmcnt(0)
	v_add_nc_u32_e32 v2, v12, v0
	scratch_load_b32 v0, off, off offset:176 ; 4-byte Folded Reload
	s_waitcnt vmcnt(0)
	v_add_nc_u32_e32 v4, v12, v0
	scratch_load_b32 v0, off, off offset:184 ; 4-byte Folded Reload
	;; [unrolled: 3-line block ×4, first 2 shown]
	s_waitcnt vmcnt(0)
	v_add_nc_u32_e32 v10, v12, v0
	v_mad_i64_i32 v[0:1], null, v2, 36, v[19:20]
	v_mad_i64_i32 v[2:3], null, v4, 36, v[19:20]
	;; [unrolled: 1-line block ×5, first 2 shown]
	scratch_load_b32 v10, off, off offset:208 ; 4-byte Folded Reload
	s_waitcnt vmcnt(0)
	v_add_nc_u32_e32 v14, v12, v10
	scratch_load_b32 v10, off, off offset:216 ; 4-byte Folded Reload
	s_waitcnt vmcnt(0)
	v_add_nc_u32_e32 v16, v12, v10
	v_mad_u64_u32 v[10:11], null, v13, 36, s[2:3]
	scratch_load_b32 v13, off, off offset:224 ; 4-byte Folded Reload
	s_waitcnt vmcnt(0)
	v_add_nc_u32_e32 v18, v12, v13
	v_mad_i64_i32 v[12:13], null, v14, 36, v[19:20]
	v_mad_i64_i32 v[14:15], null, v16, 36, v[19:20]
	s_delay_alu instid0(VALU_DEP_3)
	v_mad_i64_i32 v[16:17], null, v18, 36, v[19:20]
	s_clause 0x8
	global_load_b32 v10, v[10:11], off
	global_load_b32 v2, v[2:3], off offset:4
	global_load_b32 v3, v[4:5], off offset:4
	;; [unrolled: 1-line block ×8, first 2 shown]
	s_clause 0x2
	scratch_load_b32 v192, off, off offset:236
	scratch_load_b32 v242, off, off offset:232
	;; [unrolled: 1-line block ×3, first 2 shown]
	s_waitcnt vmcnt(11)
	v_cvt_f32_f16_e32 v1, v10
	s_waitcnt vmcnt(0)
	ds_store_b32 v9, v2
	scratch_load_b32 v2, off, off offset:188 ; 4-byte Folded Reload
	s_waitcnt vmcnt(0)
	ds_store_b32 v2, v3
	scratch_load_b32 v2, off, off offset:196 ; 4-byte Folded Reload
	;; [unrolled: 3-line block ×8, first 2 shown]
	s_waitcnt vmcnt(0)
	ds_store_b32 v0, v1
	s_waitcnt lgkmcnt(0)
	s_barrier
	buffer_gl0_inv
.LBB130_12:                             ;   Parent Loop BB130_6 Depth=1
                                        ;     Parent Loop BB130_8 Depth=2
                                        ; =>    This Inner Loop Header: Depth=3
	s_add_i32 s20, s1, s16
	s_clause 0x3
	scratch_store_b32 off, v107, off offset:64
	scratch_store_b32 off, v108, off offset:60
	;; [unrolled: 1-line block ×4, first 2 shown]
	s_add_i32 s20, s20, 8
	v_mov_b32_e32 v109, v82
	s_and_b32 s19, s20, 0x3ffffff8
	s_lshr_b32 s21, s20, 4
	s_lshl_b32 s19, s19, 2
	s_lshl_b32 s20, s21, 2
	v_add_nc_u32_e32 v4, s19, v73
	v_dual_mov_b32 v103, v88 :: v_dual_add_nc_u32 v178, s19, v80
	v_dual_mov_b32 v81, v193 :: v_dual_add_nc_u32 v6, s20, v74
	ds_load_2addr_b32 v[0:1], v4 offset1:1
	ds_load_2addr_b32 v[2:3], v4 offset0:2 offset1:3
	ds_load_2addr_b32 v[47:48], v4 offset0:4 offset1:5
	;; [unrolled: 1-line block ×3, first 2 shown]
	v_dual_mov_b32 v193, v45 :: v_dual_add_nc_u32 v12, s19, v89
	v_dual_mov_b32 v224, v31 :: v_dual_add_nc_u32 v179, s19, v95
	s_lshl_b32 s19, s21, 3
	v_mov_b32_e32 v234, v93
	v_add_lshl_u32 v137, v94, s19, 2
	v_add_lshl_u32 v99, v76, s19, 2
	v_dual_mov_b32 v93, v91 :: v_dual_mov_b32 v94, v92
	v_mov_b32_e32 v91, v87
	v_dual_mov_b32 v87, v85 :: v_dual_mov_b32 v230, v75
	v_mov_b32_e32 v85, v83
	v_mov_b32_e32 v83, v46
	;; [unrolled: 1-line block ×3, first 2 shown]
	s_waitcnt lgkmcnt(3)
	v_ashrrev_i32_e32 v5, s16, v0
	v_ashrrev_i32_e32 v4, s16, v1
	s_waitcnt lgkmcnt(2)
	v_ashrrev_i32_e32 v1, s16, v2
	v_ashrrev_i32_e32 v0, s16, v3
	ds_load_2addr_b32 v[2:3], v178 offset0:2 offset1:3
	ds_load_b32 v194, v6
	ds_load_2addr_b32 v[6:7], v178 offset1:1
	v_bfe_u32 v32, v5, 24, 2
	v_and_b32_e32 v5, 0x3030303, v5
	v_mov_b32_e32 v229, v67
	v_mov_b32_e32 v231, v77
	s_waitcnt lgkmcnt(2)
	v_ashrrev_i32_e32 v10, s16, v2
	v_ashrrev_i32_e32 v11, s16, v3
	s_waitcnt lgkmcnt(0)
	v_ashrrev_i32_e32 v8, s16, v6
	v_ashrrev_i32_e32 v9, s16, v7
	ds_load_2addr_b32 v[2:3], v12 offset1:1
	ds_load_2addr_b32 v[6:7], v12 offset0:2 offset1:3
	ds_load_2addr_b32 v[57:58], v12 offset0:4 offset1:5
	;; [unrolled: 1-line block ×3, first 2 shown]
	s_waitcnt lgkmcnt(3)
	v_ashrrev_i32_e32 v12, s16, v2
	s_waitcnt lgkmcnt(2)
	v_ashrrev_i32_e32 v14, s16, v6
	v_add_nc_u32_e32 v6, s20, v90
	v_ashrrev_i32_e32 v13, s16, v3
	v_ashrrev_i32_e32 v15, s16, v7
	ds_load_2addr_b32 v[2:3], v179 offset0:2 offset1:3
	ds_load_b32 v195, v6
	ds_load_2addr_b32 v[6:7], v179 offset1:1
	s_waitcnt lgkmcnt(2)
	v_ashrrev_i32_e32 v18, s16, v2
	v_add_lshl_u32 v2, v70, s19, 2
	v_ashrrev_i32_e32 v19, s16, v3
	s_waitcnt lgkmcnt(0)
	v_ashrrev_i32_e32 v16, s16, v6
	v_ashrrev_i32_e32 v17, s16, v7
	v_add_nc_u32_e32 v3, 0x4200, v2
	v_add_nc_u32_e32 v6, 0x4208, v2
	;; [unrolled: 1-line block ×4, first 2 shown]
	ds_load_2addr_b32 v[2:3], v3 offset1:1
	ds_load_2addr_b32 v[6:7], v6 offset1:1
	;; [unrolled: 1-line block ×4, first 2 shown]
	s_waitcnt lgkmcnt(3)
	v_ashrrev_i32_e32 v20, s17, v2
	v_ashrrev_i32_e32 v21, s17, v3
	s_waitcnt lgkmcnt(2)
	v_ashrrev_i32_e32 v22, s17, v6
	v_add_nc_u32_e32 v2, 0x4200, v99
	v_add_nc_u32_e32 v6, 0x4208, v99
	v_lshlrev_b32_e32 v20, 2, v20
	v_ashrrev_i32_e32 v23, s17, v7
	ds_load_2addr_b32 v[2:3], v2 offset1:1
	ds_load_2addr_b32 v[6:7], v6 offset1:1
	ds_load_2addr_b32 v[63:64], v178 offset0:6 offset1:7
	s_waitcnt lgkmcnt(3)
	v_ashrrev_i32_e32 v60, s17, v60
	v_and_b32_e32 v20, 0x4040404, v20
	s_delay_alu instid0(VALU_DEP_1) | instskip(SKIP_2) | instid1(VALU_DEP_3)
	v_lshrrev_b32_e32 v33, 24, v20
	v_lshrrev_b32_e32 v34, 16, v20
	v_sub_nc_u16 v203, v5, v20
	v_sub_nc_u16 v32, v32, v33
	v_lshrrev_b32_e32 v33, 16, v5
	s_delay_alu instid0(VALU_DEP_1)
	v_sub_nc_u16 v202, v33, v34
	v_lshrrev_b16 v33, 8, v5
	v_lshrrev_b16 v5, 8, v20
	v_lshlrev_b32_e32 v20, 2, v21
	v_bfe_u32 v21, v4, 24, 2
	v_and_b32_e32 v4, 0x3030303, v4
	s_waitcnt lgkmcnt(2)
	v_ashrrev_i32_e32 v24, s17, v2
	v_sub_nc_u16 v5, v33, v5
	v_and_b32_e32 v20, 0x4040404, v20
	v_ashrrev_i32_e32 v25, s17, v3
	v_add_lshl_u32 v2, v86, s19, 2
	s_waitcnt lgkmcnt(1)
	v_ashrrev_i32_e32 v26, s17, v6
	v_ashrrev_i32_e32 v27, s17, v7
	v_lshrrev_b32_e32 v33, 24, v20
	v_lshrrev_b32_e32 v34, 16, v20
	v_sub_nc_u16 v205, v4, v20
	v_add_nc_u32_e32 v3, 0x4200, v2
	v_add_nc_u32_e32 v6, 0x4208, v2
	v_sub_nc_u16 v21, v21, v33
	v_lshrrev_b32_e32 v33, 16, v4
	v_add_nc_u32_e32 v28, 0x4210, v2
	v_add_nc_u32_e32 v29, 0x4218, v2
	ds_load_2addr_b32 v[2:3], v3 offset1:1
	ds_load_2addr_b32 v[6:7], v6 offset1:1
	;; [unrolled: 1-line block ×4, first 2 shown]
	v_sub_nc_u16 v204, v33, v34
	v_lshrrev_b16 v33, 8, v4
	v_lshrrev_b16 v4, 8, v20
	v_lshlrev_b32_e32 v20, 2, v22
	v_bfe_u32 v22, v1, 24, 2
	v_and_b32_e32 v1, 0x3030303, v1
	v_lshlrev_b16 v5, 8, v5
	v_sub_nc_u16 v4, v33, v4
	v_and_b32_e32 v20, 0x4040404, v20
	s_and_b32 s19, s15, -16
	s_add_i32 s15, s15, 2
	s_delay_alu instid0(VALU_DEP_2) | instskip(NEXT) | instid1(VALU_DEP_2)
	v_lshlrev_b16 v4, 8, v4
	v_lshrrev_b32_e32 v33, 24, v20
	v_lshrrev_b32_e32 v34, 16, v20
	v_sub_nc_u16 v199, v1, v20
	s_waitcnt lgkmcnt(3)
	v_ashrrev_i32_e32 v28, s17, v2
	v_add_nc_u32_e32 v2, 0x4200, v137
	v_sub_nc_u16 v22, v22, v33
	v_lshrrev_b32_e32 v33, 16, v1
	v_ashrrev_i32_e32 v29, s17, v3
	s_waitcnt lgkmcnt(2)
	v_ashrrev_i32_e32 v30, s17, v6
	v_add_nc_u32_e32 v6, 0x4208, v137
	v_ashrrev_i32_e32 v31, s17, v7
	v_sub_nc_u16 v198, v33, v34
	v_lshrrev_b16 v33, 8, v1
	v_lshrrev_b16 v1, 8, v20
	v_lshlrev_b32_e32 v20, 2, v23
	v_bfe_u32 v23, v0, 24, 2
	v_and_b32_e32 v0, 0x3030303, v0
	ds_load_2addr_b32 v[2:3], v2 offset1:1
	ds_load_2addr_b32 v[6:7], v6 offset1:1
	ds_load_2addr_b32 v[184:185], v179 offset0:6 offset1:7
	v_sub_nc_u16 v1, v33, v1
	v_and_b32_e32 v20, 0x4040404, v20
	s_waitcnt lgkmcnt(3)
	v_ashrrev_i32_e32 v67, s17, v52
	v_add_nc_u32_e32 v52, 0x4218, v137
	v_ashrrev_i32_e32 v66, s17, v51
	v_lshlrev_b16 v1, 8, v1
	v_lshrrev_b32_e32 v33, 24, v20
	v_lshrrev_b32_e32 v34, 16, v20
	v_sub_nc_u16 v197, v0, v20
	v_lshlrev_b32_e32 v66, 2, v66
	v_lshlrev_b32_e32 v67, 2, v67
	v_sub_nc_u16 v23, v23, v33
	v_lshrrev_b32_e32 v33, 16, v0
	s_delay_alu instid0(VALU_DEP_4) | instskip(NEXT) | instid1(VALU_DEP_4)
	v_and_b32_e32 v66, 0x4040404, v66
	v_and_b32_e32 v67, 0x4040404, v67
	s_delay_alu instid0(VALU_DEP_3)
	v_sub_nc_u16 v196, v33, v34
	v_lshrrev_b16 v33, 8, v0
	v_lshrrev_b16 v0, 8, v20
	v_lshlrev_b32_e32 v20, 2, v24
	v_bfe_u32 v24, v8, 24, 2
	v_and_b32_e32 v8, 0x3030303, v8
	s_waitcnt lgkmcnt(2)
	v_ashrrev_i32_e32 v2, s17, v2
	v_sub_nc_u16 v0, v33, v0
	v_and_b32_e32 v20, 0x4040404, v20
	v_ashrrev_i32_e32 v3, s17, v3
	s_waitcnt lgkmcnt(1)
	v_ashrrev_i32_e32 v6, s17, v6
	v_lshlrev_b32_e32 v2, 2, v2
	v_ashrrev_i32_e32 v7, s17, v7
	v_lshrrev_b32_e32 v33, 24, v20
	v_lshrrev_b32_e32 v34, 16, v20
	v_sub_nc_u16 v211, v8, v20
	v_and_b32_e32 v2, 0x4040404, v2
	v_lshlrev_b32_e32 v3, 2, v3
	v_sub_nc_u16 v24, v24, v33
	v_lshrrev_b32_e32 v33, 16, v8
	v_lshlrev_b32_e32 v6, 2, v6
	v_lshlrev_b32_e32 v7, 2, v7
	v_and_b32_e32 v3, 0x4040404, v3
	v_lshlrev_b16 v0, 8, v0
	v_sub_nc_u16 v210, v33, v34
	v_lshrrev_b16 v33, 8, v8
	v_lshrrev_b16 v8, 8, v20
	v_lshlrev_b32_e32 v20, 2, v25
	v_bfe_u32 v25, v9, 24, 2
	v_and_b32_e32 v9, 0x3030303, v9
	v_and_b32_e32 v6, 0x4040404, v6
	v_sub_nc_u16 v8, v33, v8
	v_and_b32_e32 v20, 0x4040404, v20
	v_and_b32_e32 v7, 0x4040404, v7
	v_lshrrev_b32_e32 v100, 24, v66
	v_lshrrev_b32_e32 v106, 16, v66
	;; [unrolled: 1-line block ×5, first 2 shown]
	v_sub_nc_u16 v213, v9, v20
	v_lshrrev_b32_e32 v130, 16, v67
	s_delay_alu instid0(VALU_DEP_4) | instskip(SKIP_1) | instid1(VALU_DEP_1)
	v_sub_nc_u16 v25, v25, v33
	v_lshrrev_b32_e32 v33, 16, v9
	v_sub_nc_u16 v212, v33, v34
	v_lshrrev_b16 v33, 8, v9
	v_lshrrev_b16 v9, 8, v20
	v_lshlrev_b32_e32 v20, 2, v26
	v_bfe_u32 v26, v10, 24, 2
	v_and_b32_e32 v10, 0x3030303, v10
	s_delay_alu instid0(VALU_DEP_4) | instskip(NEXT) | instid1(VALU_DEP_4)
	v_sub_nc_u16 v9, v33, v9
	v_and_b32_e32 v20, 0x4040404, v20
	s_delay_alu instid0(VALU_DEP_1) | instskip(SKIP_2) | instid1(VALU_DEP_3)
	v_lshrrev_b32_e32 v33, 24, v20
	v_lshrrev_b32_e32 v34, 16, v20
	v_sub_nc_u16 v207, v10, v20
	v_sub_nc_u16 v26, v26, v33
	v_lshrrev_b32_e32 v33, 16, v10
	s_delay_alu instid0(VALU_DEP_1)
	v_sub_nc_u16 v206, v33, v34
	v_lshrrev_b16 v33, 8, v10
	v_lshrrev_b16 v10, 8, v20
	v_lshlrev_b32_e32 v20, 2, v27
	v_bfe_u32 v27, v11, 24, 2
	v_and_b32_e32 v11, 0x3030303, v11
	s_delay_alu instid0(VALU_DEP_4) | instskip(NEXT) | instid1(VALU_DEP_4)
	v_sub_nc_u16 v10, v33, v10
	v_and_b32_e32 v20, 0x4040404, v20
	s_delay_alu instid0(VALU_DEP_1) | instskip(SKIP_2) | instid1(VALU_DEP_3)
	v_lshrrev_b32_e32 v33, 24, v20
	v_lshrrev_b32_e32 v34, 16, v20
	v_sub_nc_u16 v201, v11, v20
	v_sub_nc_u16 v27, v27, v33
	v_lshrrev_b32_e32 v33, 16, v11
	s_delay_alu instid0(VALU_DEP_1)
	;; [unrolled: 16-line block ×6, first 2 shown]
	v_sub_nc_u16 v208, v33, v34
	v_lshrrev_b16 v33, 8, v15
	v_lshrrev_b16 v15, 8, v20
	v_bfe_u32 v20, v16, 24, 2
	v_and_b32_e32 v16, 0x3030303, v16
	v_lshrrev_b32_e32 v34, 16, v2
	s_delay_alu instid0(VALU_DEP_4) | instskip(SKIP_1) | instid1(VALU_DEP_4)
	v_sub_nc_u16 v15, v33, v15
	v_lshrrev_b32_e32 v33, 24, v2
	v_sub_nc_u16 v228, v16, v2
	v_lshrrev_b16 v2, 8, v2
	s_delay_alu instid0(VALU_DEP_3) | instskip(SKIP_1) | instid1(VALU_DEP_1)
	v_sub_nc_u16 v20, v20, v33
	v_lshrrev_b32_e32 v33, 16, v16
	v_sub_nc_u16 v226, v33, v34
	v_lshrrev_b16 v33, 8, v16
	v_bfe_u32 v16, v17, 24, 2
	v_and_b32_e32 v17, 0x3030303, v17
	v_lshrrev_b32_e32 v34, 16, v3
	s_delay_alu instid0(VALU_DEP_4) | instskip(SKIP_1) | instid1(VALU_DEP_4)
	v_sub_nc_u16 v2, v33, v2
	v_lshrrev_b32_e32 v33, 24, v3
	v_sub_nc_u16 v233, v17, v3
	v_lshrrev_b16 v3, 8, v3
	s_delay_alu instid0(VALU_DEP_3) | instskip(SKIP_1) | instid1(VALU_DEP_1)
	v_sub_nc_u16 v16, v16, v33
	v_lshrrev_b32_e32 v33, 16, v17
	v_sub_nc_u16 v232, v33, v34
	;; [unrolled: 13-line block ×4, first 2 shown]
	v_lshrrev_b16 v33, 8, v19
	v_lshlrev_b16 v19, 8, v32
	v_and_b32_e32 v32, 0xff, v202
	s_delay_alu instid0(VALU_DEP_3) | instskip(NEXT) | instid1(VALU_DEP_2)
	v_sub_nc_u16 v7, v33, v7
	v_or_b32_e32 v245, v32, v19
	v_and_b32_e32 v19, 0xff, v203
	s_delay_alu instid0(VALU_DEP_1) | instskip(SKIP_2) | instid1(VALU_DEP_1)
	v_or_b32_e32 v247, v19, v5
	v_lshlrev_b16 v5, 8, v21
	v_and_b32_e32 v19, 0xff, v204
	v_or_b32_e32 v248, v19, v5
	v_and_b32_e32 v5, 0xff, v205
	s_delay_alu instid0(VALU_DEP_1) | instskip(SKIP_2) | instid1(VALU_DEP_1)
	v_or_b32_e32 v251, v5, v4
	v_lshlrev_b16 v4, 8, v22
	v_and_b32_e32 v5, 0xff, v198
	v_or_b32_e32 v19, v5, v4
	v_and_b32_e32 v4, 0xff, v199
	s_delay_alu instid0(VALU_DEP_1)
	v_or_b32_e32 v21, v4, v1
	v_lshlrev_b16 v1, 8, v23
	v_and_b32_e32 v4, 0xff, v196
	scratch_store_b32 off, v21, off offset:96 ; 4-byte Folded Spill
	v_or_b32_e32 v4, v4, v1
	v_and_b32_e32 v1, 0xff, v197
	s_delay_alu instid0(VALU_DEP_1)
	v_or_b32_e32 v5, v1, v0
	v_lshlrev_b16 v0, 8, v24
	v_and_b32_e32 v1, 0xff, v210
	scratch_store_b32 off, v4, off offset:68 ; 4-byte Folded Spill
	v_or_b32_e32 v240, v1, v0
	v_lshlrev_b16 v0, 8, v8
	v_and_b32_e32 v1, 0xff, v211
	s_delay_alu instid0(VALU_DEP_1) | instskip(SKIP_2) | instid1(VALU_DEP_1)
	v_or_b32_e32 v238, v1, v0
	v_lshlrev_b16 v0, 8, v25
	v_and_b32_e32 v1, 0xff, v212
	v_or_b32_e32 v236, v1, v0
	v_lshlrev_b16 v0, 8, v9
	v_and_b32_e32 v1, 0xff, v213
	s_delay_alu instid0(VALU_DEP_1) | instskip(SKIP_2) | instid1(VALU_DEP_1)
	v_or_b32_e32 v235, v1, v0
	v_lshlrev_b16 v0, 8, v26
	v_and_b32_e32 v1, 0xff, v206
	;; [unrolled: 7-line block ×3, first 2 shown]
	v_or_b32_e32 v8, v1, v0
	v_lshlrev_b16 v0, 8, v11
	v_and_b32_e32 v1, 0xff, v201
	scratch_store_b32 off, v5, off offset:72 ; 4-byte Folded Spill
	v_or_b32_e32 v9, v1, v0
	scratch_store_b32 off, v8, off offset:76 ; 4-byte Folded Spill
	v_lshlrev_b16 v0, 8, v28
	v_and_b32_e32 v1, 0xff, v218
	s_delay_alu instid0(VALU_DEP_1) | instskip(SKIP_2) | instid1(VALU_DEP_1)
	v_or_b32_e32 v227, v1, v0
	v_lshlrev_b16 v0, 8, v12
	v_and_b32_e32 v1, 0xff, v219
	v_or_b32_e32 v88, v1, v0
	v_lshlrev_b16 v0, 8, v29
	v_and_b32_e32 v1, 0xff, v220
	s_delay_alu instid0(VALU_DEP_1) | instskip(SKIP_2) | instid1(VALU_DEP_1)
	v_or_b32_e32 v78, v1, v0
	v_lshlrev_b16 v0, 8, v13
	v_and_b32_e32 v1, 0xff, v221
	v_or_b32_e32 v65, v1, v0
	v_lshlrev_b16 v0, 8, v30
	v_and_b32_e32 v1, 0xff, v214
	s_delay_alu instid0(VALU_DEP_1)
	v_or_b32_e32 v12, v1, v0
	v_lshlrev_b16 v0, 8, v14
	v_and_b32_e32 v1, 0xff, v215
	s_clause 0x1
	scratch_store_b32 off, v23, off offset:108
	scratch_store_b32 off, v12, off offset:112
	v_or_b32_e32 v244, v1, v0
	v_lshlrev_b16 v0, 8, v31
	v_and_b32_e32 v1, 0xff, v208
	s_delay_alu instid0(VALU_DEP_1)
	v_or_b32_e32 v10, v1, v0
	v_lshlrev_b16 v0, 8, v15
	v_and_b32_e32 v1, 0xff, v209
	scratch_store_b32 off, v9, off offset:80 ; 4-byte Folded Spill
	v_or_b32_e32 v11, v1, v0
	scratch_store_b32 off, v10, off offset:84 ; 4-byte Folded Spill
	v_lshlrev_b16 v0, 8, v20
	v_and_b32_e32 v1, 0xff, v226
	s_clause 0x1
	scratch_store_b32 off, v19, off offset:92
	scratch_store_b32 off, v11, off offset:88
	v_or_b32_e32 v82, v1, v0
	v_lshlrev_b16 v0, 8, v2
	v_and_b32_e32 v1, 0xff, v228
	s_delay_alu instid0(VALU_DEP_1) | instskip(SKIP_2) | instid1(VALU_DEP_1)
	v_or_b32_e32 v79, v1, v0
	v_lshlrev_b16 v0, 8, v16
	v_and_b32_e32 v1, 0xff, v232
	v_or_b32_e32 v92, v1, v0
	v_lshlrev_b16 v0, 8, v3
	v_and_b32_e32 v1, 0xff, v233
	s_delay_alu instid0(VALU_DEP_1) | instskip(SKIP_2) | instid1(VALU_DEP_1)
	v_or_b32_e32 v112, v1, v0
	v_lshlrev_b16 v0, 8, v17
	v_and_b32_e32 v1, 0xff, v222
	;; [unrolled: 7-line block ×3, first 2 shown]
	v_or_b32_e32 v2, v1, v0
	v_lshlrev_b16 v0, 8, v7
	v_and_b32_e32 v1, 0xff, v217
	s_clause 0x1
	scratch_store_b32 off, v22, off offset:104
	scratch_store_b32 off, v2, off offset:100
	v_or_b32_e32 v243, v1, v0
	v_perm_b32 v0, v247, v203, 0xc0c0500
	v_perm_b32 v1, v245, v202, 0x5000c0c
	s_delay_alu instid0(VALU_DEP_1) | instskip(SKIP_2) | instid1(VALU_DEP_1)
	v_or_b32_e32 v28, v1, v0
	v_perm_b32 v0, v251, v205, 0xc0c0500
	v_perm_b32 v1, v248, v204, 0x5000c0c
	v_or_b32_e32 v29, v1, v0
	v_perm_b32 v0, v21, v199, 0xc0c0500
	v_perm_b32 v1, v19, v198, 0x5000c0c
	s_delay_alu instid0(VALU_DEP_1) | instskip(SKIP_2) | instid1(VALU_DEP_1)
	v_or_b32_e32 v30, v1, v0
	v_perm_b32 v0, v5, v197, 0xc0c0500
	v_perm_b32 v1, v4, v196, 0x5000c0c
	v_or_b32_e32 v31, v1, v0
	v_perm_b32 v0, v238, v211, 0xc0c0500
	v_perm_b32 v1, v240, v210, 0x5000c0c
	s_delay_alu instid0(VALU_DEP_1) | instskip(SKIP_2) | instid1(VALU_DEP_1)
	v_or_b32_e32 v32, v1, v0
	v_perm_b32 v0, v235, v213, 0xc0c0500
	v_perm_b32 v1, v236, v212, 0x5000c0c
	v_or_b32_e32 v33, v1, v0
	v_perm_b32 v0, v23, v207, 0xc0c0500
	v_perm_b32 v1, v22, v206, 0x5000c0c
	s_delay_alu instid0(VALU_DEP_1) | instskip(SKIP_2) | instid1(VALU_DEP_1)
	v_or_b32_e32 v34, v1, v0
	v_perm_b32 v0, v9, v201, 0xc0c0500
	v_perm_b32 v1, v8, v200, 0x5000c0c
	v_or_b32_e32 v35, v1, v0
	v_perm_b32 v0, v88, v219, 0xc0c0500
	v_perm_b32 v1, v227, v218, 0x5000c0c
	s_delay_alu instid0(VALU_DEP_1) | instskip(SKIP_4) | instid1(VALU_DEP_3)
	v_or_b32_e32 v36, v1, v0
	v_perm_b32 v0, v65, v221, 0xc0c0500
	v_perm_b32 v1, v78, v220, 0x5000c0c
	v_perm_b32 v65, v220, v65, 0xc0c0401
	v_perm_b32 v78, v221, v78, 0x4010c0c
	v_or_b32_e32 v37, v1, v0
	v_perm_b32 v0, v244, v215, 0xc0c0500
	v_perm_b32 v1, v12, v214, 0x5000c0c
	s_delay_alu instid0(VALU_DEP_1) | instskip(SKIP_2) | instid1(VALU_DEP_1)
	v_or_b32_e32 v38, v1, v0
	v_perm_b32 v0, v11, v209, 0xc0c0500
	v_perm_b32 v1, v10, v208, 0x5000c0c
	v_or_b32_e32 v39, v1, v0
	v_perm_b32 v0, v79, v228, 0xc0c0500
	v_perm_b32 v1, v82, v226, 0x5000c0c
	;; [unrolled: 1-line block ×4, first 2 shown]
	s_delay_alu instid0(VALU_DEP_3) | instskip(SKIP_3) | instid1(VALU_DEP_2)
	v_or_b32_e32 v40, v1, v0
	v_perm_b32 v0, v112, v233, 0xc0c0500
	v_perm_b32 v1, v92, v232, 0x5000c0c
	;; [unrolled: 1-line block ×3, first 2 shown]
	v_or_b32_e32 v41, v1, v0
	v_perm_b32 v0, v253, v223, 0xc0c0500
	v_perm_b32 v1, v252, v222, 0x5000c0c
	s_delay_alu instid0(VALU_DEP_1) | instskip(SKIP_2) | instid1(VALU_DEP_1)
	v_or_b32_e32 v42, v1, v0
	v_perm_b32 v0, v243, v217, 0xc0c0500
	v_perm_b32 v1, v2, v216, 0x5000c0c
	v_or_b32_e32 v43, v1, v0
	ds_load_b128 v[4:7], v192 offset:1024
	ds_load_b128 v[0:3], v192 offset:1040
	s_waitcnt lgkmcnt(1)
	v_dot4_i32_iu8 v8, v4, v28, 0 neg_lo:[1,1,0]
	v_dot4_i32_iu8 v9, v4, v32, 0 neg_lo:[1,1,0]
	v_dot4_i32_iu8 v10, v4, v36, 0 neg_lo:[1,1,0]
	v_dot4_i32_iu8 v4, v4, v40, 0 neg_lo:[1,1,0]
	s_delay_alu instid0(VALU_DEP_4) | instskip(NEXT) | instid1(VALU_DEP_4)
	v_dot4_i32_iu8 v8, v5, v29, v8 neg_lo:[1,1,0]
	v_dot4_i32_iu8 v9, v5, v33, v9 neg_lo:[1,1,0]
	s_delay_alu instid0(VALU_DEP_4) | instskip(NEXT) | instid1(VALU_DEP_4)
	v_dot4_i32_iu8 v10, v5, v37, v10 neg_lo:[1,1,0]
	v_dot4_i32_iu8 v4, v5, v41, v4 neg_lo:[1,1,0]
	s_delay_alu instid0(VALU_DEP_4) | instskip(NEXT) | instid1(VALU_DEP_4)
	v_dot4_i32_iu8 v5, v6, v30, v8 neg_lo:[1,1,0]
	v_dot4_i32_iu8 v8, v6, v34, v9 neg_lo:[1,1,0]
	s_delay_alu instid0(VALU_DEP_4) | instskip(NEXT) | instid1(VALU_DEP_4)
	v_dot4_i32_iu8 v9, v6, v38, v10 neg_lo:[1,1,0]
	v_dot4_i32_iu8 v4, v6, v42, v4 neg_lo:[1,1,0]
	s_delay_alu instid0(VALU_DEP_4) | instskip(NEXT) | instid1(VALU_DEP_4)
	v_dot4_i32_iu8 v107, v7, v31, v5 neg_lo:[1,1,0]
	v_dot4_i32_iu8 v250, v7, v35, v8 neg_lo:[1,1,0]
	s_delay_alu instid0(VALU_DEP_4) | instskip(NEXT) | instid1(VALU_DEP_4)
	v_dot4_i32_iu8 v241, v7, v39, v9 neg_lo:[1,1,0]
	v_dot4_i32_iu8 v237, v7, v43, v4 neg_lo:[1,1,0]
	ds_load_b128 v[8:11], v192 offset:2048
	ds_load_b128 v[4:7], v192 offset:2064
	s_waitcnt lgkmcnt(1)
	v_dot4_i32_iu8 v12, v8, v28, 0 neg_lo:[1,1,0]
	v_dot4_i32_iu8 v13, v8, v32, 0 neg_lo:[1,1,0]
	v_dot4_i32_iu8 v14, v8, v36, 0 neg_lo:[1,1,0]
	v_dot4_i32_iu8 v8, v8, v40, 0 neg_lo:[1,1,0]
	s_delay_alu instid0(VALU_DEP_4) | instskip(NEXT) | instid1(VALU_DEP_4)
	v_dot4_i32_iu8 v12, v9, v29, v12 neg_lo:[1,1,0]
	v_dot4_i32_iu8 v13, v9, v33, v13 neg_lo:[1,1,0]
	s_delay_alu instid0(VALU_DEP_4) | instskip(NEXT) | instid1(VALU_DEP_4)
	v_dot4_i32_iu8 v14, v9, v37, v14 neg_lo:[1,1,0]
	v_dot4_i32_iu8 v8, v9, v41, v8 neg_lo:[1,1,0]
	s_delay_alu instid0(VALU_DEP_4) | instskip(NEXT) | instid1(VALU_DEP_4)
	v_dot4_i32_iu8 v9, v10, v30, v12 neg_lo:[1,1,0]
	v_dot4_i32_iu8 v12, v10, v34, v13 neg_lo:[1,1,0]
	s_delay_alu instid0(VALU_DEP_4) | instskip(NEXT) | instid1(VALU_DEP_4)
	v_dot4_i32_iu8 v13, v10, v38, v14 neg_lo:[1,1,0]
	v_dot4_i32_iu8 v8, v10, v42, v8 neg_lo:[1,1,0]
	s_delay_alu instid0(VALU_DEP_4) | instskip(NEXT) | instid1(VALU_DEP_4)
	v_dot4_i32_iu8 v102, v11, v31, v9 neg_lo:[1,1,0]
	v_dot4_i32_iu8 v111, v11, v35, v12 neg_lo:[1,1,0]
	s_delay_alu instid0(VALU_DEP_4) | instskip(NEXT) | instid1(VALU_DEP_4)
	v_dot4_i32_iu8 v249, v11, v39, v13 neg_lo:[1,1,0]
	v_dot4_i32_iu8 v239, v11, v43, v8 neg_lo:[1,1,0]
	ds_load_b128 v[12:15], v192 offset:3072
	ds_load_b128 v[8:11], v192 offset:3088
	s_waitcnt lgkmcnt(1)
	v_dot4_i32_iu8 v16, v12, v28, 0 neg_lo:[1,1,0]
	v_dot4_i32_iu8 v17, v12, v32, 0 neg_lo:[1,1,0]
	v_dot4_i32_iu8 v18, v12, v36, 0 neg_lo:[1,1,0]
	v_dot4_i32_iu8 v12, v12, v40, 0 neg_lo:[1,1,0]
	s_delay_alu instid0(VALU_DEP_4) | instskip(NEXT) | instid1(VALU_DEP_4)
	v_dot4_i32_iu8 v16, v13, v29, v16 neg_lo:[1,1,0]
	v_dot4_i32_iu8 v17, v13, v33, v17 neg_lo:[1,1,0]
	s_delay_alu instid0(VALU_DEP_4) | instskip(NEXT) | instid1(VALU_DEP_4)
	v_dot4_i32_iu8 v18, v13, v37, v18 neg_lo:[1,1,0]
	v_dot4_i32_iu8 v12, v13, v41, v12 neg_lo:[1,1,0]
	s_delay_alu instid0(VALU_DEP_4) | instskip(NEXT) | instid1(VALU_DEP_4)
	v_dot4_i32_iu8 v13, v14, v30, v16 neg_lo:[1,1,0]
	v_dot4_i32_iu8 v16, v14, v34, v17 neg_lo:[1,1,0]
	s_delay_alu instid0(VALU_DEP_4) | instskip(NEXT) | instid1(VALU_DEP_4)
	v_dot4_i32_iu8 v17, v14, v38, v18 neg_lo:[1,1,0]
	v_dot4_i32_iu8 v12, v14, v42, v12 neg_lo:[1,1,0]
	s_delay_alu instid0(VALU_DEP_4) | instskip(NEXT) | instid1(VALU_DEP_4)
	v_dot4_i32_iu8 v101, v15, v31, v13 neg_lo:[1,1,0]
	v_dot4_i32_iu8 v104, v15, v35, v16 neg_lo:[1,1,0]
	s_delay_alu instid0(VALU_DEP_4) | instskip(NEXT) | instid1(VALU_DEP_4)
	v_dot4_i32_iu8 v255, v15, v39, v17 neg_lo:[1,1,0]
	v_dot4_i32_iu8 v246, v15, v43, v12 neg_lo:[1,1,0]
	ds_load_b128 v[16:19], v192 offset:4096
	ds_load_b128 v[12:15], v192 offset:4112
	s_waitcnt lgkmcnt(1)
	v_dot4_i32_iu8 v20, v16, v28, 0 neg_lo:[1,1,0]
	v_dot4_i32_iu8 v21, v16, v32, 0 neg_lo:[1,1,0]
	v_dot4_i32_iu8 v22, v16, v36, 0 neg_lo:[1,1,0]
	v_dot4_i32_iu8 v16, v16, v40, 0 neg_lo:[1,1,0]
	s_delay_alu instid0(VALU_DEP_4) | instskip(NEXT) | instid1(VALU_DEP_4)
	v_dot4_i32_iu8 v20, v17, v29, v20 neg_lo:[1,1,0]
	v_dot4_i32_iu8 v21, v17, v33, v21 neg_lo:[1,1,0]
	s_delay_alu instid0(VALU_DEP_4) | instskip(NEXT) | instid1(VALU_DEP_4)
	v_dot4_i32_iu8 v22, v17, v37, v22 neg_lo:[1,1,0]
	v_dot4_i32_iu8 v16, v17, v41, v16 neg_lo:[1,1,0]
	s_delay_alu instid0(VALU_DEP_4) | instskip(NEXT) | instid1(VALU_DEP_4)
	v_dot4_i32_iu8 v17, v18, v30, v20 neg_lo:[1,1,0]
	v_dot4_i32_iu8 v20, v18, v34, v21 neg_lo:[1,1,0]
	s_delay_alu instid0(VALU_DEP_4) | instskip(NEXT) | instid1(VALU_DEP_4)
	v_dot4_i32_iu8 v21, v18, v38, v22 neg_lo:[1,1,0]
	v_dot4_i32_iu8 v16, v18, v42, v16 neg_lo:[1,1,0]
	s_delay_alu instid0(VALU_DEP_4) | instskip(NEXT) | instid1(VALU_DEP_4)
	v_dot4_i32_iu8 v116, v19, v31, v17 neg_lo:[1,1,0]
	v_dot4_i32_iu8 v98, v19, v35, v20 neg_lo:[1,1,0]
	s_delay_alu instid0(VALU_DEP_4) | instskip(NEXT) | instid1(VALU_DEP_4)
	v_dot4_i32_iu8 v105, v19, v39, v21 neg_lo:[1,1,0]
	v_dot4_i32_iu8 v254, v19, v43, v16 neg_lo:[1,1,0]
	ds_load_b128 v[20:23], v192 offset:5120
	ds_load_b128 v[16:19], v192 offset:5136
	s_waitcnt lgkmcnt(1)
	v_dot4_i32_iu8 v24, v20, v28, 0 neg_lo:[1,1,0]
	v_dot4_i32_iu8 v25, v20, v32, 0 neg_lo:[1,1,0]
	v_dot4_i32_iu8 v26, v20, v36, 0 neg_lo:[1,1,0]
	v_dot4_i32_iu8 v20, v20, v40, 0 neg_lo:[1,1,0]
	s_delay_alu instid0(VALU_DEP_4) | instskip(NEXT) | instid1(VALU_DEP_4)
	v_dot4_i32_iu8 v24, v21, v29, v24 neg_lo:[1,1,0]
	v_dot4_i32_iu8 v25, v21, v33, v25 neg_lo:[1,1,0]
	s_delay_alu instid0(VALU_DEP_4) | instskip(NEXT) | instid1(VALU_DEP_4)
	v_dot4_i32_iu8 v26, v21, v37, v26 neg_lo:[1,1,0]
	v_dot4_i32_iu8 v20, v21, v41, v20 neg_lo:[1,1,0]
	s_delay_alu instid0(VALU_DEP_4) | instskip(NEXT) | instid1(VALU_DEP_4)
	v_dot4_i32_iu8 v21, v22, v30, v24 neg_lo:[1,1,0]
	v_dot4_i32_iu8 v24, v22, v34, v25 neg_lo:[1,1,0]
	s_delay_alu instid0(VALU_DEP_4) | instskip(NEXT) | instid1(VALU_DEP_4)
	v_dot4_i32_iu8 v25, v22, v38, v26 neg_lo:[1,1,0]
	v_dot4_i32_iu8 v20, v22, v42, v20 neg_lo:[1,1,0]
	s_delay_alu instid0(VALU_DEP_4) | instskip(NEXT) | instid1(VALU_DEP_4)
	v_dot4_i32_iu8 v127, v23, v31, v21 neg_lo:[1,1,0]
	v_dot4_i32_iu8 v115, v23, v35, v24 neg_lo:[1,1,0]
	s_delay_alu instid0(VALU_DEP_4) | instskip(NEXT) | instid1(VALU_DEP_4)
	v_dot4_i32_iu8 v97, v23, v39, v25 neg_lo:[1,1,0]
	v_dot4_i32_iu8 v108, v23, v43, v20 neg_lo:[1,1,0]
	ds_load_b128 v[24:27], v192 offset:6144
	ds_load_b128 v[20:23], v192 offset:6160
	s_waitcnt lgkmcnt(1)
	v_dot4_i32_iu8 v44, v24, v28, 0 neg_lo:[1,1,0]
	v_dot4_i32_iu8 v45, v24, v32, 0 neg_lo:[1,1,0]
	;; [unrolled: 1-line block ×4, first 2 shown]
	s_delay_alu instid0(VALU_DEP_4) | instskip(NEXT) | instid1(VALU_DEP_4)
	v_dot4_i32_iu8 v44, v25, v29, v44 neg_lo:[1,1,0]
	v_dot4_i32_iu8 v45, v25, v33, v45 neg_lo:[1,1,0]
	s_delay_alu instid0(VALU_DEP_4) | instskip(NEXT) | instid1(VALU_DEP_4)
	v_dot4_i32_iu8 v46, v25, v37, v46 neg_lo:[1,1,0]
	v_dot4_i32_iu8 v24, v25, v41, v24 neg_lo:[1,1,0]
	;; [unrolled: 3-line block ×4, first 2 shown]
	v_ashrrev_i32_e32 v46, s17, v59
	v_dot4_i32_iu8 v134, v27, v31, v25 neg_lo:[1,1,0]
	v_dot4_i32_iu8 v126, v27, v35, v44 neg_lo:[1,1,0]
	;; [unrolled: 1-line block ×4, first 2 shown]
	ds_load_b128 v[180:183], v192 offset:7168
	ds_load_b128 v[24:27], v192 offset:7184
	v_ashrrev_i32_e32 v44, s17, v61
	v_ashrrev_i32_e32 v45, s17, v62
	s_delay_alu instid0(VALU_DEP_2) | instskip(NEXT) | instid1(VALU_DEP_1)
	v_lshlrev_b32_e32 v44, 2, v44
	v_and_b32_e32 v44, 0x4040404, v44
	s_waitcnt lgkmcnt(1)
	v_dot4_i32_iu8 v28, v180, v28, 0 neg_lo:[1,1,0]
	s_delay_alu instid0(VALU_DEP_1) | instskip(SKIP_3) | instid1(VALU_DEP_4)
	v_dot4_i32_iu8 v28, v181, v29, v28 neg_lo:[1,1,0]
	v_dot4_i32_iu8 v29, v180, v32, 0 neg_lo:[1,1,0]
	v_dot4_i32_iu8 v32, v180, v36, 0 neg_lo:[1,1,0]
	v_ashrrev_i32_e32 v36, s16, v55
	v_dot4_i32_iu8 v28, v182, v30, v28 neg_lo:[1,1,0]
	s_delay_alu instid0(VALU_DEP_4)
	v_dot4_i32_iu8 v29, v181, v33, v29 neg_lo:[1,1,0]
	v_dot4_i32_iu8 v33, v180, v40, 0 neg_lo:[1,1,0]
	v_dot4_i32_iu8 v32, v181, v37, v32 neg_lo:[1,1,0]
	v_ashrrev_i32_e32 v37, s16, v56
	v_dot4_i32_iu8 v135, v183, v31, v28 neg_lo:[1,1,0]
	v_dot4_i32_iu8 v29, v182, v34, v29 neg_lo:[1,1,0]
	v_ashrrev_i32_e32 v28, s16, v47
	v_dot4_i32_iu8 v33, v181, v41, v33 neg_lo:[1,1,0]
	v_dot4_i32_iu8 v30, v182, v38, v32 neg_lo:[1,1,0]
	v_ashrrev_i32_e32 v31, s16, v50
	v_dot4_i32_iu8 v133, v183, v35, v29 neg_lo:[1,1,0]
	v_ashrrev_i32_e32 v29, s16, v48
	ds_load_2addr_b32 v[47:48], v178 offset0:4 offset1:5
	v_dot4_i32_iu8 v32, v182, v42, v33 neg_lo:[1,1,0]
	v_dot4_i32_iu8 v125, v183, v39, v30 neg_lo:[1,1,0]
	v_ashrrev_i32_e32 v30, s16, v49
	v_add_nc_u32_e32 v49, s16, v68
	v_add_nc_u32_e32 v50, 0x4218, v99
	v_dot4_i32_iu8 v110, v183, v43, v32 neg_lo:[1,1,0]
	v_ashrrev_i32_e32 v34, s16, v57
	v_ashrrev_i32_e32 v35, s16, v58
	;; [unrolled: 1-line block ×8, first 2 shown]
	s_delay_alu instid0(VALU_DEP_3)
	v_lshlrev_b32_e32 v64, 2, v64
	s_waitcnt lgkmcnt(0)
	v_ashrrev_i32_e32 v32, s16, v47
	v_ashrrev_i32_e32 v33, s16, v48
	ds_load_2addr_b32 v[47:48], v179 offset0:4 offset1:5
	v_and_b32_e32 v64, 0x4040404, v64
	s_delay_alu instid0(VALU_DEP_1)
	v_lshrrev_b32_e32 v95, 24, v64
	s_waitcnt lgkmcnt(0)
	v_ashrrev_i32_e32 v38, s16, v47
	scratch_load_b32 v47, off, off offset:140 ; 4-byte Folded Reload
	v_ashrrev_i32_e32 v39, s16, v48
	v_add_nc_u32_e32 v48, 0x4210, v99
	v_lshrrev_b32_e32 v99, 16, v64
	s_add_i32 s16, s16, 2
	s_waitcnt vmcnt(0)
	v_add3_u32 v47, v47, s19, v49
	ds_load_u16 v47, v47
	ds_load_2addr_b32 v[55:56], v48 offset1:1
	ds_load_2addr_b32 v[57:58], v50 offset1:1
	scratch_load_b32 v48, off, off offset:132 ; 4-byte Folded Reload
	v_add_nc_u32_e32 v50, 0x4210, v137
	s_waitcnt lgkmcnt(1)
	v_ashrrev_i32_e32 v61, s17, v55
	s_waitcnt lgkmcnt(0)
	v_ashrrev_i32_e32 v62, s17, v58
	v_ashrrev_i32_e32 v56, s17, v56
	;; [unrolled: 1-line block ×3, first 2 shown]
	s_delay_alu instid0(VALU_DEP_2) | instskip(NEXT) | instid1(VALU_DEP_1)
	v_lshlrev_b32_e32 v56, 2, v56
	v_and_b32_e32 v56, 0x4040404, v56
	s_waitcnt vmcnt(0)
	v_add3_u32 v48, v48, s19, v49
	ds_load_u16 v48, v48
	ds_load_2addr_b32 v[50:51], v50 offset1:1
	ds_load_2addr_b32 v[52:53], v52 offset1:1
	s_waitcnt lgkmcnt(1)
	v_ashrrev_i32_e32 v68, s17, v50
	v_ashrrev_i32_e32 v69, s17, v51
	v_bfe_u32 v50, v28, 24, 2
	v_lshrrev_b32_e32 v51, 24, v44
	v_and_b32_e32 v28, 0x3030303, v28
	s_waitcnt lgkmcnt(0)
	v_ashrrev_i32_e32 v70, s17, v52
	v_ashrrev_i32_e32 v71, s17, v53
	v_lshlrev_b32_e32 v68, 2, v68
	v_sub_nc_u16 v72, v50, v51
	v_lshrrev_b32_e32 v50, 16, v28
	v_lshrrev_b32_e32 v51, 16, v44
	v_sub_nc_u16 v55, v28, v44
	v_and_b32_e32 v68, 0x4040404, v68
	v_lshlrev_b32_e32 v69, 2, v69
	v_lshlrev_b32_e32 v70, 2, v70
	v_sub_nc_u16 v54, v50, v51
	v_lshrrev_b16 v50, 8, v28
	v_lshrrev_b16 v28, 8, v44
	v_lshlrev_b32_e32 v44, 2, v45
	v_bfe_u32 v45, v29, 24, 2
	v_and_b32_e32 v29, 0x3030303, v29
	v_lshrrev_b32_e32 v131, 24, v68
	v_sub_nc_u16 v28, v50, v28
	v_and_b32_e32 v44, 0x4040404, v44
	v_lshrrev_b32_e32 v137, 16, v68
	v_and_b32_e32 v69, 0x4040404, v69
	v_and_b32_e32 v70, 0x4040404, v70
	v_lshlrev_b32_e32 v71, 2, v71
	v_lshrrev_b32_e32 v50, 24, v44
	v_lshrrev_b32_e32 v51, 16, v44
	v_sub_nc_u16 v59, v29, v44
	v_lshrrev_b32_e32 v138, 24, v69
	v_lshrrev_b32_e32 v139, 16, v69
	v_sub_nc_u16 v45, v45, v50
	v_lshrrev_b32_e32 v50, 16, v29
	v_lshrrev_b32_e32 v140, 24, v70
	;; [unrolled: 1-line block ×3, first 2 shown]
	v_and_b32_e32 v71, 0x4040404, v71
	v_lshlrev_b16 v72, 8, v72
	v_sub_nc_u16 v58, v50, v51
	v_lshrrev_b16 v50, 8, v29
	v_lshrrev_b16 v29, 8, v44
	v_lshlrev_b32_e32 v44, 2, v46
	v_bfe_u32 v46, v30, 24, 2
	v_and_b32_e32 v30, 0x3030303, v30
	v_lshrrev_b32_e32 v142, 24, v71
	v_sub_nc_u16 v29, v50, v29
	v_and_b32_e32 v44, 0x4040404, v44
	v_lshrrev_b32_e32 v143, 16, v71
	v_lshlrev_b16 v28, 8, v28
	v_lshlrev_b16 v45, 8, v45
	;; [unrolled: 1-line block ×3, first 2 shown]
	v_lshrrev_b32_e32 v50, 24, v44
	v_lshrrev_b32_e32 v51, 16, v44
	v_sub_nc_u16 v53, v30, v44
	s_add_i32 s17, s17, 1
	s_delay_alu instid0(VALU_DEP_3) | instskip(SKIP_1) | instid1(VALU_DEP_2)
	v_sub_nc_u16 v46, v46, v50
	v_lshrrev_b32_e32 v50, 16, v30
	v_lshlrev_b16 v46, 8, v46
	s_delay_alu instid0(VALU_DEP_2) | instskip(SKIP_3) | instid1(VALU_DEP_2)
	v_sub_nc_u16 v52, v50, v51
	v_lshrrev_b16 v50, 8, v30
	v_lshrrev_b16 v30, 8, v44
	v_lshlrev_b32_e32 v44, 2, v60
	v_sub_nc_u16 v30, v50, v30
	s_delay_alu instid0(VALU_DEP_2) | instskip(SKIP_2) | instid1(VALU_DEP_4)
	v_and_b32_e32 v44, 0x4040404, v44
	v_bfe_u32 v50, v31, 24, 2
	v_and_b32_e32 v31, 0x3030303, v31
	v_lshlrev_b16 v30, 8, v30
	s_delay_alu instid0(VALU_DEP_4) | instskip(NEXT) | instid1(VALU_DEP_3)
	v_lshrrev_b32_e32 v51, 24, v44
	v_lshrrev_b16 v60, 8, v31
	s_delay_alu instid0(VALU_DEP_2) | instskip(SKIP_2) | instid1(VALU_DEP_3)
	v_sub_nc_u16 v73, v50, v51
	v_lshrrev_b32_e32 v50, 16, v31
	v_lshrrev_b32_e32 v51, 16, v44
	v_lshlrev_b16 v73, 8, v73
	s_delay_alu instid0(VALU_DEP_2) | instskip(SKIP_3) | instid1(VALU_DEP_2)
	v_sub_nc_u16 v50, v50, v51
	v_sub_nc_u16 v51, v31, v44
	v_lshrrev_b16 v31, 8, v44
	v_lshlrev_b32_e32 v44, 2, v61
	v_sub_nc_u16 v31, v60, v31
	s_delay_alu instid0(VALU_DEP_2) | instskip(SKIP_2) | instid1(VALU_DEP_4)
	v_and_b32_e32 v44, 0x4040404, v44
	v_bfe_u32 v60, v32, 24, 2
	v_and_b32_e32 v32, 0x3030303, v32
	v_lshlrev_b16 v31, 8, v31
	s_delay_alu instid0(VALU_DEP_4) | instskip(NEXT) | instid1(VALU_DEP_1)
	v_lshrrev_b32_e32 v61, 24, v44
	v_sub_nc_u16 v74, v60, v61
	s_delay_alu instid0(VALU_DEP_4) | instskip(SKIP_1) | instid1(VALU_DEP_3)
	v_lshrrev_b32_e32 v60, 16, v32
	v_lshrrev_b32_e32 v61, 16, v44
	v_lshlrev_b16 v74, 8, v74
	s_delay_alu instid0(VALU_DEP_2) | instskip(SKIP_4) | instid1(VALU_DEP_2)
	v_sub_nc_u16 v75, v60, v61
	v_lshrrev_b16 v60, 8, v32
	v_sub_nc_u16 v32, v32, v44
	v_lshrrev_b16 v44, 8, v44
	v_lshrrev_b32_e32 v61, 24, v56
	v_sub_nc_u16 v44, v60, v44
	v_bfe_u32 v60, v33, 24, 2
	v_and_b32_e32 v33, 0x3030303, v33
	s_delay_alu instid0(VALU_DEP_3) | instskip(NEXT) | instid1(VALU_DEP_3)
	v_lshlrev_b16 v44, 8, v44
	v_sub_nc_u16 v76, v60, v61
	s_delay_alu instid0(VALU_DEP_3) | instskip(SKIP_1) | instid1(VALU_DEP_3)
	v_lshrrev_b32_e32 v60, 16, v33
	v_lshrrev_b32_e32 v61, 16, v56
	v_lshlrev_b16 v76, 8, v76
	s_delay_alu instid0(VALU_DEP_2) | instskip(SKIP_3) | instid1(VALU_DEP_1)
	v_sub_nc_u16 v77, v60, v61
	v_lshrrev_b16 v60, 8, v33
	v_sub_nc_u16 v33, v33, v56
	v_lshrrev_b16 v56, 8, v56
	v_sub_nc_u16 v80, v60, v56
	v_lshlrev_b32_e32 v56, 2, v57
	v_bfe_u32 v57, v40, 24, 2
	v_and_b32_e32 v40, 0x3030303, v40
	s_delay_alu instid0(VALU_DEP_4) | instskip(NEXT) | instid1(VALU_DEP_4)
	v_lshlrev_b16 v80, 8, v80
	v_and_b32_e32 v56, 0x4040404, v56
	s_delay_alu instid0(VALU_DEP_1) | instskip(NEXT) | instid1(VALU_DEP_4)
	v_lshrrev_b32_e32 v60, 24, v56
	v_sub_nc_u16 v61, v40, v56
	s_delay_alu instid0(VALU_DEP_2) | instskip(SKIP_2) | instid1(VALU_DEP_3)
	v_sub_nc_u16 v84, v57, v60
	v_lshrrev_b32_e32 v57, 16, v40
	v_lshrrev_b32_e32 v60, 16, v56
	v_lshlrev_b16 v84, 8, v84
	s_delay_alu instid0(VALU_DEP_2) | instskip(SKIP_3) | instid1(VALU_DEP_2)
	v_sub_nc_u16 v60, v57, v60
	v_lshrrev_b16 v57, 8, v40
	v_lshrrev_b16 v40, 8, v56
	v_lshlrev_b32_e32 v56, 2, v62
	v_sub_nc_u16 v40, v57, v40
	s_delay_alu instid0(VALU_DEP_2) | instskip(SKIP_2) | instid1(VALU_DEP_4)
	v_and_b32_e32 v62, 0x4040404, v56
	v_bfe_u32 v56, v41, 24, 2
	v_and_b32_e32 v41, 0x3030303, v41
	v_lshlrev_b16 v40, 8, v40
	s_delay_alu instid0(VALU_DEP_4) | instskip(NEXT) | instid1(VALU_DEP_3)
	v_lshrrev_b32_e32 v57, 24, v62
	v_lshrrev_b16 v89, 8, v41
	s_delay_alu instid0(VALU_DEP_2) | instskip(SKIP_2) | instid1(VALU_DEP_3)
	v_sub_nc_u16 v86, v56, v57
	v_lshrrev_b32_e32 v56, 16, v41
	v_lshrrev_b32_e32 v57, 16, v62
	v_lshlrev_b16 v86, 8, v86
	s_delay_alu instid0(VALU_DEP_2)
	v_sub_nc_u16 v56, v56, v57
	v_sub_nc_u16 v57, v41, v62
	v_lshrrev_b16 v41, 8, v62
	v_lshlrev_b32_e32 v62, 2, v63
	v_bfe_u32 v63, v34, 24, 2
	v_and_b32_e32 v34, 0x3030303, v34
	s_delay_alu instid0(VALU_DEP_4) | instskip(NEXT) | instid1(VALU_DEP_4)
	v_sub_nc_u16 v41, v89, v41
	v_and_b32_e32 v62, 0x4040404, v62
	s_delay_alu instid0(VALU_DEP_2) | instskip(NEXT) | instid1(VALU_DEP_2)
	v_lshlrev_b16 v41, 8, v41
	v_lshrrev_b32_e32 v89, 24, v62
	v_lshrrev_b32_e32 v90, 16, v62
	s_delay_alu instid0(VALU_DEP_2) | instskip(SKIP_1) | instid1(VALU_DEP_2)
	v_sub_nc_u16 v63, v63, v89
	v_lshrrev_b32_e32 v89, 16, v34
	v_lshlrev_b16 v63, 8, v63
	s_delay_alu instid0(VALU_DEP_2) | instskip(SKIP_3) | instid1(VALU_DEP_1)
	v_sub_nc_u16 v89, v89, v90
	v_lshrrev_b16 v90, 8, v34
	v_sub_nc_u16 v34, v34, v62
	v_lshrrev_b16 v62, 8, v62
	v_sub_nc_u16 v62, v90, v62
	v_bfe_u32 v90, v35, 24, 2
	v_and_b32_e32 v35, 0x3030303, v35
	s_delay_alu instid0(VALU_DEP_3) | instskip(NEXT) | instid1(VALU_DEP_3)
	v_lshlrev_b16 v62, 8, v62
	v_sub_nc_u16 v90, v90, v95
	s_delay_alu instid0(VALU_DEP_3) | instskip(NEXT) | instid1(VALU_DEP_2)
	v_lshrrev_b32_e32 v95, 16, v35
	v_lshlrev_b16 v90, 8, v90
	s_delay_alu instid0(VALU_DEP_2) | instskip(SKIP_3) | instid1(VALU_DEP_1)
	v_sub_nc_u16 v95, v95, v99
	v_lshrrev_b16 v99, 8, v35
	v_sub_nc_u16 v35, v35, v64
	v_lshrrev_b16 v64, 8, v64
	v_sub_nc_u16 v64, v99, v64
	v_bfe_u32 v99, v36, 24, 2
	v_and_b32_e32 v36, 0x3030303, v36
	s_delay_alu instid0(VALU_DEP_3) | instskip(NEXT) | instid1(VALU_DEP_3)
	v_lshlrev_b16 v64, 8, v64
	v_sub_nc_u16 v99, v99, v100
	s_delay_alu instid0(VALU_DEP_3) | instskip(NEXT) | instid1(VALU_DEP_2)
	;; [unrolled: 14-line block ×7, first 2 shown]
	v_lshrrev_b32_e32 v142, 16, v43
	v_lshlrev_b16 v141, 8, v141
	s_delay_alu instid0(VALU_DEP_2) | instskip(SKIP_3) | instid1(VALU_DEP_1)
	v_sub_nc_u16 v142, v142, v143
	v_lshrrev_b16 v143, 8, v43
	v_sub_nc_u16 v43, v43, v71
	v_lshrrev_b16 v71, 8, v71
	v_sub_nc_u16 v71, v143, v71
	v_and_b32_e32 v143, 0xff, v54
	s_delay_alu instid0(VALU_DEP_2) | instskip(NEXT) | instid1(VALU_DEP_2)
	v_lshlrev_b16 v71, 8, v71
	v_or_b32_e32 v72, v143, v72
	v_and_b32_e32 v143, 0xff, v55
	s_delay_alu instid0(VALU_DEP_2) | instskip(NEXT) | instid1(VALU_DEP_2)
	v_perm_b32 v144, v72, v54, 0x5000c0c
	v_or_b32_e32 v28, v143, v28
	v_and_b32_e32 v143, 0xff, v58
	s_delay_alu instid0(VALU_DEP_1) | instskip(SKIP_1) | instid1(VALU_DEP_2)
	v_or_b32_e32 v45, v143, v45
	v_and_b32_e32 v143, 0xff, v59
	v_perm_b32 v145, v45, v58, 0x5000c0c
	s_delay_alu instid0(VALU_DEP_2) | instskip(SKIP_1) | instid1(VALU_DEP_1)
	v_or_b32_e32 v29, v143, v29
	v_and_b32_e32 v143, 0xff, v52
	v_or_b32_e32 v46, v143, v46
	v_and_b32_e32 v143, 0xff, v53
	s_delay_alu instid0(VALU_DEP_2) | instskip(NEXT) | instid1(VALU_DEP_2)
	v_perm_b32 v146, v46, v52, 0x5000c0c
	v_or_b32_e32 v30, v143, v30
	v_and_b32_e32 v143, 0xff, v50
	s_delay_alu instid0(VALU_DEP_1) | instskip(SKIP_1) | instid1(VALU_DEP_2)
	v_or_b32_e32 v73, v143, v73
	v_and_b32_e32 v143, 0xff, v51
	v_perm_b32 v147, v73, v50, 0x5000c0c
	s_delay_alu instid0(VALU_DEP_2) | instskip(SKIP_1) | instid1(VALU_DEP_1)
	v_or_b32_e32 v31, v143, v31
	v_and_b32_e32 v143, 0xff, v75
	v_or_b32_e32 v74, v143, v74
	v_and_b32_e32 v143, 0xff, v32
	s_delay_alu instid0(VALU_DEP_2) | instskip(NEXT) | instid1(VALU_DEP_2)
	v_perm_b32 v148, v74, v75, 0x5000c0c
	v_or_b32_e32 v44, v143, v44
	v_and_b32_e32 v143, 0xff, v77
	s_delay_alu instid0(VALU_DEP_1) | instskip(SKIP_1) | instid1(VALU_DEP_2)
	v_or_b32_e32 v76, v143, v76
	v_and_b32_e32 v143, 0xff, v33
	v_perm_b32 v149, v76, v77, 0x5000c0c
	s_delay_alu instid0(VALU_DEP_2) | instskip(SKIP_1) | instid1(VALU_DEP_1)
	v_or_b32_e32 v80, v143, v80
	v_and_b32_e32 v143, 0xff, v60
	v_or_b32_e32 v84, v143, v84
	v_and_b32_e32 v143, 0xff, v61
	s_delay_alu instid0(VALU_DEP_2) | instskip(NEXT) | instid1(VALU_DEP_2)
	v_perm_b32 v150, v84, v60, 0x5000c0c
	v_or_b32_e32 v40, v143, v40
	v_and_b32_e32 v143, 0xff, v56
	s_delay_alu instid0(VALU_DEP_1) | instskip(SKIP_1) | instid1(VALU_DEP_2)
	v_or_b32_e32 v86, v143, v86
	v_and_b32_e32 v143, 0xff, v57
	v_perm_b32 v151, v86, v56, 0x5000c0c
	s_delay_alu instid0(VALU_DEP_2) | instskip(SKIP_1) | instid1(VALU_DEP_1)
	v_or_b32_e32 v41, v143, v41
	v_and_b32_e32 v143, 0xff, v89
	v_or_b32_e32 v63, v143, v63
	v_and_b32_e32 v143, 0xff, v34
	s_delay_alu instid0(VALU_DEP_2) | instskip(NEXT) | instid1(VALU_DEP_2)
	v_perm_b32 v152, v63, v89, 0x5000c0c
	v_or_b32_e32 v62, v143, v62
	v_and_b32_e32 v143, 0xff, v95
	s_delay_alu instid0(VALU_DEP_1) | instskip(SKIP_1) | instid1(VALU_DEP_2)
	v_or_b32_e32 v90, v143, v90
	v_and_b32_e32 v143, 0xff, v35
	v_perm_b32 v153, v90, v95, 0x5000c0c
	s_delay_alu instid0(VALU_DEP_2) | instskip(SKIP_1) | instid1(VALU_DEP_1)
	v_or_b32_e32 v64, v143, v64
	v_and_b32_e32 v143, 0xff, v100
	v_or_b32_e32 v99, v143, v99
	v_and_b32_e32 v143, 0xff, v36
	s_delay_alu instid0(VALU_DEP_2) | instskip(NEXT) | instid1(VALU_DEP_2)
	v_perm_b32 v154, v99, v100, 0x5000c0c
	v_or_b32_e32 v66, v143, v66
	v_and_b32_e32 v143, 0xff, v129
	s_delay_alu instid0(VALU_DEP_1) | instskip(SKIP_1) | instid1(VALU_DEP_2)
	v_or_b32_e32 v106, v143, v106
	v_and_b32_e32 v143, 0xff, v37
	v_perm_b32 v155, v106, v129, 0x5000c0c
	s_delay_alu instid0(VALU_DEP_2) | instskip(SKIP_1) | instid1(VALU_DEP_1)
	v_or_b32_e32 v67, v143, v67
	v_and_b32_e32 v143, 0xff, v131
	v_or_b32_e32 v130, v143, v130
	v_and_b32_e32 v143, 0xff, v38
	s_delay_alu instid0(VALU_DEP_2) | instskip(NEXT) | instid1(VALU_DEP_2)
	v_perm_b32 v156, v130, v131, 0x5000c0c
	v_or_b32_e32 v68, v143, v68
	v_and_b32_e32 v143, 0xff, v138
	s_delay_alu instid0(VALU_DEP_1) | instskip(SKIP_1) | instid1(VALU_DEP_2)
	v_or_b32_e32 v137, v143, v137
	v_and_b32_e32 v143, 0xff, v39
	v_perm_b32 v157, v137, v138, 0x5000c0c
	s_delay_alu instid0(VALU_DEP_2) | instskip(SKIP_1) | instid1(VALU_DEP_1)
	v_or_b32_e32 v69, v143, v69
	v_and_b32_e32 v143, 0xff, v140
	v_or_b32_e32 v139, v143, v139
	v_and_b32_e32 v143, 0xff, v42
	s_delay_alu instid0(VALU_DEP_2) | instskip(NEXT) | instid1(VALU_DEP_2)
	v_perm_b32 v158, v139, v140, 0x5000c0c
	v_or_b32_e32 v70, v143, v70
	v_and_b32_e32 v143, 0xff, v142
	s_delay_alu instid0(VALU_DEP_1) | instskip(SKIP_1) | instid1(VALU_DEP_2)
	v_or_b32_e32 v141, v143, v141
	v_and_b32_e32 v143, 0xff, v43
	v_perm_b32 v159, v141, v142, 0x5000c0c
	s_delay_alu instid0(VALU_DEP_2) | instskip(SKIP_1) | instid1(VALU_DEP_1)
	v_or_b32_e32 v71, v143, v71
	v_perm_b32 v143, v28, v55, 0xc0c0500
	v_or_b32_e32 v143, v144, v143
	v_perm_b32 v144, v29, v59, 0xc0c0500
	s_delay_alu instid0(VALU_DEP_1) | instskip(SKIP_1) | instid1(VALU_DEP_1)
	v_or_b32_e32 v144, v145, v144
	v_perm_b32 v145, v30, v53, 0xc0c0500
	v_or_b32_e32 v145, v146, v145
	v_perm_b32 v146, v31, v51, 0xc0c0500
	s_delay_alu instid0(VALU_DEP_1) | instskip(SKIP_1) | instid1(VALU_DEP_1)
	v_or_b32_e32 v146, v147, v146
	v_perm_b32 v147, v44, v32, 0xc0c0500
	v_or_b32_e32 v147, v148, v147
	v_perm_b32 v148, v80, v33, 0xc0c0500
	s_delay_alu instid0(VALU_DEP_2) | instskip(NEXT) | instid1(VALU_DEP_2)
	v_dot4_i32_iu8 v160, v0, v147, 0 neg_lo:[1,1,0]
	v_or_b32_e32 v148, v149, v148
	v_perm_b32 v149, v40, v61, 0xc0c0500
	s_delay_alu instid0(VALU_DEP_2) | instskip(NEXT) | instid1(VALU_DEP_2)
	v_dot4_i32_iu8 v160, v1, v148, v160 neg_lo:[1,1,0]
	v_or_b32_e32 v149, v150, v149
	v_perm_b32 v150, v41, v57, 0xc0c0500
	s_delay_alu instid0(VALU_DEP_1) | instskip(SKIP_1) | instid1(VALU_DEP_1)
	v_or_b32_e32 v150, v151, v150
	v_perm_b32 v151, v62, v34, 0xc0c0500
	v_or_b32_e32 v151, v152, v151
	v_perm_b32 v152, v64, v35, 0xc0c0500
	s_delay_alu instid0(VALU_DEP_2) | instskip(NEXT) | instid1(VALU_DEP_2)
	v_dot4_i32_iu8 v161, v0, v151, 0 neg_lo:[1,1,0]
	v_or_b32_e32 v152, v153, v152
	v_perm_b32 v153, v66, v36, 0xc0c0500
	s_delay_alu instid0(VALU_DEP_2) | instskip(NEXT) | instid1(VALU_DEP_2)
	v_dot4_i32_iu8 v161, v1, v152, v161 neg_lo:[1,1,0]
	v_or_b32_e32 v153, v154, v153
	v_perm_b32 v154, v67, v37, 0xc0c0500
	s_delay_alu instid0(VALU_DEP_1) | instskip(SKIP_2) | instid1(VALU_DEP_2)
	v_or_b32_e32 v154, v155, v154
	v_perm_b32 v155, v68, v38, 0xc0c0500
	v_perm_b32 v38, v38, v130, 0x4010c0c
	v_or_b32_e32 v155, v156, v155
	v_perm_b32 v156, v69, v39, 0xc0c0500
	v_perm_b32 v39, v39, v137, 0x4010c0c
	s_delay_alu instid0(VALU_DEP_2) | instskip(SKIP_1) | instid1(VALU_DEP_1)
	v_or_b32_e32 v156, v157, v156
	v_perm_b32 v157, v70, v42, 0xc0c0500
	v_or_b32_e32 v157, v158, v157
	v_perm_b32 v158, v71, v43, 0xc0c0500
	s_delay_alu instid0(VALU_DEP_1) | instskip(SKIP_2) | instid1(VALU_DEP_2)
	v_or_b32_e32 v158, v159, v158
	v_dot4_i32_iu8 v159, v0, v143, 0 neg_lo:[1,1,0]
	v_dot4_i32_iu8 v0, v0, v155, 0 neg_lo:[1,1,0]
	;; [unrolled: 1-line block ×3, first 2 shown]
	s_delay_alu instid0(VALU_DEP_2) | instskip(NEXT) | instid1(VALU_DEP_2)
	v_dot4_i32_iu8 v0, v1, v156, v0 neg_lo:[1,1,0]
	v_dot4_i32_iu8 v1, v2, v145, v159 neg_lo:[1,1,0]
	;; [unrolled: 1-line block ×4, first 2 shown]
	s_delay_alu instid0(VALU_DEP_4)
	v_dot4_i32_iu8 v0, v2, v157, v0 neg_lo:[1,1,0]
	v_dot4_i32_iu8 v2, v4, v151, 0 neg_lo:[1,1,0]
	v_dot4_i32_iu8 v161, v3, v146, v1 neg_lo:[1,1,0]
	v_dot4_i32_iu8 v159, v3, v150, v159 neg_lo:[1,1,0]
	v_dot4_i32_iu8 v160, v3, v154, v160 neg_lo:[1,1,0]
	v_dot4_i32_iu8 v162, v3, v158, v0 neg_lo:[1,1,0]
	v_dot4_i32_iu8 v0, v4, v143, 0 neg_lo:[1,1,0]
	v_dot4_i32_iu8 v1, v4, v147, 0 neg_lo:[1,1,0]
	v_dot4_i32_iu8 v3, v4, v155, 0 neg_lo:[1,1,0]
	v_dot4_i32_iu8 v2, v5, v152, v2 neg_lo:[1,1,0]
	s_delay_alu instid0(VALU_DEP_4) | instskip(NEXT) | instid1(VALU_DEP_4)
	v_dot4_i32_iu8 v0, v5, v144, v0 neg_lo:[1,1,0]
	v_dot4_i32_iu8 v1, v5, v148, v1 neg_lo:[1,1,0]
	s_delay_alu instid0(VALU_DEP_4) | instskip(NEXT) | instid1(VALU_DEP_4)
	v_dot4_i32_iu8 v3, v5, v156, v3 neg_lo:[1,1,0]
	v_dot4_i32_iu8 v2, v6, v153, v2 neg_lo:[1,1,0]
	s_delay_alu instid0(VALU_DEP_4) | instskip(NEXT) | instid1(VALU_DEP_4)
	v_dot4_i32_iu8 v0, v6, v145, v0 neg_lo:[1,1,0]
	v_dot4_i32_iu8 v1, v6, v149, v1 neg_lo:[1,1,0]
	s_delay_alu instid0(VALU_DEP_4) | instskip(NEXT) | instid1(VALU_DEP_4)
	v_dot4_i32_iu8 v3, v6, v157, v3 neg_lo:[1,1,0]
	v_dot4_i32_iu8 v165, v7, v154, v2 neg_lo:[1,1,0]
	v_dot4_i32_iu8 v2, v8, v151, 0 neg_lo:[1,1,0]
	v_dot4_i32_iu8 v163, v7, v146, v0 neg_lo:[1,1,0]
	v_dot4_i32_iu8 v164, v7, v150, v1 neg_lo:[1,1,0]
	v_dot4_i32_iu8 v166, v7, v158, v3 neg_lo:[1,1,0]
	v_dot4_i32_iu8 v0, v8, v143, 0 neg_lo:[1,1,0]
	v_dot4_i32_iu8 v1, v8, v147, 0 neg_lo:[1,1,0]
	v_dot4_i32_iu8 v3, v8, v155, 0 neg_lo:[1,1,0]
	v_dot4_i32_iu8 v2, v9, v152, v2 neg_lo:[1,1,0]
	s_delay_alu instid0(VALU_DEP_4) | instskip(NEXT) | instid1(VALU_DEP_4)
	v_dot4_i32_iu8 v0, v9, v144, v0 neg_lo:[1,1,0]
	v_dot4_i32_iu8 v1, v9, v148, v1 neg_lo:[1,1,0]
	s_delay_alu instid0(VALU_DEP_4) | instskip(NEXT) | instid1(VALU_DEP_4)
	v_dot4_i32_iu8 v3, v9, v156, v3 neg_lo:[1,1,0]
	v_dot4_i32_iu8 v2, v10, v153, v2 neg_lo:[1,1,0]
	s_delay_alu instid0(VALU_DEP_4) | instskip(NEXT) | instid1(VALU_DEP_4)
	v_dot4_i32_iu8 v0, v10, v145, v0 neg_lo:[1,1,0]
	v_dot4_i32_iu8 v1, v10, v149, v1 neg_lo:[1,1,0]
	s_delay_alu instid0(VALU_DEP_4) | instskip(NEXT) | instid1(VALU_DEP_4)
	v_dot4_i32_iu8 v3, v10, v157, v3 neg_lo:[1,1,0]
	v_dot4_i32_iu8 v168, v11, v154, v2 neg_lo:[1,1,0]
	v_dot4_i32_iu8 v2, v12, v151, 0 neg_lo:[1,1,0]
	v_dot4_i32_iu8 v8, v11, v146, v0 neg_lo:[1,1,0]
	v_dot4_i32_iu8 v167, v11, v150, v1 neg_lo:[1,1,0]
	v_dot4_i32_iu8 v169, v11, v158, v3 neg_lo:[1,1,0]
	v_dot4_i32_iu8 v0, v12, v143, 0 neg_lo:[1,1,0]
	v_dot4_i32_iu8 v1, v12, v147, 0 neg_lo:[1,1,0]
	v_dot4_i32_iu8 v3, v12, v155, 0 neg_lo:[1,1,0]
	v_dot4_i32_iu8 v2, v13, v152, v2 neg_lo:[1,1,0]
	s_delay_alu instid0(VALU_DEP_4) | instskip(NEXT) | instid1(VALU_DEP_4)
	v_dot4_i32_iu8 v0, v13, v144, v0 neg_lo:[1,1,0]
	v_dot4_i32_iu8 v1, v13, v148, v1 neg_lo:[1,1,0]
	s_delay_alu instid0(VALU_DEP_4) | instskip(NEXT) | instid1(VALU_DEP_4)
	v_dot4_i32_iu8 v3, v13, v156, v3 neg_lo:[1,1,0]
	v_dot4_i32_iu8 v2, v14, v153, v2 neg_lo:[1,1,0]
	s_delay_alu instid0(VALU_DEP_4) | instskip(NEXT) | instid1(VALU_DEP_4)
	v_dot4_i32_iu8 v0, v14, v145, v0 neg_lo:[1,1,0]
	v_dot4_i32_iu8 v1, v14, v149, v1 neg_lo:[1,1,0]
	s_delay_alu instid0(VALU_DEP_4) | instskip(NEXT) | instid1(VALU_DEP_4)
	v_dot4_i32_iu8 v3, v14, v157, v3 neg_lo:[1,1,0]
	v_dot4_i32_iu8 v171, v15, v154, v2 neg_lo:[1,1,0]
	v_dot4_i32_iu8 v2, v16, v151, 0 neg_lo:[1,1,0]
	v_dot4_i32_iu8 v9, v15, v146, v0 neg_lo:[1,1,0]
	v_dot4_i32_iu8 v170, v15, v150, v1 neg_lo:[1,1,0]
	v_dot4_i32_iu8 v172, v15, v158, v3 neg_lo:[1,1,0]
	v_dot4_i32_iu8 v0, v16, v143, 0 neg_lo:[1,1,0]
	v_dot4_i32_iu8 v1, v16, v147, 0 neg_lo:[1,1,0]
	v_dot4_i32_iu8 v3, v16, v155, 0 neg_lo:[1,1,0]
	v_dot4_i32_iu8 v2, v17, v152, v2 neg_lo:[1,1,0]
	s_delay_alu instid0(VALU_DEP_4) | instskip(NEXT) | instid1(VALU_DEP_4)
	v_dot4_i32_iu8 v0, v17, v144, v0 neg_lo:[1,1,0]
	v_dot4_i32_iu8 v1, v17, v148, v1 neg_lo:[1,1,0]
	s_delay_alu instid0(VALU_DEP_4) | instskip(NEXT) | instid1(VALU_DEP_4)
	v_dot4_i32_iu8 v3, v17, v156, v3 neg_lo:[1,1,0]
	v_dot4_i32_iu8 v2, v18, v153, v2 neg_lo:[1,1,0]
	s_delay_alu instid0(VALU_DEP_4) | instskip(NEXT) | instid1(VALU_DEP_4)
	v_dot4_i32_iu8 v0, v18, v145, v0 neg_lo:[1,1,0]
	v_dot4_i32_iu8 v1, v18, v149, v1 neg_lo:[1,1,0]
	s_delay_alu instid0(VALU_DEP_4) | instskip(NEXT) | instid1(VALU_DEP_4)
	v_dot4_i32_iu8 v3, v18, v157, v3 neg_lo:[1,1,0]
	v_dot4_i32_iu8 v173, v19, v154, v2 neg_lo:[1,1,0]
	v_dot4_i32_iu8 v2, v20, v151, 0 neg_lo:[1,1,0]
	v_dot4_i32_iu8 v10, v19, v146, v0 neg_lo:[1,1,0]
	v_dot4_i32_iu8 v16, v19, v150, v1 neg_lo:[1,1,0]
	v_dot4_i32_iu8 v174, v19, v158, v3 neg_lo:[1,1,0]
	v_dot4_i32_iu8 v0, v20, v143, 0 neg_lo:[1,1,0]
	v_dot4_i32_iu8 v1, v20, v147, 0 neg_lo:[1,1,0]
	v_dot4_i32_iu8 v3, v20, v155, 0 neg_lo:[1,1,0]
	v_dot4_i32_iu8 v2, v21, v152, v2 neg_lo:[1,1,0]
	s_delay_alu instid0(VALU_DEP_4) | instskip(NEXT) | instid1(VALU_DEP_4)
	v_dot4_i32_iu8 v0, v21, v144, v0 neg_lo:[1,1,0]
	v_dot4_i32_iu8 v1, v21, v148, v1 neg_lo:[1,1,0]
	s_delay_alu instid0(VALU_DEP_4) | instskip(NEXT) | instid1(VALU_DEP_4)
	v_dot4_i32_iu8 v3, v21, v156, v3 neg_lo:[1,1,0]
	v_dot4_i32_iu8 v2, v22, v153, v2 neg_lo:[1,1,0]
	s_delay_alu instid0(VALU_DEP_4) | instskip(NEXT) | instid1(VALU_DEP_4)
	v_dot4_i32_iu8 v0, v22, v145, v0 neg_lo:[1,1,0]
	v_dot4_i32_iu8 v1, v22, v149, v1 neg_lo:[1,1,0]
	s_delay_alu instid0(VALU_DEP_4) | instskip(NEXT) | instid1(VALU_DEP_4)
	v_dot4_i32_iu8 v3, v22, v157, v3 neg_lo:[1,1,0]
	v_dot4_i32_iu8 v175, v23, v154, v2 neg_lo:[1,1,0]
	;; [unrolled: 1-line block ×10, first 2 shown]
	v_perm_b32 v22, v210, v238, 0xc0c0401
	v_dot4_i32_iu8 v0, v25, v144, v0 neg_lo:[1,1,0]
	v_dot4_i32_iu8 v1, v25, v148, v1 neg_lo:[1,1,0]
	;; [unrolled: 1-line block ×4, first 2 shown]
	v_perm_b32 v23, v211, v240, 0x4010c0c
	v_dot4_i32_iu8 v0, v26, v145, v0 neg_lo:[1,1,0]
	v_dot4_i32_iu8 v1, v26, v149, v1 neg_lo:[1,1,0]
	;; [unrolled: 1-line block ×4, first 2 shown]
	v_perm_b32 v24, v212, v235, 0xc0c0401
	v_dot4_i32_iu8 v12, v27, v146, v0 neg_lo:[1,1,0]
	v_dot4_i32_iu8 v18, v27, v150, v1 neg_lo:[1,1,0]
	;; [unrolled: 1-line block ×3, first 2 shown]
	ds_load_b128 v[0:3], v192
	ds_load_b128 v[4:7], v192 offset:16
	s_clause 0x1
	scratch_load_b32 v15, off, off
	scratch_load_b32 v19, off, off offset:4
	v_perm_b32 v25, v213, v236, 0x4010c0c
	v_perm_b32 v27, v218, v88, 0xc0c0401
	;; [unrolled: 1-line block ×3, first 2 shown]
	v_add_nc_u32_e32 v192, 32, v192
	s_waitcnt lgkmcnt(1)
	v_perm_b32 v13, v0, v0, 0x30201
	v_perm_b32 v14, v1, v1, 0x30201
	s_clause 0x1
	scratch_load_b32 v0, off, off offset:144
	scratch_load_b32 v1, off, off offset:136
	s_waitcnt lgkmcnt(0)
	v_perm_b32 v4, v4, v4, 0x30201
	v_perm_b32 v5, v5, v5, 0x30201
	;; [unrolled: 1-line block ×6, first 2 shown]
	s_waitcnt vmcnt(3)
	v_add_nc_u32_e32 v15, s20, v15
	s_waitcnt vmcnt(2)
	v_add_nc_u32_e32 v19, s20, v19
	ds_load_b32 v15, v15
	s_waitcnt vmcnt(1)
	v_add3_u32 v0, v0, s19, v49
	s_waitcnt vmcnt(0)
	v_add3_u32 v1, v1, s19, v49
	ds_load_b32 v19, v19
	ds_load_u16 v20, v0
	ds_load_u16 v21, v1
	ds_load_2addr_b32 v[0:1], v242 offset1:32
	v_perm_b32 v49, v219, v227, 0x4010c0c
	s_add_i32 s19, s1, s16
	s_delay_alu instid0(SALU_CYCLE_1) | instskip(NEXT) | instid1(SALU_CYCLE_1)
	s_add_i32 s19, s19, 8
	s_cmp_lt_u32 s19, s18
	s_waitcnt lgkmcnt(0)
	v_mul_f32_e32 v144, v0, v194
	v_mul_f32_e32 v145, v0, v15
	v_mul_f32_e32 v146, v0, v195
	v_dual_mul_f32 v147, v0, v19 :: v_dual_mul_f32 v148, v194, v1
	v_mul_f32_e32 v149, v15, v1
	v_mul_f32_e32 v150, v195, v1
	v_mul_f32_e32 v151, v19, v1
	ds_load_2addr_b32 v[0:1], v242 offset0:64 offset1:96
	s_waitcnt lgkmcnt(0)
	v_mul_f32_e32 v152, v194, v0
	v_mul_f32_e32 v153, v15, v0
	v_mul_f32_e32 v154, v195, v0
	v_dual_mul_f32 v155, v19, v0 :: v_dual_mul_f32 v156, v194, v1
	v_mul_f32_e32 v157, v15, v1
	v_mul_f32_e32 v158, v195, v1
	v_mul_f32_e32 v177, v19, v1
	ds_load_2addr_b32 v[0:1], v242 offset0:128 offset1:160
	;; [unrolled: 9-line block ×3, first 2 shown]
	v_add_nc_u32_e32 v242, 4, v242
	s_waitcnt lgkmcnt(0)
	v_mul_f32_e32 v186, v194, v0
	v_dual_mul_f32 v187, v194, v1 :: v_dual_mul_f32 v188, v15, v0
	v_mul_f32_e32 v189, v15, v1
	v_mul_f32_e32 v190, v195, v0
	;; [unrolled: 1-line block ×5, first 2 shown]
	v_perm_b32 v0, v202, v247, 0xc0c0401
	v_perm_b32 v1, v203, v245, 0x4010c0c
	;; [unrolled: 1-line block ×4, first 2 shown]
	s_delay_alu instid0(VALU_DEP_3) | instskip(NEXT) | instid1(VALU_DEP_2)
	v_or_b32_e32 v0, v1, v0
	v_or_b32_e32 v1, v19, v15
	;; [unrolled: 1-line block ×8, first 2 shown]
	v_dot4_i32_iu8 v0, v0, v13, 0 neg_lo:[1,1,0]
	v_dot4_i32_iu8 v15, v15, v13, 0 neg_lo:[1,1,0]
	;; [unrolled: 1-line block ×4, first 2 shown]
	v_perm_b32 v24, v75, v44, 0xc0c0401
	v_dot4_i32_iu8 v0, v1, v14, v0 neg_lo:[1,1,0]
	v_dot4_i32_iu8 v1, v19, v14, v15 neg_lo:[1,1,0]
	;; [unrolled: 1-line block ×4, first 2 shown]
	v_perm_b32 v14, v54, v28, 0xc0c0401
	v_perm_b32 v19, v55, v72, 0x4010c0c
	;; [unrolled: 1-line block ×13, first 2 shown]
	v_or_b32_e32 v14, v19, v14
	v_or_b32_e32 v19, v23, v22
	;; [unrolled: 1-line block ×8, first 2 shown]
	v_dot4_i32_iu8 v14, v14, v4, 0 neg_lo:[1,1,0]
	v_dot4_i32_iu8 v22, v22, v4, 0 neg_lo:[1,1,0]
	;; [unrolled: 1-line block ×4, first 2 shown]
	v_perm_b32 v27, v214, v244, 0xc0c0401
	v_dot4_i32_iu8 v14, v19, v5, v14 neg_lo:[1,1,0]
	v_dot4_i32_iu8 v19, v23, v5, v22 neg_lo:[1,1,0]
	v_dot4_i32_iu8 v22, v25, v5, v24 neg_lo:[1,1,0]
	v_dot4_i32_iu8 v4, v28, v5, v4 neg_lo:[1,1,0]
	s_clause 0x4
	scratch_load_b32 v5, off, off offset:96
	scratch_load_b32 v24, off, off offset:108
	;; [unrolled: 1-line block ×5, first 2 shown]
	v_perm_b32 v29, v222, v253, 0xc0c0401
	v_perm_b32 v32, v223, v252, 0x4010c0c
	v_mov_b32_e32 v92, v94
	s_clause 0x5
	scratch_load_b32 v94, off, off offset:44
	scratch_load_b32 v95, off, off offset:48
	;; [unrolled: 1-line block ×6, first 2 shown]
	v_mov_b32_e32 v88, v103
	v_dual_mov_b32 v82, v109 :: v_dual_mov_b32 v77, v231
	v_mov_b32_e32 v75, v230
	v_mov_b32_e32 v45, v193
	;; [unrolled: 1-line block ×3, first 2 shown]
	s_waitcnt vmcnt(10)
	v_perm_b32 v5, v198, v5, 0xc0c0401
	s_waitcnt vmcnt(9)
	v_perm_b32 v24, v206, v24, 0xc0c0401
	;; [unrolled: 2-line block ×5, first 2 shown]
	s_delay_alu instid0(VALU_DEP_1) | instskip(NEXT) | instid1(VALU_DEP_3)
	v_or_b32_e32 v5, v23, v5
	v_or_b32_e32 v23, v25, v24
	;; [unrolled: 1-line block ×4, first 2 shown]
	v_perm_b32 v27, v36, v99, 0x4010c0c
	v_dot4_i32_iu8 v0, v5, v2, v0 neg_lo:[1,1,0]
	v_dot4_i32_iu8 v1, v23, v2, v1 neg_lo:[1,1,0]
	;; [unrolled: 1-line block ×4, first 2 shown]
	v_perm_b32 v13, v52, v30, 0xc0c0401
	v_perm_b32 v15, v53, v46, 0x4010c0c
	;; [unrolled: 1-line block ×6, first 2 shown]
	scratch_load_b32 v70, off, off offset:12 ; 4-byte Folded Reload
	v_perm_b32 v29, v42, v139, 0x4010c0c
	v_or_b32_e32 v13, v15, v13
	v_or_b32_e32 v15, v24, v23
	;; [unrolled: 1-line block ×3, first 2 shown]
	v_perm_b32 v27, v216, v243, 0xc0c0401
	v_or_b32_e32 v24, v29, v28
	v_dot4_i32_iu8 v13, v13, v6, v14 neg_lo:[1,1,0]
	v_dot4_i32_iu8 v14, v15, v6, v19 neg_lo:[1,1,0]
	;; [unrolled: 1-line block ×3, first 2 shown]
	scratch_load_b32 v22, off, off offset:80 ; 4-byte Folded Reload
	v_dot4_i32_iu8 v4, v24, v6, v4 neg_lo:[1,1,0]
	s_clause 0x5
	scratch_load_b32 v6, off, off offset:72
	scratch_load_b32 v24, off, off offset:88
	;; [unrolled: 1-line block ×6, first 2 shown]
	v_dual_mov_b32 v46, v83 :: v_dual_mov_b32 v83, v85
	v_mov_b32_e32 v85, v87
	v_mov_b32_e32 v87, v91
	;; [unrolled: 1-line block ×3, first 2 shown]
	v_dual_mov_b32 v93, v234 :: v_dual_mov_b32 v66, v225
	s_waitcnt vmcnt(6)
	v_perm_b32 v22, v200, v22, 0xc0c0401
	s_waitcnt vmcnt(5)
	v_perm_b32 v6, v196, v6, 0xc0c0401
	;; [unrolled: 2-line block ×7, first 2 shown]
	s_delay_alu instid0(VALU_DEP_1) | instskip(NEXT) | instid1(VALU_DEP_3)
	v_or_b32_e32 v6, v19, v6
	v_or_b32_e32 v19, v23, v22
	v_or_b32_e32 v22, v25, v24
	v_or_b32_e32 v23, v28, v27
	v_perm_b32 v24, v142, v71, 0xc0c0401
	v_dot4_i32_iu8 v0, v6, v3, v0 neg_lo:[1,1,0]
	v_dot4_i32_iu8 v19, v19, v3, v1 neg_lo:[1,1,0]
	;; [unrolled: 1-line block ×4, first 2 shown]
	v_perm_b32 v1, v50, v31, 0xc0c0401
	v_perm_b32 v2, v51, v73, 0x4010c0c
	;; [unrolled: 1-line block ×6, first 2 shown]
	v_or_b32_e32 v1, v2, v1
	v_perm_b32 v25, v43, v141, 0x4010c0c
	v_or_b32_e32 v2, v5, v3
	scratch_load_b32 v86, off, off offset:32 ; 4-byte Folded Reload
	v_or_b32_e32 v3, v23, v6
	v_dot4_i32_iu8 v6, v1, v7, v13 neg_lo:[1,1,0]
	v_lshrrev_b16 v1, 8, v20
	v_dot4_i32_iu8 v13, v2, v7, v14 neg_lo:[1,1,0]
	v_bfe_i32 v14, v20, 0, 8
	v_dot4_i32_iu8 v23, v3, v7, v15 neg_lo:[1,1,0]
	v_or_b32_e32 v5, v25, v24
	v_bfe_i32 v15, v1, 0, 8
	v_bfe_i32 v20, v47, 0, 8
	v_mul_lo_u32 v0, v0, v14
	v_bfe_i32 v25, v21, 0, 8
	v_dot4_i32_iu8 v28, v5, v7, v4 neg_lo:[1,1,0]
	s_clause 0x1
	scratch_load_b32 v76, off, off offset:24
	scratch_load_b32 v73, off, off offset:16
	v_mov_b32_e32 v67, v229
	v_mov_b32_e32 v31, v224
	v_mad_u64_u32 v[1:2], null, v6, v15, v[0:1]
	v_mul_lo_u32 v0, v107, v14
	s_clause 0x1
	scratch_load_b32 v107, off, off offset:64
	scratch_load_b32 v90, off, off offset:40
	v_mad_u64_u32 v[2:3], null, v161, v15, v[0:1]
	v_mul_lo_u32 v0, v102, v14
	s_delay_alu instid0(VALU_DEP_1) | instskip(SKIP_1) | instid1(VALU_DEP_1)
	v_mad_u64_u32 v[3:4], null, v163, v15, v[0:1]
	v_mul_lo_u32 v0, v101, v14
	v_mad_u64_u32 v[4:5], null, v8, v15, v[0:1]
	v_mul_lo_u32 v0, v116, v14
	s_delay_alu instid0(VALU_DEP_1) | instskip(SKIP_1) | instid1(VALU_DEP_1)
	v_mad_u64_u32 v[5:6], null, v9, v15, v[0:1]
	v_mul_lo_u32 v0, v127, v14
	;; [unrolled: 5-line block ×3, first 2 shown]
	v_mad_u64_u32 v[8:9], null, v12, v15, v[0:1]
	v_lshrrev_b16 v0, 8, v47
	s_delay_alu instid0(VALU_DEP_1) | instskip(SKIP_1) | instid1(VALU_DEP_1)
	v_bfe_i32 v24, v0, 0, 8
	v_mul_lo_u32 v0, v19, v20
	v_mad_u64_u32 v[9:10], null, v13, v24, v[0:1]
	v_mul_lo_u32 v0, v250, v20
	s_delay_alu instid0(VALU_DEP_1) | instskip(SKIP_1) | instid1(VALU_DEP_1)
	v_mad_u64_u32 v[10:11], null, v159, v24, v[0:1]
	v_mul_lo_u32 v0, v111, v20
	v_mad_u64_u32 v[11:12], null, v164, v24, v[0:1]
	v_mul_lo_u32 v0, v104, v20
	s_delay_alu instid0(VALU_DEP_1) | instskip(SKIP_1) | instid1(VALU_DEP_1)
	v_mad_u64_u32 v[12:13], null, v167, v24, v[0:1]
	;; [unrolled: 5-line block ×4, first 2 shown]
	v_lshrrev_b16 v0, 8, v21
	v_bfe_i32 v29, v0, 0, 8
	v_mul_lo_u32 v0, v22, v25
	s_delay_alu instid0(VALU_DEP_1) | instskip(SKIP_1) | instid1(VALU_DEP_1)
	v_mad_u64_u32 v[17:18], null, v23, v29, v[0:1]
	v_mul_lo_u32 v0, v241, v25
	v_mad_u64_u32 v[18:19], null, v160, v29, v[0:1]
	v_mul_lo_u32 v0, v249, v25
	s_delay_alu instid0(VALU_DEP_1) | instskip(SKIP_1) | instid1(VALU_DEP_1)
	v_mad_u64_u32 v[19:20], null, v165, v29, v[0:1]
	v_mul_lo_u32 v0, v255, v25
	v_mad_u64_u32 v[20:21], null, v168, v29, v[0:1]
	v_mul_lo_u32 v0, v105, v25
	s_delay_alu instid0(VALU_DEP_1) | instskip(SKIP_1) | instid1(VALU_DEP_1)
	v_mad_u64_u32 v[21:22], null, v171, v29, v[0:1]
	v_mul_lo_u32 v0, v97, v25
	v_mad_u64_u32 v[22:23], null, v173, v29, v[0:1]
	v_mul_lo_u32 v0, v113, v25
	s_delay_alu instid0(VALU_DEP_1) | instskip(SKIP_1) | instid1(VALU_DEP_1)
	v_mad_u64_u32 v[23:24], null, v175, v29, v[0:1]
	v_mul_lo_u32 v0, v125, v25
	v_mad_u64_u32 v[24:25], null, v26, v29, v[0:1]
	v_lshrrev_b16 v0, 8, v48
	v_bfe_i32 v29, v48, 0, 8
	s_delay_alu instid0(VALU_DEP_2) | instskip(NEXT) | instid1(VALU_DEP_2)
	v_bfe_i32 v30, v0, 0, 8
	v_mul_lo_u32 v0, v27, v29
	s_delay_alu instid0(VALU_DEP_1) | instskip(SKIP_1) | instid1(VALU_DEP_1)
	v_mad_u64_u32 v[25:26], null, v28, v30, v[0:1]
	v_mul_lo_u32 v0, v237, v29
	v_mad_u64_u32 v[26:27], null, v162, v30, v[0:1]
	v_mul_lo_u32 v0, v239, v29
	s_delay_alu instid0(VALU_DEP_1) | instskip(SKIP_1) | instid1(VALU_DEP_1)
	v_mad_u64_u32 v[47:48], null, v166, v30, v[0:1]
	v_mul_lo_u32 v0, v246, v29
	v_mad_u64_u32 v[48:49], null, v169, v30, v[0:1]
	;; [unrolled: 5-line block ×3, first 2 shown]
	v_mul_lo_u32 v0, v96, v29
	s_delay_alu instid0(VALU_DEP_1)
	v_mad_u64_u32 v[51:52], null, v176, v30, v[0:1]
	v_mul_lo_u32 v0, v110, v29
	s_clause 0x2
	scratch_load_b32 v29, off, off offset:56
	scratch_load_b32 v112, off, off offset:52
	;; [unrolled: 1-line block ×3, first 2 shown]
	v_mad_u64_u32 v[52:53], null, v143, v30, v[0:1]
	v_cvt_f32_i32_e32 v0, v1
	s_waitcnt vmcnt(0)
	s_delay_alu instid0(VALU_DEP_1) | instskip(SKIP_1) | instid1(VALU_DEP_1)
	v_fmac_f32_e32 v108, v144, v0
	v_cvt_f32_i32_e32 v0, v9
	v_fmac_f32_e32 v93, v145, v0
	v_cvt_f32_i32_e32 v0, v17
	s_delay_alu instid0(VALU_DEP_1) | instskip(SKIP_1) | instid1(VALU_DEP_1)
	v_fmac_f32_e32 v92, v146, v0
	v_cvt_f32_i32_e32 v0, v25
	v_fmac_f32_e32 v91, v147, v0
	v_cvt_f32_i32_e32 v0, v2
	;; [unrolled: 5-line block ×15, first 2 shown]
	s_delay_alu instid0(VALU_DEP_1) | instskip(SKIP_1) | instid1(VALU_DEP_1)
	v_fmac_f32_e32 v112, v191, v0
	v_cvt_f32_i32_e32 v0, v52
	v_fmac_f32_e32 v107, v195, v0
	s_cbranch_scc1 .LBB130_12
; %bb.13:                               ;   in Loop: Header=BB130_8 Depth=2
	s_waitcnt_vscnt null, 0x0
	s_barrier
	buffer_gl0_inv
	s_clause 0x9
	scratch_load_b32 v84, off, off
	scratch_load_b32 v96, off, off offset:4
	scratch_load_b32 v97, off, off offset:116
	;; [unrolled: 1-line block ×9, first 2 shown]
	s_add_i32 s1, s1, 16
	s_cmp_eq_u32 s14, 4
	s_cselect_b32 s15, -1, 0
	s_delay_alu instid0(SALU_CYCLE_1)
	s_and_b32 vcc_lo, exec_lo, s15
	s_cbranch_vccz .LBB130_8
	s_branch .LBB130_5
.LBB130_14:
	s_clause 0x2
	scratch_load_b32 v1, off, off offset:580
	scratch_load_b32 v0, off, off offset:152
	;; [unrolled: 1-line block ×3, first 2 shown]
.LBB130_15:
	s_mov_b32 s0, exec_lo
	s_waitcnt vmcnt(0)
	v_cmpx_gt_u32_e64 s6, v2
	s_cbranch_execz .LBB130_66
; %bb.16:
	v_add_nc_u32_e32 v0, s12, v0
	v_mul_lo_u32 v5, v2, s10
	s_delay_alu instid0(VALU_DEP_2)
	v_cmp_gt_u32_e32 vcc_lo, s10, v0
	s_and_saveexec_b32 s1, vcc_lo
	s_cbranch_execz .LBB130_18
; %bb.17:
	s_delay_alu instid0(VALU_DEP_2) | instskip(NEXT) | instid1(VALU_DEP_1)
	v_dual_mov_b32 v3, 0 :: v_dual_add_nc_u32 v2, v0, v5
	v_lshlrev_b64 v[2:3], 2, v[2:3]
	s_waitcnt lgkmcnt(0)
	s_delay_alu instid0(VALU_DEP_1) | instskip(NEXT) | instid1(VALU_DEP_1)
	v_add_co_u32 v2, s0, s8, v2
	v_add_co_ci_u32_e64 v3, s0, s9, v3, s0
	global_store_b32 v[2:3], v108, off
.LBB130_18:
	s_or_b32 exec_lo, exec_lo, s1
	v_add_nc_u32_e32 v2, 32, v0
	s_delay_alu instid0(VALU_DEP_1) | instskip(NEXT) | instid1(VALU_DEP_1)
	v_cmp_gt_u32_e64 s0, s10, v2
	s_and_saveexec_b32 s2, s0
	s_cbranch_execz .LBB130_20
; %bb.19:
	v_dual_mov_b32 v4, 0 :: v_dual_add_nc_u32 v3, v2, v5
	s_delay_alu instid0(VALU_DEP_1) | instskip(SKIP_1) | instid1(VALU_DEP_1)
	v_lshlrev_b64 v[3:4], 2, v[3:4]
	s_waitcnt lgkmcnt(0)
	v_add_co_u32 v3, s1, s8, v3
	s_delay_alu instid0(VALU_DEP_1)
	v_add_co_ci_u32_e64 v4, s1, s9, v4, s1
	global_store_b32 v[3:4], v93, off
.LBB130_20:
	s_or_b32 exec_lo, exec_lo, s2
	v_add_nc_u32_e32 v3, 64, v0
	s_delay_alu instid0(VALU_DEP_1) | instskip(NEXT) | instid1(VALU_DEP_1)
	v_cmp_gt_u32_e64 s1, s10, v3
	s_and_saveexec_b32 s3, s1
	s_cbranch_execz .LBB130_22
; %bb.21:
	v_dual_mov_b32 v7, 0 :: v_dual_add_nc_u32 v6, v3, v5
	s_delay_alu instid0(VALU_DEP_1) | instskip(SKIP_1) | instid1(VALU_DEP_1)
	v_lshlrev_b64 v[6:7], 2, v[6:7]
	s_waitcnt lgkmcnt(0)
	v_add_co_u32 v6, s2, s8, v6
	s_delay_alu instid0(VALU_DEP_1)
	v_add_co_ci_u32_e64 v7, s2, s9, v7, s2
	global_store_b32 v[6:7], v92, off
.LBB130_22:
	;; [unrolled: 16-line block ×3, first 2 shown]
	s_or_b32 exec_lo, exec_lo, s4
	v_add3_u32 v5, v1, s11, 8
	s_delay_alu instid0(VALU_DEP_1) | instskip(NEXT) | instid1(VALU_DEP_1)
	v_cmp_gt_u32_e64 s3, s6, v5
	s_and_b32 exec_lo, exec_lo, s3
	s_cbranch_execz .LBB130_66
; %bb.25:
	v_mul_lo_u32 v5, v5, s10
	s_and_saveexec_b32 s4, vcc_lo
	s_cbranch_execnz .LBB130_67
; %bb.26:
	s_or_b32 exec_lo, exec_lo, s4
	s_and_saveexec_b32 s4, s0
	s_cbranch_execnz .LBB130_68
.LBB130_27:
	s_or_b32 exec_lo, exec_lo, s4
	s_and_saveexec_b32 s4, s1
	s_cbranch_execnz .LBB130_69
.LBB130_28:
	s_or_b32 exec_lo, exec_lo, s4
	s_and_saveexec_b32 s4, s2
	s_cbranch_execz .LBB130_30
.LBB130_29:
	v_dual_mov_b32 v6, 0 :: v_dual_add_nc_u32 v5, v5, v4
	s_delay_alu instid0(VALU_DEP_1) | instskip(SKIP_1) | instid1(VALU_DEP_1)
	v_lshlrev_b64 v[5:6], 2, v[5:6]
	s_waitcnt lgkmcnt(0)
	v_add_co_u32 v5, s3, s8, v5
	s_delay_alu instid0(VALU_DEP_1)
	v_add_co_ci_u32_e64 v6, s3, s9, v6, s3
	global_store_b32 v[5:6], v85, off
.LBB130_30:
	s_or_b32 exec_lo, exec_lo, s4
	v_add3_u32 v5, v1, s11, 16
	s_delay_alu instid0(VALU_DEP_1) | instskip(NEXT) | instid1(VALU_DEP_1)
	v_cmp_gt_u32_e64 s3, s6, v5
	s_and_b32 exec_lo, exec_lo, s3
	s_cbranch_execz .LBB130_66
; %bb.31:
	v_mul_lo_u32 v5, v5, s10
	s_and_saveexec_b32 s4, vcc_lo
	s_cbranch_execnz .LBB130_70
; %bb.32:
	s_or_b32 exec_lo, exec_lo, s4
	s_and_saveexec_b32 s4, s0
	s_cbranch_execnz .LBB130_71
.LBB130_33:
	s_or_b32 exec_lo, exec_lo, s4
	s_and_saveexec_b32 s4, s1
	s_cbranch_execnz .LBB130_72
.LBB130_34:
	s_or_b32 exec_lo, exec_lo, s4
	s_and_saveexec_b32 s4, s2
	s_cbranch_execz .LBB130_36
.LBB130_35:
	v_dual_mov_b32 v6, 0 :: v_dual_add_nc_u32 v5, v5, v4
	s_delay_alu instid0(VALU_DEP_1) | instskip(SKIP_1) | instid1(VALU_DEP_1)
	v_lshlrev_b64 v[5:6], 2, v[5:6]
	s_waitcnt lgkmcnt(0)
	v_add_co_u32 v5, s3, s8, v5
	s_delay_alu instid0(VALU_DEP_1)
	v_add_co_ci_u32_e64 v6, s3, s9, v6, s3
	global_store_b32 v[5:6], v75, off
.LBB130_36:
	s_or_b32 exec_lo, exec_lo, s4
	v_add3_u32 v5, v1, s11, 24
	s_delay_alu instid0(VALU_DEP_1) | instskip(NEXT) | instid1(VALU_DEP_1)
	v_cmp_gt_u32_e64 s3, s6, v5
	s_and_b32 exec_lo, exec_lo, s3
	s_cbranch_execz .LBB130_66
; %bb.37:
	v_mul_lo_u32 v5, v5, s10
	s_and_saveexec_b32 s4, vcc_lo
	s_cbranch_execnz .LBB130_73
; %bb.38:
	s_or_b32 exec_lo, exec_lo, s4
	s_and_saveexec_b32 s4, s0
	s_cbranch_execnz .LBB130_74
.LBB130_39:
	s_or_b32 exec_lo, exec_lo, s4
	s_and_saveexec_b32 s4, s1
	s_cbranch_execnz .LBB130_75
.LBB130_40:
	s_or_b32 exec_lo, exec_lo, s4
	s_and_saveexec_b32 s4, s2
	s_cbranch_execz .LBB130_42
.LBB130_41:
	v_dual_mov_b32 v6, 0 :: v_dual_add_nc_u32 v5, v5, v4
	s_delay_alu instid0(VALU_DEP_1) | instskip(SKIP_1) | instid1(VALU_DEP_1)
	v_lshlrev_b64 v[5:6], 2, v[5:6]
	s_waitcnt lgkmcnt(0)
	v_add_co_u32 v5, s3, s8, v5
	s_delay_alu instid0(VALU_DEP_1)
	v_add_co_ci_u32_e64 v6, s3, s9, v6, s3
	global_store_b32 v[5:6], v45, off
.LBB130_42:
	s_or_b32 exec_lo, exec_lo, s4
	v_add3_u32 v5, v1, s11, 32
	s_delay_alu instid0(VALU_DEP_1) | instskip(NEXT) | instid1(VALU_DEP_1)
	v_cmp_gt_u32_e64 s3, s6, v5
	s_and_b32 exec_lo, exec_lo, s3
	s_cbranch_execz .LBB130_66
; %bb.43:
	v_mul_lo_u32 v5, v5, s10
	s_and_saveexec_b32 s4, vcc_lo
	s_cbranch_execnz .LBB130_76
; %bb.44:
	s_or_b32 exec_lo, exec_lo, s4
	s_and_saveexec_b32 s4, s0
	s_cbranch_execnz .LBB130_77
.LBB130_45:
	s_or_b32 exec_lo, exec_lo, s4
	s_and_saveexec_b32 s4, s1
	s_cbranch_execnz .LBB130_78
.LBB130_46:
	s_or_b32 exec_lo, exec_lo, s4
	s_and_saveexec_b32 s4, s2
	s_cbranch_execz .LBB130_48
.LBB130_47:
	v_dual_mov_b32 v6, 0 :: v_dual_add_nc_u32 v5, v5, v4
	s_delay_alu instid0(VALU_DEP_1) | instskip(SKIP_1) | instid1(VALU_DEP_1)
	v_lshlrev_b64 v[5:6], 2, v[5:6]
	s_waitcnt lgkmcnt(0)
	v_add_co_u32 v5, s3, s8, v5
	s_delay_alu instid0(VALU_DEP_1)
	v_add_co_ci_u32_e64 v6, s3, s9, v6, s3
	global_store_b32 v[5:6], v128, off
.LBB130_48:
	s_or_b32 exec_lo, exec_lo, s4
	v_add3_u32 v5, v1, s11, 40
	s_delay_alu instid0(VALU_DEP_1) | instskip(NEXT) | instid1(VALU_DEP_1)
	v_cmp_gt_u32_e64 s3, s6, v5
	s_and_b32 exec_lo, exec_lo, s3
	s_cbranch_execz .LBB130_66
; %bb.49:
	v_mul_lo_u32 v5, v5, s10
	s_and_saveexec_b32 s4, vcc_lo
	s_cbranch_execnz .LBB130_79
; %bb.50:
	s_or_b32 exec_lo, exec_lo, s4
	s_and_saveexec_b32 s4, s0
	s_cbranch_execnz .LBB130_80
.LBB130_51:
	s_or_b32 exec_lo, exec_lo, s4
	s_and_saveexec_b32 s4, s1
	s_cbranch_execnz .LBB130_81
.LBB130_52:
	s_or_b32 exec_lo, exec_lo, s4
	s_and_saveexec_b32 s4, s2
	s_cbranch_execz .LBB130_54
.LBB130_53:
	v_dual_mov_b32 v6, 0 :: v_dual_add_nc_u32 v5, v5, v4
	s_delay_alu instid0(VALU_DEP_1) | instskip(SKIP_1) | instid1(VALU_DEP_1)
	v_lshlrev_b64 v[5:6], 2, v[5:6]
	s_waitcnt lgkmcnt(0)
	v_add_co_u32 v5, s3, s8, v5
	s_delay_alu instid0(VALU_DEP_1)
	v_add_co_ci_u32_e64 v6, s3, s9, v6, s3
	global_store_b32 v[5:6], v121, off
.LBB130_54:
	s_or_b32 exec_lo, exec_lo, s4
	v_add3_u32 v5, v1, s11, 48
	s_delay_alu instid0(VALU_DEP_1) | instskip(NEXT) | instid1(VALU_DEP_1)
	v_cmp_gt_u32_e64 s3, s6, v5
	s_and_b32 exec_lo, exec_lo, s3
	s_cbranch_execz .LBB130_66
; %bb.55:
	v_mul_lo_u32 v5, v5, s10
	s_and_saveexec_b32 s4, vcc_lo
	s_cbranch_execnz .LBB130_82
; %bb.56:
	s_or_b32 exec_lo, exec_lo, s4
	s_and_saveexec_b32 s4, s0
	s_cbranch_execnz .LBB130_83
.LBB130_57:
	s_or_b32 exec_lo, exec_lo, s4
	s_and_saveexec_b32 s4, s1
	s_cbranch_execnz .LBB130_84
.LBB130_58:
	s_or_b32 exec_lo, exec_lo, s4
	s_and_saveexec_b32 s4, s2
	s_cbranch_execz .LBB130_60
.LBB130_59:
	v_dual_mov_b32 v6, 0 :: v_dual_add_nc_u32 v5, v5, v4
	s_delay_alu instid0(VALU_DEP_1) | instskip(SKIP_1) | instid1(VALU_DEP_1)
	v_lshlrev_b64 v[5:6], 2, v[5:6]
	s_waitcnt lgkmcnt(0)
	v_add_co_u32 v5, s3, s8, v5
	s_delay_alu instid0(VALU_DEP_1)
	v_add_co_ci_u32_e64 v6, s3, s9, v6, s3
	global_store_b32 v[5:6], v117, off
.LBB130_60:
	s_or_b32 exec_lo, exec_lo, s4
	v_add3_u32 v1, v1, s11, 56
	s_delay_alu instid0(VALU_DEP_1) | instskip(NEXT) | instid1(VALU_DEP_1)
	v_cmp_gt_u32_e64 s3, s6, v1
	s_and_b32 exec_lo, exec_lo, s3
	s_cbranch_execz .LBB130_66
; %bb.61:
	v_mul_lo_u32 v1, v1, s10
	s_and_saveexec_b32 s3, vcc_lo
	s_cbranch_execnz .LBB130_85
; %bb.62:
	s_or_b32 exec_lo, exec_lo, s3
	s_and_saveexec_b32 s3, s0
	s_cbranch_execnz .LBB130_86
.LBB130_63:
	s_or_b32 exec_lo, exec_lo, s3
	s_and_saveexec_b32 s0, s1
	s_cbranch_execnz .LBB130_87
.LBB130_64:
	s_or_b32 exec_lo, exec_lo, s0
	s_delay_alu instid0(SALU_CYCLE_1)
	s_and_b32 exec_lo, exec_lo, s2
	s_cbranch_execz .LBB130_66
.LBB130_65:
	v_dual_mov_b32 v1, 0 :: v_dual_add_nc_u32 v0, v1, v4
	s_delay_alu instid0(VALU_DEP_1) | instskip(SKIP_1) | instid1(VALU_DEP_1)
	v_lshlrev_b64 v[0:1], 2, v[0:1]
	s_waitcnt lgkmcnt(0)
	v_add_co_u32 v0, vcc_lo, s8, v0
	s_delay_alu instid0(VALU_DEP_2)
	v_add_co_ci_u32_e32 v1, vcc_lo, s9, v1, vcc_lo
	global_store_b32 v[0:1], v107, off
.LBB130_66:
	s_endpgm
.LBB130_67:
	s_delay_alu instid0(VALU_DEP_1) | instskip(NEXT) | instid1(VALU_DEP_1)
	v_dual_mov_b32 v7, 0 :: v_dual_add_nc_u32 v6, v5, v0
	v_lshlrev_b64 v[6:7], 2, v[6:7]
	s_waitcnt lgkmcnt(0)
	s_delay_alu instid0(VALU_DEP_1) | instskip(NEXT) | instid1(VALU_DEP_1)
	v_add_co_u32 v6, s3, s8, v6
	v_add_co_ci_u32_e64 v7, s3, s9, v7, s3
	global_store_b32 v[6:7], v88, off
	s_or_b32 exec_lo, exec_lo, s4
	s_and_saveexec_b32 s4, s0
	s_cbranch_execz .LBB130_27
.LBB130_68:
	s_delay_alu instid0(VALU_DEP_1) | instskip(NEXT) | instid1(VALU_DEP_1)
	v_dual_mov_b32 v7, 0 :: v_dual_add_nc_u32 v6, v5, v2
	v_lshlrev_b64 v[6:7], 2, v[6:7]
	s_waitcnt lgkmcnt(0)
	s_delay_alu instid0(VALU_DEP_1) | instskip(NEXT) | instid1(VALU_DEP_1)
	v_add_co_u32 v6, s3, s8, v6
	v_add_co_ci_u32_e64 v7, s3, s9, v7, s3
	global_store_b32 v[6:7], v87, off
	s_or_b32 exec_lo, exec_lo, s4
	s_and_saveexec_b32 s4, s1
	s_cbranch_execz .LBB130_28
.LBB130_69:
	v_dual_mov_b32 v7, 0 :: v_dual_add_nc_u32 v6, v5, v3
	s_delay_alu instid0(VALU_DEP_1) | instskip(SKIP_1) | instid1(VALU_DEP_1)
	v_lshlrev_b64 v[6:7], 2, v[6:7]
	s_waitcnt lgkmcnt(0)
	v_add_co_u32 v6, s3, s8, v6
	s_delay_alu instid0(VALU_DEP_1)
	v_add_co_ci_u32_e64 v7, s3, s9, v7, s3
	global_store_b32 v[6:7], v29, off
	s_or_b32 exec_lo, exec_lo, s4
	s_and_saveexec_b32 s4, s2
	s_cbranch_execnz .LBB130_29
	s_branch .LBB130_30
.LBB130_70:
	s_delay_alu instid0(VALU_DEP_1) | instskip(NEXT) | instid1(VALU_DEP_1)
	v_dual_mov_b32 v7, 0 :: v_dual_add_nc_u32 v6, v5, v0
	v_lshlrev_b64 v[6:7], 2, v[6:7]
	s_waitcnt lgkmcnt(0)
	s_delay_alu instid0(VALU_DEP_1) | instskip(NEXT) | instid1(VALU_DEP_1)
	v_add_co_u32 v6, s3, s8, v6
	v_add_co_ci_u32_e64 v7, s3, s9, v7, s3
	global_store_b32 v[6:7], v83, off
	s_or_b32 exec_lo, exec_lo, s4
	s_and_saveexec_b32 s4, s0
	s_cbranch_execz .LBB130_33
.LBB130_71:
	s_delay_alu instid0(VALU_DEP_1) | instskip(NEXT) | instid1(VALU_DEP_1)
	v_dual_mov_b32 v7, 0 :: v_dual_add_nc_u32 v6, v5, v2
	v_lshlrev_b64 v[6:7], 2, v[6:7]
	s_waitcnt lgkmcnt(0)
	s_delay_alu instid0(VALU_DEP_1) | instskip(NEXT) | instid1(VALU_DEP_1)
	v_add_co_u32 v6, s3, s8, v6
	v_add_co_ci_u32_e64 v7, s3, s9, v7, s3
	global_store_b32 v[6:7], v82, off
	s_or_b32 exec_lo, exec_lo, s4
	s_and_saveexec_b32 s4, s1
	s_cbranch_execz .LBB130_34
.LBB130_72:
	v_dual_mov_b32 v7, 0 :: v_dual_add_nc_u32 v6, v5, v3
	s_delay_alu instid0(VALU_DEP_1) | instskip(SKIP_1) | instid1(VALU_DEP_1)
	v_lshlrev_b64 v[6:7], 2, v[6:7]
	s_waitcnt lgkmcnt(0)
	v_add_co_u32 v6, s3, s8, v6
	s_delay_alu instid0(VALU_DEP_1)
	v_add_co_ci_u32_e64 v7, s3, s9, v7, s3
	global_store_b32 v[6:7], v77, off
	s_or_b32 exec_lo, exec_lo, s4
	s_and_saveexec_b32 s4, s2
	s_cbranch_execnz .LBB130_35
	s_branch .LBB130_36
.LBB130_73:
	s_delay_alu instid0(VALU_DEP_1) | instskip(NEXT) | instid1(VALU_DEP_1)
	v_dual_mov_b32 v7, 0 :: v_dual_add_nc_u32 v6, v5, v0
	v_lshlrev_b64 v[6:7], 2, v[6:7]
	s_waitcnt lgkmcnt(0)
	s_delay_alu instid0(VALU_DEP_1) | instskip(NEXT) | instid1(VALU_DEP_1)
	v_add_co_u32 v6, s3, s8, v6
	v_add_co_ci_u32_e64 v7, s3, s9, v7, s3
	global_store_b32 v[6:7], v67, off
	s_or_b32 exec_lo, exec_lo, s4
	s_and_saveexec_b32 s4, s0
	s_cbranch_execz .LBB130_39
.LBB130_74:
	s_delay_alu instid0(VALU_DEP_1) | instskip(NEXT) | instid1(VALU_DEP_1)
	v_dual_mov_b32 v7, 0 :: v_dual_add_nc_u32 v6, v5, v2
	v_lshlrev_b64 v[6:7], 2, v[6:7]
	s_waitcnt lgkmcnt(0)
	s_delay_alu instid0(VALU_DEP_1) | instskip(NEXT) | instid1(VALU_DEP_1)
	v_add_co_u32 v6, s3, s8, v6
	v_add_co_ci_u32_e64 v7, s3, s9, v7, s3
	global_store_b32 v[6:7], v66, off
	s_or_b32 exec_lo, exec_lo, s4
	s_and_saveexec_b32 s4, s1
	s_cbranch_execz .LBB130_40
.LBB130_75:
	v_dual_mov_b32 v7, 0 :: v_dual_add_nc_u32 v6, v5, v3
	s_delay_alu instid0(VALU_DEP_1) | instskip(SKIP_1) | instid1(VALU_DEP_1)
	v_lshlrev_b64 v[6:7], 2, v[6:7]
	s_waitcnt lgkmcnt(0)
	v_add_co_u32 v6, s3, s8, v6
	s_delay_alu instid0(VALU_DEP_1)
	v_add_co_ci_u32_e64 v7, s3, s9, v7, s3
	global_store_b32 v[6:7], v46, off
	s_or_b32 exec_lo, exec_lo, s4
	s_and_saveexec_b32 s4, s2
	s_cbranch_execnz .LBB130_41
	s_branch .LBB130_42
.LBB130_76:
	s_delay_alu instid0(VALU_DEP_1) | instskip(NEXT) | instid1(VALU_DEP_1)
	v_dual_mov_b32 v7, 0 :: v_dual_add_nc_u32 v6, v5, v0
	v_lshlrev_b64 v[6:7], 2, v[6:7]
	s_waitcnt lgkmcnt(0)
	s_delay_alu instid0(VALU_DEP_1) | instskip(NEXT) | instid1(VALU_DEP_1)
	v_add_co_u32 v6, s3, s8, v6
	v_add_co_ci_u32_e64 v7, s3, s9, v7, s3
	global_store_b32 v[6:7], v193, off
	s_or_b32 exec_lo, exec_lo, s4
	s_and_saveexec_b32 s4, s0
	s_cbranch_execz .LBB130_45
.LBB130_77:
	s_delay_alu instid0(VALU_DEP_1) | instskip(NEXT) | instid1(VALU_DEP_1)
	v_dual_mov_b32 v7, 0 :: v_dual_add_nc_u32 v6, v5, v2
	v_lshlrev_b64 v[6:7], 2, v[6:7]
	s_waitcnt lgkmcnt(0)
	s_delay_alu instid0(VALU_DEP_1) | instskip(NEXT) | instid1(VALU_DEP_1)
	v_add_co_u32 v6, s3, s8, v6
	v_add_co_ci_u32_e64 v7, s3, s9, v7, s3
	global_store_b32 v[6:7], v136, off
	s_or_b32 exec_lo, exec_lo, s4
	s_and_saveexec_b32 s4, s1
	s_cbranch_execz .LBB130_46
.LBB130_78:
	v_dual_mov_b32 v7, 0 :: v_dual_add_nc_u32 v6, v5, v3
	s_delay_alu instid0(VALU_DEP_1) | instskip(SKIP_1) | instid1(VALU_DEP_1)
	v_lshlrev_b64 v[6:7], 2, v[6:7]
	s_waitcnt lgkmcnt(0)
	v_add_co_u32 v6, s3, s8, v6
	s_delay_alu instid0(VALU_DEP_1)
	v_add_co_ci_u32_e64 v7, s3, s9, v7, s3
	global_store_b32 v[6:7], v132, off
	s_or_b32 exec_lo, exec_lo, s4
	s_and_saveexec_b32 s4, s2
	s_cbranch_execnz .LBB130_47
	s_branch .LBB130_48
.LBB130_79:
	s_delay_alu instid0(VALU_DEP_1) | instskip(NEXT) | instid1(VALU_DEP_1)
	v_dual_mov_b32 v7, 0 :: v_dual_add_nc_u32 v6, v5, v0
	v_lshlrev_b64 v[6:7], 2, v[6:7]
	s_waitcnt lgkmcnt(0)
	s_delay_alu instid0(VALU_DEP_1) | instskip(NEXT) | instid1(VALU_DEP_1)
	v_add_co_u32 v6, s3, s8, v6
	v_add_co_ci_u32_e64 v7, s3, s9, v7, s3
	global_store_b32 v[6:7], v124, off
	s_or_b32 exec_lo, exec_lo, s4
	s_and_saveexec_b32 s4, s0
	s_cbranch_execz .LBB130_51
.LBB130_80:
	s_delay_alu instid0(VALU_DEP_1) | instskip(NEXT) | instid1(VALU_DEP_1)
	v_dual_mov_b32 v7, 0 :: v_dual_add_nc_u32 v6, v5, v2
	v_lshlrev_b64 v[6:7], 2, v[6:7]
	s_waitcnt lgkmcnt(0)
	s_delay_alu instid0(VALU_DEP_1) | instskip(NEXT) | instid1(VALU_DEP_1)
	v_add_co_u32 v6, s3, s8, v6
	v_add_co_ci_u32_e64 v7, s3, s9, v7, s3
	global_store_b32 v[6:7], v123, off
	s_or_b32 exec_lo, exec_lo, s4
	s_and_saveexec_b32 s4, s1
	s_cbranch_execz .LBB130_52
.LBB130_81:
	v_dual_mov_b32 v7, 0 :: v_dual_add_nc_u32 v6, v5, v3
	s_delay_alu instid0(VALU_DEP_1) | instskip(SKIP_1) | instid1(VALU_DEP_1)
	v_lshlrev_b64 v[6:7], 2, v[6:7]
	s_waitcnt lgkmcnt(0)
	v_add_co_u32 v6, s3, s8, v6
	s_delay_alu instid0(VALU_DEP_1)
	v_add_co_ci_u32_e64 v7, s3, s9, v7, s3
	global_store_b32 v[6:7], v122, off
	s_or_b32 exec_lo, exec_lo, s4
	s_and_saveexec_b32 s4, s2
	s_cbranch_execnz .LBB130_53
	s_branch .LBB130_54
.LBB130_82:
	s_delay_alu instid0(VALU_DEP_1) | instskip(NEXT) | instid1(VALU_DEP_1)
	v_dual_mov_b32 v7, 0 :: v_dual_add_nc_u32 v6, v5, v0
	v_lshlrev_b64 v[6:7], 2, v[6:7]
	s_waitcnt lgkmcnt(0)
	s_delay_alu instid0(VALU_DEP_1) | instskip(NEXT) | instid1(VALU_DEP_1)
	v_add_co_u32 v6, s3, s8, v6
	v_add_co_ci_u32_e64 v7, s3, s9, v7, s3
	global_store_b32 v[6:7], v120, off
	s_or_b32 exec_lo, exec_lo, s4
	s_and_saveexec_b32 s4, s0
	s_cbranch_execz .LBB130_57
.LBB130_83:
	s_delay_alu instid0(VALU_DEP_1) | instskip(NEXT) | instid1(VALU_DEP_1)
	v_dual_mov_b32 v7, 0 :: v_dual_add_nc_u32 v6, v5, v2
	v_lshlrev_b64 v[6:7], 2, v[6:7]
	s_waitcnt lgkmcnt(0)
	s_delay_alu instid0(VALU_DEP_1) | instskip(NEXT) | instid1(VALU_DEP_1)
	v_add_co_u32 v6, s3, s8, v6
	v_add_co_ci_u32_e64 v7, s3, s9, v7, s3
	global_store_b32 v[6:7], v119, off
	s_or_b32 exec_lo, exec_lo, s4
	s_and_saveexec_b32 s4, s1
	s_cbranch_execz .LBB130_58
.LBB130_84:
	v_dual_mov_b32 v7, 0 :: v_dual_add_nc_u32 v6, v5, v3
	s_delay_alu instid0(VALU_DEP_1) | instskip(SKIP_1) | instid1(VALU_DEP_1)
	v_lshlrev_b64 v[6:7], 2, v[6:7]
	s_waitcnt lgkmcnt(0)
	v_add_co_u32 v6, s3, s8, v6
	s_delay_alu instid0(VALU_DEP_1)
	v_add_co_ci_u32_e64 v7, s3, s9, v7, s3
	global_store_b32 v[6:7], v118, off
	s_or_b32 exec_lo, exec_lo, s4
	s_and_saveexec_b32 s4, s2
	s_cbranch_execnz .LBB130_59
	s_branch .LBB130_60
.LBB130_85:
	s_delay_alu instid0(VALU_DEP_1) | instskip(NEXT) | instid1(VALU_DEP_1)
	v_dual_mov_b32 v6, 0 :: v_dual_add_nc_u32 v5, v1, v0
	v_lshlrev_b64 v[5:6], 2, v[5:6]
	s_waitcnt lgkmcnt(0)
	s_delay_alu instid0(VALU_DEP_1) | instskip(NEXT) | instid1(VALU_DEP_2)
	v_add_co_u32 v5, vcc_lo, s8, v5
	v_add_co_ci_u32_e32 v6, vcc_lo, s9, v6, vcc_lo
	global_store_b32 v[5:6], v114, off
	s_or_b32 exec_lo, exec_lo, s3
	s_and_saveexec_b32 s3, s0
	s_cbranch_execz .LBB130_63
.LBB130_86:
	s_delay_alu instid0(VALU_DEP_1) | instskip(NEXT) | instid1(VALU_DEP_1)
	v_dual_mov_b32 v6, 0 :: v_dual_add_nc_u32 v5, v1, v2
	v_lshlrev_b64 v[5:6], 2, v[5:6]
	s_waitcnt lgkmcnt(0)
	s_delay_alu instid0(VALU_DEP_1) | instskip(NEXT) | instid1(VALU_DEP_2)
	v_add_co_u32 v5, vcc_lo, s8, v5
	v_add_co_ci_u32_e32 v6, vcc_lo, s9, v6, vcc_lo
	global_store_b32 v[5:6], v31, off
	s_or_b32 exec_lo, exec_lo, s3
	s_and_saveexec_b32 s0, s1
	s_cbranch_execz .LBB130_64
.LBB130_87:
	v_dual_mov_b32 v3, 0 :: v_dual_add_nc_u32 v2, v1, v3
	s_delay_alu instid0(VALU_DEP_1) | instskip(SKIP_1) | instid1(VALU_DEP_1)
	v_lshlrev_b64 v[2:3], 2, v[2:3]
	s_waitcnt lgkmcnt(0)
	v_add_co_u32 v2, vcc_lo, s8, v2
	s_delay_alu instid0(VALU_DEP_2) | instskip(SKIP_2) | instid1(SALU_CYCLE_1)
	v_add_co_ci_u32_e32 v3, vcc_lo, s9, v3, vcc_lo
	global_store_b32 v[2:3], v112, off
	s_or_b32 exec_lo, exec_lo, s0
	s_and_b32 exec_lo, exec_lo, s2
	s_cbranch_execnz .LBB130_65
	s_branch .LBB130_66
	.section	.rodata,"a",@progbits
	.p2align	6, 0x0
	.amdhsa_kernel _ZL12mul_mat_q3_KIfLb1EEvPKvS1_PT_iiiii
		.amdhsa_group_segment_fixed_size 39840
		.amdhsa_private_segment_fixed_size 592
		.amdhsa_kernarg_size 44
		.amdhsa_user_sgpr_count 14
		.amdhsa_user_sgpr_dispatch_ptr 0
		.amdhsa_user_sgpr_queue_ptr 0
		.amdhsa_user_sgpr_kernarg_segment_ptr 1
		.amdhsa_user_sgpr_dispatch_id 0
		.amdhsa_user_sgpr_private_segment_size 0
		.amdhsa_wavefront_size32 1
		.amdhsa_uses_dynamic_stack 0
		.amdhsa_enable_private_segment 1
		.amdhsa_system_sgpr_workgroup_id_x 1
		.amdhsa_system_sgpr_workgroup_id_y 1
		.amdhsa_system_sgpr_workgroup_id_z 0
		.amdhsa_system_sgpr_workgroup_info 0
		.amdhsa_system_vgpr_workitem_id 1
		.amdhsa_next_free_vgpr 256
		.amdhsa_next_free_sgpr 23
		.amdhsa_reserve_vcc 1
		.amdhsa_float_round_mode_32 0
		.amdhsa_float_round_mode_16_64 0
		.amdhsa_float_denorm_mode_32 3
		.amdhsa_float_denorm_mode_16_64 3
		.amdhsa_dx10_clamp 1
		.amdhsa_ieee_mode 1
		.amdhsa_fp16_overflow 0
		.amdhsa_workgroup_processor_mode 1
		.amdhsa_memory_ordered 1
		.amdhsa_forward_progress 0
		.amdhsa_shared_vgpr_count 0
		.amdhsa_exception_fp_ieee_invalid_op 0
		.amdhsa_exception_fp_denorm_src 0
		.amdhsa_exception_fp_ieee_div_zero 0
		.amdhsa_exception_fp_ieee_overflow 0
		.amdhsa_exception_fp_ieee_underflow 0
		.amdhsa_exception_fp_ieee_inexact 0
		.amdhsa_exception_int_div_zero 0
	.end_amdhsa_kernel
	.section	.text._ZL12mul_mat_q3_KIfLb1EEvPKvS1_PT_iiiii,"axG",@progbits,_ZL12mul_mat_q3_KIfLb1EEvPKvS1_PT_iiiii,comdat
.Lfunc_end130:
	.size	_ZL12mul_mat_q3_KIfLb1EEvPKvS1_PT_iiiii, .Lfunc_end130-_ZL12mul_mat_q3_KIfLb1EEvPKvS1_PT_iiiii
                                        ; -- End function
	.section	.AMDGPU.csdata,"",@progbits
; Kernel info:
; codeLenInByte = 33732
; NumSgprs: 25
; NumVgprs: 256
; ScratchSize: 592
; MemoryBound: 0
; FloatMode: 240
; IeeeMode: 1
; LDSByteSize: 39840 bytes/workgroup (compile time only)
; SGPRBlocks: 3
; VGPRBlocks: 31
; NumSGPRsForWavesPerEU: 25
; NumVGPRsForWavesPerEU: 256
; Occupancy: 5
; WaveLimiterHint : 0
; COMPUTE_PGM_RSRC2:SCRATCH_EN: 1
; COMPUTE_PGM_RSRC2:USER_SGPR: 14
; COMPUTE_PGM_RSRC2:TRAP_HANDLER: 0
; COMPUTE_PGM_RSRC2:TGID_X_EN: 1
; COMPUTE_PGM_RSRC2:TGID_Y_EN: 1
; COMPUTE_PGM_RSRC2:TGID_Z_EN: 0
; COMPUTE_PGM_RSRC2:TIDIG_COMP_CNT: 1
	.section	.text._ZL12mul_mat_q4_KIfLb0EEvPKvS1_PT_iiiii,"axG",@progbits,_ZL12mul_mat_q4_KIfLb0EEvPKvS1_PT_iiiii,comdat
	.globl	_ZL12mul_mat_q4_KIfLb0EEvPKvS1_PT_iiiii ; -- Begin function _ZL12mul_mat_q4_KIfLb0EEvPKvS1_PT_iiiii
	.p2align	8
	.type	_ZL12mul_mat_q4_KIfLb0EEvPKvS1_PT_iiiii,@function
_ZL12mul_mat_q4_KIfLb0EEvPKvS1_PT_iiiii: ; @_ZL12mul_mat_q4_KIfLb0EEvPKvS1_PT_iiiii
; %bb.0:
	s_clause 0x1
	s_load_b32 s11, s[0:1], 0x18
	s_load_b128 s[4:7], s[0:1], 0x20
	v_bfe_u32 v28, v0, 10, 10
	v_and_b32_e32 v1, 0x3ff, v0
	s_waitcnt lgkmcnt(0)
	s_lshl_b32 s7, s15, 6
	scratch_store_b32 off, v1, off offset:1284 ; 4-byte Folded Spill
	s_cmpk_gt_i32 s11, 0xff
	s_cbranch_scc1 .LBB131_2
; %bb.1:
	v_bfe_u32 v1, v0, 10, 10
	v_and_b32_e32 v0, 0x3ff, v0
	s_mov_b32 s2, 0
	s_mov_b32 s3, 0
	s_delay_alu instid0(VALU_DEP_2)
	v_add_nc_u32_e32 v2, s7, v1
	s_branch .LBB131_3
.LBB131_2:
	s_mov_b32 s2, -1
                                        ; implicit-def: $sgpr3
                                        ; implicit-def: $vgpr1
                                        ; implicit-def: $vgpr0
                                        ; implicit-def: $vgpr2
.LBB131_3:
	s_load_b64 s[8:9], s[0:1], 0x10
	v_dual_mov_b32 v30, s3 :: v_dual_mov_b32 v77, s3
	v_dual_mov_b32 v9, s3 :: v_dual_mov_b32 v10, s3
	;; [unrolled: 1-line block ×5, first 2 shown]
	s_and_not1_b32 vcc_lo, exec_lo, s2
	s_lshl_b32 s10, s14, 7
	s_clause 0x15
	scratch_store_b32 off, v30, off offset:1148
	scratch_store_b32 off, v30, off offset:1132
	;; [unrolled: 1-line block ×22, first 2 shown]
	s_cbranch_vccnz .LBB131_11
; %bb.4:
	scratch_load_b32 v29, off, off offset:1284 ; 4-byte Folded Reload
	s_load_b128 s[0:3], s[0:1], 0x0
	s_ashr_i32 s12, s11, 31
	s_ashr_i32 s13, s5, 31
	s_lshr_b32 s12, s12, 24
	s_lshr_b32 s13, s13, 27
	s_add_i32 s11, s11, s12
	s_add_i32 s12, s5, s13
	s_ashr_i32 s5, s11, 8
	s_ashr_i32 s13, s12, 5
	s_mul_i32 s11, s5, s10
	v_add_nc_u32_e32 v15, s7, v28
	s_mul_i32 s12, s11, 0x90
	s_mul_hi_i32 s14, s11, 0x90
	v_mul_i32_i24_e32 v32, s5, v28
	s_delay_alu instid0(VALU_DEP_2)
	v_dual_mov_b32 v71, 0 :: v_dual_add_nc_u32 v4, 8, v15
	v_add_nc_u32_e32 v10, 32, v15
	v_dual_mov_b32 v35, 0 :: v_dual_add_nc_u32 v12, 40, v15
	v_cvt_f64_u32_e32 v[0:1], v15
	s_waitcnt lgkmcnt(0)
	s_add_u32 s11, s0, s12
	s_addc_u32 s12, s1, s14
	s_lshl_b32 s0, s5, 3
	s_add_i32 s1, s4, -1
	v_mad_i32_i24 v7, s5, v28, s0
	v_cvt_f64_i32_e32 v[2:3], s1
	v_cvt_f64_u32_e32 v[4:5], v4
	v_dual_mov_b32 v77, 0 :: v_dual_add_nc_u32 v14, 48, v15
	s_delay_alu instid0(VALU_DEP_4)
	v_add_nc_u32_e32 v11, s0, v7
	scratch_store_b32 off, v7, off offset:1396 ; 4-byte Folded Spill
	v_add_nc_u32_e32 v17, 56, v15
	v_cvt_f64_u32_e32 v[12:13], v12
	v_dual_mov_b32 v33, 0 :: v_dual_lshlrev_b32 v20, 5, v28
	v_add_nc_u32_e32 v16, s0, v11
	scratch_store_b32 off, v11, off offset:1400 ; 4-byte Folded Spill
	v_cvt_f64_u32_e32 v[10:11], v10
	v_dual_mov_b32 v74, 0 :: v_dual_lshlrev_b32 v21, 3, v28
	v_add_nc_u32_e32 v18, s0, v16
	scratch_store_b32 off, v16, off offset:1404 ; 4-byte Folded Spill
	v_mov_b32_e32 v34, 0
	v_add_nc_u32_e32 v24, s0, v18
	scratch_store_b32 off, v18, off offset:1408 ; 4-byte Folded Spill
	v_cvt_f64_u32_e32 v[17:18], v17
	scratch_store_b32 off, v24, off offset:1412 ; 4-byte Folded Spill
	v_add_nc_u32_e32 v27, s0, v24
	v_min_f64 v[0:1], v[0:1], v[2:3]
	v_min_f64 v[4:5], v[4:5], v[2:3]
	;; [unrolled: 1-line block ×4, first 2 shown]
	s_delay_alu instid0(VALU_DEP_4) | instskip(NEXT) | instid1(VALU_DEP_4)
	v_cvt_i32_f64_e32 v0, v[0:1]
	v_cvt_i32_f64_e32 v4, v[4:5]
	s_delay_alu instid0(VALU_DEP_3) | instskip(SKIP_1) | instid1(VALU_DEP_4)
	v_cvt_i32_f64_e32 v10, v[10:11]
	v_cvt_i32_f64_e32 v11, v[12:13]
	v_mul_lo_u32 v0, s13, v0
	s_waitcnt vmcnt(0)
	v_lshlrev_b32_e32 v19, 2, v29
	v_and_b32_e32 v16, 3, v29
	v_lshrrev_b32_e32 v22, 2, v29
	v_lshrrev_b32_e32 v30, 5, v29
	v_lshlrev_b32_e32 v38, 4, v29
	v_and_b32_e32 v23, 0x7c, v19
	v_mad_u32_u24 v31, 0x84, v28, v19
	scratch_store_b32 off, v15, off offset:1580 ; 4-byte Folded Spill
	v_add_nc_u32_e32 v25, 0xfe, v16
	v_cmp_gt_u32_e32 vcc_lo, 2, v16
	s_clause 0x2
	scratch_store_b32 off, v23, off offset:1416
	scratch_store_b32 off, v32, off offset:1428
	;; [unrolled: 1-line block ×3, first 2 shown]
	v_add_nc_u32_e32 v32, 0x420, v31
	v_add_nc_u32_e32 v27, s0, v27
	;; [unrolled: 1-line block ×3, first 2 shown]
	v_and_b32_e32 v26, 4, v19
	v_add_nc_u32_e32 v8, 24, v15
	scratch_store_b32 off, v32, off offset:1436 ; 4-byte Folded Spill
	v_add_nc_u32_e32 v32, 0x840, v31
	v_cvt_f64_u32_e32 v[6:7], v6
	v_cvt_f64_u32_e32 v[14:15], v14
	;; [unrolled: 1-line block ×3, first 2 shown]
	v_add_nc_u32_e32 v23, v20, v29
	scratch_store_b32 off, v32, off offset:1440 ; 4-byte Folded Spill
	v_add_nc_u32_e32 v32, 0xc60, v31
	v_add_nc_u32_e32 v24, v22, v21
	v_add_nc_u16 v21, v22, v21
	v_lshlrev_b32_e32 v22, 2, v16
	scratch_store_b32 off, v32, off offset:1444 ; 4-byte Folded Spill
	v_add_nc_u32_e32 v32, 0x1080, v31
	s_clause 0x1
	scratch_store_b32 off, v32, off offset:1448
	scratch_store_b32 off, v27, off offset:1432
	v_add_nc_u32_e32 v32, 0x14a0, v31
	v_add_nc_u32_e32 v27, s0, v27
	v_lshrrev_b16 v5, 1, v21
	scratch_store_b32 off, v32, off offset:1456 ; 4-byte Folded Spill
	v_add_nc_u32_e32 v32, 0x18c0, v31
	v_and_b32_e32 v5, 60, v5
	scratch_store_b32 off, v32, off offset:1460 ; 4-byte Folded Spill
	v_add_nc_u32_e32 v32, 0x1ce0, v31
	scratch_store_b32 off, v32, off offset:1464 ; 4-byte Folded Spill
	v_add_nc_u32_e32 v32, 0x2100, v31
	s_clause 0x1
	scratch_store_b32 off, v32, off offset:1468
	scratch_store_b32 off, v27, off offset:1452
	v_add_nc_u32_e32 v32, 0x2520, v31
	v_add_nc_u32_e32 v27, s0, v27
	v_min_f64 v[6:7], v[6:7], v[2:3]
	v_min_f64 v[8:9], v[8:9], v[2:3]
	;; [unrolled: 1-line block ×3, first 2 shown]
	s_clause 0x1
	scratch_store_b32 off, v32, off offset:1476
	scratch_store_b32 off, v27, off offset:1472
	v_add_nc_u32_e32 v32, 0x2940, v31
	v_add_nc_u32_e32 v27, s0, v27
	v_min_f64 v[2:3], v[17:18], v[2:3]
	v_cndmask_b32_e32 v17, v25, v16, vcc_lo
	v_cmp_ne_u32_e32 vcc_lo, 0, v16
	s_clause 0x1
	scratch_store_b32 off, v32, off offset:1484
	scratch_store_b32 off, v27, off offset:1480
	v_add_nc_u32_e32 v32, 0x2d60, v31
	v_add_nc_u32_e32 v27, s0, v27
	v_and_b32_e32 v17, 0xff, v17
	scratch_store_b32 off, v32, off offset:1488 ; 4-byte Folded Spill
	v_add_nc_u32_e32 v32, 0x3180, v31
	v_lshlrev_b32_e32 v12, 1, v17
	scratch_store_b32 off, v32, off offset:1496 ; 4-byte Folded Spill
	v_add_nc_u32_e32 v32, 0x35a0, v31
	scratch_store_b32 off, v32, off offset:1500 ; 4-byte Folded Spill
	v_add_nc_u32_e32 v32, 0x39c0, v31
	s_clause 0x1
	scratch_store_b32 off, v32, off offset:1504
	scratch_store_b32 off, v27, off offset:1492
	v_add_nc_u32_e32 v32, s0, v27
	v_and_b32_e32 v27, 0x7f, v23
	v_lshrrev_b32_e32 v23, 3, v23
	scratch_store_b32 off, v31, off offset:1420 ; 4-byte Folded Spill
	v_add_nc_u32_e32 v31, 0x3de0, v31
	v_cvt_i32_f64_e32 v6, v[6:7]
	v_cvt_i32_f64_e32 v8, v[8:9]
	v_and_b32_e32 v18, 12, v23
	v_lshlrev_b32_e32 v23, 2, v27
	v_mul_i32_i24_e32 v27, s5, v27
	scratch_store_b32 off, v32, off offset:1508 ; 4-byte Folded Spill
	v_add_nc_u32_e32 v32, s0, v32
	scratch_store_b32 off, v31, off offset:1520 ; 4-byte Folded Spill
	v_add3_u32 v18, v23, v18, 0x6e40
	scratch_store_b32 off, v27, off offset:1524 ; 4-byte Folded Spill
	v_cvt_i32_f64_e32 v2, v[2:3]
	v_add_nc_u32_e32 v25, s0, v32
	s_clause 0x2
	scratch_store_b32 off, v32, off offset:1512
	scratch_store_b32 off, v18, off offset:1528
	;; [unrolled: 1-line block ×3, first 2 shown]
	v_add_nc_u32_e32 v18, s0, v25
	v_dual_mov_b32 v32, 0 :: v_dual_and_b32 v3, 28, v19
	v_mov_b32_e32 v31, 0
	scratch_store_b32 off, v18, off offset:1532 ; 4-byte Folded Spill
	v_add_co_ci_u32_e32 v18, vcc_lo, 0, v17, vcc_lo
	v_cmp_lt_u32_e32 vcc_lo, 1, v16
	v_cndmask_b32_e32 v23, 0, v26, vcc_lo
	v_cndmask_b32_e64 v1, 0, 1, vcc_lo
	scratch_store_b32 off, v23, off offset:1536 ; 4-byte Folded Spill
	v_and_b32_e32 v23, 0x7f, v24
	s_delay_alu instid0(VALU_DEP_1) | instskip(SKIP_2) | instid1(VALU_DEP_3)
	v_lshl_or_b32 v7, v23, 4, v22
	v_mul_i32_i24_e32 v13, s5, v23
	v_xor_b32_e32 v9, 64, v23
	v_add3_u32 v5, v7, v5, 0x6200
	scratch_store_b32 off, v13, off offset:1544 ; 4-byte Folded Spill
	v_add_co_u32 v13, s0, s2, v3
	v_lshl_or_b32 v7, v9, 4, v22
	scratch_store_b32 off, v5, off offset:1548 ; 4-byte Folded Spill
	v_cvt_i32_f64_e32 v5, v[14:15]
	v_add_co_ci_u32_e64 v14, null, s3, 0, s0
	v_mul_lo_u32 v2, s13, v2
	scratch_store_b64 off, v[13:14], off offset:1288 ; 8-byte Folded Spill
	v_mul_lo_u32 v5, s13, v5
	s_clause 0x1
	scratch_store_b32 off, v0, off offset:1300
	scratch_store_b32 off, v12, off offset:1540
	v_lshrrev_b32_e32 v12, 1, v9
	v_mul_i32_i24_e32 v9, s5, v9
	scratch_store_b32 off, v5, off offset:1348 ; 4-byte Folded Spill
	v_and_b32_e32 v12, 60, v12
	s_delay_alu instid0(VALU_DEP_1)
	v_add3_u32 v7, v7, v12, 0x6200
	scratch_store_b32 off, v9, off offset:1552 ; 4-byte Folded Spill
	v_and_b32_e32 v9, 63, v24
	scratch_store_b32 off, v7, off offset:1556 ; 4-byte Folded Spill
	v_and_b32_e32 v7, 31, v29
	v_or_b32_e32 v12, s7, v9
	v_lshl_or_b32 v9, v9, 4, v22
	s_delay_alu instid0(VALU_DEP_3) | instskip(NEXT) | instid1(VALU_DEP_3)
	v_or_b32_e32 v13, v20, v7
	v_min_i32_e32 v3, s1, v12
	v_lshlrev_b32_e32 v12, 7, v28
	s_delay_alu instid0(VALU_DEP_3) | instskip(NEXT) | instid1(VALU_DEP_3)
	v_lshl_add_u32 v0, v13, 2, 0x4200
	v_mad_u64_u32 v[14:15], null, v3, s13, v[16:17]
	s_delay_alu instid0(VALU_DEP_3) | instskip(SKIP_1) | instid1(VALU_DEP_2)
	v_lshl_or_b32 v3, v7, 2, v12
	v_add_nc_u32_e32 v7, 0x6a40, v9
	v_add_nc_u32_e32 v5, 0x5a00, v3
	s_clause 0x1
	scratch_store_b32 off, v7, off offset:1296
	scratch_store_b32 off, v0, off offset:1304
	v_mul_lo_u32 v0, s13, v4
	scratch_store_b64 off, v[14:15], off offset:1560 ; 8-byte Folded Spill
	v_add_nc_u32_e32 v4, 64, v29
	scratch_store_b32 off, v5, off offset:1352 ; 4-byte Folded Spill
	v_lshrrev_b32_e32 v7, 3, v4
	scratch_store_b32 off, v0, off offset:1308 ; 4-byte Folded Spill
	v_add_nc_u32_e32 v0, 0x4600, v3
	v_and_b32_e32 v7, 60, v7
	scratch_store_b32 off, v0, off offset:1312 ; 4-byte Folded Spill
	v_mul_lo_u32 v0, s13, v6
	v_add_nc_u32_e32 v6, 0x60, v29
	scratch_store_b32 off, v0, off offset:1316 ; 4-byte Folded Spill
	v_add_nc_u32_e32 v0, 0x4a00, v3
	scratch_store_b32 off, v0, off offset:1320 ; 4-byte Folded Spill
	v_mul_lo_u32 v0, s13, v8
	v_lshrrev_b32_e32 v8, 3, v6
	s_delay_alu instid0(VALU_DEP_1)
	v_and_b32_e32 v8, 60, v8
	scratch_store_b32 off, v0, off offset:1324 ; 4-byte Folded Spill
	v_add_nc_u32_e32 v0, 0x4e00, v3
	scratch_store_b32 off, v0, off offset:1328 ; 4-byte Folded Spill
	v_mul_lo_u32 v0, s13, v10
	scratch_store_b32 off, v0, off offset:1332 ; 4-byte Folded Spill
	v_add_nc_u32_e32 v0, 0x5200, v3
	scratch_store_b32 off, v0, off offset:1336 ; 4-byte Folded Spill
	v_mul_lo_u32 v0, s13, v11
	s_mov_b32 s13, 0
	scratch_store_b32 off, v0, off offset:1340 ; 4-byte Folded Spill
	v_add_nc_u32_e32 v0, 0x5600, v3
	v_add_nc_u32_e32 v3, 0x5e00, v3
	scratch_store_b32 off, v0, off offset:1344 ; 4-byte Folded Spill
	v_add_nc_u32_e32 v0, 32, v29
	s_clause 0x1
	scratch_store_b32 off, v2, off offset:1356
	scratch_store_b32 off, v30, off offset:1392
	v_lshlrev_b32_e32 v2, 2, v30
	v_mov_b32_e32 v30, 0
	v_lshrrev_b32_e32 v5, 3, v0
	v_lshrrev_b32_e32 v0, 1, v0
	s_delay_alu instid0(VALU_DEP_4)
	v_add3_u32 v2, v2, v19, 0x6e40
	scratch_store_b32 off, v3, off offset:1360 ; 4-byte Folded Spill
	v_lshrrev_b32_e32 v3, 1, v4
	v_and_b32_e32 v5, 60, v5
	v_and_b32_e32 v72, 0xfc, v0
	scratch_store_b32 off, v2, off offset:1364 ; 4-byte Folded Spill
	v_lshlrev_b32_e32 v0, 2, v18
	v_lshrrev_b32_e32 v4, 1, v29
	v_add3_u32 v2, v19, v5, 0x6e40
	v_and_b32_e32 v75, 0xfc, v3
	s_delay_alu instid0(VALU_DEP_3)
	v_and_b32_e32 v39, 0x7c, v4
	scratch_store_b32 off, v2, off offset:1368 ; 4-byte Folded Spill
	v_add3_u32 v2, v19, v7, 0x6e40
	scratch_store_b32 off, v2, off offset:1372 ; 4-byte Folded Spill
	v_add3_u32 v2, v19, v8, 0x6e40
	scratch_store_b32 off, v2, off offset:1376 ; 4-byte Folded Spill
	v_mul_u32_u24_e32 v2, 0x84, v29
	s_clause 0x2
	scratch_store_b32 off, v2, off offset:1380
	scratch_store_b32 off, v28, off offset:1576
	;; [unrolled: 1-line block ×3, first 2 shown]
	v_lshlrev_b32_e32 v0, 2, v1
	v_lshl_add_u32 v2, v28, 4, 0x6a40
	v_mov_b32_e32 v29, 0
	scratch_store_b32 off, v0, off offset:1572 ; 4-byte Folded Spill
	v_mov_b32_e32 v0, 0
	scratch_store_b32 off, v0, off offset:1112 ; 4-byte Folded Spill
	;; [unrolled: 2-line block ×13, first 2 shown]
	v_add_nc_u32_e32 v2, 0x4200, v12
	scratch_store_b32 off, v0, off offset:1092 ; 4-byte Folded Spill
	v_mov_b32_e32 v0, 0
	scratch_store_b32 off, v2, off offset:1388 ; 4-byte Folded Spill
	v_lshrrev_b32_e32 v2, 1, v6
	scratch_store_b32 off, v0, off offset:1104 ; 4-byte Folded Spill
	v_mov_b32_e32 v0, 0
	v_and_b32_e32 v2, 0xfc, v2
	scratch_store_b32 off, v0, off offset:1120 ; 4-byte Folded Spill
	v_mov_b32_e32 v0, 0
	scratch_store_b32 off, v0, off offset:1136 ; 4-byte Folded Spill
	v_mov_b32_e32 v0, 0
	;; [unrolled: 2-line block ×4, first 2 shown]
	s_clause 0x1
	scratch_store_b32 off, v2, off offset:1264
	scratch_store_b32 off, v0, off offset:1088
	v_mov_b32_e32 v0, 0
	scratch_store_b32 off, v0, off offset:1100 ; 4-byte Folded Spill
	v_mov_b32_e32 v0, 0
	scratch_store_b32 off, v0, off offset:1116 ; 4-byte Folded Spill
	;; [unrolled: 2-line block ×3, first 2 shown]
	v_mov_b32_e32 v0, 0
	s_clause 0x4
	scratch_store_b32 off, v0, off offset:1148
	scratch_store_b32 off, v38, off offset:1260
	;; [unrolled: 1-line block ×5, first 2 shown]
.LBB131_5:                              ; =>This Loop Header: Depth=1
                                        ;     Child Loop BB131_6 Depth 2
                                        ;       Child Loop BB131_7 Depth 3
	s_clause 0x7
	scratch_load_b32 v2, off, off offset:1392
	scratch_load_b32 v6, off, off offset:1396
	;; [unrolled: 1-line block ×8, first 2 shown]
	s_mul_i32 s0, s13, 0x90
	s_mul_hi_u32 s1, s13, 0x90
	s_add_u32 s0, s11, s0
	s_addc_u32 s1, s12, s1
	s_mov_b32 s14, -1
	s_mov_b32 s15, 0
	s_clause 0x1
	scratch_load_b32 v4, off, off offset:1428
	scratch_load_b32 v20, off, off offset:1544
	s_waitcnt vmcnt(9)
	v_mad_u64_u32 v[0:1], null, 0x90, v2, s[0:1]
	scratch_load_b32 v2, off, off offset:1416 ; 4-byte Folded Reload
	s_waitcnt vmcnt(0)
	v_add_co_u32 v0, vcc_lo, v0, v2
	v_add_co_ci_u32_e32 v1, vcc_lo, 0, v1, vcc_lo
	s_delay_alu instid0(VALU_DEP_2) | instskip(NEXT) | instid1(VALU_DEP_2)
	v_add_co_u32 v0, vcc_lo, v0, 16
	v_add_co_ci_u32_e32 v1, vcc_lo, 0, v1, vcc_lo
	s_delay_alu instid0(VALU_DEP_1)
	v_mad_u64_u32 v[2:3], null, 0x90, v4, v[0:1]
	v_mad_u64_u32 v[4:5], null, 0x90, v6, v[0:1]
	;; [unrolled: 1-line block ×9, first 2 shown]
	s_clause 0x7
	global_load_b32 v20, v[2:3], off
	global_load_b32 v21, v[4:5], off
	;; [unrolled: 1-line block ×8, first 2 shown]
	s_clause 0x5
	scratch_load_b32 v4, off, off offset:1452
	scratch_load_b32 v6, off, off offset:1472
	;; [unrolled: 1-line block ×6, first 2 shown]
	v_add_co_u32 v12, vcc_lo, v18, 4
	v_add_co_ci_u32_e32 v13, vcc_lo, 0, v19, vcc_lo
	s_waitcnt vmcnt(5)
	v_mad_u64_u32 v[2:3], null, 0x90, v4, v[0:1]
	s_waitcnt vmcnt(4)
	v_mad_u64_u32 v[4:5], null, 0x90, v6, v[0:1]
	;; [unrolled: 2-line block ×4, first 2 shown]
	v_add_co_u32 v10, vcc_lo, v12, v16
	v_add_co_ci_u32_e32 v11, vcc_lo, 0, v13, vcc_lo
	s_delay_alu instid0(VALU_DEP_4) | instskip(SKIP_3) | instid1(VALU_DEP_4)
	v_add_co_u32 v14, vcc_lo, v6, 4
	v_add_co_ci_u32_e32 v15, vcc_lo, 0, v7, vcc_lo
	v_add_co_u32 v6, vcc_lo, v12, v17
	v_add_co_ci_u32_e32 v7, vcc_lo, 0, v13, vcc_lo
	v_add_co_u32 v12, vcc_lo, v14, v16
	s_delay_alu instid0(VALU_DEP_4)
	v_add_co_ci_u32_e32 v13, vcc_lo, 0, v15, vcc_lo
	v_add_co_u32 v14, vcc_lo, v14, v17
	v_add_co_ci_u32_e32 v15, vcc_lo, 0, v15, vcc_lo
	s_clause 0x2
	global_load_b32 v18, v[10:11], off
	global_load_b32 v19, v[6:7], off
	;; [unrolled: 1-line block ×3, first 2 shown]
	scratch_load_b32 v10, off, off offset:1492 ; 4-byte Folded Reload
	global_load_b32 v28, v[14:15], off
	s_clause 0x3
	scratch_load_b32 v12, off, off offset:1508
	scratch_load_b32 v14, off, off offset:1512
	;; [unrolled: 1-line block ×4, first 2 shown]
	s_waitcnt vmcnt(5)
	v_mad_u64_u32 v[6:7], null, 0x90, v10, v[0:1]
	s_waitcnt vmcnt(3)
	v_mad_u64_u32 v[10:11], null, 0x90, v12, v[0:1]
	;; [unrolled: 2-line block ×5, first 2 shown]
	scratch_load_b32 v37, off, off offset:1524 ; 4-byte Folded Reload
	s_waitcnt vmcnt(0)
	v_mad_u64_u32 v[0:1], null, 0x90, v37, s[0:1]
	s_clause 0x8
	global_load_b32 v2, v[2:3], off
	global_load_b32 v3, v[4:5], off
	;; [unrolled: 1-line block ×9, first 2 shown]
	s_clause 0x3
	scratch_load_b32 v10, off, off offset:1536
	scratch_load_b64 v[11:12], off, off offset:1560
	scratch_load_b32 v13, off, off offset:1420
	scratch_load_b32 v12, off, off offset:1540
	s_lshl_b32 s0, s13, 3
	s_waitcnt vmcnt(3)
	v_ashrrev_i32_e32 v1, v10, v18
	s_waitcnt vmcnt(2)
	v_add_nc_u32_e32 v11, s0, v11
	s_waitcnt vmcnt(1)
	ds_store_b32 v13, v20
	scratch_load_b32 v13, off, off offset:1436 ; 4-byte Folded Reload
	v_ashrrev_i32_e32 v10, v10, v24
	v_and_b32_e32 v1, 0xf0f0f0f, v1
	scratch_store_b32 off, v11, off offset:1280 ; 4-byte Folded Spill
	s_waitcnt vmcnt(1)
	v_ashrrev_i32_e32 v11, v12, v19
	v_ashrrev_i32_e32 v12, v12, v28
	v_and_b32_e32 v10, 0xf0f0f0f, v10
	s_delay_alu instid0(VALU_DEP_3)
	v_and_or_b32 v1, 0x30303030, v11, v1
	s_waitcnt vmcnt(0)
	ds_store_b32 v13, v21
	scratch_load_b32 v13, off, off offset:1440 ; 4-byte Folded Reload
	s_waitcnt vmcnt(0)
	ds_store_b32 v13, v40
	scratch_load_b32 v13, off, off offset:1444 ; 4-byte Folded Reload
	;; [unrolled: 3-line block ×8, first 2 shown]
	s_waitcnt vmcnt(0)
	ds_store_b32 v2, v3
	s_clause 0x1
	scratch_load_b32 v2, off, off offset:1484
	scratch_load_b32 v3, off, off offset:1504
	s_waitcnt vmcnt(1)
	ds_store_b32 v2, v4
	scratch_load_b32 v2, off, off offset:1488 ; 4-byte Folded Reload
	s_waitcnt vmcnt(1)
	ds_store_b32 v3, v8
	scratch_load_b32 v3, off, off offset:1520 ; 4-byte Folded Reload
	;; [unrolled: 3-line block ×5, first 2 shown]
	s_waitcnt vmcnt(0)
	ds_store_b32 v2, v7
	ds_store_b32 v3, v0
	scratch_load_b32 v0, off, off offset:1548 ; 4-byte Folded Reload
	v_and_or_b32 v2, 0x30303030, v12, v10
	s_waitcnt vmcnt(0)
	ds_store_b32 v0, v1
	scratch_load_b32 v0, off, off offset:1556 ; 4-byte Folded Reload
	s_waitcnt vmcnt(0)
	ds_store_b32 v0, v2
.LBB131_6:                              ;   Parent Loop BB131_5 Depth=1
                                        ; =>  This Loop Header: Depth=2
                                        ;       Child Loop BB131_7 Depth 3
	s_clause 0x2
	scratch_store_b32 off, v35, off offset:1080
	scratch_store_b32 off, v34, off offset:1076
	;; [unrolled: 1-line block ×3, first 2 shown]
	s_clause 0x1
	scratch_load_b32 v0, off, off offset:1284
	scratch_load_b64 v[19:20], off, off offset:1288
	s_lshl_b32 s1, s15, 4
	s_xor_b32 s14, s14, -1
	s_mov_b32 s16, 0
	s_waitcnt vmcnt(1)
	v_lshl_add_u32 v0, s15, 5, v0
	s_delay_alu instid0(VALU_DEP_1) | instskip(NEXT) | instid1(VALU_DEP_1)
	v_lshrrev_b32_e32 v0, 3, v0
	v_add_nc_u32_e32 v12, s0, v0
	scratch_load_b32 v0, off, off offset:1300 ; 4-byte Folded Reload
	s_waitcnt vmcnt(0)
	v_add_nc_u32_e32 v2, v12, v0
	scratch_load_b32 v0, off, off offset:1308 ; 4-byte Folded Reload
	s_waitcnt vmcnt(0)
	;; [unrolled: 3-line block ×7, first 2 shown]
	v_add_nc_u32_e32 v14, v12, v0
	v_mad_i64_i32 v[0:1], null, v2, 36, v[19:20]
	v_mad_i64_i32 v[2:3], null, v4, 36, v[19:20]
	;; [unrolled: 1-line block ×6, first 2 shown]
	scratch_load_b32 v13, off, off offset:1356 ; 4-byte Folded Reload
	s_waitcnt vmcnt(0)
	v_add_nc_u32_e32 v16, v12, v13
	scratch_load_b32 v12, off, off offset:1280 ; 4-byte Folded Reload
	s_waitcnt vmcnt(0)
	v_lshl_add_u32 v18, s15, 2, v12
	v_mad_i64_i32 v[12:13], null, v14, 36, v[19:20]
	v_mad_i64_i32 v[14:15], null, v16, 36, v[19:20]
	s_delay_alu instid0(VALU_DEP_3)
	v_mad_u64_u32 v[16:17], null, v18, 36, s[2:3]
	s_clause 0x8
	global_load_b32 v0, v[0:1], off offset:4
	global_load_b32 v1, v[2:3], off offset:4
	global_load_b32 v2, v[4:5], off offset:4
	global_load_b32 v3, v[6:7], off offset:4
	global_load_b32 v4, v[8:9], off offset:4
	global_load_b32 v5, v[10:11], off offset:4
	global_load_b32 v6, v[12:13], off offset:4
	global_load_b32 v7, v[14:15], off offset:4
	global_load_b32 v8, v[16:17], off
	scratch_load_b32 v9, off, off offset:1304 ; 4-byte Folded Reload
	s_waitcnt vmcnt(0)
	ds_store_b32 v9, v0
	scratch_load_b32 v0, off, off offset:1312 ; 4-byte Folded Reload
	s_waitcnt vmcnt(0)
	ds_store_b32 v0, v1
	;; [unrolled: 3-line block ×9, first 2 shown]
	s_waitcnt lgkmcnt(0)
	s_waitcnt_vscnt null, 0x0
	s_barrier
	buffer_gl0_inv
	s_clause 0x6
	scratch_load_b32 v0, off, off offset:1364
	scratch_load_b32 v1, off, off offset:1368
	scratch_load_b32 v2, off, off offset:1372
	scratch_load_b32 v3, off, off offset:1376
	scratch_load_b32 v4, off, off offset:1380
	scratch_load_b32 v18, off, off offset:1384
	scratch_load_b32 v5, off, off offset:1388
	s_waitcnt vmcnt(6)
	ds_load_b32 v0, v0
	s_waitcnt vmcnt(5)
	ds_load_b32 v1, v1 offset:128
	s_waitcnt vmcnt(4)
	ds_load_b32 v2, v2 offset:256
	;; [unrolled: 2-line block ×3, first 2 shown]
	s_waitcnt vmcnt(2)
	v_lshl_add_u32 v17, s15, 6, v4
	s_add_i32 s15, s1, 16
	s_waitcnt lgkmcnt(3)
	v_cvt_f32_f16_e32 v4, v0
	v_lshrrev_b32_e32 v0, 16, v0
	s_delay_alu instid0(VALU_DEP_1)
	v_cvt_f32_f16_e32 v0, v0
	scratch_store_b32 off, v4, off offset:1232 ; 4-byte Folded Spill
	s_waitcnt lgkmcnt(2)
	v_cvt_f32_f16_e32 v4, v1
	v_lshrrev_b32_e32 v1, 16, v1
	scratch_store_b32 off, v0, off offset:1248 ; 4-byte Folded Spill
	v_cvt_f32_f16_e32 v0, v1
	scratch_store_b32 off, v4, off offset:1236 ; 4-byte Folded Spill
	s_waitcnt lgkmcnt(1)
	v_cvt_f32_f16_e32 v4, v2
	v_lshrrev_b32_e32 v2, 16, v2
	scratch_store_b32 off, v0, off offset:1252 ; 4-byte Folded Spill
	v_cvt_f32_f16_e32 v0, v2
	scratch_store_b32 off, v4, off offset:1240 ; 4-byte Folded Spill
	s_waitcnt lgkmcnt(0)
	v_lshrrev_b32_e32 v4, 16, v3
	v_cvt_f32_f16_e32 v3, v3
	scratch_store_b32 off, v0, off offset:1084 ; 4-byte Folded Spill
	v_cvt_f32_f16_e32 v0, v4
	s_clause 0x1
	scratch_store_b32 off, v3, off offset:1244
	scratch_store_b32 off, v0, off offset:1256
.LBB131_7:                              ;   Parent Loop BB131_5 Depth=1
                                        ;     Parent Loop BB131_6 Depth=2
                                        ; =>    This Inner Loop Header: Depth=3
	s_waitcnt vmcnt(1)
	scratch_store_b32 off, v18, off offset:176 ; 4-byte Folded Spill
	s_waitcnt vmcnt(0)
	s_clause 0x6
	scratch_store_b32 off, v5, off
	scratch_store_b32 off, v17, off offset:4
	scratch_store_b32 off, v77, off offset:1192
	;; [unrolled: 1-line block ×6, first 2 shown]
	scratch_load_b32 v4, off, off           ; 4-byte Folded Reload
	ds_load_b128 v[0:3], v5
	ds_load_2addr_b32 v[20:21], v17 offset0:2 offset1:3
	v_add_nc_u32_e32 v213, s16, v38
	s_lshr_b32 s17, s1, 2
	ds_load_2addr_b64 v[157:160], v18 offset1:16
	s_and_b32 s17, s17, 0x3ffffffc
	s_add_i32 s1, s1, 8
	s_add_i32 s16, s16, 2
	s_cmp_lt_u32 s1, s15
	s_waitcnt lgkmcnt(1)
	v_bfe_u32 v142, v20, 16, 4
	v_and_b32_e32 v216, 15, v20
	v_and_b32_e32 v143, 15, v21
	v_bfe_u32 v149, v20, 8, 4
	v_bfe_u32 v148, v21, 16, 4
	;; [unrolled: 1-line block ×4, first 2 shown]
	scratch_store_b32 off, v143, off offset:344 ; 4-byte Folded Spill
	v_bfe_u32 v139, v21, 24, 4
	v_ashrrev_i32_e32 v21, 4, v21
	s_clause 0x2
	scratch_store_b32 off, v146, off offset:704
	scratch_store_b32 off, v147, off offset:708
	;; [unrolled: 1-line block ×3, first 2 shown]
	s_waitcnt vmcnt(0)
	ds_load_b128 v[5:8], v4 offset:16
	scratch_load_b32 v4, off, off           ; 4-byte Folded Reload
	s_waitcnt lgkmcnt(0)
	v_bfe_i32 v197, v5, 0, 8
	v_bfe_i32 v196, v5, 8, 8
	;; [unrolled: 1-line block ×3, first 2 shown]
	v_ashrrev_i32_e32 v194, 24, v5
	v_bfe_i32 v193, v6, 0, 8
	v_bfe_i32 v192, v6, 8, 8
	;; [unrolled: 1-line block ×3, first 2 shown]
	v_ashrrev_i32_e32 v190, 24, v6
	ds_load_2addr_b32 v[5:6], v17 offset1:1
	v_bfe_i32 v189, v7, 0, 8
	v_bfe_i32 v188, v7, 8, 8
	;; [unrolled: 1-line block ×3, first 2 shown]
	v_ashrrev_i32_e32 v186, 24, v7
	v_bfe_i32 v185, v8, 0, 8
	v_bfe_i32 v184, v8, 8, 8
	;; [unrolled: 1-line block ×3, first 2 shown]
	v_ashrrev_i32_e32 v182, 24, v8
	v_add3_u32 v8, v39, s17, v213
	s_waitcnt lgkmcnt(0)
	v_and_b32_e32 v48, 15, v6
	v_bfe_u32 v141, v6, 16, 4
	v_bfe_u32 v138, v5, 8, 4
	;; [unrolled: 1-line block ×4, first 2 shown]
	v_and_b32_e32 v137, 15, v5
	v_bfe_u32 v134, v5, 24, 4
	v_bfe_u32 v145, v6, 8, 4
	v_ashrrev_i32_e32 v6, 4, v6
	v_ashrrev_i32_e32 v5, 4, v5
	scratch_store_b32 off, v140, off offset:332 ; 4-byte Folded Spill
	s_waitcnt vmcnt(0)
	ds_load_b128 v[9:12], v4 offset:32
	scratch_load_b32 v4, off, off           ; 4-byte Folded Reload
	s_waitcnt vmcnt(0)
	ds_load_b128 v[13:16], v4 offset:48
	v_bfe_i32 v211, v0, 0, 8
	v_bfe_i32 v4, v0, 8, 8
	;; [unrolled: 1-line block ×3, first 2 shown]
	v_ashrrev_i32_e32 v209, 24, v0
	scratch_load_b32 v0, off, off offset:4  ; 4-byte Folded Reload
	v_bfe_i32 v174, v1, 0, 8
	v_bfe_i32 v205, v2, 0, 8
	;; [unrolled: 1-line block ×5, first 2 shown]
	v_ashrrev_i32_e32 v206, 24, v1
	v_bfe_i32 v204, v2, 8, 8
	v_bfe_i32 v203, v2, 16, 8
	v_mul_i32_i24_e32 v22, v143, v201
	v_ashrrev_i32_e32 v202, 24, v2
	v_bfe_i32 v200, v3, 8, 8
	v_bfe_i32 v199, v3, 16, 8
	v_ashrrev_i32_e32 v198, 24, v3
	v_mul_i32_i24_e32 v17, v149, v204
	s_waitcnt lgkmcnt(0)
	v_bfe_i32 v153, v16, 0, 8
	v_bfe_i32 v126, v16, 8, 8
	;; [unrolled: 1-line block ×3, first 2 shown]
	v_ashrrev_i32_e32 v46, 24, v16
	v_mul_i32_i24_e32 v16, v216, v205
	v_bfe_i32 v165, v13, 0, 8
	v_bfe_i32 v164, v13, 8, 8
	;; [unrolled: 1-line block ×3, first 2 shown]
	v_ashrrev_i32_e32 v162, 24, v13
	v_mul_i32_i24_e32 v13, v145, v208
	v_bfe_i32 v161, v14, 0, 8
	v_bfe_i32 v7, v14, 8, 8
	;; [unrolled: 1-line block ×3, first 2 shown]
	v_ashrrev_i32_e32 v2, 24, v14
	v_bfe_i32 v1, v15, 0, 8
	v_bfe_i32 v156, v15, 8, 8
	;; [unrolled: 1-line block ×3, first 2 shown]
	v_ashrrev_i32_e32 v154, 24, v15
	v_mul_i32_i24_e32 v14, v141, v207
	v_mul_i32_i24_e32 v15, v140, v206
	;; [unrolled: 1-line block ×7, first 2 shown]
	s_waitcnt vmcnt(0)
	ds_load_2addr_b32 v[27:28], v0 offset0:4 offset1:5
	v_bfe_i32 v181, v9, 0, 8
	v_bfe_i32 v180, v9, 8, 8
	v_bfe_i32 v179, v9, 16, 8
	v_ashrrev_i32_e32 v178, 24, v9
	v_mul_i32_i24_e32 v9, v137, v211
	v_bfe_i32 v43, v10, 0, 8
	v_bfe_i32 v177, v10, 8, 8
	;; [unrolled: 1-line block ×3, first 2 shown]
	v_ashrrev_i32_e32 v175, 24, v10
	v_mul_i32_i24_e32 v10, v138, v4
	v_mad_i32_i24 v9, v48, v174, v9
	v_bfe_i32 v173, v11, 0, 8
	v_bfe_i32 v172, v11, 8, 8
	;; [unrolled: 1-line block ×3, first 2 shown]
	v_ashrrev_i32_e32 v170, 24, v11
	v_bfe_i32 v169, v12, 0, 8
	v_bfe_i32 v168, v12, 8, 8
	;; [unrolled: 1-line block ×3, first 2 shown]
	v_ashrrev_i32_e32 v166, 24, v12
	s_waitcnt lgkmcnt(0)
	v_bfe_u32 v0, v27, 24, 4
	v_mul_i32_i24_e32 v11, v136, v210
	v_mul_i32_i24_e32 v12, v134, v209
	v_add3_u32 v9, v9, v16, v10
	v_and_b32_e32 v150, 15, v27
	scratch_store_b32 off, v0, off offset:632 ; 4-byte Folded Spill
	v_mul_i32_i24_e32 v31, v0, v194
	v_bfe_u32 v0, v28, 8, 4
	s_clause 0x1
	scratch_store_b32 off, v48, off offset:696
	scratch_store_b32 off, v141, off offset:692
	v_add3_u32 v9, v9, v11, v12
	v_bfe_u32 v151, v27, 8, 4
	scratch_store_b32 off, v0, off offset:636 ; 4-byte Folded Spill
	v_mul_i32_i24_e32 v33, v0, v192
	v_bfe_u32 v0, v28, 16, 4
	s_clause 0x1
	scratch_store_b32 off, v138, off offset:272
	scratch_store_b32 off, v136, off offset:268
	v_add3_u32 v9, v9, v22, v13
	s_clause 0x1
	scratch_store_b32 off, v148, off offset:348
	scratch_store_b32 off, v0, off offset:220
	v_mul_i32_i24_e32 v34, v0, v191
	v_bfe_u32 v0, v28, 24, 4
	v_mul_i32_i24_e32 v26, v150, v197
	v_bfe_u32 v152, v27, 16, 4
	s_clause 0x2
	scratch_store_b32 off, v151, off offset:352
	scratch_store_b32 off, v137, off offset:396
	scratch_store_b32 off, v0, off offset:584
	v_mul_i32_i24_e32 v35, v0, v190
	scratch_load_b32 v0, off, off offset:4  ; 4-byte Folded Reload
	v_add3_u32 v9, v9, v14, v15
	v_and_b32_e32 v215, 15, v28
	s_clause 0x1
	scratch_store_b32 off, v139, off offset:712
	scratch_store_b32 off, v150, off offset:716
	v_mul_i32_i24_e32 v29, v151, v196
	v_add3_u32 v9, v9, v26, v17
	v_mul_i32_i24_e32 v32, v215, v193
	v_mul_i32_i24_e32 v30, v152, v195
	s_clause 0x1
	scratch_store_b32 off, v145, off offset:340
	scratch_store_b32 off, v152, off offset:356
	v_add3_u32 v9, v9, v18, v19
	v_ashrrev_i32_e32 v27, 4, v27
	v_ashrrev_i32_e32 v28, 4, v28
	s_delay_alu instid0(VALU_DEP_3) | instskip(SKIP_1) | instid1(VALU_DEP_2)
	v_add3_u32 v9, v9, v32, v23
	v_ashrrev_i32_e32 v23, 4, v20
	v_add3_u32 v9, v9, v24, v25
	s_waitcnt vmcnt(0)
	ds_load_2addr_b32 v[37:38], v0 offset0:6 offset1:7
	s_waitcnt lgkmcnt(0)
	v_and_b32_e32 v0, 15, v37
	scratch_store_b32 off, v134, off offset:436 ; 4-byte Folded Spill
	v_ashrrev_i32_e32 v67, 4, v38
	scratch_store_b32 off, v0, off offset:564 ; 4-byte Folded Spill
	v_mul_i32_i24_e32 v36, v0, v189
	v_bfe_u32 v0, v37, 8, 4
	v_bfe_u32 v11, v67, 8, 4
	v_bfe_u32 v15, v67, 16, 4
	v_bfe_u32 v16, v67, 24, 4
	v_add3_u32 v9, v9, v36, v29
	scratch_store_b32 off, v0, off offset:572 ; 4-byte Folded Spill
	v_mul_i32_i24_e32 v39, v0, v188
	v_bfe_u32 v0, v37, 16, 4
	v_mul_i32_i24_e32 v69, v11, v126
	v_add3_u32 v9, v9, v30, v31
	v_mul_i32_i24_e32 v70, v15, v63
	scratch_store_b32 off, v0, off offset:568 ; 4-byte Folded Spill
	v_mul_i32_i24_e32 v40, v0, v187
	v_bfe_u32 v0, v37, 24, 4
	scratch_store_b32 off, v215, off offset:720 ; 4-byte Folded Spill
	v_ashrrev_i32_e32 v37, 4, v37
	scratch_store_b32 off, v0, off offset:976 ; 4-byte Folded Spill
	v_mul_i32_i24_e32 v41, v0, v186
	v_and_b32_e32 v0, 15, v38
	v_bfe_u32 v25, v37, 24, 4
	scratch_store_b32 off, v0, off offset:200 ; 4-byte Folded Spill
	v_mul_i32_i24_e32 v42, v0, v185
	v_bfe_u32 v0, v38, 8, 4
	v_mul_i32_i24_e32 v66, v25, v154
	s_delay_alu instid0(VALU_DEP_3)
	v_add3_u32 v9, v9, v42, v33
	scratch_store_b32 off, v0, off offset:628 ; 4-byte Folded Spill
	v_mul_i32_i24_e32 v44, v0, v184
	v_bfe_u32 v0, v38, 16, 4
	v_add3_u32 v9, v9, v34, v35
	v_and_b32_e32 v34, 15, v67
	v_mul_i32_i24_e32 v67, v16, v46
	scratch_store_b32 off, v0, off offset:212 ; 4-byte Folded Spill
	v_mul_i32_i24_e32 v45, v0, v183
	v_bfe_u32 v0, v38, 24, 4
	v_add3_u32 v9, v9, v39, v40
	v_mul_i32_i24_e32 v68, v34, v153
	scratch_store_b32 off, v0, off offset:216 ; 4-byte Folded Spill
	ds_load_u16 v10, v8 offset:25088
	ds_load_u16 v22, v8 offset:25096
	v_mul_i32_i24_e32 v47, v0, v182
	v_add3_u32 v9, v9, v41, v44
	v_bfe_u32 v8, v6, 8, 4
	s_delay_alu instid0(VALU_DEP_2) | instskip(SKIP_3) | instid1(VALU_DEP_1)
	v_add3_u32 v9, v9, v45, v47
	scratch_store_b32 off, v8, off offset:744 ; 4-byte Folded Spill
	v_mul_i32_i24_e32 v45, v8, v177
	v_bfe_u32 v8, v6, 16, 4
	v_mul_i32_i24_e32 v47, v8, v176
	s_waitcnt lgkmcnt(1)
	v_and_b32_e32 v0, 0xff, v10
	v_lshrrev_b16 v31, 8, v10
	scratch_load_b32 v10, off, off offset:1232 ; 4-byte Folded Reload
	v_mul_lo_u32 v9, v9, v0
	v_mov_b32_e32 v26, v0
	v_and_b32_e32 v0, 15, v5
	v_and_b32_e32 v17, 0xffff, v31
	s_clause 0x2
	scratch_store_b32 off, v26, off offset:376
	scratch_store_b32 off, v0, off offset:392
	;; [unrolled: 1-line block ×3, first 2 shown]
	v_and_b32_e32 v8, 15, v23
	v_mul_i32_i24_e32 v41, v0, v181
	v_bfe_u32 v0, v5, 8, 4
	v_cvt_f32_i32_e32 v9, v9
	scratch_store_b32 off, v8, off offset:408 ; 4-byte Folded Spill
	v_mul_i32_i24_e32 v48, v8, v173
	v_bfe_u32 v8, v23, 8, 4
	scratch_store_b32 off, v0, off offset:204 ; 4-byte Folded Spill
	v_mul_i32_i24_e32 v42, v0, v180
	v_bfe_u32 v0, v5, 16, 4
	v_fma_mix_f32 v39, v157, v9, 0 op_sel_hi:[1,0,0]
	scratch_store_b32 off, v8, off offset:748 ; 4-byte Folded Spill
	v_mul_i32_i24_e32 v49, v8, v172
	v_bfe_u32 v8, v23, 16, 4
	v_mul_i32_i24_e32 v44, v0, v179
	s_waitcnt lgkmcnt(0)
	v_cvt_f32_ubyte0_e32 v9, v22
	scratch_store_b32 off, v8, off offset:412 ; 4-byte Folded Spill
	v_mul_i32_i24_e32 v50, v8, v171
	v_bfe_u32 v8, v23, 24, 4
	v_fma_mix_f32 v40, v157, v9, 0 op_sel:[1,0,0] op_sel_hi:[1,0,0]
	scratch_store_b32 off, v8, off offset:544 ; 4-byte Folded Spill
	v_mul_i32_i24_e32 v51, v8, v170
	v_and_b32_e32 v8, 15, v21
	scratch_store_b32 off, v8, off offset:416 ; 4-byte Folded Spill
	v_mul_i32_i24_e32 v52, v8, v169
	v_bfe_u32 v8, v21, 8, 4
	scratch_store_b32 off, v8, off offset:420 ; 4-byte Folded Spill
	v_mul_i32_i24_e32 v53, v8, v168
	v_bfe_u32 v8, v21, 16, 4
	;; [unrolled: 3-line block ×3, first 2 shown]
	scratch_store_b32 off, v8, off offset:428 ; 4-byte Folded Spill
	v_mul_i32_i24_e32 v21, v8, v166
	v_and_b32_e32 v8, 15, v27
	scratch_store_b32 off, v8, off offset:432 ; 4-byte Folded Spill
	v_mul_i32_i24_e32 v55, v8, v165
	v_bfe_u32 v8, v27, 8, 4
	scratch_store_b32 off, v8, off offset:752 ; 4-byte Folded Spill
	v_mul_i32_i24_e32 v56, v8, v164
	v_bfe_u32 v8, v27, 16, 4
	scratch_store_b32 off, v8, off offset:920 ; 4-byte Folded Spill
	v_mul_i32_i24_e32 v57, v8, v163
	v_bfe_u32 v8, v27, 24, 4
	scratch_store_b32 off, v8, off offset:532 ; 4-byte Folded Spill
	v_mul_i32_i24_e32 v58, v8, v162
	v_and_b32_e32 v8, 15, v28
	scratch_store_b32 off, v8, off offset:540 ; 4-byte Folded Spill
	v_mul_i32_i24_e32 v59, v8, v161
	v_bfe_u32 v8, v28, 8, 4
	scratch_store_b32 off, v0, off offset:180 ; 4-byte Folded Spill
	v_bfe_u32 v0, v5, 24, 4
	scratch_store_b32 off, v8, off offset:184 ; 4-byte Folded Spill
	v_mul_i32_i24_e32 v60, v8, v7
	scratch_store_b32 off, v0, off offset:728 ; 4-byte Folded Spill
	v_mul_i32_i24_e32 v5, v0, v178
	v_and_b32_e32 v0, 15, v6
	v_bfe_u32 v8, v28, 16, 4
	v_bfe_u32 v6, v6, 24, 4
	s_delay_alu instid0(VALU_DEP_3)
	v_mad_i32_i24 v41, v0, v43, v41
	v_mov_b32_e32 v23, v0
	scratch_load_b32 v0, off, off offset:1248 ; 4-byte Folded Reload
	scratch_store_b32 off, v8, off offset:756 ; 4-byte Folded Spill
	v_mul_i32_i24_e32 v61, v8, v3
	v_bfe_u32 v8, v28, 24, 4
	v_add3_u32 v41, v41, v48, v42
	v_cvt_f32_ubyte1_e32 v42, v22
	scratch_store_b32 off, v8, off offset:536 ; 4-byte Folded Spill
	v_mul_i32_i24_e32 v28, v8, v2
	v_and_b32_e32 v8, 15, v37
	v_add3_u32 v5, v41, v44, v5
	scratch_store_b32 off, v8, off offset:624 ; 4-byte Folded Spill
	v_mul_i32_i24_e32 v62, v8, v1
	v_bfe_u32 v8, v37, 8, 4
	v_add3_u32 v5, v5, v52, v45
	scratch_store_b32 off, v8, off offset:740 ; 4-byte Folded Spill
	v_mul_i32_i24_e32 v64, v8, v156
	v_bfe_u32 v8, v37, 16, 4
	scratch_store_b32 off, v6, off offset:192 ; 4-byte Folded Spill
	v_mul_i32_i24_e32 v6, v6, v175
	v_mul_i32_i24_e32 v65, v8, v155
	scratch_store_b32 off, v8, off offset:188 ; 4-byte Folded Spill
	v_add3_u32 v5, v5, v47, v6
	v_fma_mix_f32 v6, v158, v42, v40 op_sel:[1,0,0] op_sel_hi:[1,0,0]
	s_delay_alu instid0(VALU_DEP_2) | instskip(NEXT) | instid1(VALU_DEP_1)
	v_add3_u32 v5, v5, v55, v49
	v_add3_u32 v5, v5, v50, v51
	s_delay_alu instid0(VALU_DEP_1) | instskip(NEXT) | instid1(VALU_DEP_1)
	v_add3_u32 v5, v5, v59, v53
	v_add3_u32 v5, v5, v54, v21
	;; [unrolled: 1-line block ×3, first 2 shown]
	s_delay_alu instid0(VALU_DEP_2) | instskip(NEXT) | instid1(VALU_DEP_1)
	v_add3_u32 v5, v5, v62, v56
	v_add3_u32 v5, v5, v57, v58
	s_delay_alu instid0(VALU_DEP_1) | instskip(NEXT) | instid1(VALU_DEP_1)
	v_add3_u32 v5, v5, v68, v60
	v_add3_u32 v5, v5, v61, v28
	s_delay_alu instid0(VALU_DEP_1) | instskip(NEXT) | instid1(VALU_DEP_1)
	;; [unrolled: 3-line block ×3, first 2 shown]
	v_add3_u32 v5, v5, v70, v67
	v_mul_lo_u32 v5, v5, v17
	s_delay_alu instid0(VALU_DEP_1) | instskip(NEXT) | instid1(VALU_DEP_1)
	v_cvt_f32_i32_e32 v5, v5
	v_fma_mix_f32 v5, v158, v5, v39 op_sel_hi:[1,0,0]
	s_waitcnt vmcnt(0)
	v_dual_mul_f32 v6, v6, v0 :: v_dual_mov_b32 v29, v0
	scratch_load_b32 v0, off, off offset:4  ; 4-byte Folded Reload
	v_fma_f32 v5, v5, v10, -v6
	s_delay_alu instid0(VALU_DEP_1)
	v_add_f32_e32 v71, v71, v5
	scratch_store_b32 off, v71, off offset:1196 ; 4-byte Folded Spill
	s_waitcnt vmcnt(0)
	v_add_nc_u32_e32 v5, 0x1080, v0
	ds_load_2addr_b32 v[5:6], v5 offset1:1
	s_waitcnt lgkmcnt(0)
	v_and_b32_e32 v0, 15, v5
	v_and_b32_e32 v13, 15, v6
	scratch_store_b32 off, v0, off offset:548 ; 4-byte Folded Spill
	v_mul_i32_i24_e32 v22, v0, v211
	v_bfe_u32 v0, v5, 8, 4
	s_delay_alu instid0(VALU_DEP_2)
	v_mad_i32_i24 v22, v13, v174, v22
	scratch_store_b32 off, v0, off offset:588 ; 4-byte Folded Spill
	v_mul_i32_i24_e32 v28, v0, v4
	v_bfe_u32 v0, v5, 16, 4
	scratch_store_b32 off, v0, off offset:552 ; 4-byte Folded Spill
	v_mul_i32_i24_e32 v47, v0, v210
	v_bfe_u32 v0, v5, 24, 4
	v_ashrrev_i32_e32 v5, 4, v5
	scratch_store_b32 off, v0, off offset:964 ; 4-byte Folded Spill
	v_mul_i32_i24_e32 v48, v0, v209
	v_bfe_u32 v0, v6, 8, 4
	v_and_b32_e32 v39, 15, v5
	v_bfe_u32 v40, v5, 8, 4
	v_bfe_u32 v60, v5, 16, 4
	scratch_store_b32 off, v0, off offset:968 ; 4-byte Folded Spill
	v_mul_i32_i24_e32 v50, v0, v208
	v_bfe_u32 v0, v6, 16, 4
	v_mul_i32_i24_e32 v116, v39, v181
	v_mul_i32_i24_e32 v117, v40, v180
	;; [unrolled: 1-line block ×3, first 2 shown]
	scratch_store_b32 off, v0, off offset:68 ; 4-byte Folded Spill
	v_mul_i32_i24_e32 v54, v0, v207
	v_bfe_u32 v0, v6, 24, 4
	v_ashrrev_i32_e32 v6, 4, v6
	scratch_store_b32 off, v0, off offset:72 ; 4-byte Folded Spill
	v_mul_i32_i24_e32 v72, v0, v206
	scratch_load_b32 v0, off, off offset:4  ; 4-byte Folded Reload
	v_bfe_u32 v8, v6, 16, 4
	v_and_b32_e32 v61, 15, v6
	v_bfe_u32 v37, v6, 8, 4
	scratch_store_b32 off, v9, off offset:380 ; 4-byte Folded Spill
	v_bfe_u32 v6, v6, 24, 4
	v_mul_i32_i24_e32 v218, v8, v176
	v_mad_i32_i24 v116, v61, v43, v116
	v_mul_i32_i24_e32 v217, v37, v177
	s_waitcnt vmcnt(0)
	v_add_nc_u32_e32 v31, 0x1088, v0
	ds_load_2addr_b32 v[52:53], v31 offset1:1
	s_waitcnt lgkmcnt(0)
	v_and_b32_e32 v0, 15, v52
	scratch_store_b32 off, v0, off offset:76 ; 4-byte Folded Spill
	v_mul_i32_i24_e32 v73, v0, v205
	v_bfe_u32 v0, v52, 8, 4
	s_delay_alu instid0(VALU_DEP_2)
	v_add3_u32 v22, v22, v73, v28
	scratch_store_b32 off, v0, off offset:8 ; 4-byte Folded Spill
	v_mul_i32_i24_e32 v78, v0, v204
	v_bfe_u32 v0, v52, 16, 4
	v_add3_u32 v22, v22, v47, v48
	scratch_store_b32 off, v0, off offset:80 ; 4-byte Folded Spill
	v_mul_i32_i24_e32 v79, v0, v203
	v_bfe_u32 v0, v52, 24, 4
	scratch_store_b32 off, v0, off offset:120 ; 4-byte Folded Spill
	v_mul_i32_i24_e32 v84, v0, v202
	v_and_b32_e32 v0, 15, v53
	scratch_store_b32 off, v0, off offset:124 ; 4-byte Folded Spill
	v_mul_i32_i24_e32 v85, v0, v201
	v_bfe_u32 v0, v53, 8, 4
	s_delay_alu instid0(VALU_DEP_2)
	v_add3_u32 v22, v22, v85, v50
	scratch_store_b32 off, v0, off offset:556 ; 4-byte Folded Spill
	v_mul_i32_i24_e32 v86, v0, v200
	v_bfe_u32 v0, v53, 16, 4
	v_add3_u32 v22, v22, v54, v72
	scratch_store_b32 off, v0, off offset:972 ; 4-byte Folded Spill
	v_mul_i32_i24_e32 v87, v0, v199
	v_bfe_u32 v0, v53, 24, 4
	scratch_store_b32 off, v0, off offset:616 ; 4-byte Folded Spill
	v_mul_i32_i24_e32 v88, v0, v198
	scratch_load_b32 v0, off, off offset:4  ; 4-byte Folded Reload
	s_waitcnt vmcnt(0)
	v_add_nc_u32_e32 v31, 0x1090, v0
	ds_load_2addr_b32 v[97:98], v31 offset1:1
	s_waitcnt lgkmcnt(0)
	v_and_b32_e32 v0, 15, v97
	scratch_store_b32 off, v0, off offset:196 ; 4-byte Folded Spill
	v_mul_i32_i24_e32 v89, v0, v197
	v_bfe_u32 v0, v97, 8, 4
	s_delay_alu instid0(VALU_DEP_2)
	v_add3_u32 v22, v22, v89, v78
	scratch_store_b32 off, v0, off offset:596 ; 4-byte Folded Spill
	v_mul_i32_i24_e32 v90, v0, v196
	v_bfe_u32 v0, v97, 16, 4
	v_add3_u32 v22, v22, v79, v84
	scratch_store_b32 off, v0, off offset:580 ; 4-byte Folded Spill
	v_mul_i32_i24_e32 v91, v0, v195
	v_bfe_u32 v0, v97, 24, 4
	s_clause 0x1
	scratch_store_b32 off, v23, off offset:224
	scratch_store_b32 off, v0, off offset:208
	v_mul_i32_i24_e32 v92, v0, v194
	v_and_b32_e32 v0, 15, v98
	scratch_store_b32 off, v0, off offset:592 ; 4-byte Folded Spill
	v_mul_i32_i24_e32 v93, v0, v193
	v_bfe_u32 v0, v98, 8, 4
	s_delay_alu instid0(VALU_DEP_2)
	v_add3_u32 v22, v22, v93, v86
	scratch_store_b32 off, v0, off offset:620 ; 4-byte Folded Spill
	v_mul_i32_i24_e32 v94, v0, v192
	v_bfe_u32 v0, v98, 16, 4
	v_add3_u32 v22, v22, v87, v88
	scratch_store_b32 off, v0, off offset:672 ; 4-byte Folded Spill
	v_mul_i32_i24_e32 v95, v0, v191
	v_bfe_u32 v0, v98, 24, 4
	scratch_store_b32 off, v0, off offset:276 ; 4-byte Folded Spill
	v_mul_i32_i24_e32 v96, v0, v190
	scratch_load_b32 v0, off, off offset:4  ; 4-byte Folded Reload
	s_waitcnt vmcnt(0)
	v_add_nc_u32_e32 v45, 0x1098, v0
	ds_load_2addr_b32 v[105:106], v45 offset1:1
	s_waitcnt lgkmcnt(0)
	v_and_b32_e32 v0, 15, v105
	v_ashrrev_i32_e32 v115, 4, v106
	scratch_store_b32 off, v0, off offset:576 ; 4-byte Folded Spill
	v_mul_i32_i24_e32 v99, v0, v189
	v_bfe_u32 v0, v105, 8, 4
	v_bfe_u32 v85, v115, 16, 4
	v_and_b32_e32 v84, 15, v115
	s_delay_alu instid0(VALU_DEP_4)
	v_add3_u32 v22, v22, v99, v90
	scratch_store_b32 off, v0, off offset:320 ; 4-byte Folded Spill
	v_mul_i32_i24_e32 v100, v0, v188
	v_bfe_u32 v0, v105, 16, 4
	v_mul_i32_i24_e32 v237, v84, v153
	v_add3_u32 v22, v22, v91, v92
	v_mul_i32_i24_e32 v239, v85, v63
	scratch_store_b32 off, v0, off offset:560 ; 4-byte Folded Spill
	v_mul_i32_i24_e32 v101, v0, v187
	v_bfe_u32 v0, v105, 24, 4
	scratch_store_b32 off, v0, off offset:100 ; 4-byte Folded Spill
	v_mul_i32_i24_e32 v102, v0, v186
	v_and_b32_e32 v0, 15, v106
	scratch_store_b32 off, v0, off offset:600 ; 4-byte Folded Spill
	v_mul_i32_i24_e32 v103, v0, v185
	v_bfe_u32 v0, v106, 8, 4
	s_delay_alu instid0(VALU_DEP_2)
	v_add3_u32 v22, v22, v103, v94
	scratch_store_b32 off, v0, off offset:604 ; 4-byte Folded Spill
	v_mul_i32_i24_e32 v104, v0, v184
	v_bfe_u32 v0, v106, 16, 4
	v_add3_u32 v22, v22, v95, v96
	scratch_store_b32 off, v0, off offset:608 ; 4-byte Folded Spill
	v_mul_i32_i24_e32 v107, v0, v183
	v_bfe_u32 v0, v106, 24, 4
	v_add3_u32 v22, v22, v100, v101
	scratch_store_b32 off, v0, off offset:612 ; 4-byte Folded Spill
	ds_load_u16 v28, v21 offset:25600
	ds_load_u16 v47, v21 offset:25608
	v_mul_i32_i24_e32 v113, v0, v182
	v_add3_u32 v22, v22, v102, v104
	v_bfe_u32 v0, v5, 24, 4
	s_clause 0x1
	scratch_store_b32 off, v8, off offset:112
	scratch_store_b32 off, v6, off offset:440
	v_mul_i32_i24_e32 v6, v6, v175
	v_add3_u32 v22, v22, v107, v113
	scratch_store_b32 off, v0, off offset:116 ; 4-byte Folded Spill
	v_mul_i32_i24_e32 v5, v0, v178
	s_clause 0x1
	scratch_load_b32 v86, off, off offset:1252
	scratch_load_b32 v87, off, off offset:1236
	s_clause 0x1
	scratch_store_b32 off, v37, off offset:384
	scratch_store_b32 off, v40, off offset:304
	s_waitcnt lgkmcnt(1)
	v_and_b32_e32 v93, 0xff, v28
	v_lshrrev_b16 v50, 8, v28
	s_waitcnt lgkmcnt(0)
	v_cvt_f32_ubyte0_e32 v95, v47
	s_delay_alu instid0(VALU_DEP_3) | instskip(SKIP_2) | instid1(VALU_DEP_4)
	v_mul_lo_u32 v21, v22, v93
	v_ashrrev_i32_e32 v22, 4, v52
	v_and_b32_e32 v0, 0xffff, v50
	v_fma_mix_f32 v54, v157, v95, 0 op_sel:[1,0,0] op_sel_hi:[1,0,0]
	scratch_store_b32 off, v95, off offset:300 ; 4-byte Folded Spill
	v_and_b32_e32 v36, 15, v22
	v_bfe_u32 v35, v22, 8, 4
	v_bfe_u32 v31, v22, 16, 4
	;; [unrolled: 1-line block ×3, first 2 shown]
	v_ashrrev_i32_e32 v22, 4, v53
	v_mul_i32_i24_e32 v52, v36, v173
	v_mul_i32_i24_e32 v219, v35, v172
	;; [unrolled: 1-line block ×4, first 2 shown]
	v_and_b32_e32 v27, 15, v22
	v_bfe_u32 v68, v22, 8, 4
	v_bfe_u32 v8, v22, 16, 4
	;; [unrolled: 1-line block ×3, first 2 shown]
	v_ashrrev_i32_e32 v22, 4, v97
	v_add3_u32 v52, v116, v52, v117
	v_mul_i32_i24_e32 v53, v27, v169
	scratch_store_b32 off, v8, off offset:84 ; 4-byte Folded Spill
	v_mul_i32_i24_e32 v223, v8, v167
	v_and_b32_e32 v8, 15, v22
	v_add3_u32 v5, v52, v212, v5
	v_bfe_u32 v20, v22, 16, 4
	v_cvt_f32_i32_e32 v21, v21
	v_mul_i32_i24_e32 v222, v68, v168
	scratch_store_b32 off, v8, off offset:128 ; 4-byte Folded Spill
	v_mul_i32_i24_e32 v225, v8, v165
	v_bfe_u32 v8, v22, 8, 4
	v_add3_u32 v5, v5, v53, v217
	v_fma_mix_f32 v28, v157, v21, 0 op_sel_hi:[1,0,0]
	v_mul_i32_i24_e32 v224, v19, v166
	v_mul_i32_i24_e32 v227, v20, v163
	scratch_store_b32 off, v8, off offset:132 ; 4-byte Folded Spill
	v_mul_i32_i24_e32 v226, v8, v164
	v_bfe_u32 v8, v22, 24, 4
	v_ashrrev_i32_e32 v22, 4, v98
	v_add3_u32 v5, v5, v218, v6
	s_clause 0x2
	scratch_store_b32 off, v0, off offset:144
	scratch_store_b32 off, v35, off offset:732
	;; [unrolled: 1-line block ×3, first 2 shown]
	v_mul_i32_i24_e32 v228, v8, v162
	v_and_b32_e32 v8, 15, v22
	v_add3_u32 v5, v5, v225, v219
	v_bfe_u32 v24, v22, 8, 4
	s_clause 0x2
	scratch_store_b32 off, v31, off offset:724
	scratch_store_b32 off, v30, off offset:688
	scratch_store_b32 off, v8, off offset:92
	v_mul_i32_i24_e32 v229, v8, v161
	v_bfe_u32 v8, v22, 16, 4
	v_add3_u32 v5, v5, v220, v221
	v_mul_i32_i24_e32 v230, v24, v7
	s_clause 0x2
	scratch_store_b32 off, v20, off offset:280
	scratch_store_b32 off, v24, off offset:284
	;; [unrolled: 1-line block ×3, first 2 shown]
	v_mul_i32_i24_e32 v231, v8, v3
	v_bfe_u32 v8, v22, 24, 4
	v_ashrrev_i32_e32 v22, 4, v105
	v_add3_u32 v5, v5, v229, v222
	s_clause 0x1
	scratch_store_b32 off, v27, off offset:288
	scratch_store_b32 off, v8, off offset:136
	v_and_b32_e32 v21, 15, v22
	v_add3_u32 v5, v5, v223, v224
	v_mul_i32_i24_e32 v232, v8, v2
	v_bfe_u32 v89, v22, 8, 4
	v_bfe_u32 v8, v22, 16, 4
	v_mul_i32_i24_e32 v233, v21, v1
	v_bfe_u32 v18, v22, 24, 4
	scratch_store_b32 off, v21, off offset:364 ; 4-byte Folded Spill
	v_mul_i32_i24_e32 v234, v89, v156
	scratch_store_b32 off, v8, off offset:140 ; 4-byte Folded Spill
	v_add3_u32 v5, v5, v233, v226
	v_mul_i32_i24_e32 v235, v8, v155
	v_bfe_u32 v8, v115, 8, 4
	v_mul_i32_i24_e32 v236, v18, v154
	scratch_store_b32 off, v18, off offset:372 ; 4-byte Folded Spill
	v_add3_u32 v5, v5, v227, v228
	scratch_store_b32 off, v8, off offset:104 ; 4-byte Folded Spill
	v_mul_i32_i24_e32 v238, v8, v126
	v_bfe_u32 v8, v115, 24, 4
	v_add3_u32 v5, v5, v237, v230
	s_delay_alu instid0(VALU_DEP_2) | instskip(NEXT) | instid1(VALU_DEP_2)
	v_mul_i32_i24_e32 v240, v8, v46
	v_add3_u32 v5, v5, v231, v232
	scratch_store_b32 off, v8, off offset:316 ; 4-byte Folded Spill
	v_add3_u32 v5, v5, v234, v235
	s_delay_alu instid0(VALU_DEP_1) | instskip(NEXT) | instid1(VALU_DEP_1)
	v_add3_u32 v5, v5, v236, v238
	v_add3_u32 v5, v5, v239, v240
	s_delay_alu instid0(VALU_DEP_1)
	v_mul_lo_u32 v5, v5, v0
	v_cvt_f32_ubyte1_e32 v0, v47
	scratch_store_b32 off, v0, off offset:108 ; 4-byte Folded Spill
	v_fma_mix_f32 v47, v158, v0, v54 op_sel:[1,0,0] op_sel_hi:[1,0,0]
	scratch_load_b32 v0, off, off offset:4  ; 4-byte Folded Reload
	v_cvt_f32_i32_e32 v5, v5
	s_delay_alu instid0(VALU_DEP_1) | instskip(SKIP_3) | instid1(VALU_DEP_1)
	v_fma_mix_f32 v28, v158, v5, v28 op_sel_hi:[1,0,0]
	s_waitcnt vmcnt(2)
	v_mul_f32_e32 v47, v47, v86
	s_waitcnt vmcnt(1)
	v_fma_f32 v28, v28, v87, -v47
	s_delay_alu instid0(VALU_DEP_1)
	v_add_f32_e32 v74, v74, v28
	v_add3_u32 v28, v75, s17, v213
	scratch_store_b32 off, v74, off offset:1200 ; 4-byte Folded Spill
	s_waitcnt vmcnt(0)
	v_add_nc_u32_e32 v47, 0x2100, v0
	ds_load_2addr_b32 v[52:53], v47 offset1:1
	s_waitcnt lgkmcnt(0)
	v_and_b32_e32 v0, 15, v52
	v_bfe_u32 v107, v53, 8, 4
	v_bfe_u32 v221, v53, 24, 4
	s_delay_alu instid0(VALU_DEP_3) | instskip(SKIP_4) | instid1(VALU_DEP_3)
	v_mul_i32_i24_e32 v47, v0, v211
	v_mov_b32_e32 v90, v0
	v_bfe_u32 v0, v52, 8, 4
	v_mul_i32_i24_e32 v227, v107, v208
	v_mul_i32_i24_e32 v229, v221, v206
	;; [unrolled: 1-line block ×3, first 2 shown]
	v_mov_b32_e32 v97, v0
	v_bfe_u32 v0, v52, 16, 4
	s_delay_alu instid0(VALU_DEP_1) | instskip(SKIP_2) | instid1(VALU_DEP_1)
	v_mul_i32_i24_e32 v54, v0, v210
	v_mov_b32_e32 v115, v0
	v_bfe_u32 v0, v52, 24, 4
	v_mul_i32_i24_e32 v212, v0, v209
	v_mov_b32_e32 v91, v0
	v_bfe_u32 v0, v53, 16, 4
	s_clause 0x1
	scratch_store_b32 off, v90, off offset:148
	scratch_store_b32 off, v91, off offset:152
	v_mul_i32_i24_e32 v228, v0, v207
	v_mov_b32_e32 v220, v0
	scratch_load_b32 v0, off, off offset:4  ; 4-byte Folded Reload
	s_waitcnt vmcnt(0)
	v_add_nc_u32_e32 v116, 0x2108, v0
	ds_load_2addr_b32 v[240:241], v116 offset1:1
	s_waitcnt lgkmcnt(0)
	v_and_b32_e32 v0, 15, v240
	s_delay_alu instid0(VALU_DEP_1) | instskip(SKIP_2) | instid1(VALU_DEP_1)
	v_mul_i32_i24_e32 v230, v0, v205
	v_mov_b32_e32 v96, v0
	v_bfe_u32 v0, v240, 8, 4
	v_mul_i32_i24_e32 v231, v0, v204
	v_mov_b32_e32 v98, v0
	v_bfe_u32 v0, v240, 16, 4
	v_mov_b32_e32 v59, v13
	v_and_b32_e32 v13, 15, v53
	s_delay_alu instid0(VALU_DEP_3) | instskip(SKIP_2) | instid1(VALU_DEP_4)
	v_mul_i32_i24_e32 v232, v0, v203
	v_mov_b32_e32 v99, v0
	v_bfe_u32 v0, v240, 24, 4
	v_mad_i32_i24 v47, v13, v174, v47
	v_mov_b32_e32 v92, v13
	s_delay_alu instid0(VALU_DEP_3)
	v_mul_i32_i24_e32 v233, v0, v202
	v_mov_b32_e32 v94, v0
	v_and_b32_e32 v0, 15, v241
	v_add3_u32 v47, v47, v230, v50
	s_clause 0x1
	scratch_store_b32 off, v92, off offset:904
	scratch_store_b32 off, v94, off offset:484
	v_mul_i32_i24_e32 v234, v0, v201
	v_mov_b32_e32 v100, v0
	v_bfe_u32 v0, v241, 8, 4
	v_add3_u32 v47, v47, v54, v212
	v_dual_mov_b32 v212, v115 :: v_dual_mov_b32 v115, v220
	s_delay_alu instid0(VALU_DEP_3) | instskip(SKIP_3) | instid1(VALU_DEP_2)
	v_mul_i32_i24_e32 v235, v0, v200
	v_mov_b32_e32 v102, v0
	v_bfe_u32 v0, v241, 16, 4
	v_add3_u32 v47, v47, v234, v227
	v_mul_i32_i24_e32 v236, v0, v199
	v_mov_b32_e32 v103, v0
	v_bfe_u32 v0, v241, 24, 4
	s_delay_alu instid0(VALU_DEP_4) | instskip(NEXT) | instid1(VALU_DEP_2)
	v_add3_u32 v47, v47, v228, v229
	v_mul_i32_i24_e32 v237, v0, v198
	v_mov_b32_e32 v104, v0
	scratch_load_b32 v0, off, off offset:4  ; 4-byte Folded Reload
	scratch_store_b32 off, v93, off offset:296 ; 4-byte Folded Spill
	s_waitcnt vmcnt(0)
	v_add_nc_u32_e32 v116, 0x2110, v0
	ds_load_2addr_b32 v[248:249], v116 offset1:1
	s_waitcnt lgkmcnt(0)
	v_and_b32_e32 v0, 15, v248
	s_delay_alu instid0(VALU_DEP_1) | instskip(SKIP_3) | instid1(VALU_DEP_4)
	v_mul_i32_i24_e32 v238, v0, v197
	v_mov_b32_e32 v105, v0
	v_bfe_u32 v0, v248, 8, 4
	v_mov_b32_e32 v41, v34
	v_add3_u32 v47, v47, v238, v231
	v_mov_b32_e32 v231, v61
	s_delay_alu instid0(VALU_DEP_4)
	v_mul_i32_i24_e32 v239, v0, v196
	v_mov_b32_e32 v106, v0
	v_bfe_u32 v0, v248, 16, 4
	v_add3_u32 v47, v47, v232, v233
	s_clause 0x2
	scratch_store_b32 off, v39, off offset:328
	scratch_store_b32 off, v19, off offset:360
	;; [unrolled: 1-line block ×3, first 2 shown]
	v_mul_i32_i24_e32 v242, v0, v195
	v_bfe_u32 v0, v248, 24, 4
	s_delay_alu instid0(VALU_DEP_1)
	v_mul_i32_i24_e32 v243, v0, v194
	v_dual_mov_b32 v101, v0 :: v_dual_and_b32 v0, 15, v249
	scratch_store_b32 off, v36, off offset:736 ; 4-byte Folded Spill
	v_mul_i32_i24_e32 v244, v0, v193
	v_mov_b32_e32 v217, v0
	v_bfe_u32 v0, v249, 8, 4
	s_delay_alu instid0(VALU_DEP_3)
	v_add3_u32 v47, v47, v244, v235
	scratch_store_b32 off, v0, off offset:464 ; 4-byte Folded Spill
	v_mul_i32_i24_e32 v245, v0, v192
	v_bfe_u32 v0, v249, 16, 4
	scratch_store_b32 off, v101, off offset:800 ; 4-byte Folded Spill
	v_add3_u32 v47, v47, v236, v237
	scratch_store_b32 off, v0, off offset:804 ; 4-byte Folded Spill
	v_mul_i32_i24_e32 v246, v0, v191
	v_bfe_u32 v0, v249, 24, 4
	scratch_store_b32 off, v0, off offset:808 ; 4-byte Folded Spill
	v_mul_i32_i24_e32 v247, v0, v190
	scratch_load_b32 v0, off, off offset:4  ; 4-byte Folded Reload
	s_waitcnt vmcnt(0)
	v_add_nc_u32_e32 v116, 0x2118, v0
	ds_load_2addr_b32 v[116:117], v116 offset1:1
	s_waitcnt lgkmcnt(0)
	v_and_b32_e32 v0, 15, v116
	scratch_store_b32 off, v0, off offset:468 ; 4-byte Folded Spill
	v_mul_i32_i24_e32 v250, v0, v189
	v_bfe_u32 v0, v116, 8, 4
	s_delay_alu instid0(VALU_DEP_2)
	v_add3_u32 v47, v47, v250, v239
	scratch_store_b32 off, v0, off offset:812 ; 4-byte Folded Spill
	v_mul_i32_i24_e32 v251, v0, v188
	v_bfe_u32 v0, v116, 16, 4
	v_add3_u32 v47, v47, v242, v243
	scratch_store_b32 off, v0, off offset:816 ; 4-byte Folded Spill
	v_mul_i32_i24_e32 v252, v0, v187
	v_bfe_u32 v0, v116, 24, 4
	s_delay_alu instid0(VALU_DEP_1)
	v_mul_i32_i24_e32 v253, v0, v186
	v_dual_mov_b32 v113, v0 :: v_dual_and_b32 v0, 15, v117
	scratch_store_b32 off, v0, off offset:472 ; 4-byte Folded Spill
	v_mul_i32_i24_e32 v254, v0, v185
	v_bfe_u32 v0, v117, 8, 4
	scratch_store_b32 off, v113, off offset:820 ; 4-byte Folded Spill
	v_add3_u32 v47, v47, v254, v245
	scratch_store_b32 off, v0, off offset:824 ; 4-byte Folded Spill
	v_mul_i32_i24_e32 v255, v0, v184
	v_bfe_u32 v0, v117, 16, 4
	v_add3_u32 v47, v47, v246, v247
	scratch_store_b32 off, v0, off offset:828 ; 4-byte Folded Spill
	v_mul_i32_i24_e32 v214, v0, v183
	v_bfe_u32 v0, v117, 24, 4
	v_add3_u32 v47, v47, v251, v252
	scratch_store_b32 off, v0, off offset:832 ; 4-byte Folded Spill
	ds_load_u16 v50, v28 offset:26112
	ds_load_u16 v54, v28 offset:26120
	v_mul_i32_i24_e32 v74, v0, v182
	v_add3_u32 v47, v47, v253, v255
	s_delay_alu instid0(VALU_DEP_1)
	v_add3_u32 v47, v47, v214, v74
	s_waitcnt lgkmcnt(1)
	v_and_b32_e32 v244, 0xff, v50
	v_lshrrev_b16 v74, 8, v50
	s_waitcnt lgkmcnt(0)
	v_cvt_f32_ubyte0_e32 v243, v54
	v_cvt_f32_ubyte1_e32 v5, v54
	v_mul_lo_u32 v28, v47, v244
	v_and_b32_e32 v44, 0xffff, v74
	scratch_store_b32 off, v244, off offset:836 ; 4-byte Folded Spill
	v_fma_mix_f32 v75, v157, v243, 0 op_sel:[1,0,0] op_sel_hi:[1,0,0]
	scratch_store_b32 off, v44, off offset:1052 ; 4-byte Folded Spill
	v_cvt_f32_i32_e32 v28, v28
	v_fma_mix_f32 v74, v158, v5, v75 op_sel:[1,0,0] op_sel_hi:[1,0,0]
	s_delay_alu instid0(VALU_DEP_2) | instskip(SKIP_2) | instid1(VALU_DEP_2)
	v_fma_mix_f32 v214, v157, v28, 0 op_sel_hi:[1,0,0]
	v_ashrrev_i32_e32 v28, 4, v52
	v_ashrrev_i32_e32 v52, 4, v117
	v_and_b32_e32 v234, 15, v28
	v_bfe_u32 v239, v28, 8, 4
	v_bfe_u32 v233, v28, 16, 4
	;; [unrolled: 1-line block ×3, first 2 shown]
	v_ashrrev_i32_e32 v28, 4, v53
	v_and_b32_e32 v49, 15, v52
	v_bfe_u32 v48, v52, 8, 4
	v_bfe_u32 v47, v52, 16, 4
	;; [unrolled: 1-line block ×3, first 2 shown]
	v_and_b32_e32 v6, 15, v28
	v_bfe_u32 v228, v28, 8, 4
	v_bfe_u32 v227, v28, 16, 4
	v_bfe_u32 v224, v28, 24, 4
	v_ashrrev_i32_e32 v28, 4, v240
	s_clause 0x3
	scratch_store_b32 off, v243, off offset:840
	scratch_store_b32 off, v239, off offset:844
	scratch_store_b32 off, v234, off offset:848
	scratch_store_b32 off, v233, off offset:852
	v_and_b32_e32 v225, 15, v28
	v_bfe_u32 v223, v28, 8, 4
	v_bfe_u32 v222, v28, 16, 4
	v_bfe_u32 v88, v28, 24, 4
	v_ashrrev_i32_e32 v28, 4, v241
	s_clause 0x3
	scratch_store_b32 off, v228, off offset:860
	scratch_store_b32 off, v227, off offset:864
	scratch_store_b32 off, v224, off offset:868
	scratch_store_b32 off, v225, off offset:872
	;; [unrolled: 10-line block ×5, first 2 shown]
	v_and_b32_e32 v57, 15, v28
	v_bfe_u32 v55, v28, 8, 4
	v_bfe_u32 v51, v28, 16, 4
	;; [unrolled: 1-line block ×3, first 2 shown]
	s_clause 0xa
	scratch_store_b32 off, v64, off offset:1036
	scratch_store_b32 off, v57, off offset:1040
	;; [unrolled: 1-line block ×11, first 2 shown]
	s_clause 0x7
	scratch_load_b32 v135, off, off offset:1108
	scratch_load_b32 v226, off, off offset:1112
	;; [unrolled: 1-line block ×8, first 2 shown]
	v_mul_i32_i24_e32 v76, v234, v181
	v_mul_i32_i24_e32 v77, v239, v180
	;; [unrolled: 1-line block ×5, first 2 shown]
	v_mad_i32_i24 v76, v6, v43, v76
	v_mul_i32_i24_e32 v53, v228, v177
	v_mul_i32_i24_e32 v110, v79, v169
	v_mul_i32_i24_e32 v82, v227, v176
	v_mul_i32_i24_e32 v83, v224, v175
	v_add3_u32 v71, v76, v71, v77
	v_mul_i32_i24_e32 v114, v223, v172
	v_mul_i32_i24_e32 v119, v72, v165
	v_mul_i32_i24_e32 v108, v222, v171
	v_mul_i32_i24_e32 v109, v88, v170
	v_add3_u32 v71, v71, v80, v81
	;; [unrolled: 5-line block ×6, first 2 shown]
	v_mul_i32_i24_e32 v132, v47, v63
	v_mul_i32_i24_e32 v133, v45, v46
	scratch_store_b32 off, v5, off offset:1016 ; 4-byte Folded Spill
	v_add3_u32 v53, v53, v123, v111
	s_delay_alu instid0(VALU_DEP_1) | instskip(NEXT) | instid1(VALU_DEP_1)
	v_add3_u32 v53, v53, v112, v118
	v_add3_u32 v53, v53, v116, v120
	s_delay_alu instid0(VALU_DEP_1) | instskip(NEXT) | instid1(VALU_DEP_1)
	v_add3_u32 v53, v53, v121, v122
	;; [unrolled: 3-line block ×4, first 2 shown]
	v_add3_u32 v71, v53, v132, v133
	s_delay_alu instid0(VALU_DEP_1) | instskip(NEXT) | instid1(VALU_DEP_1)
	v_mul_lo_u32 v71, v71, v44
	v_cvt_f32_i32_e32 v71, v71
	s_delay_alu instid0(VALU_DEP_1) | instskip(SKIP_4) | instid1(VALU_DEP_2)
	v_fma_mix_f32 v71, v158, v71, v214 op_sel_hi:[1,0,0]
	s_waitcnt vmcnt(2)
	v_mul_f32_e32 v74, v74, v66
	v_mov_b32_e32 v144, v66
	s_waitcnt vmcnt(1)
	v_fma_f32 v71, v71, v56, -v74
	s_delay_alu instid0(VALU_DEP_2) | instskip(SKIP_1) | instid1(VALU_DEP_2)
	v_mov_b32_e32 v254, v144
	s_waitcnt vmcnt(0)
	v_add_f32_e32 v0, v0, v71
	scratch_store_b32 off, v0, off offset:1080 ; 4-byte Folded Spill
	scratch_load_b32 v0, off, off offset:1264 ; 4-byte Folded Reload
	s_waitcnt vmcnt(0)
	v_add3_u32 v71, v0, s17, v213
	scratch_load_b32 v0, off, off offset:4  ; 4-byte Folded Reload
	s_waitcnt vmcnt(0)
	v_add_nc_u32_e32 v74, 0x3180, v0
	ds_load_2addr_b32 v[116:117], v74 offset1:1
	s_waitcnt lgkmcnt(0)
	v_bfe_u32 v0, v117, 8, 4
	v_and_b32_e32 v240, 15, v117
	v_and_b32_e32 v54, 15, v116
	v_bfe_u32 v66, v116, 8, 4
	v_bfe_u32 v53, v116, 16, 4
	scratch_store_b32 off, v0, off offset:28 ; 4-byte Folded Spill
	v_mul_i32_i24_e32 v77, v0, v208
	v_bfe_u32 v0, v117, 16, 4
	v_mul_i32_i24_e32 v74, v54, v211
	v_bfe_u32 v52, v116, 24, 4
	v_mul_i32_i24_e32 v4, v66, v4
	s_clause 0x1
	scratch_store_b32 off, v54, off offset:924
	scratch_store_b32 off, v0, off offset:32
	v_mul_i32_i24_e32 v80, v0, v207
	v_bfe_u32 v0, v117, 24, 4
	v_mad_i32_i24 v74, v240, v174, v74
	s_clause 0x3
	scratch_store_b32 off, v66, off offset:448
	scratch_store_b32 off, v53, off offset:452
	;; [unrolled: 1-line block ×4, first 2 shown]
	v_mul_i32_i24_e32 v81, v0, v206
	scratch_load_b32 v0, off, off offset:4  ; 4-byte Folded Reload
	scratch_store_b32 off, v240, off offset:228 ; 4-byte Folded Spill
	v_mul_i32_i24_e32 v75, v53, v210
	v_mul_i32_i24_e32 v76, v52, v209
	s_waitcnt vmcnt(0)
	v_add_nc_u32_e32 v82, 0x3188, v0
	ds_load_2addr_b32 v[206:207], v82 offset1:1
	s_waitcnt lgkmcnt(0)
	v_and_b32_e32 v0, 15, v206
	scratch_store_b32 off, v0, off offset:232 ; 4-byte Folded Spill
	v_mul_i32_i24_e32 v82, v0, v205
	v_bfe_u32 v0, v206, 8, 4
	s_delay_alu instid0(VALU_DEP_2)
	v_add3_u32 v4, v74, v82, v4
	scratch_store_b32 off, v0, off offset:236 ; 4-byte Folded Spill
	v_mul_i32_i24_e32 v83, v0, v204
	v_bfe_u32 v0, v206, 16, 4
	v_add3_u32 v4, v4, v75, v76
	scratch_store_b32 off, v0, off offset:240 ; 4-byte Folded Spill
	v_mul_i32_i24_e32 v108, v0, v203
	v_bfe_u32 v0, v206, 24, 4
	scratch_store_b32 off, v0, off offset:20 ; 4-byte Folded Spill
	v_mul_i32_i24_e32 v109, v0, v202
	v_and_b32_e32 v0, 15, v207
	scratch_store_b32 off, v0, off offset:12 ; 4-byte Folded Spill
	v_mul_i32_i24_e32 v110, v0, v201
	v_bfe_u32 v0, v207, 8, 4
	s_delay_alu instid0(VALU_DEP_2)
	v_add3_u32 v4, v4, v110, v77
	scratch_store_b32 off, v0, off offset:16 ; 4-byte Folded Spill
	v_mul_i32_i24_e32 v111, v0, v200
	v_bfe_u32 v0, v207, 16, 4
	v_add3_u32 v4, v4, v80, v81
	v_ashrrev_i32_e32 v81, 4, v117
	scratch_store_b32 off, v0, off offset:244 ; 4-byte Folded Spill
	v_mul_i32_i24_e32 v112, v0, v199
	v_bfe_u32 v0, v207, 24, 4
	v_and_b32_e32 v14, 15, v81
	scratch_store_b32 off, v0, off offset:24 ; 4-byte Folded Spill
	v_mul_i32_i24_e32 v114, v0, v198
	scratch_load_b32 v0, off, off offset:4  ; 4-byte Folded Reload
	s_waitcnt vmcnt(0)
	v_add_nc_u32_e32 v118, 0x3190, v0
	ds_load_2addr_b32 v[198:199], v118 offset1:1
	s_waitcnt lgkmcnt(0)
	v_and_b32_e32 v0, 15, v198
	scratch_store_b32 off, v0, off offset:40 ; 4-byte Folded Spill
	v_mul_i32_i24_e32 v118, v0, v197
	v_bfe_u32 v0, v198, 8, 4
	s_delay_alu instid0(VALU_DEP_2)
	v_add3_u32 v4, v4, v118, v83
	scratch_store_b32 off, v0, off offset:44 ; 4-byte Folded Spill
	v_mul_i32_i24_e32 v119, v0, v196
	v_bfe_u32 v0, v198, 16, 4
	v_ashrrev_i32_e32 v118, 4, v198
	v_add3_u32 v4, v4, v108, v109
	v_ashrrev_i32_e32 v108, 4, v206
	scratch_store_b32 off, v0, off offset:48 ; 4-byte Folded Spill
	v_mul_i32_i24_e32 v120, v0, v195
	v_bfe_u32 v0, v198, 24, 4
	scratch_store_b32 off, v0, off offset:56 ; 4-byte Folded Spill
	v_mul_i32_i24_e32 v121, v0, v194
	v_and_b32_e32 v0, 15, v199
	scratch_store_b32 off, v0, off offset:52 ; 4-byte Folded Spill
	v_mul_i32_i24_e32 v122, v0, v193
	v_bfe_u32 v0, v199, 8, 4
	s_delay_alu instid0(VALU_DEP_2)
	v_add3_u32 v4, v4, v122, v111
	scratch_store_b32 off, v0, off offset:60 ; 4-byte Folded Spill
	v_mul_i32_i24_e32 v123, v0, v192
	v_bfe_u32 v0, v199, 16, 4
	v_ashrrev_i32_e32 v122, 4, v199
	v_add3_u32 v4, v4, v112, v114
	v_ashrrev_i32_e32 v112, 4, v207
	scratch_store_b32 off, v0, off offset:64 ; 4-byte Folded Spill
	v_mul_i32_i24_e32 v124, v0, v191
	v_bfe_u32 v0, v199, 24, 4
	scratch_store_b32 off, v0, off offset:248 ; 4-byte Folded Spill
	v_mul_i32_i24_e32 v125, v0, v190
	scratch_load_b32 v0, off, off offset:4  ; 4-byte Folded Reload
	s_waitcnt vmcnt(0)
	v_add_nc_u32_e32 v127, 0x3198, v0
	ds_load_2addr_b32 v[190:191], v127 offset1:1
	s_waitcnt lgkmcnt(0)
	v_and_b32_e32 v0, 15, v190
	v_bfe_u32 v247, v191, 24, 4
	scratch_store_b32 off, v0, off offset:252 ; 4-byte Folded Spill
	v_mul_i32_i24_e32 v127, v0, v189
	v_bfe_u32 v0, v190, 8, 4
	scratch_store_b32 off, v247, off offset:1056 ; 4-byte Folded Spill
	v_mul_i32_i24_e32 v182, v247, v182
	v_add3_u32 v4, v4, v127, v119
	scratch_store_b32 off, v0, off offset:256 ; 4-byte Folded Spill
	v_mul_i32_i24_e32 v128, v0, v188
	v_bfe_u32 v0, v190, 16, 4
	v_ashrrev_i32_e32 v127, 4, v190
	v_add3_u32 v4, v4, v120, v121
	scratch_store_b32 off, v0, off offset:260 ; 4-byte Folded Spill
	v_mul_i32_i24_e32 v129, v0, v187
	v_bfe_u32 v0, v190, 24, 4
	scratch_store_b32 off, v0, off offset:264 ; 4-byte Folded Spill
	v_mul_i32_i24_e32 v130, v0, v186
	v_and_b32_e32 v0, 15, v191
	scratch_store_b32 off, v0, off offset:640 ; 4-byte Folded Spill
	v_mul_i32_i24_e32 v131, v0, v185
	v_bfe_u32 v0, v191, 8, 4
	s_delay_alu instid0(VALU_DEP_2)
	v_add3_u32 v4, v4, v131, v123
	scratch_store_b32 off, v0, off offset:644 ; 4-byte Folded Spill
	v_mul_i32_i24_e32 v132, v0, v184
	v_bfe_u32 v0, v191, 16, 4
	v_ashrrev_i32_e32 v131, 4, v191
	v_add3_u32 v4, v4, v124, v125
	scratch_store_b32 off, v0, off offset:648 ; 4-byte Folded Spill
	ds_load_u16 v74, v71 offset:26624
	ds_load_u16 v71, v71 offset:26632
	v_add3_u32 v4, v4, v128, v129
	v_mul_i32_i24_e32 v133, v0, v183
	s_clause 0x2
	scratch_load_b32 v241, off, off offset:740
	scratch_load_b32 v219, off, off offset:816
	;; [unrolled: 1-line block ×3, first 2 shown]
	v_add3_u32 v4, v4, v130, v132
	s_clause 0x5
	scratch_load_b32 v230, off, off offset:440
	scratch_load_b32 v253, off, off offset:332
	;; [unrolled: 1-line block ×6, first 2 shown]
	v_add3_u32 v4, v4, v133, v182
	s_clause 0x4
	scratch_load_b32 v214, off, off offset:100
	scratch_load_b32 v245, off, off offset:104
	;; [unrolled: 1-line block ×5, first 2 shown]
	s_waitcnt lgkmcnt(1)
	v_lshrrev_b16 v75, 8, v74
	v_and_b32_e32 v248, 0xff, v74
	v_ashrrev_i32_e32 v74, 4, v116
	s_waitcnt lgkmcnt(0)
	v_cvt_f32_ubyte0_e32 v133, v71
	s_clause 0x3
	scratch_load_b32 v28, off, off offset:124
	scratch_load_b32 v236, off, off offset:132
	;; [unrolled: 1-line block ×4, first 2 shown]
	v_and_b32_e32 v13, 15, v74
	v_mul_lo_u32 v4, v4, v248
	v_fma_mix_f32 v0, v157, v133, 0 op_sel:[1,0,0] op_sel_hi:[1,0,0]
	scratch_store_b32 off, v248, off offset:1060 ; 4-byte Folded Spill
	s_clause 0x1
	scratch_load_b32 v218, off, off offset:276
	scratch_load_b32 v255, off, off offset:320
	scratch_store_b32 off, v13, off offset:444 ; 4-byte Folded Spill
	v_mul_i32_i24_e32 v76, v13, v181
	v_bfe_u32 v13, v74, 8, 4
	v_cvt_f32_i32_e32 v4, v4
	s_clause 0x1
	scratch_load_b32 v246, off, off offset:144
	scratch_load_b32 v229, off, off offset:116
	v_mad_i32_i24 v43, v14, v43, v76
	scratch_store_b32 off, v13, off offset:652 ; 4-byte Folded Spill
	v_mul_i32_i24_e32 v77, v13, v180
	v_bfe_u32 v13, v74, 16, 4
	v_fma_mix_f32 v4, v157, v4, 0 op_sel_hi:[1,0,0]
	v_bfe_u32 v157, v74, 24, 4
	scratch_store_b32 off, v133, off offset:1064 ; 4-byte Folded Spill
	scratch_load_b32 v61, off, off offset:112 ; 4-byte Folded Reload
	scratch_store_b32 off, v13, off offset:660 ; 4-byte Folded Spill
	v_mul_i32_i24_e32 v80, v13, v179
	v_bfe_u32 v13, v81, 8, 4
	v_mul_i32_i24_e32 v74, v157, v178
	s_clause 0x1
	scratch_load_b32 v220, off, off offset:832
	scratch_load_b32 v144, off, off offset:192
	s_clause 0x1
	scratch_store_b32 off, v59, off offset:292
	scratch_store_b32 off, v13, off offset:656
	v_mul_i32_i24_e32 v82, v13, v177
	v_bfe_u32 v13, v81, 16, 4
	s_clause 0x4
	scratch_store_b32 off, v60, off offset:400
	scratch_store_b32 off, v231, off offset:324
	;; [unrolled: 1-line block ×5, first 2 shown]
	v_mul_i32_i24_e32 v83, v13, v176
	v_bfe_u32 v13, v81, 24, 4
	s_clause 0x4
	scratch_store_b32 off, v115, off offset:476
	scratch_store_b32 off, v221, off offset:480
	;; [unrolled: 1-line block ×5, first 2 shown]
	v_mul_i32_i24_e32 v81, v13, v175
	v_and_b32_e32 v13, 15, v108
	s_clause 0x6
	scratch_store_b32 off, v223, off offset:876
	scratch_store_b32 off, v85, off offset:312
	;; [unrolled: 1-line block ×7, first 2 shown]
	v_mul_i32_i24_e32 v109, v13, v173
	v_bfe_u32 v13, v108, 8, 4
	s_delay_alu instid0(VALU_DEP_2)
	v_add3_u32 v43, v43, v109, v77
	scratch_store_b32 off, v13, off offset:1008 ; 4-byte Folded Spill
	v_mul_i32_i24_e32 v110, v13, v172
	v_bfe_u32 v13, v108, 16, 4
	v_add3_u32 v43, v43, v80, v74
	scratch_store_b32 off, v13, off offset:1224 ; 4-byte Folded Spill
	v_mul_i32_i24_e32 v111, v13, v171
	v_bfe_u32 v13, v108, 24, 4
	scratch_store_b32 off, v13, off offset:1228 ; 4-byte Folded Spill
	v_mul_i32_i24_e32 v108, v13, v170
	v_and_b32_e32 v13, 15, v112
	scratch_store_b32 off, v13, off offset:996 ; 4-byte Folded Spill
	v_mul_i32_i24_e32 v114, v13, v169
	v_bfe_u32 v13, v112, 8, 4
	s_delay_alu instid0(VALU_DEP_2)
	v_add3_u32 v43, v43, v114, v82
	scratch_store_b32 off, v13, off offset:1212 ; 4-byte Folded Spill
	v_mul_i32_i24_e32 v116, v13, v168
	v_bfe_u32 v13, v112, 16, 4
	v_add3_u32 v43, v43, v83, v81
	scratch_store_b32 off, v13, off offset:1216 ; 4-byte Folded Spill
	v_mul_i32_i24_e32 v117, v13, v167
	v_bfe_u32 v13, v112, 24, 4
	scratch_store_b32 off, v13, off offset:1220 ; 4-byte Folded Spill
	v_mul_i32_i24_e32 v112, v13, v166
	v_and_b32_e32 v13, 15, v118
	scratch_store_b32 off, v13, off offset:1204 ; 4-byte Folded Spill
	;; [unrolled: 15-line block ×3, first 2 shown]
	v_mul_i32_i24_e32 v123, v13, v161
	v_bfe_u32 v13, v122, 8, 4
	s_delay_alu instid0(VALU_DEP_2) | instskip(NEXT) | instid1(VALU_DEP_2)
	v_add3_u32 v43, v43, v123, v116
	v_mul_i32_i24_e32 v124, v13, v7
	v_bfe_u32 v7, v122, 16, 4
	s_delay_alu instid0(VALU_DEP_3) | instskip(NEXT) | instid1(VALU_DEP_2)
	v_add3_u32 v43, v43, v117, v112
	v_mul_i32_i24_e32 v125, v7, v3
	v_bfe_u32 v3, v122, 24, 4
	scratch_store_b32 off, v7, off offset:784 ; 4-byte Folded Spill
	v_mov_b32_e32 v7, v14
	scratch_load_b32 v14, off, off offset:1256 ; 4-byte Folded Reload
	scratch_store_b32 off, v3, off offset:788 ; 4-byte Folded Spill
	v_mul_i32_i24_e32 v122, v3, v2
	v_and_b32_e32 v2, 15, v127
	s_delay_alu instid0(VALU_DEP_1)
	v_mul_i32_i24_e32 v128, v2, v1
	v_bfe_u32 v1, v127, 8, 4
	scratch_store_b32 off, v2, off offset:764 ; 4-byte Folded Spill
	scratch_load_b32 v2, off, off offset:632 ; 4-byte Folded Reload
	v_add3_u32 v43, v43, v128, v120
	scratch_store_b32 off, v1, off offset:760 ; 4-byte Folded Spill
	v_mul_i32_i24_e32 v129, v1, v156
	v_bfe_u32 v1, v127, 16, 4
	v_add3_u32 v43, v43, v121, v118
	scratch_store_b32 off, v1, off offset:768 ; 4-byte Folded Spill
	v_mul_i32_i24_e32 v130, v1, v155
	v_bfe_u32 v1, v127, 24, 4
	scratch_store_b32 off, v13, off offset:776 ; 4-byte Folded Spill
	scratch_load_b32 v13, off, off offset:1244 ; 4-byte Folded Reload
	scratch_store_b32 off, v1, off offset:772 ; 4-byte Folded Spill
	v_mul_i32_i24_e32 v127, v1, v154
	v_and_b32_e32 v1, 15, v131
	s_delay_alu instid0(VALU_DEP_1)
	v_mul_i32_i24_e32 v132, v1, v153
	scratch_store_b32 off, v1, off offset:676 ; 4-byte Folded Spill
	v_bfe_u32 v1, v131, 8, 4
	v_add3_u32 v43, v43, v132, v124
	scratch_store_b32 off, v1, off offset:680 ; 4-byte Folded Spill
	v_mul_i32_i24_e32 v126, v1, v126
	v_bfe_u32 v1, v131, 16, 4
	v_add3_u32 v43, v43, v125, v122
	scratch_store_b32 off, v1, off offset:684 ; 4-byte Folded Spill
	v_mul_i32_i24_e32 v63, v1, v63
	v_bfe_u32 v1, v131, 24, 4
	v_add3_u32 v43, v43, v129, v130
	s_delay_alu instid0(VALU_DEP_2) | instskip(NEXT) | instid1(VALU_DEP_2)
	v_mul_i32_i24_e32 v46, v1, v46
	v_add3_u32 v43, v43, v127, v126
	v_mov_b32_e32 v131, v1
	v_and_b32_e32 v1, 0xffff, v75
	s_delay_alu instid0(VALU_DEP_3) | instskip(NEXT) | instid1(VALU_DEP_2)
	v_add3_u32 v43, v43, v63, v46
	v_mov_b32_e32 v110, v1
	s_delay_alu instid0(VALU_DEP_2) | instskip(SKIP_1) | instid1(VALU_DEP_1)
	v_mul_lo_u32 v43, v43, v1
	v_cvt_f32_ubyte1_e32 v1, v71
	v_fma_mix_f32 v0, v158, v1, v0 op_sel:[1,0,0] op_sel_hi:[1,0,0]
	v_mov_b32_e32 v109, v1
	scratch_load_b32 v1, off, off offset:1076 ; 4-byte Folded Reload
	v_cvt_f32_i32_e32 v43, v43
	s_delay_alu instid0(VALU_DEP_1)
	v_fma_mix_f32 v4, v158, v43, v4 op_sel_hi:[1,0,0]
	s_waitcnt vmcnt(3)
	v_dual_mul_f32 v0, v0, v14 :: v_dual_mov_b32 v111, v14
	scratch_load_b32 v14, off, off offset:696 ; 4-byte Folded Reload
	s_waitcnt vmcnt(2)
	v_fma_f32 v0, v4, v13, -v0
	s_waitcnt vmcnt(1)
	s_delay_alu instid0(VALU_DEP_1)
	v_add_f32_e32 v1, v1, v0
	scratch_load_b32 v0, off, off           ; 4-byte Folded Reload
	scratch_store_b32 off, v84, off offset:308 ; 4-byte Folded Spill
	s_waitcnt vmcnt(0)
	ds_load_b128 v[153:156], v0 offset:1024
	scratch_load_b32 v0, off, off           ; 4-byte Folded Reload
	s_waitcnt lgkmcnt(0)
	v_bfe_i32 v208, v153, 0, 8
	v_bfe_i32 v207, v153, 8, 8
	;; [unrolled: 1-line block ×3, first 2 shown]
	v_ashrrev_i32_e32 v210, 24, v153
	v_bfe_i32 v190, v154, 0, 8
	v_mul_i32_i24_e32 v71, v208, v137
	v_bfe_i32 v187, v154, 8, 8
	v_mul_i32_i24_e32 v74, v209, v136
	v_mul_i32_i24_e32 v75, v210, v134
	v_bfe_i32 v188, v154, 16, 8
	v_mad_i32_i24 v71, v207, v138, v71
	v_ashrrev_i32_e32 v189, 24, v154
	v_bfe_i32 v183, v155, 0, 8
	v_bfe_i32 v184, v155, 8, 8
	;; [unrolled: 1-line block ×3, first 2 shown]
	v_add3_u32 v71, v71, v74, v75
	v_mul_i32_i24_e32 v74, v190, v14
	v_mul_i32_i24_e32 v75, v187, v145
	v_ashrrev_i32_e32 v186, 24, v155
	v_bfe_i32 v167, v156, 0, 8
	v_bfe_i32 v180, v156, 8, 8
	;; [unrolled: 1-line block ×3, first 2 shown]
	v_ashrrev_i32_e32 v182, 24, v156
	v_mul_i32_i24_e32 v76, v188, v141
	v_mul_i32_i24_e32 v77, v189, v140
	v_add3_u32 v71, v71, v74, v75
	v_mul_i32_i24_e32 v74, v183, v216
	v_mul_i32_i24_e32 v75, v184, v149
	s_clause 0x1
	scratch_load_b32 v137, off, off offset:392
	scratch_load_b32 v141, off, off offset:728
	v_add3_u32 v71, v71, v76, v77
	v_mul_i32_i24_e32 v76, v185, v142
	v_mul_i32_i24_e32 v77, v186, v146
	s_clause 0x1
	scratch_load_b32 v142, off, off offset:744
	scratch_load_b32 v146, off, off offset:408
	;; [unrolled: 6-line block ×4, first 2 shown]
	v_add3_u32 v71, v71, v74, v75
	scratch_load_b32 v145, off, off offset:432 ; 4-byte Folded Reload
	v_mov_b32_e32 v136, v216
	s_clause 0x1
	scratch_load_b32 v216, off, off offset:756
	scratch_load_b32 v138, off, off offset:396
	v_add3_u32 v71, v71, v76, v77
	s_clause 0x1
	scratch_load_b32 v140, off, off offset:268
	scratch_load_b32 v139, off, off offset:340
	s_waitcnt vmcnt(13)
	ds_load_b128 v[153:156], v0 offset:1040
	scratch_load_b32 v0, off, off           ; 4-byte Folded Reload
	s_waitcnt lgkmcnt(0)
	v_ashrrev_i32_e32 v206, 24, v153
	v_bfe_i32 v203, v153, 0, 8
	v_bfe_i32 v204, v153, 8, 8
	v_bfe_i32 v200, v154, 8, 8
	v_bfe_i32 v205, v153, 16, 8
	v_mul_i32_i24_e32 v77, v206, v2
	scratch_load_b32 v2, off, off offset:636 ; 4-byte Folded Reload
	v_mul_i32_i24_e32 v74, v203, v150
	v_mul_i32_i24_e32 v75, v204, v151
	v_bfe_i32 v201, v154, 16, 8
	v_mul_i32_i24_e32 v76, v205, v152
	v_ashrrev_i32_e32 v202, 24, v154
	v_bfe_i32 v199, v154, 0, 8
	v_add3_u32 v71, v71, v74, v75
	v_bfe_i32 v195, v155, 0, 8
	v_bfe_i32 v196, v155, 8, 8
	;; [unrolled: 1-line block ×3, first 2 shown]
	v_mul_i32_i24_e32 v74, v199, v215
	v_add3_u32 v71, v71, v76, v77
	v_ashrrev_i32_e32 v198, 24, v155
	v_bfe_i32 v191, v156, 0, 8
	v_bfe_i32 v192, v156, 8, 8
	;; [unrolled: 1-line block ×3, first 2 shown]
	v_ashrrev_i32_e32 v194, 24, v156
	s_clause 0x3
	scratch_load_b32 v150, off, off offset:416
	scratch_load_b32 v215, off, off offset:420
	;; [unrolled: 1-line block ×4, first 2 shown]
	s_waitcnt vmcnt(5)
	ds_load_b128 v[153:156], v0 offset:1056
	scratch_load_b32 v0, off, off           ; 4-byte Folded Reload
	s_waitcnt lgkmcnt(0)
	v_bfe_i32 v178, v153, 16, 8
	v_bfe_i32 v177, v153, 0, 8
	;; [unrolled: 1-line block ×3, first 2 shown]
	v_ashrrev_i32_e32 v174, 24, v154
	v_ashrrev_i32_e32 v179, 24, v153
	s_waitcnt vmcnt(5)
	v_mul_i32_i24_e32 v75, v200, v2
	scratch_load_b32 v2, off, off offset:220 ; 4-byte Folded Reload
	v_bfe_i32 v175, v154, 0, 8
	v_bfe_i32 v172, v154, 8, 8
	;; [unrolled: 1-line block ×3, first 2 shown]
	v_add3_u32 v71, v71, v74, v75
	v_ashrrev_i32_e32 v170, 24, v155
	v_bfe_i32 v171, v155, 0, 8
	v_bfe_i32 v168, v155, 8, 8
	v_mul_i32_i24_e32 v80, v173, v143
	v_bfe_i32 v169, v155, 16, 8
	v_bfe_i32 v164, v156, 16, 8
	;; [unrolled: 1-line block ×4, first 2 shown]
	v_ashrrev_i32_e32 v165, 24, v156
	s_waitcnt vmcnt(1)
	ds_load_b128 v[153:156], v0 offset:1072
	s_waitcnt lgkmcnt(0)
	v_ashrrev_i32_e32 v161, 24, v153
	v_bfe_i32 v162, v153, 0, 8
	v_bfe_i32 v83, v153, 8, 8
	;; [unrolled: 1-line block ×4, first 2 shown]
	s_waitcnt vmcnt(0)
	v_mul_i32_i24_e32 v76, v201, v2
	scratch_load_b32 v2, off, off offset:584 ; 4-byte Folded Reload
	v_bfe_i32 v108, v153, 16, 8
	v_ashrrev_i32_e32 v3, 24, v154
	v_bfe_i32 v153, v155, 0, 8
	v_bfe_i32 v213, v154, 16, 8
	;; [unrolled: 1-line block ×4, first 2 shown]
	v_ashrrev_i32_e32 v4, 24, v155
	v_bfe_i32 v0, v156, 0, 8
	v_bfe_i32 v43, v156, 16, 8
	v_ashrrev_i32_e32 v46, 24, v156
	s_waitcnt vmcnt(0)
	v_mul_i32_i24_e32 v77, v202, v2
	scratch_load_b32 v2, off, off offset:564 ; 4-byte Folded Reload
	v_add3_u32 v71, v71, v76, v77
	s_waitcnt vmcnt(0)
	v_mul_i32_i24_e32 v74, v195, v2
	scratch_load_b32 v2, off, off offset:572 ; 4-byte Folded Reload
	s_waitcnt vmcnt(0)
	v_mul_i32_i24_e32 v75, v196, v2
	scratch_load_b32 v2, off, off offset:568 ; 4-byte Folded Reload
	v_add3_u32 v71, v71, v74, v75
	s_waitcnt vmcnt(0)
	v_mul_i32_i24_e32 v76, v197, v2
	scratch_load_b32 v2, off, off offset:976 ; 4-byte Folded Reload
	;; [unrolled: 7-line block ×3, first 2 shown]
	s_waitcnt vmcnt(0)
	v_mul_i32_i24_e32 v75, v192, v2
	scratch_load_b32 v2, off, off offset:212 ; 4-byte Folded Reload
	v_add3_u32 v71, v71, v74, v75
	v_mul_i32_i24_e32 v75, v177, v137
	v_fma_mix_f32 v74, v9, v159, 0 op_sel:[0,1,0] op_sel_hi:[0,1,0]
	v_mov_b32_e32 v9, v29
	s_delay_alu instid0(VALU_DEP_2) | instskip(NEXT) | instid1(VALU_DEP_1)
	v_fma_mix_f32 v74, v42, v160, v74 op_sel:[0,1,0] op_sel_hi:[0,1,0]
	v_mul_f32_e32 v74, v74, v29
	scratch_load_b32 v29, off, off offset:120 ; 4-byte Folded Reload
	s_waitcnt vmcnt(1)
	v_mul_i32_i24_e32 v76, v193, v2
	scratch_load_b32 v2, off, off offset:216 ; 4-byte Folded Reload
	s_waitcnt vmcnt(0)
	v_mul_i32_i24_e32 v77, v194, v2
	scratch_load_b32 v2, off, off offset:180 ; 4-byte Folded Reload
	v_add3_u32 v71, v71, v76, v77
	v_mul_i32_i24_e32 v77, v179, v141
	s_delay_alu instid0(VALU_DEP_2) | instskip(SKIP_3) | instid1(VALU_DEP_1)
	v_mul_lo_u32 v71, v71, v26
	v_mov_b32_e32 v26, v25
	scratch_load_b32 v25, off, off offset:80 ; 4-byte Folded Reload
	v_cvt_f32_i32_e32 v71, v71
	v_fma_mix_f32 v71, v159, v71, 0 op_sel_hi:[1,0,0]
	s_waitcnt vmcnt(1)
	v_mul_i32_i24_e32 v76, v178, v2
	scratch_load_b32 v2, off, off offset:204 ; 4-byte Folded Reload
	s_waitcnt vmcnt(0)
	v_mad_i32_i24 v75, v176, v2, v75
	scratch_load_b32 v2, off, off offset:192 ; 4-byte Folded Reload
	v_add3_u32 v75, v75, v76, v77
	v_mul_i32_i24_e32 v76, v175, v23
	v_mul_i32_i24_e32 v77, v172, v142
	v_mov_b32_e32 v23, v17
	scratch_load_b32 v17, off, off offset:76 ; 4-byte Folded Reload
	scratch_store_b32 off, v16, off offset:516 ; 4-byte Folded Spill
	v_add3_u32 v75, v75, v76, v77
	scratch_store_b32 off, v23, off offset:520 ; 4-byte Folded Spill
	v_mul_i32_i24_e32 v76, v171, v146
	v_mul_i32_i24_e32 v77, v168, v147
	s_waitcnt vmcnt(1)
	v_mul_i32_i24_e32 v81, v174, v2
	scratch_load_b32 v2, off, off offset:544 ; 4-byte Folded Reload
	v_add3_u32 v75, v75, v80, v81
	v_mul_i32_i24_e32 v80, v169, v148
	s_delay_alu instid0(VALU_DEP_2)
	v_add3_u32 v75, v75, v76, v77
	v_mul_i32_i24_e32 v76, v166, v150
	v_mul_i32_i24_e32 v77, v163, v215
	s_waitcnt vmcnt(0)
	v_mul_i32_i24_e32 v81, v170, v2
	scratch_load_b32 v2, off, off offset:528 ; 4-byte Folded Reload
	v_add3_u32 v75, v75, v80, v81
	v_mul_i32_i24_e32 v81, v165, v134
	s_delay_alu instid0(VALU_DEP_2)
	v_add3_u32 v75, v75, v76, v77
	;; [unrolled: 9-line block ×3, first 2 shown]
	s_waitcnt vmcnt(0)
	v_mul_i32_i24_e32 v81, v161, v2
	scratch_load_b32 v2, off, off offset:540 ; 4-byte Folded Reload
	v_add3_u32 v75, v75, v80, v81
	v_mul_i32_i24_e32 v80, v213, v216
	s_waitcnt vmcnt(0)
	v_mul_i32_i24_e32 v76, v82, v2
	scratch_load_b32 v2, off, off offset:184 ; 4-byte Folded Reload
	s_waitcnt vmcnt(0)
	v_mul_i32_i24_e32 v77, v211, v2
	scratch_load_b32 v2, off, off offset:536 ; 4-byte Folded Reload
	v_add3_u32 v75, v75, v76, v77
	v_mul_i32_i24_e32 v77, v63, v241
	s_waitcnt vmcnt(0)
	v_mul_i32_i24_e32 v81, v3, v2
	scratch_load_b32 v2, off, off offset:624 ; 4-byte Folded Reload
	v_add3_u32 v75, v75, v80, v81
	v_mul_i32_i24_e32 v81, v4, v26
	;; [unrolled: 5-line block ×3, first 2 shown]
	s_waitcnt vmcnt(0)
	v_mul_i32_i24_e32 v80, v126, v2
	scratch_load_b32 v2, off, off offset:1072 ; 4-byte Folded Reload
	scratch_store_b32 off, v1, off offset:1076 ; 4-byte Folded Spill
	v_bfe_i32 v1, v156, 8, 8
	v_add3_u32 v75, v75, v80, v81
	v_mul_i32_i24_e32 v80, v43, v15
	v_mul_i32_i24_e32 v81, v46, v16
	s_delay_alu instid0(VALU_DEP_4) | instskip(NEXT) | instid1(VALU_DEP_1)
	v_mul_i32_i24_e32 v77, v1, v11
	v_add3_u32 v75, v75, v76, v77
	v_mul_i32_i24_e32 v76, v188, v34
	v_mul_i32_i24_e32 v77, v189, v12
	s_delay_alu instid0(VALU_DEP_3) | instskip(SKIP_2) | instid1(VALU_DEP_3)
	v_add3_u32 v75, v75, v80, v81
	v_mul_i32_i24_e32 v80, v173, v61
	v_mul_i32_i24_e32 v81, v174, v230
	v_mul_lo_u32 v75, v75, v23
	s_delay_alu instid0(VALU_DEP_1) | instskip(NEXT) | instid1(VALU_DEP_1)
	v_cvt_f32_i32_e32 v75, v75
	v_fma_mix_f32 v71, v160, v75, v71 op_sel_hi:[1,0,0]
	s_delay_alu instid0(VALU_DEP_1) | instskip(SKIP_1) | instid1(VALU_DEP_1)
	v_fma_f32 v71, v71, v10, -v74
	s_waitcnt vmcnt(0)
	v_add_f32_e32 v2, v2, v71
	s_clause 0x1
	scratch_store_b32 off, v157, off offset:1068
	scratch_store_b32 off, v2, off offset:1072
	scratch_load_b32 v2, off, off offset:548 ; 4-byte Folded Reload
	s_waitcnt vmcnt(0)
	v_mul_i32_i24_e32 v71, v208, v2
	scratch_load_b32 v2, off, off offset:552 ; 4-byte Folded Reload
	s_waitcnt vmcnt(0)
	v_mul_i32_i24_e32 v74, v209, v2
	;; [unrolled: 3-line block ×3, first 2 shown]
	scratch_load_b32 v2, off, off offset:588 ; 4-byte Folded Reload
	s_waitcnt vmcnt(0)
	v_mad_i32_i24 v71, v207, v2, v71
	scratch_load_b32 v2, off, off offset:968 ; 4-byte Folded Reload
	v_add3_u32 v71, v71, v74, v75
	v_mul_i32_i24_e32 v74, v190, v59
	s_waitcnt vmcnt(0)
	v_mul_i32_i24_e32 v75, v187, v2
	scratch_load_b32 v2, off, off offset:556 ; 4-byte Folded Reload
	v_add3_u32 v71, v71, v74, v75
	v_mul_i32_i24_e32 v74, v183, v17
	v_mul_i32_i24_e32 v75, v184, v22
	s_delay_alu instid0(VALU_DEP_3) | instskip(SKIP_2) | instid1(VALU_DEP_3)
	v_add3_u32 v71, v71, v76, v77
	v_mul_i32_i24_e32 v76, v185, v25
	v_mul_i32_i24_e32 v77, v186, v29
	v_add3_u32 v71, v71, v74, v75
	v_mul_i32_i24_e32 v74, v167, v28
	s_delay_alu instid0(VALU_DEP_2)
	v_add3_u32 v71, v71, v76, v77
	s_waitcnt vmcnt(0)
	v_mul_i32_i24_e32 v75, v180, v2
	scratch_load_b32 v2, off, off offset:972 ; 4-byte Folded Reload
	v_add3_u32 v71, v71, v74, v75
	s_waitcnt vmcnt(0)
	v_mul_i32_i24_e32 v76, v181, v2
	scratch_load_b32 v2, off, off offset:616 ; 4-byte Folded Reload
	s_waitcnt vmcnt(0)
	v_mul_i32_i24_e32 v77, v182, v2
	scratch_load_b32 v2, off, off offset:196 ; 4-byte Folded Reload
	v_add3_u32 v71, v71, v76, v77
	s_waitcnt vmcnt(0)
	v_mul_i32_i24_e32 v74, v203, v2
	scratch_load_b32 v2, off, off offset:596 ; 4-byte Folded Reload
	s_waitcnt vmcnt(0)
	v_mul_i32_i24_e32 v75, v204, v2
	scratch_load_b32 v2, off, off offset:580 ; 4-byte Folded Reload
	v_add3_u32 v71, v71, v74, v75
	s_waitcnt vmcnt(0)
	v_mul_i32_i24_e32 v76, v205, v2
	scratch_load_b32 v2, off, off offset:208 ; 4-byte Folded Reload
	s_waitcnt vmcnt(0)
	v_mul_i32_i24_e32 v77, v206, v2
	scratch_load_b32 v2, off, off offset:592 ; 4-byte Folded Reload
	v_add3_u32 v71, v71, v76, v77
	v_mul_i32_i24_e32 v77, v202, v218
	s_waitcnt vmcnt(0)
	v_mul_i32_i24_e32 v74, v199, v2
	scratch_load_b32 v2, off, off offset:620 ; 4-byte Folded Reload
	s_waitcnt vmcnt(0)
	v_mul_i32_i24_e32 v75, v200, v2
	scratch_load_b32 v2, off, off offset:672 ; 4-byte Folded Reload
	v_add3_u32 v71, v71, v74, v75
	v_mul_i32_i24_e32 v75, v196, v255
	s_waitcnt vmcnt(0)
	v_mul_i32_i24_e32 v76, v201, v2
	scratch_load_b32 v2, off, off offset:576 ; 4-byte Folded Reload
	v_add3_u32 v71, v71, v76, v77
	v_mul_i32_i24_e32 v77, v198, v214
	s_waitcnt vmcnt(0)
	v_mul_i32_i24_e32 v74, v195, v2
	scratch_load_b32 v2, off, off offset:560 ; 4-byte Folded Reload
	v_add3_u32 v71, v71, v74, v75
	s_waitcnt vmcnt(0)
	v_mul_i32_i24_e32 v76, v197, v2
	scratch_load_b32 v2, off, off offset:600 ; 4-byte Folded Reload
	v_add3_u32 v71, v71, v76, v77
	s_waitcnt vmcnt(0)
	v_mul_i32_i24_e32 v74, v191, v2
	scratch_load_b32 v2, off, off offset:604 ; 4-byte Folded Reload
	s_waitcnt vmcnt(0)
	v_mul_i32_i24_e32 v75, v192, v2
	scratch_load_b32 v2, off, off offset:608 ; 4-byte Folded Reload
	v_add3_u32 v71, v71, v74, v75
	v_mul_i32_i24_e32 v75, v177, v39
	v_fma_mix_f32 v74, v95, v159, 0 op_sel:[0,1,0] op_sel_hi:[0,1,0]
	v_mov_b32_e32 v95, v102
	s_clause 0x1
	scratch_load_b32 v102, off, off offset:464
	scratch_load_b32 v39, off, off offset:296
	v_mad_i32_i24 v75, v176, v40, v75
	v_fma_mix_f32 v74, v249, v160, v74 op_sel:[0,1,0] op_sel_hi:[0,1,0]
	v_mov_b32_e32 v40, v218
	s_delay_alu instid0(VALU_DEP_2)
	v_mul_f32_e32 v74, v74, v86
	s_waitcnt vmcnt(2)
	v_mul_i32_i24_e32 v76, v193, v2
	scratch_load_b32 v2, off, off offset:612 ; 4-byte Folded Reload
	s_waitcnt vmcnt(0)
	v_mul_i32_i24_e32 v77, v194, v2
	scratch_load_b32 v2, off, off offset:28 ; 4-byte Folded Reload
	v_add3_u32 v71, v71, v76, v77
	v_mul_i32_i24_e32 v76, v178, v60
	v_mul_i32_i24_e32 v77, v179, v229
	s_delay_alu instid0(VALU_DEP_3) | instskip(SKIP_1) | instid1(VALU_DEP_3)
	v_mul_lo_u32 v71, v71, v93
	v_mov_b32_e32 v93, v99
	v_add3_u32 v75, v75, v76, v77
	v_mul_i32_i24_e32 v76, v175, v231
	v_mul_i32_i24_e32 v77, v172, v37
	v_mov_b32_e32 v99, v106
	s_clause 0x1
	scratch_load_b32 v106, off, off offset:812
	scratch_load_b32 v37, off, off offset:716
	v_cvt_f32_i32_e32 v71, v71
	v_add3_u32 v75, v75, v76, v77
	v_mul_i32_i24_e32 v76, v171, v36
	v_mul_i32_i24_e32 v77, v168, v35
	scratch_load_b32 v35, off, off offset:712 ; 4-byte Folded Reload
	v_fma_mix_f32 v71, v159, v71, 0 op_sel_hi:[1,0,0]
	v_add3_u32 v75, v75, v80, v81
	v_mul_i32_i24_e32 v80, v169, v31
	v_mul_i32_i24_e32 v81, v170, v30
	s_clause 0x1
	scratch_load_b32 v30, off, off offset:708
	scratch_load_b32 v31, off, off offset:720
	v_add3_u32 v75, v75, v76, v77
	v_mul_i32_i24_e32 v76, v166, v27
	v_mul_i32_i24_e32 v77, v163, v68
	s_clause 0x1
	scratch_load_b32 v27, off, off offset:672
	scratch_load_b32 v36, off, off offset:612
	v_add3_u32 v75, v75, v80, v81
	v_mul_i32_i24_e32 v80, v164, v235
	v_mul_i32_i24_e32 v81, v165, v19
	scratch_load_b32 v19, off, off offset:128 ; 4-byte Folded Reload
	s_clause 0x1
	scratch_store_b32 off, v93, off offset:936
	scratch_store_b32 off, v99, off offset:940
	v_add3_u32 v75, v75, v76, v77
	v_mul_i32_i24_e32 v77, v83, v236
	s_delay_alu instid0(VALU_DEP_2) | instskip(SKIP_4) | instid1(VALU_DEP_1)
	v_add3_u32 v75, v75, v80, v81
	v_mul_i32_i24_e32 v80, v108, v20
	scratch_load_b32 v20, off, off offset:88 ; 4-byte Folded Reload
	s_waitcnt vmcnt(1)
	v_mul_i32_i24_e32 v76, v162, v19
	v_add3_u32 v75, v75, v76, v77
	v_mul_i32_i24_e32 v76, v82, v237
	v_mul_i32_i24_e32 v77, v211, v24
	scratch_load_b32 v24, off, off offset:528 ; 4-byte Folded Reload
	s_waitcnt vmcnt(1)
	v_mul_i32_i24_e32 v81, v161, v20
	s_delay_alu instid0(VALU_DEP_1) | instskip(SKIP_2) | instid1(VALU_DEP_3)
	v_add3_u32 v75, v75, v80, v81
	v_mul_i32_i24_e32 v80, v213, v250
	v_mul_i32_i24_e32 v81, v3, v238
	v_add3_u32 v75, v75, v76, v77
	v_mul_i32_i24_e32 v76, v153, v21
	v_mul_i32_i24_e32 v77, v63, v89
	scratch_load_b32 v21, off, off offset:348 ; 4-byte Folded Reload
	v_add3_u32 v75, v75, v80, v81
	v_mul_i32_i24_e32 v80, v126, v242
	v_mul_i32_i24_e32 v81, v4, v18
	scratch_load_b32 v18, off, off offset:704 ; 4-byte Folded Reload
	v_add3_u32 v75, v75, v76, v77
	v_mul_i32_i24_e32 v76, v0, v84
	v_mul_i32_i24_e32 v77, v1, v245
	s_delay_alu instid0(VALU_DEP_3)
	v_add3_u32 v75, v75, v80, v81
	v_mul_i32_i24_e32 v80, v43, v85
	v_mul_i32_i24_e32 v81, v46, v8
	scratch_load_b32 v8, off, off offset:544 ; 4-byte Folded Reload
	v_add3_u32 v75, v75, v76, v77
	v_mul_i32_i24_e32 v76, v188, v115
	v_mul_i32_i24_e32 v77, v189, v221
	s_delay_alu instid0(VALU_DEP_3)
	v_add3_u32 v75, v75, v80, v81
	v_mul_i32_i24_e32 v80, v173, v227
	v_mul_i32_i24_e32 v81, v174, v224
	s_clause 0x1
	scratch_load_b32 v227, off, off offset:204
	scratch_load_b32 v224, off, off offset:848
	v_mul_lo_u32 v75, v75, v246
	s_delay_alu instid0(VALU_DEP_1) | instskip(NEXT) | instid1(VALU_DEP_1)
	v_cvt_f32_i32_e32 v75, v75
	v_fma_mix_f32 v71, v160, v75, v71 op_sel_hi:[1,0,0]
	v_mul_i32_i24_e32 v75, v210, v91
	v_dual_mov_b32 v91, v96 :: v_dual_mov_b32 v96, v103
	scratch_load_b32 v103, off, off offset:804 ; 4-byte Folded Reload
	v_fma_f32 v71, v71, v87, -v74
	v_mul_i32_i24_e32 v74, v209, v212
	s_clause 0x3
	scratch_store_b32 off, v7, off offset:928
	scratch_store_b32 off, v91, off offset:932
	scratch_store_b32 off, v95, off offset:492
	scratch_store_b32 off, v96, off offset:496
	v_add_f32_e32 v38, v38, v71
	v_mul_i32_i24_e32 v71, v208, v90
	v_dual_mov_b32 v90, v97 :: v_dual_mov_b32 v97, v104
	scratch_load_b32 v104, off, off offset:808 ; 4-byte Folded Reload
	scratch_store_b32 off, v38, off offset:1096 ; 4-byte Folded Spill
	scratch_load_b32 v38, off, off offset:536 ; 4-byte Folded Reload
	v_mad_i32_i24 v71, v207, v90, v71
	s_clause 0x1
	scratch_store_b32 off, v26, off offset:500
	scratch_store_b32 off, v90, off offset:992
	v_add3_u32 v71, v71, v74, v75
	v_mul_i32_i24_e32 v74, v190, v92
	v_mul_i32_i24_e32 v75, v187, v107
	v_mov_b32_e32 v92, v98
	v_mov_b32_e32 v98, v105
	scratch_load_b32 v105, off, off offset:468 ; 4-byte Folded Reload
	scratch_store_b32 off, v97, off offset:952 ; 4-byte Folded Spill
	v_add3_u32 v71, v71, v74, v75
	v_mul_i32_i24_e32 v74, v183, v91
	scratch_store_b32 off, v98, off offset:956 ; 4-byte Folded Spill
	v_mul_i32_i24_e32 v75, v184, v92
	v_add3_u32 v71, v71, v76, v77
	v_mul_i32_i24_e32 v77, v186, v94
	v_mov_b32_e32 v94, v100
	scratch_load_b32 v100, off, off offset:460 ; 4-byte Folded Reload
	v_mul_i32_i24_e32 v76, v185, v93
	v_add3_u32 v71, v71, v74, v75
	v_mul_i32_i24_e32 v75, v180, v95
	v_mul_i32_i24_e32 v74, v167, v94
	s_clause 0x1
	scratch_store_b32 off, v92, off offset:944
	scratch_store_b32 off, v94, off offset:948
	v_add3_u32 v71, v71, v76, v77
	v_mul_i32_i24_e32 v76, v181, v96
	v_mul_i32_i24_e32 v77, v182, v97
	s_delay_alu instid0(VALU_DEP_3) | instskip(SKIP_2) | instid1(VALU_DEP_3)
	v_add3_u32 v71, v71, v74, v75
	v_mul_i32_i24_e32 v74, v203, v98
	v_mul_i32_i24_e32 v75, v204, v99
	v_add3_u32 v71, v71, v76, v77
	v_mul_i32_i24_e32 v77, v206, v101
	v_mov_b32_e32 v101, v217
	scratch_load_b32 v217, off, off offset:828 ; 4-byte Folded Reload
	v_add3_u32 v71, v71, v74, v75
	v_mul_i32_i24_e32 v75, v200, v102
	v_mul_i32_i24_e32 v74, v199, v101
	scratch_store_b32 off, v101, off offset:796 ; 4-byte Folded Spill
	s_waitcnt vmcnt(1)
	v_mul_i32_i24_e32 v76, v205, v100
	s_delay_alu instid0(VALU_DEP_1) | instskip(SKIP_2) | instid1(VALU_DEP_3)
	v_add3_u32 v71, v71, v76, v77
	v_mul_i32_i24_e32 v76, v201, v103
	v_mul_i32_i24_e32 v77, v202, v104
	v_add3_u32 v71, v71, v74, v75
	v_mul_i32_i24_e32 v74, v195, v105
	v_mul_i32_i24_e32 v75, v196, v106
	s_delay_alu instid0(VALU_DEP_3)
	v_add3_u32 v71, v71, v76, v77
	v_mul_i32_i24_e32 v77, v198, v113
	scratch_load_b32 v113, off, off offset:472 ; 4-byte Folded Reload
	v_mul_i32_i24_e32 v76, v197, v219
	v_add3_u32 v71, v71, v74, v75
	v_mul_i32_i24_e32 v75, v192, v252
	s_waitcnt vmcnt(1)
	v_mov_b32_e32 v218, v217
	s_delay_alu instid0(VALU_DEP_3)
	v_add3_u32 v71, v71, v76, v77
	v_mul_i32_i24_e32 v76, v193, v217
	v_mul_i32_i24_e32 v77, v194, v220
	scratch_load_b32 v217, off, off offset:156 ; 4-byte Folded Reload
	s_waitcnt vmcnt(1)
	v_mul_i32_i24_e32 v74, v191, v113
	s_delay_alu instid0(VALU_DEP_1)
	v_add3_u32 v71, v71, v74, v75
	v_mul_i32_i24_e32 v75, v177, v234
	v_fma_mix_f32 v74, v243, v159, 0 op_sel:[0,1,0] op_sel_hi:[0,1,0]
	s_clause 0x1
	scratch_load_b32 v243, off, off offset:628
	scratch_load_b32 v234, off, off offset:688
	v_add3_u32 v71, v71, v76, v77
	v_mul_i32_i24_e32 v76, v178, v233
	v_mul_i32_i24_e32 v77, v179, v232
	v_mad_i32_i24 v75, v176, v239, v75
	v_fma_mix_f32 v74, v5, v160, v74 op_sel:[0,1,0] op_sel_hi:[0,1,0]
	v_mul_lo_u32 v71, v71, v244
	v_mov_b32_e32 v244, v56
	scratch_load_b32 v5, off, off offset:444 ; 4-byte Folded Reload
	v_add3_u32 v75, v75, v76, v77
	v_mul_i32_i24_e32 v76, v175, v6
	v_mul_i32_i24_e32 v77, v172, v228
	v_mul_f32_e32 v74, v74, v254
	scratch_load_b32 v6, off, off offset:224 ; 4-byte Folded Reload
	v_cvt_f32_i32_e32 v71, v71
	scratch_load_b32 v239, off, off offset:624 ; 4-byte Folded Reload
	v_add3_u32 v75, v75, v76, v77
	v_mul_i32_i24_e32 v76, v171, v225
	v_mul_i32_i24_e32 v77, v168, v223
	v_fma_mix_f32 v71, v159, v71, 0 op_sel_hi:[1,0,0]
	scratch_load_b32 v232, off, off offset:732 ; 4-byte Folded Reload
	v_add3_u32 v75, v75, v80, v81
	v_mul_i32_i24_e32 v80, v169, v222
	v_mul_i32_i24_e32 v81, v170, v88
	s_clause 0x1
	scratch_load_b32 v88, off, off offset:1208
	scratch_load_b32 v233, off, off offset:724
	v_add3_u32 v75, v75, v76, v77
	v_mul_i32_i24_e32 v76, v166, v79
	v_mul_i32_i24_e32 v77, v163, v78
	s_clause 0x1
	scratch_load_b32 v79, off, off offset:1204
	scratch_load_b32 v78, off, off offset:988
	;; [unrolled: 6-line block ×11, first 2 shown]
	v_add3_u32 v75, v75, v76, v77
	s_clause 0x1
	scratch_load_b32 v228, off, off offset:908
	scratch_load_b32 v222, off, off offset:840
	v_add3_u32 v75, v75, v80, v81
	s_delay_alu instid0(VALU_DEP_1) | instskip(SKIP_2) | instid1(VALU_DEP_1)
	v_mul_lo_u32 v75, v75, v44
	scratch_load_b32 v44, off, off offset:560 ; 4-byte Folded Reload
	v_cvt_f32_i32_e32 v75, v75
	v_fma_mix_f32 v71, v160, v75, v71 op_sel_hi:[1,0,0]
	v_mul_i32_i24_e32 v75, v210, v52
	s_clause 0x1
	scratch_load_b32 v210, off, off offset:792
	scratch_load_b32 v52, off, off offset:568
	v_fma_f32 v71, v71, v56, -v74
	v_mul_i32_i24_e32 v74, v209, v53
	s_clause 0x2
	scratch_load_b32 v209, off, off offset:788
	scratch_load_b32 v53, off, off offset:200
	;; [unrolled: 1-line block ×3, first 2 shown]
	v_add_f32_e32 v33, v33, v71
	v_mul_i32_i24_e32 v71, v208, v54
	s_clause 0x1
	scratch_load_b32 v208, off, off offset:784
	scratch_load_b32 v54, off, off offset:212
	v_mad_i32_i24 v71, v207, v66, v71
	s_clause 0x1
	scratch_load_b32 v207, off, off offset:776
	scratch_load_b32 v66, off, off offset:376
	v_add3_u32 v71, v71, v74, v75
	v_mul_i32_i24_e32 v75, v187, v2
	s_clause 0x1
	scratch_load_b32 v2, off, off offset:32
	scratch_load_b32 v187, off, off offset:1212
	v_mul_i32_i24_e32 v74, v190, v240
	scratch_load_b32 v190, off, off offset:996 ; 4-byte Folded Reload
	v_mov_b32_e32 v240, v14
	scratch_load_b32 v14, off, off offset:692 ; 4-byte Folded Reload
	v_add3_u32 v71, v71, v74, v75
	s_waitcnt vmcnt(3)
	v_mul_i32_i24_e32 v76, v188, v2
	s_clause 0x1
	scratch_load_b32 v2, off, off offset:36
	scratch_load_b32 v188, off, off offset:1216
	s_waitcnt vmcnt(1)
	v_mul_i32_i24_e32 v77, v189, v2
	s_clause 0x1
	scratch_load_b32 v2, off, off offset:232
	scratch_load_b32 v189, off, off offset:1220
	v_add3_u32 v71, v71, v76, v77
	s_waitcnt vmcnt(1)
	v_mul_i32_i24_e32 v74, v183, v2
	scratch_load_b32 v2, off, off offset:236 ; 4-byte Folded Reload
	s_waitcnt vmcnt(0)
	v_mul_i32_i24_e32 v75, v184, v2
	scratch_load_b32 v2, off, off offset:240 ; 4-byte Folded Reload
	v_add3_u32 v71, v71, v74, v75
	s_waitcnt vmcnt(0)
	v_mul_i32_i24_e32 v76, v185, v2
	scratch_load_b32 v2, off, off offset:20 ; 4-byte Folded Reload
	s_waitcnt vmcnt(0)
	v_mul_i32_i24_e32 v77, v186, v2
	scratch_load_b32 v2, off, off offset:12 ; 4-byte Folded Reload
	;; [unrolled: 7-line block ×4, first 2 shown]
	v_add3_u32 v71, v71, v76, v77
	s_waitcnt vmcnt(0)
	v_mul_i32_i24_e32 v74, v203, v2
	s_clause 0x1
	scratch_load_b32 v2, off, off offset:44
	scratch_load_b32 v203, off, off offset:760
	s_waitcnt vmcnt(1)
	v_mul_i32_i24_e32 v75, v204, v2
	s_clause 0x1
	scratch_load_b32 v2, off, off offset:48
	scratch_load_b32 v204, off, off offset:768
	s_waitcnt vmcnt(2)
	v_mul_i32_i24_e32 v63, v63, v203
	v_add3_u32 v71, v71, v74, v75
	s_waitcnt vmcnt(1)
	v_mul_i32_i24_e32 v76, v205, v2
	s_clause 0x1
	scratch_load_b32 v2, off, off offset:56
	scratch_load_b32 v205, off, off offset:772
	s_waitcnt vmcnt(1)
	v_mul_i32_i24_e32 v77, v206, v2
	s_clause 0x1
	scratch_load_b32 v2, off, off offset:52
	scratch_load_b32 v206, off, off offset:780
	s_waitcnt vmcnt(2)
	v_mul_i32_i24_e32 v4, v4, v205
	;; [unrolled: 13-line block ×3, first 2 shown]
	v_add3_u32 v71, v71, v74, v75
	s_waitcnt vmcnt(1)
	v_mul_i32_i24_e32 v76, v201, v2
	scratch_load_b32 v2, off, off offset:248 ; 4-byte Folded Reload
	v_mov_b32_e32 v201, v131
	s_waitcnt vmcnt(1)
	v_mul_i32_i24_e32 v43, v43, v200
	s_delay_alu instid0(VALU_DEP_2)
	v_mul_i32_i24_e32 v46, v46, v201
	scratch_store_b32 off, v201, off offset:1012 ; 4-byte Folded Spill
	s_waitcnt vmcnt(0)
	v_mul_i32_i24_e32 v77, v202, v2
	s_clause 0x1
	scratch_load_b32 v2, off, off offset:252
	scratch_load_b32 v202, off, off offset:764
	v_add3_u32 v71, v71, v76, v77
	s_waitcnt vmcnt(1)
	v_mul_i32_i24_e32 v74, v195, v2
	scratch_load_b32 v2, off, off offset:256 ; 4-byte Folded Reload
	v_mov_b32_e32 v195, v13
	scratch_load_b32 v13, off, off offset:272 ; 4-byte Folded Reload
	s_waitcnt vmcnt(1)
	v_mul_i32_i24_e32 v75, v196, v2
	scratch_load_b32 v2, off, off offset:260 ; 4-byte Folded Reload
	v_mov_b32_e32 v196, v111
	v_add3_u32 v71, v71, v74, v75
	s_waitcnt vmcnt(0)
	v_mul_i32_i24_e32 v76, v197, v2
	scratch_load_b32 v2, off, off offset:264 ; 4-byte Folded Reload
	v_mov_b32_e32 v197, v110
	s_waitcnt vmcnt(0)
	v_mul_i32_i24_e32 v77, v198, v2
	s_clause 0x1
	scratch_load_b32 v2, off, off offset:640
	scratch_load_b32 v198, off, off offset:676
	v_add3_u32 v71, v71, v76, v77
	v_mul_i32_i24_e32 v77, v194, v247
	v_mov_b32_e32 v194, v109
	scratch_load_b32 v247, off, off offset:976 ; 4-byte Folded Reload
	s_clause 0x1
	scratch_store_b32 off, v197, off offset:1004
	scratch_store_b32 off, v194, off offset:1000
	s_waitcnt vmcnt(2)
	v_mul_i32_i24_e32 v74, v191, v2
	s_clause 0x1
	scratch_load_b32 v2, off, off offset:644
	scratch_load_b32 v191, off, off offset:1008
	s_waitcnt vmcnt(3)
	v_mul_i32_i24_e32 v0, v0, v198
	s_waitcnt vmcnt(1)
	v_mul_i32_i24_e32 v75, v192, v2
	s_clause 0x1
	scratch_load_b32 v2, off, off offset:648
	scratch_load_b32 v192, off, off offset:1224
	v_add3_u32 v71, v71, v74, v75
	v_mul_i32_i24_e32 v75, v179, v157
	s_waitcnt vmcnt(1)
	v_mul_i32_i24_e32 v76, v193, v2
	scratch_load_b32 v193, off, off offset:1228 ; 4-byte Folded Reload
	v_fma_mix_f32 v2, v133, v159, 0 op_sel:[0,1,0] op_sel_hi:[0,1,0]
	v_add3_u32 v71, v71, v76, v77
	s_delay_alu instid0(VALU_DEP_1) | instskip(SKIP_2) | instid1(VALU_DEP_1)
	v_mul_lo_u32 v71, v71, v248
	scratch_load_b32 v248, off, off offset:436 ; 4-byte Folded Reload
	v_cvt_f32_i32_e32 v71, v71
	v_fma_mix_f32 v167, v159, v71, 0 op_sel_hi:[1,0,0]
	v_mul_i32_i24_e32 v71, v177, v5
	scratch_load_b32 v5, off, off offset:660 ; 4-byte Folded Reload
	s_waitcnt vmcnt(0)
	v_mul_i32_i24_e32 v74, v178, v5
	scratch_load_b32 v5, off, off offset:652 ; 4-byte Folded Reload
	s_waitcnt vmcnt(0)
	v_mad_i32_i24 v71, v176, v5, v71
	scratch_load_b32 v5, off, off offset:656 ; 4-byte Folded Reload
	v_add3_u32 v71, v71, v74, v75
	v_mul_i32_i24_e32 v74, v175, v7
	scratch_load_b32 v7, off, off           ; 4-byte Folded Reload
	s_waitcnt vmcnt(1)
	v_mul_i32_i24_e32 v75, v172, v5
	scratch_load_b32 v5, off, off offset:664 ; 4-byte Folded Reload
	v_add3_u32 v71, v71, v74, v75
	v_mul_i32_i24_e32 v75, v168, v191
	s_waitcnt vmcnt(0)
	v_mul_i32_i24_e32 v76, v173, v5
	scratch_load_b32 v5, off, off offset:668 ; 4-byte Folded Reload
	s_waitcnt vmcnt(0)
	v_mul_i32_i24_e32 v77, v174, v5
	scratch_load_b32 v5, off, off offset:900 ; 4-byte Folded Reload
	v_add3_u32 v71, v71, v76, v77
	v_mul_i32_i24_e32 v76, v169, v192
	v_mul_i32_i24_e32 v77, v170, v193
	s_waitcnt vmcnt(0)
	v_mul_i32_i24_e32 v74, v171, v5
	scratch_load_b32 v5, off, off offset:700 ; 4-byte Folded Reload
	v_add3_u32 v71, v71, v74, v75
	v_mul_i32_i24_e32 v74, v166, v190
	v_mul_i32_i24_e32 v75, v163, v187
	s_delay_alu instid0(VALU_DEP_3) | instskip(SKIP_2) | instid1(VALU_DEP_3)
	v_add3_u32 v71, v71, v76, v77
	v_mul_i32_i24_e32 v76, v164, v188
	v_mul_i32_i24_e32 v77, v165, v189
	v_add3_u32 v71, v71, v74, v75
	v_mul_i32_i24_e32 v74, v162, v79
	v_mul_i32_i24_e32 v75, v83, v210
	s_delay_alu instid0(VALU_DEP_3) | instskip(SKIP_2) | instid1(VALU_DEP_3)
	v_add3_u32 v71, v71, v76, v77
	v_mul_i32_i24_e32 v76, v108, v78
	v_mul_i32_i24_e32 v77, v161, v88
	v_add3_u32 v71, v71, v74, v75
	v_mul_i32_i24_e32 v74, v82, v206
	v_mul_i32_i24_e32 v75, v211, v207
	scratch_load_b32 v211, off, off offset:344 ; 4-byte Folded Reload
	v_add3_u32 v71, v71, v76, v77
	v_mul_i32_i24_e32 v76, v213, v208
	v_mul_i32_i24_e32 v77, v3, v209
	scratch_load_b32 v213, off, off offset:180 ; 4-byte Folded Reload
	v_add3_u32 v71, v71, v74, v75
	v_mul_i32_i24_e32 v74, v153, v202
	v_mul_i32_i24_e32 v75, v126, v204
	s_delay_alu instid0(VALU_DEP_3) | instskip(NEXT) | instid1(VALU_DEP_1)
	v_add3_u32 v71, v71, v76, v77
	v_add3_u32 v63, v71, v74, v63
	s_delay_alu instid0(VALU_DEP_1) | instskip(NEXT) | instid1(VALU_DEP_1)
	v_add3_u32 v4, v63, v75, v4
	v_add3_u32 v0, v4, v0, v1
	v_fma_mix_f32 v1, v194, v160, v2 op_sel:[0,1,0] op_sel_hi:[0,1,0]
	s_delay_alu instid0(VALU_DEP_2) | instskip(NEXT) | instid1(VALU_DEP_2)
	v_add3_u32 v0, v0, v43, v46
	v_mul_f32_e32 v1, v1, v196
	s_delay_alu instid0(VALU_DEP_2) | instskip(NEXT) | instid1(VALU_DEP_1)
	v_mul_lo_u32 v0, v0, v197
	v_cvt_f32_i32_e32 v0, v0
	s_delay_alu instid0(VALU_DEP_1) | instskip(SKIP_3) | instid1(VALU_DEP_1)
	v_fma_mix_f32 v0, v160, v0, v167 op_sel_hi:[1,0,0]
	ds_load_b128 v[164:167], v7 offset:2080
	scratch_load_b32 v7, off, off           ; 4-byte Folded Reload
	v_fma_f32 v0, v0, v195, -v1
	v_add_f32_e32 v32, v32, v0
	scratch_load_b32 v0, off, off           ; 4-byte Folded Reload
	scratch_store_b32 off, v33, off offset:1092 ; 4-byte Folded Spill
	scratch_load_b32 v33, off, off offset:540 ; 4-byte Folded Reload
	scratch_store_b32 off, v32, off offset:1088 ; 4-byte Folded Spill
	scratch_load_b32 v32, off, off offset:532 ; 4-byte Folded Reload
	s_waitcnt lgkmcnt(0)
	v_bfe_i32 v117, v164, 0, 8
	v_bfe_i32 v118, v164, 8, 8
	v_bfe_i32 v119, v164, 16, 8
	v_ashrrev_i32_e32 v120, 24, v164
	v_bfe_i32 v121, v165, 0, 8
	v_bfe_i32 v122, v165, 8, 8
	v_bfe_i32 v123, v165, 16, 8
	v_ashrrev_i32_e32 v124, 24, v165
	;; [unrolled: 4-line block ×4, first 2 shown]
	v_mul_i32_i24_e32 v185, v123, v143
	v_mul_i32_i24_e32 v186, v124, v144
	s_waitcnt vmcnt(3)
	ds_load_b128 v[164:167], v7 offset:2096
	scratch_load_b32 v7, off, off offset:184 ; 4-byte Folded Reload
	s_waitcnt vmcnt(3)
	ds_load_b128 v[0:3], v0 offset:2048
	s_waitcnt lgkmcnt(1)
	v_bfe_i32 v168, v164, 0, 8
	v_bfe_i32 v169, v164, 8, 8
	;; [unrolled: 1-line block ×3, first 2 shown]
	v_ashrrev_i32_e32 v164, 24, v164
	v_bfe_i32 v171, v165, 0, 8
	v_bfe_i32 v172, v165, 8, 8
	;; [unrolled: 1-line block ×3, first 2 shown]
	v_ashrrev_i32_e32 v165, 24, v165
	v_bfe_i32 v174, v166, 0, 8
	s_waitcnt lgkmcnt(0)
	v_bfe_i32 v161, v0, 0, 8
	v_bfe_i32 v156, v0, 8, 8
	;; [unrolled: 1-line block ×3, first 2 shown]
	v_ashrrev_i32_e32 v163, 24, v0
	scratch_load_b32 v0, off, off           ; 4-byte Folded Reload
	v_mul_i32_i24_e32 v180, v161, v138
	v_bfe_i32 v157, v1, 0, 8
	v_bfe_i32 v158, v1, 8, 8
	v_mul_i32_i24_e32 v181, v162, v140
	v_mul_i32_i24_e32 v182, v163, v248
	v_mad_i32_i24 v180, v156, v13, v180
	v_bfe_i32 v159, v1, 16, 8
	v_ashrrev_i32_e32 v160, 24, v1
	v_bfe_i32 v126, v2, 0, 8
	v_bfe_i32 v153, v2, 8, 8
	v_add3_u32 v180, v180, v181, v182
	v_mul_i32_i24_e32 v181, v157, v240
	v_mul_i32_i24_e32 v182, v158, v139
	v_bfe_i32 v154, v2, 16, 8
	v_ashrrev_i32_e32 v155, 24, v2
	v_bfe_i32 v4, v3, 0, 8
	v_bfe_i32 v43, v3, 8, 8
	v_bfe_i32 v46, v3, 16, 8
	v_ashrrev_i32_e32 v63, 24, v3
	v_mul_i32_i24_e32 v183, v159, v14
	v_mul_i32_i24_e32 v184, v160, v253
	v_add3_u32 v180, v180, v181, v182
	v_mul_i32_i24_e32 v181, v126, v136
	v_mul_i32_i24_e32 v182, v153, v149
	v_bfe_i32 v175, v166, 8, 8
	v_bfe_i32 v176, v166, 16, 8
	v_add3_u32 v180, v180, v183, v184
	v_mul_i32_i24_e32 v183, v154, v5
	v_mul_i32_i24_e32 v184, v155, v18
	v_ashrrev_i32_e32 v166, 24, v166
	v_bfe_i32 v177, v167, 0, 8
	v_add3_u32 v180, v180, v181, v182
	v_mul_i32_i24_e32 v181, v4, v211
	v_mul_i32_i24_e32 v182, v43, v30
	v_bfe_i32 v178, v167, 8, 8
	v_bfe_i32 v179, v167, 16, 8
	v_add3_u32 v180, v180, v183, v184
	v_mul_i32_i24_e32 v183, v46, v21
	v_mul_i32_i24_e32 v184, v63, v35
	v_ashrrev_i32_e32 v167, 24, v167
	s_delay_alu instid0(VALU_DEP_4) | instskip(NEXT) | instid1(VALU_DEP_1)
	v_add3_u32 v180, v180, v181, v182
	v_add3_u32 v180, v180, v183, v184
	s_waitcnt vmcnt(0)
	ds_load_b128 v[0:3], v0 offset:2064
	s_waitcnt lgkmcnt(0)
	v_bfe_i32 v71, v0, 0, 8
	v_bfe_i32 v74, v0, 8, 8
	;; [unrolled: 1-line block ×3, first 2 shown]
	v_ashrrev_i32_e32 v76, 24, v0
	v_bfe_i32 v77, v1, 0, 8
	v_mul_i32_i24_e32 v181, v71, v37
	v_mul_i32_i24_e32 v182, v74, v45
	v_bfe_i32 v80, v1, 8, 8
	v_mul_i32_i24_e32 v183, v75, v47
	v_mul_i32_i24_e32 v184, v76, v72
	v_bfe_i32 v81, v1, 16, 8
	v_add3_u32 v180, v180, v181, v182
	v_ashrrev_i32_e32 v82, 24, v1
	v_mul_i32_i24_e32 v181, v77, v31
	v_mul_i32_i24_e32 v182, v80, v48
	v_bfe_i32 v83, v2, 0, 8
	v_add3_u32 v180, v180, v183, v184
	v_bfe_i32 v108, v2, 8, 8
	v_mul_i32_i24_e32 v183, v81, v49
	v_mul_i32_i24_e32 v184, v82, v50
	v_bfe_i32 v109, v2, 16, 8
	v_add3_u32 v180, v180, v181, v182
	v_ashrrev_i32_e32 v110, 24, v2
	v_mul_i32_i24_e32 v181, v83, v51
	v_mul_i32_i24_e32 v182, v108, v55
	v_bfe_i32 v111, v3, 0, 8
	v_add3_u32 v180, v180, v183, v184
	v_bfe_i32 v112, v3, 8, 8
	v_mul_i32_i24_e32 v183, v109, v52
	v_mul_i32_i24_e32 v184, v110, v247
	v_bfe_i32 v114, v3, 16, 8
	v_add3_u32 v180, v180, v181, v182
	v_ashrrev_i32_e32 v116, 24, v3
	v_mul_i32_i24_e32 v181, v111, v53
	v_mul_i32_i24_e32 v182, v112, v243
	scratch_load_b32 v0, off, off offset:176 ; 4-byte Folded Reload
	v_add3_u32 v180, v180, v183, v184
	v_mul_i32_i24_e32 v183, v114, v54
	v_mul_i32_i24_e32 v184, v116, v56
	s_delay_alu instid0(VALU_DEP_3) | instskip(SKIP_1) | instid1(VALU_DEP_2)
	v_add3_u32 v180, v180, v181, v182
	v_mul_i32_i24_e32 v182, v117, v137
	v_add3_u32 v180, v180, v183, v184
	v_mul_i32_i24_e32 v183, v119, v213
	v_mul_i32_i24_e32 v184, v120, v141
	s_delay_alu instid0(VALU_DEP_4) | instskip(NEXT) | instid1(VALU_DEP_4)
	v_mad_i32_i24 v182, v118, v227, v182
	v_mul_lo_u32 v180, v180, v66
	s_delay_alu instid0(VALU_DEP_2) | instskip(SKIP_4) | instid1(VALU_DEP_2)
	v_add3_u32 v182, v182, v183, v184
	v_mul_i32_i24_e32 v183, v121, v6
	scratch_load_b32 v6, off, off offset:188 ; 4-byte Folded Reload
	v_mul_i32_i24_e32 v184, v122, v142
	v_cvt_f32_i32_e32 v180, v180
	v_add3_u32 v182, v182, v183, v184
	v_mul_i32_i24_e32 v183, v125, v146
	v_mul_i32_i24_e32 v184, v127, v147
	s_delay_alu instid0(VALU_DEP_3) | instskip(SKIP_2) | instid1(VALU_DEP_3)
	v_add3_u32 v182, v182, v185, v186
	v_mul_i32_i24_e32 v185, v128, v148
	v_mul_i32_i24_e32 v186, v129, v8
	v_add3_u32 v182, v182, v183, v184
	v_mul_i32_i24_e32 v183, v130, v150
	v_mul_i32_i24_e32 v184, v131, v215
	s_delay_alu instid0(VALU_DEP_3) | instskip(SKIP_2) | instid1(VALU_DEP_3)
	v_add3_u32 v182, v182, v185, v186
	v_mul_i32_i24_e32 v185, v132, v24
	v_mul_i32_i24_e32 v186, v133, v134
	;; [unrolled: 7-line block ×4, first 2 shown]
	v_add3_u32 v182, v182, v183, v184
	v_mul_i32_i24_e32 v183, v174, v239
	v_mul_i32_i24_e32 v184, v175, v241
	s_delay_alu instid0(VALU_DEP_3)
	v_add3_u32 v182, v182, v185, v186
	v_mul_i32_i24_e32 v186, v166, v26
	scratch_load_b32 v26, off, off offset:972 ; 4-byte Folded Reload
	v_add3_u32 v182, v182, v183, v184
	v_mul_i32_i24_e32 v183, v177, v41
	v_mul_i32_i24_e32 v184, v178, v11
	s_clause 0x1
	scratch_load_b32 v11, off, off offset:556
	scratch_load_b32 v41, off, off offset:576
	s_waitcnt vmcnt(4)
	ds_load_2addr_b64 v[0:3], v0 offset0:32 offset1:48
	s_waitcnt lgkmcnt(0)
	v_fma_mix_f32 v181, v67, v0, 0 op_sel:[0,1,0] op_sel_hi:[0,1,0]
	s_waitcnt vmcnt(3)
	v_mul_i32_i24_e32 v185, v176, v6
	v_fma_mix_f32 v180, v0, v180, 0 op_sel_hi:[1,0,0]
	s_delay_alu instid0(VALU_DEP_3) | instskip(NEXT) | instid1(VALU_DEP_3)
	v_fma_mix_f32 v181, v42, v1, v181 op_sel:[0,1,0] op_sel_hi:[0,1,0]
	v_add3_u32 v182, v182, v185, v186
	v_mul_i32_i24_e32 v185, v179, v15
	v_mul_i32_i24_e32 v186, v167, v16
	scratch_load_b32 v15, off, off offset:548 ; 4-byte Folded Reload
	v_mul_f32_e32 v181, v181, v9
	v_add3_u32 v182, v182, v183, v184
	scratch_load_b32 v16, off, off offset:552 ; 4-byte Folded Reload
	v_mul_i32_i24_e32 v183, v159, v34
	v_mul_i32_i24_e32 v184, v160, v12
	scratch_load_b32 v34, off, off offset:608 ; 4-byte Folded Reload
	v_add3_u32 v182, v182, v185, v186
	v_mov_b32_e32 v42, v255
	v_mul_i32_i24_e32 v185, v123, v61
	s_clause 0x1
	scratch_load_b32 v61, off, off offset:288
	scratch_load_b32 v12, off, off offset:360
	v_mul_lo_u32 v182, v182, v23
	scratch_load_b32 v23, off, off offset:208 ; 4-byte Folded Reload
	v_mul_i32_i24_e32 v186, v124, v230
	s_clause 0x1
	scratch_load_b32 v230, off, off offset:864
	scratch_load_b32 v255, off, off offset:1020
	v_cvt_f32_i32_e32 v182, v182
	s_delay_alu instid0(VALU_DEP_1) | instskip(NEXT) | instid1(VALU_DEP_1)
	v_fma_mix_f32 v180, v1, v182, v180 op_sel_hi:[1,0,0]
	v_fma_f32 v180, v180, v10, -v181
	s_delay_alu instid0(VALU_DEP_1)
	v_add_f32_e32 v226, v226, v180
	scratch_store_b32 off, v226, off offset:1112 ; 4-byte Folded Spill
	scratch_load_b32 v226, off, off offset:964 ; 4-byte Folded Reload
	s_waitcnt vmcnt(8)
	v_mul_i32_i24_e32 v180, v161, v15
	s_waitcnt vmcnt(7)
	v_mul_i32_i24_e32 v181, v162, v16
	s_delay_alu instid0(VALU_DEP_2) | instskip(SKIP_2) | instid1(VALU_DEP_1)
	v_mad_i32_i24 v180, v156, v69, v180
	s_waitcnt vmcnt(0)
	v_mul_i32_i24_e32 v182, v163, v226
	v_add3_u32 v180, v180, v181, v182
	v_mul_i32_i24_e32 v181, v157, v59
	v_mul_i32_i24_e32 v182, v158, v65
	scratch_load_b32 v59, off, off offset:328 ; 4-byte Folded Reload
	v_add3_u32 v180, v180, v181, v182
	v_mul_i32_i24_e32 v181, v126, v17
	v_mul_i32_i24_e32 v182, v153, v22
	s_clause 0x1
	scratch_load_b32 v17, off, off offset:280
	scratch_load_b32 v22, off, off offset:316
	v_add3_u32 v180, v180, v183, v184
	v_mul_i32_i24_e32 v183, v154, v25
	scratch_load_b32 v25, off, off offset:620 ; 4-byte Folded Reload
	v_mul_i32_i24_e32 v184, v155, v29
	scratch_load_b32 v29, off, off offset:604 ; 4-byte Folded Reload
	v_add3_u32 v180, v180, v181, v182
	v_mul_i32_i24_e32 v181, v4, v28
	scratch_load_b32 v28, off, off offset:616 ; 4-byte Folded Reload
	v_mul_i32_i24_e32 v182, v43, v11
	v_add3_u32 v180, v180, v183, v184
	v_mul_i32_i24_e32 v183, v46, v26
	s_delay_alu instid0(VALU_DEP_2) | instskip(SKIP_4) | instid1(VALU_DEP_1)
	v_add3_u32 v180, v180, v181, v182
	v_mul_i32_i24_e32 v181, v71, v62
	v_mul_i32_i24_e32 v182, v74, v73
	s_waitcnt vmcnt(0)
	v_mul_i32_i24_e32 v184, v63, v28
	v_add3_u32 v180, v180, v183, v184
	v_mul_i32_i24_e32 v183, v75, v64
	v_mul_i32_i24_e32 v184, v76, v23
	s_delay_alu instid0(VALU_DEP_3) | instskip(SKIP_2) | instid1(VALU_DEP_3)
	v_add3_u32 v180, v180, v181, v182
	v_mul_i32_i24_e32 v181, v77, v70
	v_mul_i32_i24_e32 v182, v80, v25
	v_add3_u32 v180, v180, v183, v184
	v_mul_i32_i24_e32 v183, v81, v27
	v_mul_i32_i24_e32 v184, v82, v40
	s_delay_alu instid0(VALU_DEP_3) | instskip(SKIP_2) | instid1(VALU_DEP_3)
	v_add3_u32 v180, v180, v181, v182
	v_mul_i32_i24_e32 v181, v83, v41
	v_mul_i32_i24_e32 v182, v108, v42
	v_add3_u32 v180, v180, v183, v184
	v_mul_i32_i24_e32 v184, v110, v214
	scratch_load_b32 v214, off, off offset:600 ; 4-byte Folded Reload
	v_mul_i32_i24_e32 v183, v109, v44
	v_add3_u32 v180, v180, v181, v182
	v_mul_i32_i24_e32 v182, v112, v29
	s_delay_alu instid0(VALU_DEP_2) | instskip(SKIP_4) | instid1(VALU_DEP_1)
	v_add3_u32 v180, v180, v183, v184
	v_mul_i32_i24_e32 v183, v114, v34
	v_mul_i32_i24_e32 v184, v116, v36
	s_waitcnt vmcnt(0)
	v_mul_i32_i24_e32 v181, v111, v214
	v_add3_u32 v180, v180, v181, v182
	v_mul_i32_i24_e32 v182, v117, v59
	v_fma_mix_f32 v181, v57, v0, 0 op_sel:[0,1,0] op_sel_hi:[0,1,0]
	s_delay_alu instid0(VALU_DEP_3)
	v_add3_u32 v180, v180, v183, v184
	v_mul_i32_i24_e32 v183, v119, v60
	scratch_load_b32 v60, off, off offset:384 ; 4-byte Folded Reload
	v_mul_i32_i24_e32 v184, v120, v229
	v_mad_i32_i24 v182, v118, v58, v182
	v_mul_lo_u32 v180, v180, v39
	v_fma_mix_f32 v181, v249, v1, v181 op_sel:[0,1,0] op_sel_hi:[0,1,0]
	s_clause 0x1
	scratch_load_b32 v229, off, off offset:860
	scratch_load_b32 v249, off, off offset:892
	v_add3_u32 v182, v182, v183, v184
	v_mul_i32_i24_e32 v183, v121, v231
	scratch_load_b32 v231, off, off offset:736 ; 4-byte Folded Reload
	v_mul_f32_e32 v181, v181, v86
	v_cvt_f32_i32_e32 v180, v180
	s_delay_alu instid0(VALU_DEP_1) | instskip(SKIP_2) | instid1(VALU_DEP_1)
	v_fma_mix_f32 v180, v0, v180, 0 op_sel_hi:[1,0,0]
	s_waitcnt vmcnt(3)
	v_mul_i32_i24_e32 v184, v122, v60
	v_add3_u32 v182, v182, v183, v184
	v_mul_i32_i24_e32 v184, v127, v232
	s_waitcnt vmcnt(0)
	v_mul_i32_i24_e32 v183, v125, v231
	s_delay_alu instid0(VALU_DEP_3) | instskip(SKIP_2) | instid1(VALU_DEP_3)
	v_add3_u32 v182, v182, v185, v186
	v_mul_i32_i24_e32 v185, v128, v233
	v_mul_i32_i24_e32 v186, v129, v234
	v_add3_u32 v182, v182, v183, v184
	v_mul_i32_i24_e32 v183, v130, v61
	v_mul_i32_i24_e32 v184, v131, v68
	scratch_load_b32 v68, off, off offset:364 ; 4-byte Folded Reload
	v_add3_u32 v182, v182, v185, v186
	v_mul_i32_i24_e32 v185, v132, v235
	v_mul_i32_i24_e32 v186, v133, v12
	scratch_load_b32 v235, off, off offset:916 ; 4-byte Folded Reload
	v_add3_u32 v182, v182, v183, v184
	v_mul_i32_i24_e32 v183, v168, v19
	scratch_load_b32 v19, off, off offset:284 ; 4-byte Folded Reload
	v_mul_i32_i24_e32 v184, v169, v236
	v_mov_b32_e32 v236, v103
	v_add3_u32 v182, v182, v185, v186
	v_mul_i32_i24_e32 v186, v164, v20
	scratch_load_b32 v20, off, off offset:372 ; 4-byte Folded Reload
	v_mul_i32_i24_e32 v185, v170, v17
	scratch_load_b32 v103, off, off offset:820 ; 4-byte Folded Reload
	v_add3_u32 v182, v182, v183, v184
	v_mul_i32_i24_e32 v183, v171, v237
	scratch_load_b32 v237, off, off offset:872 ; 4-byte Folded Reload
	v_add3_u32 v182, v182, v185, v186
	v_mul_i32_i24_e32 v185, v173, v250
	v_mul_i32_i24_e32 v186, v165, v238
	v_mov_b32_e32 v250, v106
	s_clause 0x1
	scratch_load_b32 v106, off, off offset:844
	scratch_load_b32 v238, off, off offset:880
	s_waitcnt vmcnt(5)
	v_mul_i32_i24_e32 v184, v172, v19
	s_delay_alu instid0(VALU_DEP_1)
	v_add3_u32 v182, v182, v183, v184
	v_mul_i32_i24_e32 v183, v174, v68
	v_mul_i32_i24_e32 v184, v175, v89
	scratch_load_b32 v89, off, off offset:152 ; 4-byte Folded Reload
	v_add3_u32 v182, v182, v185, v186
	v_mul_i32_i24_e32 v185, v176, v242
	s_waitcnt vmcnt(5)
	v_mul_i32_i24_e32 v186, v166, v20
	scratch_load_b32 v242, off, off offset:1032 ; 4-byte Folded Reload
	v_add3_u32 v182, v182, v183, v184
	v_mul_i32_i24_e32 v183, v177, v84
	v_mov_b32_e32 v84, v212
	scratch_load_b32 v212, off, off offset:904 ; 4-byte Folded Reload
	v_mul_i32_i24_e32 v184, v178, v245
	v_add3_u32 v182, v182, v185, v186
	v_mul_i32_i24_e32 v185, v179, v85
	scratch_load_b32 v85, off, off offset:148 ; 4-byte Folded Reload
	v_mul_i32_i24_e32 v186, v167, v22
	v_mov_b32_e32 v245, v105
	v_add3_u32 v182, v182, v183, v184
	v_mul_i32_i24_e32 v183, v159, v115
	scratch_load_b32 v115, off, off offset:484 ; 4-byte Folded Reload
	v_mul_i32_i24_e32 v184, v160, v221
	scratch_load_b32 v221, off, off offset:1040 ; 4-byte Folded Reload
	v_add3_u32 v182, v182, v185, v186
	v_mul_i32_i24_e32 v185, v123, v230
	scratch_load_b32 v105, off, off offset:836 ; 4-byte Folded Reload
	v_mul_lo_u32 v182, v182, v246
	scratch_load_b32 v246, off, off offset:888 ; 4-byte Folded Reload
	v_cvt_f32_i32_e32 v182, v182
	s_delay_alu instid0(VALU_DEP_1) | instskip(NEXT) | instid1(VALU_DEP_1)
	v_fma_mix_f32 v180, v1, v182, v180 op_sel_hi:[1,0,0]
	v_fma_f32 v180, v180, v87, -v181
	v_mul_i32_i24_e32 v181, v162, v84
	s_delay_alu instid0(VALU_DEP_2)
	v_add_f32_e32 v135, v135, v180
	scratch_store_b32 off, v135, off offset:1108 ; 4-byte Folded Spill
	scratch_load_b32 v135, off, off offset:896 ; 4-byte Folded Reload
	s_waitcnt vmcnt(8)
	v_mul_i32_i24_e32 v182, v163, v89
	s_waitcnt vmcnt(5)
	v_mul_i32_i24_e32 v180, v161, v85
	s_delay_alu instid0(VALU_DEP_1) | instskip(NEXT) | instid1(VALU_DEP_1)
	v_mad_i32_i24 v180, v156, v90, v180
	v_add3_u32 v180, v180, v181, v182
	v_mul_i32_i24_e32 v181, v157, v212
	v_mul_i32_i24_e32 v182, v158, v107
	scratch_load_b32 v107, off, off offset:868 ; 4-byte Folded Reload
	v_add3_u32 v180, v180, v181, v182
	v_mul_i32_i24_e32 v181, v126, v91
	v_mul_i32_i24_e32 v182, v153, v92
	s_clause 0x1
	scratch_load_b32 v91, off, off offset:912
	scratch_load_b32 v92, off, off offset:168
	v_add3_u32 v180, v180, v183, v184
	v_mul_i32_i24_e32 v183, v154, v93
	s_waitcnt vmcnt(7)
	v_mul_i32_i24_e32 v184, v155, v115
	scratch_load_b32 v93, off, off offset:1048 ; 4-byte Folded Reload
	v_add3_u32 v180, v180, v181, v182
	v_mul_i32_i24_e32 v181, v4, v94
	v_mul_i32_i24_e32 v182, v43, v95
	s_clause 0x1
	scratch_load_b32 v94, off, off offset:488
	scratch_load_b32 v95, off, off offset:1052
	v_add3_u32 v180, v180, v183, v184
	v_mul_i32_i24_e32 v183, v46, v96
	v_mul_i32_i24_e32 v184, v63, v97
	s_clause 0x1
	scratch_load_b32 v97, off, off offset:172
	scratch_load_b32 v96, off, off offset:1016
	v_add3_u32 v180, v180, v181, v182
	v_mul_i32_i24_e32 v182, v74, v99
	scratch_load_b32 v99, off, off offset:800 ; 4-byte Folded Reload
	v_mul_i32_i24_e32 v181, v71, v98
	scratch_load_b32 v98, off, off offset:1044 ; 4-byte Folded Reload
	v_add3_u32 v180, v180, v183, v184
	v_mul_i32_i24_e32 v183, v75, v100
	scratch_load_b32 v100, off, off offset:160 ; 4-byte Folded Reload
	v_add3_u32 v180, v180, v181, v182
	v_mul_i32_i24_e32 v181, v77, v101
	v_mul_i32_i24_e32 v182, v80, v102
	s_clause 0x1
	scratch_load_b32 v101, off, off offset:164
	scratch_load_b32 v102, off, off offset:424
	s_waitcnt vmcnt(12)
	v_mul_i32_i24_e32 v186, v124, v107
	s_waitcnt vmcnt(4)
	v_mul_i32_i24_e32 v184, v76, v99
	s_delay_alu instid0(VALU_DEP_1) | instskip(SKIP_2) | instid1(VALU_DEP_3)
	v_add3_u32 v180, v180, v183, v184
	v_mul_i32_i24_e32 v183, v81, v236
	v_mul_i32_i24_e32 v184, v82, v104
	v_add3_u32 v180, v180, v181, v182
	v_mul_i32_i24_e32 v181, v83, v245
	v_mul_i32_i24_e32 v182, v108, v250
	s_delay_alu instid0(VALU_DEP_3) | instskip(SKIP_2) | instid1(VALU_DEP_3)
	v_add3_u32 v180, v180, v183, v184
	v_mul_i32_i24_e32 v183, v109, v219
	v_mul_i32_i24_e32 v184, v110, v103
	v_add3_u32 v180, v180, v181, v182
	v_mul_i32_i24_e32 v181, v111, v113
	scratch_load_b32 v113, off, off offset:884 ; 4-byte Folded Reload
	v_mul_i32_i24_e32 v182, v112, v252
	v_add3_u32 v180, v180, v183, v184
	v_mul_i32_i24_e32 v183, v114, v218
	v_mul_i32_i24_e32 v184, v116, v220
	s_delay_alu instid0(VALU_DEP_3) | instskip(SKIP_2) | instid1(VALU_DEP_3)
	v_add3_u32 v180, v180, v181, v182
	v_mul_i32_i24_e32 v182, v117, v224
	v_fma_mix_f32 v181, v222, v0, 0 op_sel:[0,1,0] op_sel_hi:[0,1,0]
	v_add3_u32 v180, v180, v183, v184
	v_mul_i32_i24_e32 v183, v119, v225
	v_mul_i32_i24_e32 v184, v120, v228
	v_mad_i32_i24 v182, v118, v106, v182
	v_fma_mix_f32 v181, v96, v1, v181 op_sel:[0,1,0] op_sel_hi:[0,1,0]
	v_mul_lo_u32 v180, v180, v105
	s_delay_alu instid0(VALU_DEP_3) | instskip(SKIP_4) | instid1(VALU_DEP_3)
	v_add3_u32 v182, v182, v183, v184
	v_mul_i32_i24_e32 v183, v121, v235
	v_mul_i32_i24_e32 v184, v122, v229
	v_mul_f32_e32 v181, v181, v254
	v_cvt_f32_i32_e32 v180, v180
	v_add3_u32 v182, v182, v183, v184
	v_mul_i32_i24_e32 v183, v125, v237
	v_mul_i32_i24_e32 v184, v127, v223
	scratch_load_b32 v223, off, off offset:1036 ; 4-byte Folded Reload
	v_fma_mix_f32 v180, v0, v180, 0 op_sel_hi:[1,0,0]
	v_add3_u32 v182, v182, v185, v186
	v_mul_i32_i24_e32 v185, v128, v238
	s_delay_alu instid0(VALU_DEP_2) | instskip(SKIP_4) | instid1(VALU_DEP_1)
	v_add3_u32 v182, v182, v183, v184
	v_mul_i32_i24_e32 v183, v130, v246
	v_mul_i32_i24_e32 v184, v131, v249
	s_waitcnt vmcnt(1)
	v_mul_i32_i24_e32 v186, v129, v113
	v_add3_u32 v182, v182, v185, v186
	v_mul_i32_i24_e32 v186, v133, v251
	scratch_load_b32 v251, off, off offset:1024 ; 4-byte Folded Reload
	v_mul_i32_i24_e32 v185, v132, v135
	v_add3_u32 v182, v182, v183, v184
	v_mul_i32_i24_e32 v183, v168, v91
	scratch_load_b32 v91, off, off offset:1028 ; 4-byte Folded Reload
	v_mul_i32_i24_e32 v184, v169, v255
	v_add3_u32 v182, v182, v185, v186
	s_delay_alu instid0(VALU_DEP_1)
	v_add3_u32 v182, v182, v183, v184
	v_mul_i32_i24_e32 v183, v171, v242
	s_waitcnt vmcnt(2)
	v_mul_i32_i24_e32 v184, v172, v223
	s_waitcnt vmcnt(1)
	;; [unrolled: 2-line block ×3, first 2 shown]
	v_mul_i32_i24_e32 v186, v164, v91
	s_delay_alu instid0(VALU_DEP_1) | instskip(SKIP_2) | instid1(VALU_DEP_3)
	v_add3_u32 v182, v182, v185, v186
	v_mul_i32_i24_e32 v185, v173, v217
	v_mul_i32_i24_e32 v186, v165, v92
	v_add3_u32 v182, v182, v183, v184
	v_mul_i32_i24_e32 v183, v174, v221
	v_mul_i32_i24_e32 v184, v175, v97
	s_delay_alu instid0(VALU_DEP_3) | instskip(SKIP_2) | instid1(VALU_DEP_3)
	v_add3_u32 v182, v182, v185, v186
	v_mul_i32_i24_e32 v185, v176, v98
	v_mul_i32_i24_e32 v186, v166, v93
	v_add3_u32 v182, v182, v183, v184
	v_mul_i32_i24_e32 v183, v177, v100
	v_mul_i32_i24_e32 v184, v178, v101
	s_delay_alu instid0(VALU_DEP_3) | instskip(SKIP_2) | instid1(VALU_DEP_3)
	v_add3_u32 v182, v182, v185, v186
	v_mul_i32_i24_e32 v185, v179, v102
	v_mul_i32_i24_e32 v186, v167, v94
	v_add3_u32 v182, v182, v183, v184
	s_delay_alu instid0(VALU_DEP_1) | instskip(NEXT) | instid1(VALU_DEP_1)
	v_add3_u32 v182, v182, v185, v186
	v_mul_lo_u32 v182, v182, v95
	s_delay_alu instid0(VALU_DEP_1) | instskip(NEXT) | instid1(VALU_DEP_1)
	v_cvt_f32_i32_e32 v182, v182
	v_fma_mix_f32 v180, v1, v182, v180 op_sel_hi:[1,0,0]
	s_delay_alu instid0(VALU_DEP_1)
	v_fma_f32 v180, v180, v244, -v181
	scratch_load_b32 v181, off, off offset:1104 ; 4-byte Folded Reload
	s_waitcnt vmcnt(0)
	v_add_f32_e32 v181, v181, v180
	scratch_load_b32 v180, off, off offset:924 ; 4-byte Folded Reload
	s_waitcnt vmcnt(0)
	v_mul_i32_i24_e32 v161, v161, v180
	scratch_load_b32 v180, off, off offset:452 ; 4-byte Folded Reload
	s_waitcnt vmcnt(0)
	v_mul_i32_i24_e32 v162, v162, v180
	;; [unrolled: 3-line block ×3, first 2 shown]
	scratch_load_b32 v180, off, off offset:448 ; 4-byte Folded Reload
	s_waitcnt vmcnt(0)
	v_mad_i32_i24 v156, v156, v180, v161
	scratch_load_b32 v161, off, off offset:228 ; 4-byte Folded Reload
	v_add3_u32 v156, v156, v162, v163
	s_waitcnt vmcnt(0)
	v_mul_i32_i24_e32 v157, v157, v161
	scratch_load_b32 v161, off, off offset:28 ; 4-byte Folded Reload
	s_waitcnt vmcnt(0)
	v_mul_i32_i24_e32 v158, v158, v161
	scratch_load_b32 v161, off, off offset:32 ; 4-byte Folded Reload
	v_add3_u32 v156, v156, v157, v158
	scratch_load_b32 v157, off, off offset:232 ; 4-byte Folded Reload
	s_waitcnt vmcnt(1)
	v_mul_i32_i24_e32 v159, v159, v161
	scratch_load_b32 v161, off, off offset:36 ; 4-byte Folded Reload
	s_waitcnt vmcnt(1)
	v_mul_i32_i24_e32 v126, v126, v157
	;; [unrolled: 3-line block ×3, first 2 shown]
	s_delay_alu instid0(VALU_DEP_1)
	v_add3_u32 v156, v156, v159, v160
	s_waitcnt vmcnt(0)
	v_mul_i32_i24_e32 v153, v153, v157
	scratch_load_b32 v157, off, off offset:240 ; 4-byte Folded Reload
	v_add3_u32 v126, v156, v126, v153
	scratch_load_b32 v153, off, off offset:12 ; 4-byte Folded Reload
	s_waitcnt vmcnt(1)
	v_mul_i32_i24_e32 v154, v154, v157
	scratch_load_b32 v157, off, off offset:20 ; 4-byte Folded Reload
	s_waitcnt vmcnt(1)
	v_mul_i32_i24_e32 v4, v4, v153
	;; [unrolled: 3-line block ×3, first 2 shown]
	s_waitcnt vmcnt(0)
	v_mul_i32_i24_e32 v43, v43, v153
	scratch_load_b32 v153, off, off offset:244 ; 4-byte Folded Reload
	v_add3_u32 v126, v126, v154, v155
	s_delay_alu instid0(VALU_DEP_1)
	v_add3_u32 v4, v126, v4, v43
	scratch_load_b32 v43, off, off offset:40 ; 4-byte Folded Reload
	s_waitcnt vmcnt(1)
	v_mul_i32_i24_e32 v46, v46, v153
	scratch_load_b32 v153, off, off offset:24 ; 4-byte Folded Reload
	s_waitcnt vmcnt(1)
	v_mul_i32_i24_e32 v43, v71, v43
	;; [unrolled: 3-line block ×3, first 2 shown]
	s_delay_alu instid0(VALU_DEP_1)
	v_add3_u32 v4, v4, v46, v63
	s_clause 0x1
	scratch_load_b32 v46, off, off offset:44
	scratch_load_b32 v63, off, off offset:48
	s_waitcnt vmcnt(2)
	v_mul_i32_i24_e32 v71, v76, v71
	s_waitcnt vmcnt(1)
	v_mul_i32_i24_e32 v46, v74, v46
	;; [unrolled: 2-line block ×3, first 2 shown]
	s_delay_alu instid0(VALU_DEP_2)
	v_add3_u32 v4, v4, v43, v46
	s_clause 0x1
	scratch_load_b32 v43, off, off offset:52
	scratch_load_b32 v46, off, off offset:60
	v_add3_u32 v4, v4, v63, v71
	s_clause 0x1
	scratch_load_b32 v63, off, off offset:64
	scratch_load_b32 v71, off, off offset:248
	s_waitcnt vmcnt(3)
	v_mul_i32_i24_e32 v43, v77, v43
	s_waitcnt vmcnt(2)
	v_mul_i32_i24_e32 v46, v80, v46
	;; [unrolled: 2-line block ×4, first 2 shown]
	v_add3_u32 v4, v4, v43, v46
	s_clause 0x1
	scratch_load_b32 v43, off, off offset:252
	scratch_load_b32 v46, off, off offset:256
	v_add3_u32 v4, v4, v63, v71
	s_clause 0x1
	scratch_load_b32 v63, off, off offset:260
	scratch_load_b32 v71, off, off offset:264
	s_waitcnt vmcnt(3)
	v_mul_i32_i24_e32 v43, v83, v43
	s_waitcnt vmcnt(2)
	v_mul_i32_i24_e32 v46, v108, v46
	scratch_load_b32 v108, off, off offset:640 ; 4-byte Folded Reload
	s_waitcnt vmcnt(2)
	v_mul_i32_i24_e32 v63, v109, v63
	scratch_load_b32 v109, off, off offset:644 ; 4-byte Folded Reload
	s_waitcnt vmcnt(2)
	v_mul_i32_i24_e32 v71, v110, v71
	v_add3_u32 v4, v4, v43, v46
	scratch_load_b32 v110, off, off offset:648 ; 4-byte Folded Reload
	v_add3_u32 v4, v4, v63, v71
	s_waitcnt vmcnt(2)
	v_mul_i32_i24_e32 v43, v111, v108
	scratch_load_b32 v111, off, off offset:1056 ; 4-byte Folded Reload
	s_waitcnt vmcnt(2)
	v_mul_i32_i24_e32 v46, v112, v109
	scratch_load_b32 v112, off, off offset:1060 ; 4-byte Folded Reload
	;; [unrolled: 3-line block ×3, first 2 shown]
	v_add3_u32 v4, v4, v43, v46
	scratch_load_b32 v43, off, off offset:444 ; 4-byte Folded Reload
	s_waitcnt vmcnt(3)
	v_mul_i32_i24_e32 v71, v116, v111
	scratch_load_b32 v116, off, off offset:652 ; 4-byte Folded Reload
	v_add3_u32 v4, v4, v63, v71
	s_waitcnt vmcnt(1)
	v_mul_i32_i24_e32 v43, v117, v43
	scratch_load_b32 v117, off, off offset:660 ; 4-byte Folded Reload
	v_mul_lo_u32 v4, v4, v112
	s_delay_alu instid0(VALU_DEP_1) | instskip(NEXT) | instid1(VALU_DEP_1)
	v_cvt_f32_i32_e32 v4, v4
	v_fma_mix_f32 v4, v0, v4, 0 op_sel_hi:[1,0,0]
	v_fma_mix_f32 v0, v114, v0, 0 op_sel:[0,1,0] op_sel_hi:[0,1,0]
	s_delay_alu instid0(VALU_DEP_1) | instskip(NEXT) | instid1(VALU_DEP_1)
	v_fma_mix_f32 v0, v194, v1, v0 op_sel:[0,1,0] op_sel_hi:[0,1,0]
	v_mul_f32_e32 v0, v0, v196
	s_waitcnt vmcnt(1)
	v_mad_i32_i24 v43, v118, v116, v43
	scratch_load_b32 v118, off, off offset:656 ; 4-byte Folded Reload
	s_waitcnt vmcnt(1)
	v_mul_i32_i24_e32 v46, v119, v117
	scratch_load_b32 v119, off, off offset:1068 ; 4-byte Folded Reload
	s_waitcnt vmcnt(0)
	v_mul_i32_i24_e32 v63, v120, v119
	scratch_load_b32 v120, off, off offset:664 ; 4-byte Folded Reload
	v_add3_u32 v43, v43, v46, v63
	scratch_load_b32 v46, off, off offset:928 ; 4-byte Folded Reload
	v_mul_i32_i24_e32 v63, v122, v118
	v_mov_b32_e32 v122, v192
	s_waitcnt vmcnt(1)
	v_mul_i32_i24_e32 v71, v123, v120
	v_mov_b32_e32 v123, v195
	s_waitcnt vmcnt(0)
	v_mul_i32_i24_e32 v46, v121, v46
	scratch_load_b32 v121, off, off offset:668 ; 4-byte Folded Reload
	v_add3_u32 v43, v43, v46, v63
	scratch_load_b32 v46, off, off offset:900 ; 4-byte Folded Reload
	v_mul_i32_i24_e32 v63, v127, v191
	v_mov_b32_e32 v127, v191
	s_waitcnt vmcnt(1)
	v_mul_i32_i24_e32 v74, v124, v121
	v_mov_b32_e32 v124, v196
	s_delay_alu instid0(VALU_DEP_2)
	v_add3_u32 v43, v43, v71, v74
	s_waitcnt vmcnt(0)
	v_mul_i32_i24_e32 v46, v125, v46
	v_mul_i32_i24_e32 v71, v128, v192
	;; [unrolled: 1-line block ×3, first 2 shown]
	v_dual_mov_b32 v128, v187 :: v_dual_mov_b32 v129, v188
	s_delay_alu instid0(VALU_DEP_4)
	v_add3_u32 v43, v43, v46, v63
	v_mul_i32_i24_e32 v46, v130, v190
	v_mul_i32_i24_e32 v63, v131, v187
	v_mov_b32_e32 v130, v189
	v_mov_b32_e32 v125, v193
	v_add3_u32 v43, v43, v71, v74
	v_mul_i32_i24_e32 v71, v132, v188
	v_mul_i32_i24_e32 v74, v133, v189
	v_dual_mov_b32 v132, v88 :: v_dual_mov_b32 v133, v78
	s_delay_alu instid0(VALU_DEP_4) | instskip(SKIP_2) | instid1(VALU_DEP_3)
	v_add3_u32 v43, v43, v46, v63
	v_mul_i32_i24_e32 v46, v168, v79
	v_mul_i32_i24_e32 v63, v169, v210
	v_add3_u32 v43, v43, v71, v74
	v_mul_i32_i24_e32 v71, v170, v78
	v_mul_i32_i24_e32 v74, v164, v88
	v_mov_b32_e32 v88, v142
	v_mov_b32_e32 v78, v141
	v_add3_u32 v43, v43, v46, v63
	v_mul_i32_i24_e32 v46, v171, v206
	v_mul_i32_i24_e32 v63, v172, v207
	s_delay_alu instid0(VALU_DEP_3) | instskip(SKIP_2) | instid1(VALU_DEP_3)
	v_add3_u32 v43, v43, v71, v74
	v_mul_i32_i24_e32 v71, v173, v208
	v_mul_i32_i24_e32 v74, v165, v209
	v_add3_u32 v43, v43, v46, v63
	v_mul_i32_i24_e32 v46, v174, v202
	v_mul_i32_i24_e32 v63, v175, v203
	s_delay_alu instid0(VALU_DEP_3) | instskip(SKIP_2) | instid1(VALU_DEP_3)
	v_add3_u32 v43, v43, v71, v74
	v_mul_i32_i24_e32 v71, v176, v204
	v_mul_i32_i24_e32 v74, v166, v205
	;; [unrolled: 7-line block ×3, first 2 shown]
	v_add3_u32 v43, v43, v46, v63
	s_delay_alu instid0(VALU_DEP_1) | instskip(NEXT) | instid1(VALU_DEP_1)
	v_add3_u32 v43, v43, v71, v74
	v_mul_lo_u32 v43, v43, v197
	s_delay_alu instid0(VALU_DEP_1) | instskip(NEXT) | instid1(VALU_DEP_1)
	v_cvt_f32_i32_e32 v43, v43
	v_fma_mix_f32 v4, v1, v43, v4 op_sel_hi:[1,0,0]
	scratch_load_b32 v1, off, off offset:1100 ; 4-byte Folded Reload
	v_fma_f32 v0, v4, v195, -v0
	s_waitcnt vmcnt(0)
	s_delay_alu instid0(VALU_DEP_1)
	v_add_f32_e32 v1, v1, v0
	scratch_load_b32 v0, off, off           ; 4-byte Folded Reload
	s_clause 0x1
	scratch_store_b32 off, v181, off offset:1104
	scratch_store_b32 off, v1, off offset:1100
	s_waitcnt vmcnt(0)
	ds_load_b128 v[153:156], v0 offset:3072
	scratch_load_b32 v0, off, off           ; 4-byte Folded Reload
	s_waitcnt lgkmcnt(0)
	v_bfe_i32 v208, v153, 0, 8
	v_bfe_i32 v207, v153, 8, 8
	v_bfe_i32 v209, v153, 16, 8
	v_ashrrev_i32_e32 v210, 24, v153
	v_bfe_i32 v187, v154, 0, 8
	v_bfe_i32 v188, v154, 8, 8
	v_bfe_i32 v189, v154, 16, 8
	v_ashrrev_i32_e32 v190, 24, v154
	;; [unrolled: 4-line block ×4, first 2 shown]
	v_mul_i32_i24_e32 v71, v208, v138
	v_mul_i32_i24_e32 v74, v209, v140
	;; [unrolled: 1-line block ×5, first 2 shown]
	v_mad_i32_i24 v71, v207, v13, v71
	v_mov_b32_e32 v138, v149
	v_dual_mov_b32 v140, v72 :: v_dual_mov_b32 v13, v14
	v_mov_b32_e32 v253, v216
	s_delay_alu instid0(VALU_DEP_4) | instskip(SKIP_3) | instid1(VALU_DEP_2)
	v_add3_u32 v71, v71, v74, v75
	v_mul_i32_i24_e32 v74, v187, v240
	v_mul_i32_i24_e32 v75, v188, v139
	v_mov_b32_e32 v139, v31
	v_add3_u32 v71, v71, v74, v75
	v_mul_i32_i24_e32 v74, v183, v136
	v_mul_i32_i24_e32 v75, v184, v149
	v_mov_b32_e32 v149, v5
	s_delay_alu instid0(VALU_DEP_4)
	v_add3_u32 v71, v71, v76, v77
	v_mul_i32_i24_e32 v76, v185, v5
	v_mul_i32_i24_e32 v77, v186, v18
	scratch_load_b32 v5, off, off offset:500 ; 4-byte Folded Reload
	v_add3_u32 v71, v71, v74, v75
	v_mul_i32_i24_e32 v74, v163, v211
	v_mul_i32_i24_e32 v75, v180, v30
	v_mov_b32_e32 v211, v123
	s_delay_alu instid0(VALU_DEP_4) | instskip(SKIP_4) | instid1(VALU_DEP_1)
	v_add3_u32 v71, v71, v76, v77
	v_mul_i32_i24_e32 v76, v181, v21
	v_mul_i32_i24_e32 v77, v182, v35
	scratch_load_b32 v21, off, off offset:508 ; 4-byte Folded Reload
	v_add3_u32 v71, v71, v74, v75
	v_add3_u32 v71, v71, v76, v77
	s_waitcnt vmcnt(2)
	ds_load_b128 v[153:156], v0 offset:3088
	scratch_load_b32 v0, off, off           ; 4-byte Folded Reload
	s_waitcnt lgkmcnt(0)
	v_bfe_i32 v203, v153, 0, 8
	v_bfe_i32 v204, v153, 8, 8
	;; [unrolled: 1-line block ×4, first 2 shown]
	v_ashrrev_i32_e32 v206, 24, v153
	v_mul_i32_i24_e32 v74, v203, v37
	v_mul_i32_i24_e32 v75, v204, v45
	v_bfe_i32 v200, v154, 8, 8
	v_bfe_i32 v201, v154, 16, 8
	v_ashrrev_i32_e32 v202, 24, v154
	v_bfe_i32 v195, v155, 0, 8
	v_add3_u32 v71, v71, v74, v75
	v_mul_i32_i24_e32 v74, v199, v31
	scratch_load_b32 v31, off, off offset:224 ; 4-byte Folded Reload
	v_bfe_i32 v196, v155, 8, 8
	v_bfe_i32 v197, v155, 16, 8
	v_ashrrev_i32_e32 v198, 24, v155
	v_bfe_i32 v191, v156, 0, 8
	v_bfe_i32 v192, v156, 8, 8
	;; [unrolled: 1-line block ×3, first 2 shown]
	v_ashrrev_i32_e32 v194, 24, v156
	v_mul_i32_i24_e32 v76, v205, v47
	v_mul_i32_i24_e32 v77, v206, v72
	;; [unrolled: 1-line block ×3, first 2 shown]
	scratch_load_b32 v72, off, off offset:520 ; 4-byte Folded Reload
	v_mov_b32_e32 v45, v24
	v_add3_u32 v71, v71, v76, v77
	v_mul_i32_i24_e32 v76, v201, v49
	v_mul_i32_i24_e32 v77, v202, v50
	scratch_load_b32 v50, off, off offset:512 ; 4-byte Folded Reload
	v_add3_u32 v71, v71, v74, v75
	v_mul_i32_i24_e32 v74, v195, v51
	v_mul_i32_i24_e32 v75, v196, v55
	s_delay_alu instid0(VALU_DEP_3) | instskip(SKIP_2) | instid1(VALU_DEP_3)
	v_add3_u32 v71, v71, v76, v77
	v_mul_i32_i24_e32 v76, v197, v52
	v_mul_i32_i24_e32 v77, v198, v247
	v_add3_u32 v71, v71, v74, v75
	v_mul_i32_i24_e32 v74, v191, v53
	v_mul_i32_i24_e32 v75, v192, v243
	scratch_load_b32 v53, off, off offset:236 ; 4-byte Folded Reload
	v_add3_u32 v71, v71, v76, v77
	v_mul_i32_i24_e32 v76, v193, v54
	v_mul_i32_i24_e32 v77, v194, v56
	scratch_load_b32 v54, off, off offset:504 ; 4-byte Folded Reload
	v_add3_u32 v71, v71, v74, v75
	v_fma_mix_f32 v74, v67, v2, 0 op_sel:[0,1,0] op_sel_hi:[0,1,0]
	s_delay_alu instid0(VALU_DEP_2) | instskip(NEXT) | instid1(VALU_DEP_1)
	v_add3_u32 v71, v71, v76, v77
	v_mul_lo_u32 v71, v71, v66
	s_delay_alu instid0(VALU_DEP_1) | instskip(NEXT) | instid1(VALU_DEP_1)
	v_cvt_f32_i32_e32 v71, v71
	v_fma_mix_f32 v71, v2, v71, 0 op_sel_hi:[1,0,0]
	s_waitcnt vmcnt(5)
	ds_load_b128 v[153:156], v0 offset:3104
	scratch_load_b32 v0, off, off           ; 4-byte Folded Reload
	s_waitcnt lgkmcnt(0)
	v_bfe_i32 v177, v153, 0, 8
	v_bfe_i32 v176, v153, 8, 8
	;; [unrolled: 1-line block ×3, first 2 shown]
	v_ashrrev_i32_e32 v179, 24, v153
	v_bfe_i32 v172, v154, 0, 8
	v_mul_i32_i24_e32 v75, v177, v137
	v_bfe_i32 v173, v154, 8, 8
	v_mul_i32_i24_e32 v76, v178, v213
	v_mul_i32_i24_e32 v77, v179, v141
	v_bfe_i32 v174, v154, 16, 8
	v_mad_i32_i24 v75, v176, v227, v75
	v_ashrrev_i32_e32 v175, 24, v154
	v_bfe_i32 v168, v155, 0, 8
	v_bfe_i32 v169, v155, 8, 8
	;; [unrolled: 1-line block ×3, first 2 shown]
	v_add3_u32 v75, v75, v76, v77
	s_waitcnt vmcnt(5)
	v_mul_i32_i24_e32 v76, v172, v31
	v_mul_i32_i24_e32 v77, v173, v142
	v_ashrrev_i32_e32 v171, 24, v155
	v_bfe_i32 v164, v156, 0, 8
	v_bfe_i32 v165, v156, 8, 8
	;; [unrolled: 1-line block ×3, first 2 shown]
	v_ashrrev_i32_e32 v167, 24, v156
	v_mul_i32_i24_e32 v80, v174, v143
	v_mul_i32_i24_e32 v81, v175, v144
	v_add3_u32 v75, v75, v76, v77
	v_mul_i32_i24_e32 v76, v168, v146
	v_mul_i32_i24_e32 v77, v169, v147
	s_clause 0x1
	scratch_load_b32 v142, off, off offset:516
	scratch_load_b32 v141, off, off offset:524
	v_add3_u32 v75, v75, v80, v81
	v_mul_i32_i24_e32 v80, v170, v148
	v_mul_i32_i24_e32 v81, v171, v8
	v_mov_b32_e32 v137, v226
	s_delay_alu instid0(VALU_DEP_4) | instskip(SKIP_2) | instid1(VALU_DEP_3)
	v_add3_u32 v75, v75, v76, v77
	v_mul_i32_i24_e32 v76, v164, v150
	v_mul_i32_i24_e32 v77, v165, v215
	v_add3_u32 v75, v75, v80, v81
	v_mul_i32_i24_e32 v80, v166, v24
	v_mul_i32_i24_e32 v81, v167, v134
	s_delay_alu instid0(VALU_DEP_3) | instskip(NEXT) | instid1(VALU_DEP_1)
	v_add3_u32 v75, v75, v76, v77
	v_add3_u32 v75, v75, v80, v81
	s_waitcnt vmcnt(2)
	ds_load_b128 v[153:156], v0 offset:3120
	s_waitcnt lgkmcnt(0)
	v_bfe_i32 v162, v153, 0, 8
	v_bfe_i32 v159, v153, 8, 8
	v_bfe_i32 v160, v153, 16, 8
	v_ashrrev_i32_e32 v161, 24, v153
	v_bfe_i32 v82, v154, 0, 8
	v_mul_i32_i24_e32 v76, v162, v145
	v_mul_i32_i24_e32 v77, v159, v151
	v_bfe_i32 v83, v154, 8, 8
	v_mul_i32_i24_e32 v80, v160, v152
	v_mul_i32_i24_e32 v81, v161, v32
	v_bfe_i32 v157, v154, 16, 8
	v_add3_u32 v75, v75, v76, v77
	v_ashrrev_i32_e32 v158, 24, v154
	v_mul_i32_i24_e32 v76, v82, v33
	v_mul_i32_i24_e32 v77, v83, v7
	v_bfe_i32 v4, v155, 16, 8
	v_add3_u32 v75, v75, v80, v81
	v_mul_i32_i24_e32 v80, v157, v216
	v_mul_i32_i24_e32 v81, v158, v38
	v_bfe_i32 v63, v155, 0, 8
	v_bfe_i32 v126, v155, 8, 8
	v_add3_u32 v75, v75, v76, v77
	v_ashrrev_i32_e32 v153, 24, v155
	v_bfe_i32 v0, v156, 0, 8
	v_mul_i32_i24_e32 v76, v63, v239
	v_mul_i32_i24_e32 v77, v126, v241
	v_add3_u32 v75, v75, v80, v81
	v_mul_i32_i24_e32 v80, v4, v6
	scratch_load_b32 v6, off, off offset:1128 ; 4-byte Folded Reload
	v_bfe_i32 v1, v156, 8, 8
	v_mul_i32_i24_e32 v81, v153, v5
	v_add3_u32 v75, v75, v76, v77
	v_bfe_i32 v43, v156, 16, 8
	v_ashrrev_i32_e32 v46, 24, v156
	v_mul_i32_i24_e32 v76, v0, v54
	v_mul_i32_i24_e32 v77, v1, v21
	v_add3_u32 v75, v75, v80, v81
	v_mul_i32_i24_e32 v80, v43, v50
	s_waitcnt vmcnt(2)
	v_mul_i32_i24_e32 v81, v46, v142
	s_waitcnt vmcnt(1)
	v_fma_mix_f32 v74, v141, v3, v74 op_sel:[0,1,0] op_sel_hi:[0,1,0]
	v_mov_b32_e32 v33, v35
	v_add3_u32 v75, v75, v76, v77
	s_delay_alu instid0(VALU_DEP_3) | instskip(NEXT) | instid1(VALU_DEP_2)
	v_dual_mov_b32 v35, v37 :: v_dual_mul_f32 v74, v74, v9
	v_add3_u32 v75, v75, v80, v81
	s_delay_alu instid0(VALU_DEP_1) | instskip(NEXT) | instid1(VALU_DEP_1)
	v_mul_lo_u32 v75, v75, v72
	v_cvt_f32_i32_e32 v75, v75
	s_delay_alu instid0(VALU_DEP_1) | instskip(SKIP_1) | instid1(VALU_DEP_2)
	v_fma_mix_f32 v71, v3, v75, v71 op_sel_hi:[1,0,0]
	v_mul_i32_i24_e32 v75, v210, v226
	v_fma_f32 v71, v71, v10, -v74
	v_mul_i32_i24_e32 v74, v209, v16
	s_waitcnt vmcnt(0)
	s_delay_alu instid0(VALU_DEP_2)
	v_add_f32_e32 v6, v6, v71
	v_mul_i32_i24_e32 v71, v208, v15
	scratch_store_b32 off, v6, off offset:1128 ; 4-byte Folded Spill
	scratch_load_b32 v6, off, off offset:292 ; 4-byte Folded Reload
	v_mad_i32_i24 v71, v207, v69, v71
	v_mov_b32_e32 v69, v11
	s_delay_alu instid0(VALU_DEP_2)
	v_add3_u32 v71, v71, v74, v75
	v_mul_i32_i24_e32 v75, v188, v65
	s_waitcnt vmcnt(0)
	v_mul_i32_i24_e32 v74, v187, v6
	scratch_load_b32 v6, off, off offset:68 ; 4-byte Folded Reload
	v_add3_u32 v71, v71, v74, v75
	s_waitcnt vmcnt(0)
	v_mul_i32_i24_e32 v76, v189, v6
	scratch_load_b32 v6, off, off offset:72 ; 4-byte Folded Reload
	s_waitcnt vmcnt(0)
	v_mul_i32_i24_e32 v77, v190, v6
	scratch_load_b32 v6, off, off offset:76 ; 4-byte Folded Reload
	v_add3_u32 v71, v71, v76, v77
	s_waitcnt vmcnt(0)
	v_mul_i32_i24_e32 v74, v183, v6
	scratch_load_b32 v6, off, off offset:8  ; 4-byte Folded Reload
	s_waitcnt vmcnt(0)
	v_mul_i32_i24_e32 v75, v184, v6
	scratch_load_b32 v6, off, off offset:80 ; 4-byte Folded Reload
	v_add3_u32 v71, v71, v74, v75
	v_mul_i32_i24_e32 v75, v180, v11
	scratch_load_b32 v11, off, off offset:996 ; 4-byte Folded Reload
	s_waitcnt vmcnt(1)
	v_mul_i32_i24_e32 v76, v185, v6
	scratch_load_b32 v6, off, off offset:120 ; 4-byte Folded Reload
	s_waitcnt vmcnt(0)
	v_mul_i32_i24_e32 v77, v186, v6
	scratch_load_b32 v6, off, off offset:124 ; 4-byte Folded Reload
	v_add3_u32 v71, v71, v76, v77
	v_mul_i32_i24_e32 v76, v181, v26
	v_mul_i32_i24_e32 v77, v182, v28
	scratch_load_b32 v28, off, off offset:900 ; 4-byte Folded Reload
	s_waitcnt vmcnt(1)
	v_mul_i32_i24_e32 v74, v163, v6
	scratch_load_b32 v6, off, off offset:100 ; 4-byte Folded Reload
	v_add3_u32 v71, v71, v74, v75
	v_mul_i32_i24_e32 v74, v203, v62
	v_mul_i32_i24_e32 v75, v204, v73
	v_mov_b32_e32 v73, v64
	s_delay_alu instid0(VALU_DEP_4) | instskip(SKIP_3) | instid1(VALU_DEP_4)
	v_add3_u32 v71, v71, v76, v77
	v_mul_i32_i24_e32 v76, v205, v64
	v_mul_i32_i24_e32 v77, v206, v23
	v_dual_mov_b32 v23, v138 :: v_dual_mov_b32 v138, v149
	v_add3_u32 v71, v71, v74, v75
	v_mul_i32_i24_e32 v74, v199, v70
	v_mul_i32_i24_e32 v75, v200, v25
	scratch_store_b32 off, v84, off offset:388 ; 4-byte Folded Spill
	v_add3_u32 v71, v71, v76, v77
	v_mul_i32_i24_e32 v76, v201, v27
	v_mul_i32_i24_e32 v77, v202, v40
	v_mov_b32_e32 v27, v125
	s_delay_alu instid0(VALU_DEP_4) | instskip(SKIP_2) | instid1(VALU_DEP_3)
	v_add3_u32 v71, v71, v74, v75
	v_mul_i32_i24_e32 v74, v195, v41
	v_mul_i32_i24_e32 v75, v196, v42
	v_add3_u32 v71, v71, v76, v77
	v_mul_i32_i24_e32 v76, v197, v44
	s_delay_alu instid0(VALU_DEP_2)
	v_add3_u32 v71, v71, v74, v75
	v_mul_i32_i24_e32 v74, v191, v214
	v_mul_i32_i24_e32 v75, v192, v29
	v_dual_mov_b32 v29, v122 :: v_dual_mov_b32 v56, v147
	v_mov_b32_e32 v147, v10
	s_waitcnt vmcnt(0)
	v_mul_i32_i24_e32 v77, v198, v6
	scratch_load_b32 v6, off, off offset:400 ; 4-byte Folded Reload
	v_add3_u32 v71, v71, v76, v77
	v_mul_i32_i24_e32 v76, v193, v34
	v_mul_i32_i24_e32 v77, v194, v36
	s_delay_alu instid0(VALU_DEP_3) | instskip(SKIP_2) | instid1(VALU_DEP_3)
	v_add3_u32 v71, v71, v74, v75
	v_mul_i32_i24_e32 v75, v177, v59
	v_fma_mix_f32 v74, v57, v2, 0 op_sel:[0,1,0] op_sel_hi:[0,1,0]
	v_add3_u32 v71, v71, v76, v77
	s_delay_alu instid0(VALU_DEP_3) | instskip(NEXT) | instid1(VALU_DEP_2)
	v_mad_i32_i24 v75, v176, v58, v75
	v_mul_lo_u32 v71, v71, v39
	s_delay_alu instid0(VALU_DEP_1) | instskip(NEXT) | instid1(VALU_DEP_1)
	v_cvt_f32_i32_e32 v71, v71
	v_fma_mix_f32 v71, v2, v71, 0 op_sel_hi:[1,0,0]
	s_waitcnt vmcnt(0)
	v_mul_i32_i24_e32 v76, v178, v6
	scratch_load_b32 v6, off, off offset:116 ; 4-byte Folded Reload
	s_waitcnt vmcnt(0)
	v_mul_i32_i24_e32 v77, v179, v6
	scratch_load_b32 v6, off, off offset:324 ; 4-byte Folded Reload
	v_add3_u32 v75, v75, v76, v77
	v_mul_i32_i24_e32 v77, v173, v60
	s_waitcnt vmcnt(0)
	v_mul_i32_i24_e32 v76, v172, v6
	scratch_load_b32 v6, off, off offset:112 ; 4-byte Folded Reload
	v_add3_u32 v75, v75, v76, v77
	v_mul_i32_i24_e32 v76, v168, v231
	v_mul_i32_i24_e32 v77, v169, v232
	s_waitcnt vmcnt(0)
	v_mul_i32_i24_e32 v80, v174, v6
	scratch_load_b32 v6, off, off offset:440 ; 4-byte Folded Reload
	s_waitcnt vmcnt(0)
	v_mul_i32_i24_e32 v81, v175, v6
	scratch_load_b32 v6, off, off offset:336 ; 4-byte Folded Reload
	v_add3_u32 v75, v75, v80, v81
	v_mul_i32_i24_e32 v80, v170, v233
	v_mul_i32_i24_e32 v81, v171, v234
	s_delay_alu instid0(VALU_DEP_3) | instskip(SKIP_1) | instid1(VALU_DEP_2)
	v_add3_u32 v75, v75, v76, v77
	v_mul_i32_i24_e32 v76, v164, v61
	v_add3_u32 v75, v75, v80, v81
	v_mul_i32_i24_e32 v81, v167, v12
	s_waitcnt vmcnt(0)
	v_mul_i32_i24_e32 v77, v165, v6
	scratch_load_b32 v6, off, off offset:84 ; 4-byte Folded Reload
	v_add3_u32 v75, v75, v76, v77
	s_waitcnt vmcnt(0)
	v_mul_i32_i24_e32 v80, v166, v6
	scratch_load_b32 v6, off, off offset:128 ; 4-byte Folded Reload
	v_add3_u32 v75, v75, v80, v81
	v_mul_i32_i24_e32 v80, v160, v17
	s_waitcnt vmcnt(0)
	v_mul_i32_i24_e32 v76, v162, v6
	scratch_load_b32 v6, off, off offset:132 ; 4-byte Folded Reload
	s_waitcnt vmcnt(0)
	v_mul_i32_i24_e32 v77, v159, v6
	scratch_load_b32 v6, off, off offset:88 ; 4-byte Folded Reload
	v_add3_u32 v75, v75, v76, v77
	v_mul_i32_i24_e32 v77, v83, v19
	v_mov_b32_e32 v19, v244
	s_waitcnt vmcnt(0)
	v_mul_i32_i24_e32 v81, v161, v6
	scratch_load_b32 v6, off, off offset:92 ; 4-byte Folded Reload
	v_add3_u32 v75, v75, v80, v81
	s_waitcnt vmcnt(0)
	v_mul_i32_i24_e32 v76, v82, v6
	scratch_load_b32 v6, off, off offset:96 ; 4-byte Folded Reload
	v_add3_u32 v75, v75, v76, v77
	v_mul_i32_i24_e32 v76, v63, v68
	s_waitcnt vmcnt(0)
	v_mul_i32_i24_e32 v80, v157, v6
	scratch_load_b32 v6, off, off offset:136 ; 4-byte Folded Reload
	s_waitcnt vmcnt(0)
	v_mul_i32_i24_e32 v81, v158, v6
	scratch_load_b32 v6, off, off offset:368 ; 4-byte Folded Reload
	v_add3_u32 v75, v75, v80, v81
	v_mul_i32_i24_e32 v81, v153, v20
	v_mov_b32_e32 v20, v139
	s_waitcnt vmcnt(0)
	v_mul_i32_i24_e32 v77, v126, v6
	scratch_load_b32 v6, off, off offset:140 ; 4-byte Folded Reload
	v_add3_u32 v75, v75, v76, v77
	s_waitcnt vmcnt(0)
	v_mul_i32_i24_e32 v80, v4, v6
	scratch_load_b32 v6, off, off offset:308 ; 4-byte Folded Reload
	v_add3_u32 v75, v75, v80, v81
	v_mul_i32_i24_e32 v81, v46, v22
	v_mov_b32_e32 v22, v140
	s_waitcnt vmcnt(0)
	v_mul_i32_i24_e32 v76, v0, v6
	scratch_load_b32 v6, off, off offset:104 ; 4-byte Folded Reload
	s_waitcnt vmcnt(0)
	v_mul_i32_i24_e32 v77, v1, v6
	scratch_load_b32 v6, off, off offset:312 ; 4-byte Folded Reload
	v_add3_u32 v75, v75, v76, v77
	s_waitcnt vmcnt(0)
	v_mul_i32_i24_e32 v80, v43, v6
	scratch_load_b32 v6, off, off offset:144 ; 4-byte Folded Reload
	v_add3_u32 v75, v75, v80, v81
	v_mul_i32_i24_e32 v80, v174, v230
	v_mul_i32_i24_e32 v81, v175, v107
	s_waitcnt vmcnt(0)
	s_delay_alu instid0(VALU_DEP_3) | instskip(SKIP_2) | instid1(VALU_DEP_1)
	v_mul_lo_u32 v75, v75, v6
	scratch_load_b32 v6, off, off offset:108 ; 4-byte Folded Reload
	v_cvt_f32_i32_e32 v75, v75
	v_fma_mix_f32 v71, v3, v75, v71 op_sel_hi:[1,0,0]
	v_mul_i32_i24_e32 v75, v210, v89
	s_waitcnt vmcnt(0)
	v_fma_mix_f32 v74, v6, v3, v74 op_sel:[0,1,0] op_sel_hi:[0,1,0]
	scratch_load_b32 v6, off, off offset:1124 ; 4-byte Folded Reload
	v_mul_f32_e32 v74, v74, v86
	s_delay_alu instid0(VALU_DEP_1) | instskip(SKIP_2) | instid1(VALU_DEP_2)
	v_fma_f32 v71, v71, v87, -v74
	v_mul_i32_i24_e32 v74, v209, v84
	s_waitcnt vmcnt(0)
	v_add_f32_e32 v6, v6, v71
	v_mul_i32_i24_e32 v71, v208, v85
	scratch_store_b32 off, v6, off offset:1124 ; 4-byte Folded Spill
	scratch_load_b32 v6, off, off offset:856 ; 4-byte Folded Reload
	v_mad_i32_i24 v71, v207, v90, v71
	s_delay_alu instid0(VALU_DEP_1)
	v_add3_u32 v71, v71, v74, v75
	v_mul_i32_i24_e32 v74, v187, v212
	s_waitcnt vmcnt(0)
	v_mul_i32_i24_e32 v75, v188, v6
	scratch_load_b32 v6, off, off offset:476 ; 4-byte Folded Reload
	v_add3_u32 v71, v71, v74, v75
	s_waitcnt vmcnt(0)
	v_mul_i32_i24_e32 v76, v189, v6
	scratch_load_b32 v6, off, off offset:480 ; 4-byte Folded Reload
	s_waitcnt vmcnt(0)
	v_mul_i32_i24_e32 v77, v190, v6
	scratch_load_b32 v6, off, off offset:932 ; 4-byte Folded Reload
	v_add3_u32 v71, v71, v76, v77
	v_mul_i32_i24_e32 v77, v186, v115
	s_waitcnt vmcnt(0)
	v_mul_i32_i24_e32 v74, v183, v6
	scratch_load_b32 v6, off, off offset:944 ; 4-byte Folded Reload
	s_waitcnt vmcnt(0)
	v_mul_i32_i24_e32 v75, v184, v6
	scratch_load_b32 v6, off, off offset:936 ; 4-byte Folded Reload
	v_add3_u32 v71, v71, v74, v75
	s_waitcnt vmcnt(0)
	v_mul_i32_i24_e32 v76, v185, v6
	scratch_load_b32 v6, off, off offset:948 ; 4-byte Folded Reload
	v_add3_u32 v71, v71, v76, v77
	s_waitcnt vmcnt(0)
	v_mul_i32_i24_e32 v74, v163, v6
	scratch_load_b32 v6, off, off offset:492 ; 4-byte Folded Reload
	s_waitcnt vmcnt(0)
	v_mul_i32_i24_e32 v75, v180, v6
	scratch_load_b32 v6, off, off offset:496 ; 4-byte Folded Reload
	v_add3_u32 v71, v71, v74, v75
	s_waitcnt vmcnt(0)
	v_mul_i32_i24_e32 v76, v181, v6
	scratch_load_b32 v6, off, off offset:952 ; 4-byte Folded Reload
	s_waitcnt vmcnt(0)
	v_mul_i32_i24_e32 v77, v182, v6
	scratch_load_b32 v6, off, off offset:956 ; 4-byte Folded Reload
	v_add3_u32 v71, v71, v76, v77
	v_mul_i32_i24_e32 v77, v206, v99
	s_waitcnt vmcnt(0)
	v_mul_i32_i24_e32 v74, v203, v6
	scratch_load_b32 v6, off, off offset:940 ; 4-byte Folded Reload
	s_waitcnt vmcnt(0)
	v_mul_i32_i24_e32 v75, v204, v6
	scratch_load_b32 v6, off, off offset:460 ; 4-byte Folded Reload
	v_add3_u32 v71, v71, v74, v75
	s_waitcnt vmcnt(0)
	v_mul_i32_i24_e32 v76, v205, v6
	scratch_load_b32 v6, off, off offset:796 ; 4-byte Folded Reload
	v_add3_u32 v71, v71, v76, v77
	v_mul_i32_i24_e32 v76, v201, v236
	v_mul_i32_i24_e32 v77, v202, v104
	s_waitcnt vmcnt(0)
	v_mul_i32_i24_e32 v74, v199, v6
	scratch_load_b32 v6, off, off offset:464 ; 4-byte Folded Reload
	s_waitcnt vmcnt(0)
	v_mul_i32_i24_e32 v75, v200, v6
	scratch_load_b32 v6, off, off offset:472 ; 4-byte Folded Reload
	v_add3_u32 v71, v71, v74, v75
	v_mul_i32_i24_e32 v74, v195, v245
	v_mul_i32_i24_e32 v75, v196, v250
	s_delay_alu instid0(VALU_DEP_3) | instskip(SKIP_2) | instid1(VALU_DEP_3)
	v_add3_u32 v71, v71, v76, v77
	v_mul_i32_i24_e32 v76, v197, v219
	v_mul_i32_i24_e32 v77, v198, v103
	v_add3_u32 v71, v71, v74, v75
	v_mul_i32_i24_e32 v75, v192, v252
	s_delay_alu instid0(VALU_DEP_2)
	v_add3_u32 v71, v71, v76, v77
	v_mul_i32_i24_e32 v76, v193, v218
	v_mul_i32_i24_e32 v77, v194, v220
	s_waitcnt vmcnt(0)
	v_mul_i32_i24_e32 v74, v191, v6
	scratch_load_b32 v6, off, off offset:876 ; 4-byte Folded Reload
	v_add3_u32 v71, v71, v74, v75
	v_mul_i32_i24_e32 v75, v177, v224
	v_fma_mix_f32 v74, v222, v2, 0 op_sel:[0,1,0] op_sel_hi:[0,1,0]
	s_delay_alu instid0(VALU_DEP_3)
	v_add3_u32 v71, v71, v76, v77
	v_mul_i32_i24_e32 v76, v178, v225
	v_mul_i32_i24_e32 v77, v179, v228
	v_mad_i32_i24 v75, v176, v106, v75
	v_fma_mix_f32 v74, v96, v3, v74 op_sel:[0,1,0] op_sel_hi:[0,1,0]
	v_mul_lo_u32 v71, v71, v105
	v_mov_b32_e32 v105, v233
	s_delay_alu instid0(VALU_DEP_4) | instskip(SKIP_4) | instid1(VALU_DEP_3)
	v_add3_u32 v75, v75, v76, v77
	v_mul_i32_i24_e32 v76, v172, v235
	v_mul_i32_i24_e32 v77, v173, v229
	v_mul_f32_e32 v74, v74, v254
	v_cvt_f32_i32_e32 v71, v71
	v_add3_u32 v75, v75, v76, v77
	v_mul_i32_i24_e32 v76, v168, v237
	s_delay_alu instid0(VALU_DEP_3) | instskip(NEXT) | instid1(VALU_DEP_3)
	v_fma_mix_f32 v71, v2, v71, 0 op_sel_hi:[1,0,0]
	v_add3_u32 v75, v75, v80, v81
	v_mul_i32_i24_e32 v80, v170, v238
	v_mul_i32_i24_e32 v81, v171, v113
	s_waitcnt vmcnt(0)
	v_mul_i32_i24_e32 v77, v169, v6
	scratch_load_b32 v6, off, off offset:960 ; 4-byte Folded Reload
	v_add3_u32 v75, v75, v76, v77
	v_mul_i32_i24_e32 v76, v164, v246
	v_mul_i32_i24_e32 v77, v165, v249
	s_delay_alu instid0(VALU_DEP_3) | instskip(SKIP_1) | instid1(VALU_DEP_2)
	v_add3_u32 v75, v75, v80, v81
	v_mul_i32_i24_e32 v80, v166, v135
	v_add3_u32 v75, v75, v76, v77
	v_mul_i32_i24_e32 v77, v159, v255
	s_waitcnt vmcnt(0)
	v_mul_i32_i24_e32 v81, v167, v6
	scratch_load_b32 v6, off, off offset:912 ; 4-byte Folded Reload
	v_add3_u32 v75, v75, v80, v81
	v_mul_i32_i24_e32 v80, v160, v251
	v_mul_i32_i24_e32 v81, v161, v91
	v_mov_b32_e32 v251, v124
	s_waitcnt vmcnt(0)
	v_mul_i32_i24_e32 v76, v162, v6
	scratch_load_b32 v6, off, off offset:1120 ; 4-byte Folded Reload
	v_add3_u32 v75, v75, v76, v77
	v_mul_i32_i24_e32 v76, v82, v242
	v_mul_i32_i24_e32 v77, v83, v223
	s_delay_alu instid0(VALU_DEP_3) | instskip(SKIP_3) | instid1(VALU_DEP_4)
	v_add3_u32 v75, v75, v80, v81
	v_mul_i32_i24_e32 v80, v157, v217
	v_mul_i32_i24_e32 v81, v158, v92
	v_mov_b32_e32 v217, v73
	v_add3_u32 v75, v75, v76, v77
	v_mul_i32_i24_e32 v76, v63, v221
	v_mul_i32_i24_e32 v77, v126, v97
	s_delay_alu instid0(VALU_DEP_3) | instskip(SKIP_2) | instid1(VALU_DEP_3)
	v_add3_u32 v75, v75, v80, v81
	v_mul_i32_i24_e32 v80, v4, v98
	v_mul_i32_i24_e32 v81, v153, v93
	v_add3_u32 v75, v75, v76, v77
	v_mul_i32_i24_e32 v76, v0, v100
	v_mul_i32_i24_e32 v77, v1, v101
	s_delay_alu instid0(VALU_DEP_3) | instskip(SKIP_3) | instid1(VALU_DEP_4)
	v_add3_u32 v75, v75, v80, v81
	v_mul_i32_i24_e32 v80, v43, v102
	v_mul_i32_i24_e32 v81, v46, v94
	v_mov_b32_e32 v102, v69
	v_add3_u32 v75, v75, v76, v77
	s_delay_alu instid0(VALU_DEP_1) | instskip(NEXT) | instid1(VALU_DEP_1)
	v_add3_u32 v75, v75, v80, v81
	v_mul_lo_u32 v75, v75, v95
	s_delay_alu instid0(VALU_DEP_1) | instskip(NEXT) | instid1(VALU_DEP_1)
	v_cvt_f32_i32_e32 v75, v75
	v_fma_mix_f32 v71, v3, v75, v71 op_sel_hi:[1,0,0]
	s_delay_alu instid0(VALU_DEP_1) | instskip(SKIP_1) | instid1(VALU_DEP_1)
	v_fma_f32 v71, v71, v244, -v74
	s_waitcnt vmcnt(0)
	v_add_f32_e32 v6, v6, v71
	scratch_store_b32 off, v6, off offset:1120 ; 4-byte Folded Spill
	scratch_load_b32 v6, off, off offset:924 ; 4-byte Folded Reload
	s_waitcnt vmcnt(0)
	v_mul_i32_i24_e32 v71, v208, v6
	scratch_load_b32 v6, off, off offset:452 ; 4-byte Folded Reload
	v_mov_b32_e32 v208, v133
	s_waitcnt vmcnt(0)
	v_mul_i32_i24_e32 v74, v209, v6
	scratch_load_b32 v6, off, off offset:456 ; 4-byte Folded Reload
	v_mov_b32_e32 v209, v132
	v_mov_b32_e32 v66, v8
	v_mov_b32_e32 v8, v130
	v_mov_b32_e32 v248, v151
	s_waitcnt vmcnt(0)
	v_mul_i32_i24_e32 v75, v210, v6
	s_clause 0x1
	scratch_load_b32 v6, off, off offset:448
	scratch_load_b32 v210, off, off offset:248
	s_waitcnt vmcnt(1)
	v_mad_i32_i24 v71, v207, v6, v71
	s_clause 0x1
	scratch_load_b32 v6, off, off offset:228
	scratch_load_b32 v207, off, off offset:792
	v_add3_u32 v71, v71, v74, v75
	s_waitcnt vmcnt(1)
	v_mul_i32_i24_e32 v74, v187, v6
	s_clause 0x1
	scratch_load_b32 v6, off, off offset:28
	scratch_load_b32 v187, off, off offset:264
	s_waitcnt vmcnt(1)
	v_mul_i32_i24_e32 v75, v188, v6
	s_clause 0x1
	scratch_load_b32 v6, off, off offset:32
	scratch_load_b32 v188, off, off offset:232
	v_add3_u32 v71, v71, v74, v75
	v_mul_i32_i24_e32 v75, v184, v53
	s_waitcnt vmcnt(1)
	v_mul_i32_i24_e32 v76, v189, v6
	s_clause 0x1
	scratch_load_b32 v6, off, off offset:36
	scratch_load_b32 v189, off, off offset:240
	s_waitcnt vmcnt(2)
	v_mul_i32_i24_e32 v74, v183, v188
	s_waitcnt vmcnt(1)
	v_mul_i32_i24_e32 v77, v190, v6
	s_clause 0x1
	scratch_load_b32 v6, off, off offset:20
	scratch_load_b32 v190, off, off offset:256
	v_add3_u32 v71, v71, v76, v77
	s_waitcnt vmcnt(2)
	v_mul_i32_i24_e32 v76, v185, v189
	s_delay_alu instid0(VALU_DEP_2)
	v_add3_u32 v71, v71, v74, v75
	s_waitcnt vmcnt(1)
	v_mul_i32_i24_e32 v77, v186, v6
	scratch_load_b32 v6, off, off offset:12 ; 4-byte Folded Reload
	v_add3_u32 v71, v71, v76, v77
	s_waitcnt vmcnt(0)
	v_mul_i32_i24_e32 v74, v163, v6
	scratch_load_b32 v6, off, off offset:16 ; 4-byte Folded Reload
	s_waitcnt vmcnt(0)
	v_mul_i32_i24_e32 v75, v180, v6
	scratch_load_b32 v6, off, off offset:244 ; 4-byte Folded Reload
	v_add3_u32 v71, v71, v74, v75
	s_waitcnt vmcnt(0)
	v_mul_i32_i24_e32 v76, v181, v6
	scratch_load_b32 v6, off, off offset:24 ; 4-byte Folded Reload
	s_waitcnt vmcnt(0)
	v_mul_i32_i24_e32 v77, v182, v6
	scratch_load_b32 v6, off, off offset:40 ; 4-byte Folded Reload
	v_add3_u32 v71, v71, v76, v77
	s_waitcnt vmcnt(0)
	v_mul_i32_i24_e32 v74, v203, v6
	s_clause 0x1
	scratch_load_b32 v6, off, off offset:44
	scratch_load_b32 v203, off, off offset:776
	s_waitcnt vmcnt(1)
	v_mul_i32_i24_e32 v75, v204, v6
	s_clause 0x1
	scratch_load_b32 v6, off, off offset:48
	scratch_load_b32 v204, off, off offset:784
	v_add3_u32 v71, v71, v74, v75
	s_waitcnt vmcnt(1)
	v_mul_i32_i24_e32 v76, v205, v6
	s_clause 0x1
	scratch_load_b32 v6, off, off offset:56
	scratch_load_b32 v205, off, off offset:788
	s_waitcnt vmcnt(1)
	v_mul_i32_i24_e32 v77, v206, v6
	s_clause 0x1
	scratch_load_b32 v6, off, off offset:52
	scratch_load_b32 v206, off, off offset:252
	v_add3_u32 v71, v71, v76, v77
	v_mul_i32_i24_e32 v77, v202, v210
	scratch_load_b32 v202, off, off offset:780 ; 4-byte Folded Reload
	s_waitcnt vmcnt(2)
	v_mul_i32_i24_e32 v74, v199, v6
	s_clause 0x1
	scratch_load_b32 v6, off, off offset:60
	scratch_load_b32 v199, off, off offset:260
	s_waitcnt vmcnt(1)
	v_mul_i32_i24_e32 v75, v200, v6
	scratch_load_b32 v6, off, off offset:64 ; 4-byte Folded Reload
	v_add3_u32 v71, v71, v74, v75
	v_mul_i32_i24_e32 v74, v195, v206
	v_mul_i32_i24_e32 v75, v196, v190
	s_waitcnt vmcnt(0)
	v_mul_i32_i24_e32 v76, v201, v6
	s_delay_alu instid0(VALU_DEP_1)
	v_add3_u32 v71, v71, v76, v77
	v_mul_i32_i24_e32 v77, v198, v187
	s_clause 0x3
	scratch_load_b32 v198, off, off offset:760
	scratch_load_b32 v200, off, off offset:768
	;; [unrolled: 1-line block ×4, first 2 shown]
	v_mul_i32_i24_e32 v76, v197, v199
	v_add3_u32 v71, v71, v74, v75
	v_mul_i32_i24_e32 v74, v191, v108
	v_mul_i32_i24_e32 v75, v192, v109
	s_clause 0x1
	scratch_load_b32 v197, off, off offset:764
	scratch_load_b32 v195, off, off offset:684
	v_add3_u32 v71, v71, v76, v77
	v_mul_i32_i24_e32 v76, v193, v110
	v_mul_i32_i24_e32 v77, v194, v111
	s_clause 0x1
	scratch_load_b32 v193, off, off offset:676
	scratch_load_b32 v194, off, off offset:680
	v_add3_u32 v71, v71, v74, v75
	s_clause 0x2
	scratch_load_b32 v196, off, off offset:1012
	scratch_load_b32 v192, off, off offset:1004
	;; [unrolled: 1-line block ×3, first 2 shown]
	v_mul_i32_i24_e32 v74, v178, v117
	v_add3_u32 v71, v71, v76, v77
	v_mul_i32_i24_e32 v75, v179, v119
	v_mul_i32_i24_e32 v76, v174, v120
	;; [unrolled: 1-line block ×3, first 2 shown]
	scratch_load_b32 v67, off, off offset:536 ; 4-byte Folded Reload
	v_mul_lo_u32 v71, v71, v112
	v_mov_b32_e32 v214, v86
	v_mov_b32_e32 v86, v137
	;; [unrolled: 1-line block ×3, first 2 shown]
	scratch_load_b32 v24, off, off offset:564 ; 4-byte Folded Reload
	v_mov_b32_e32 v146, v9
	v_mov_b32_e32 v9, v129
	scratch_load_b32 v7, off, off           ; 4-byte Folded Reload
	v_cvt_f32_i32_e32 v71, v71
	s_clause 0x3
	scratch_load_b32 v38, off, off offset:396
	scratch_load_b32 v39, off, off offset:268
	;; [unrolled: 1-line block ×4, first 2 shown]
	v_fma_mix_f32 v163, v2, v71, 0 op_sel_hi:[1,0,0]
	v_fma_mix_f32 v2, v114, v2, 0 op_sel:[0,1,0] op_sel_hi:[0,1,0]
	s_clause 0x9
	scratch_load_b32 v12, off, off offset:332
	scratch_load_b32 v17, off, off offset:344
	;; [unrolled: 1-line block ×10, first 2 shown]
	v_mov_b32_e32 v226, v26
	s_clause 0x1f
	scratch_load_b32 v26, off, off offset:568
	scratch_load_b32 v145, off, off offset:200
	;; [unrolled: 1-line block ×32, first 2 shown]
	s_clause 0x16
	scratch_load_b32 v44, off, off offset:620
	scratch_load_b32 v40, off, off offset:672
	;; [unrolled: 1-line block ×23, first 2 shown]
	v_mov_b32_e32 v134, v87
	s_clause 0x1b
	scratch_load_b32 v219, off, off offset:280
	scratch_load_b32 v87, off, off offset:88
	;; [unrolled: 1-line block ×28, first 2 shown]
	s_clause 0x1
	scratch_store_b32 off, v136, off offset:980
	scratch_store_b32 off, v23, off offset:984
	s_waitcnt vmcnt(62)
	v_mul_i32_i24_e32 v4, v4, v200
	v_mul_i32_i24_e32 v71, v177, v6
	scratch_load_b32 v6, off, off offset:928 ; 4-byte Folded Reload
	v_mad_i32_i24 v71, v176, v116, v71
	v_mul_i32_i24_e32 v63, v63, v197
	v_mul_i32_i24_e32 v43, v43, v195
	s_delay_alu instid0(VALU_DEP_3)
	v_add3_u32 v71, v71, v74, v75
	v_mul_i32_i24_e32 v75, v173, v118
	v_mul_i32_i24_e32 v0, v0, v193
	;; [unrolled: 1-line block ×4, first 2 shown]
	s_waitcnt vmcnt(0)
	v_mul_i32_i24_e32 v74, v172, v6
	v_mov_b32_e32 v6, v79
	scratch_load_b32 v79, off, off offset:404 ; 4-byte Folded Reload
	v_add3_u32 v71, v71, v74, v75
	v_mul_i32_i24_e32 v74, v168, v28
	v_mul_i32_i24_e32 v75, v169, v127
	s_delay_alu instid0(VALU_DEP_3) | instskip(SKIP_2) | instid1(VALU_DEP_3)
	v_add3_u32 v71, v71, v76, v77
	v_mul_i32_i24_e32 v76, v170, v29
	v_mul_i32_i24_e32 v77, v171, v27
	v_add3_u32 v71, v71, v74, v75
	v_mul_i32_i24_e32 v74, v164, v11
	v_mul_i32_i24_e32 v75, v165, v10
	s_delay_alu instid0(VALU_DEP_3)
	v_add3_u32 v71, v71, v76, v77
	v_mul_i32_i24_e32 v76, v166, v9
	v_mul_i32_i24_e32 v77, v167, v8
	ds_load_b128 v[164:167], v7 offset:4128
	scratch_load_b32 v7, off, off           ; 4-byte Folded Reload
	v_add3_u32 v71, v71, v74, v75
	v_mul_i32_i24_e32 v74, v162, v6
	v_mul_i32_i24_e32 v75, v159, v207
	s_delay_alu instid0(VALU_DEP_3) | instskip(SKIP_2) | instid1(VALU_DEP_3)
	v_add3_u32 v71, v71, v76, v77
	v_mul_i32_i24_e32 v76, v160, v208
	v_mul_i32_i24_e32 v77, v161, v209
	v_add3_u32 v71, v71, v74, v75
	v_mul_i32_i24_e32 v74, v82, v202
	v_mul_i32_i24_e32 v75, v83, v203
	s_delay_alu instid0(VALU_DEP_3)
	v_add3_u32 v71, v71, v76, v77
	v_mul_i32_i24_e32 v76, v157, v204
	v_mul_i32_i24_e32 v77, v158, v205
	s_waitcnt lgkmcnt(0)
	v_bfe_i32 v117, v164, 0, 8
	v_bfe_i32 v118, v164, 8, 8
	v_add3_u32 v71, v71, v74, v75
	v_mul_i32_i24_e32 v74, v126, v198
	v_mul_i32_i24_e32 v75, v153, v201
	v_bfe_i32 v119, v164, 16, 8
	v_ashrrev_i32_e32 v120, 24, v164
	v_add3_u32 v71, v71, v76, v77
	v_bfe_i32 v121, v165, 0, 8
	v_bfe_i32 v122, v165, 8, 8
	v_bfe_i32 v123, v165, 16, 8
	v_ashrrev_i32_e32 v124, 24, v165
	v_add3_u32 v63, v71, v63, v74
	v_bfe_i32 v125, v166, 0, 8
	v_bfe_i32 v127, v166, 8, 8
	;; [unrolled: 5-line block ×3, first 2 shown]
	v_bfe_i32 v132, v167, 16, 8
	v_ashrrev_i32_e32 v133, 24, v167
	v_add3_u32 v0, v4, v0, v1
	v_fma_mix_f32 v1, v191, v3, v2 op_sel:[0,1,0] op_sel_hi:[0,1,0]
	s_delay_alu instid0(VALU_DEP_2) | instskip(NEXT) | instid1(VALU_DEP_2)
	v_add3_u32 v0, v0, v43, v46
	v_mul_f32_e32 v1, v1, v251
	s_delay_alu instid0(VALU_DEP_2) | instskip(NEXT) | instid1(VALU_DEP_1)
	v_mul_lo_u32 v0, v0, v192
	v_cvt_f32_i32_e32 v0, v0
	s_delay_alu instid0(VALU_DEP_1) | instskip(NEXT) | instid1(VALU_DEP_1)
	v_fma_mix_f32 v0, v3, v0, v163 op_sel_hi:[1,0,0]
	v_fma_f32 v0, v0, v211, -v1
	scratch_load_b32 v1, off, off offset:1116 ; 4-byte Folded Reload
	s_waitcnt vmcnt(2)
	v_mul_i32_i24_e32 v185, v123, v79
	s_waitcnt vmcnt(1)
	ds_load_b128 v[164:167], v7 offset:4144
	scratch_load_b32 v7, off, off offset:272 ; 4-byte Folded Reload
	s_waitcnt lgkmcnt(0)
	v_bfe_i32 v168, v164, 0, 8
	v_bfe_i32 v169, v164, 8, 8
	v_bfe_i32 v170, v164, 16, 8
	v_ashrrev_i32_e32 v164, 24, v164
	v_bfe_i32 v171, v165, 0, 8
	v_bfe_i32 v172, v165, 8, 8
	v_bfe_i32 v173, v165, 16, 8
	v_ashrrev_i32_e32 v165, 24, v165
	;; [unrolled: 4-line block ×4, first 2 shown]
	s_waitcnt vmcnt(1)
	v_add_f32_e32 v1, v1, v0
	scratch_load_b32 v0, off, off           ; 4-byte Folded Reload
	scratch_store_b32 off, v1, off offset:1116 ; 4-byte Folded Spill
	s_waitcnt vmcnt(0)
	ds_load_b128 v[0:3], v0 offset:4096
	s_waitcnt lgkmcnt(0)
	v_bfe_i32 v161, v0, 0, 8
	v_bfe_i32 v156, v0, 8, 8
	;; [unrolled: 1-line block ×3, first 2 shown]
	v_ashrrev_i32_e32 v163, 24, v0
	scratch_load_b32 v0, off, off           ; 4-byte Folded Reload
	v_mul_i32_i24_e32 v180, v161, v38
	v_bfe_i32 v157, v1, 0, 8
	v_bfe_i32 v158, v1, 8, 8
	v_mul_i32_i24_e32 v181, v162, v39
	v_mul_i32_i24_e32 v182, v163, v242
	v_mad_i32_i24 v180, v156, v7, v180
	v_bfe_i32 v159, v1, 16, 8
	v_ashrrev_i32_e32 v160, 24, v1
	v_bfe_i32 v126, v2, 0, 8
	v_bfe_i32 v153, v2, 8, 8
	v_add3_u32 v180, v180, v181, v182
	v_mul_i32_i24_e32 v181, v157, v240
	v_mul_i32_i24_e32 v182, v158, v135
	v_bfe_i32 v154, v2, 16, 8
	v_ashrrev_i32_e32 v155, 24, v2
	v_bfe_i32 v4, v3, 0, 8
	v_bfe_i32 v43, v3, 8, 8
	;; [unrolled: 1-line block ×3, first 2 shown]
	v_ashrrev_i32_e32 v63, 24, v3
	v_mul_i32_i24_e32 v183, v159, v13
	v_mul_i32_i24_e32 v184, v160, v12
	v_add3_u32 v180, v180, v181, v182
	v_mul_i32_i24_e32 v181, v126, v136
	v_mul_i32_i24_e32 v182, v153, v23
	s_delay_alu instid0(VALU_DEP_3) | instskip(SKIP_2) | instid1(VALU_DEP_3)
	v_add3_u32 v180, v180, v183, v184
	v_mul_i32_i24_e32 v183, v154, v138
	v_mul_i32_i24_e32 v184, v155, v18
	v_add3_u32 v180, v180, v181, v182
	v_mul_i32_i24_e32 v181, v4, v17
	v_mul_i32_i24_e32 v182, v43, v30
	s_delay_alu instid0(VALU_DEP_3) | instskip(SKIP_2) | instid1(VALU_DEP_3)
	v_add3_u32 v180, v180, v183, v184
	v_mul_i32_i24_e32 v183, v46, v32
	v_mul_i32_i24_e32 v184, v63, v33
	v_add3_u32 v180, v180, v181, v182
	s_delay_alu instid0(VALU_DEP_1)
	v_add3_u32 v180, v180, v183, v184
	s_waitcnt vmcnt(0)
	ds_load_b128 v[0:3], v0 offset:4112
	s_waitcnt lgkmcnt(0)
	v_bfe_i32 v71, v0, 0, 8
	v_bfe_i32 v74, v0, 8, 8
	;; [unrolled: 1-line block ×3, first 2 shown]
	v_ashrrev_i32_e32 v76, 24, v0
	v_bfe_i32 v77, v1, 0, 8
	v_mul_i32_i24_e32 v181, v71, v35
	v_mul_i32_i24_e32 v182, v74, v36
	v_bfe_i32 v80, v1, 8, 8
	v_mul_i32_i24_e32 v183, v75, v37
	v_mul_i32_i24_e32 v184, v76, v22
	v_bfe_i32 v81, v1, 16, 8
	v_add3_u32 v180, v180, v181, v182
	v_ashrrev_i32_e32 v82, 24, v1
	v_mul_i32_i24_e32 v181, v77, v20
	v_mul_i32_i24_e32 v182, v80, v15
	v_bfe_i32 v83, v2, 0, 8
	v_add3_u32 v180, v180, v183, v184
	v_bfe_i32 v108, v2, 8, 8
	v_mul_i32_i24_e32 v183, v81, v14
	v_mul_i32_i24_e32 v184, v82, v16
	v_bfe_i32 v109, v2, 16, 8
	v_add3_u32 v180, v180, v181, v182
	v_ashrrev_i32_e32 v110, 24, v2
	v_mul_i32_i24_e32 v181, v83, v24
	v_mul_i32_i24_e32 v182, v108, v25
	v_bfe_i32 v111, v3, 0, 8
	v_add3_u32 v180, v180, v183, v184
	v_bfe_i32 v112, v3, 8, 8
	v_mul_i32_i24_e32 v183, v109, v26
	v_mul_i32_i24_e32 v184, v110, v247
	v_bfe_i32 v114, v3, 16, 8
	v_add3_u32 v180, v180, v181, v182
	v_ashrrev_i32_e32 v116, 24, v3
	v_mul_i32_i24_e32 v181, v111, v145
	v_mul_i32_i24_e32 v182, v112, v243
	scratch_load_b32 v0, off, off offset:176 ; 4-byte Folded Reload
	v_add3_u32 v180, v180, v183, v184
	v_mul_i32_i24_e32 v183, v114, v244
	v_mul_i32_i24_e32 v184, v116, v148
	s_delay_alu instid0(VALU_DEP_3) | instskip(SKIP_1) | instid1(VALU_DEP_2)
	v_add3_u32 v180, v180, v181, v182
	v_mul_i32_i24_e32 v182, v117, v151
	v_add3_u32 v180, v180, v183, v184
	v_mul_i32_i24_e32 v183, v119, v152
	v_mul_i32_i24_e32 v184, v120, v78
	s_delay_alu instid0(VALU_DEP_4) | instskip(NEXT) | instid1(VALU_DEP_4)
	v_mad_i32_i24 v182, v118, v215, v182
	v_mul_lo_u32 v180, v180, v149
	s_delay_alu instid0(VALU_DEP_2) | instskip(SKIP_4) | instid1(VALU_DEP_2)
	v_add3_u32 v182, v182, v183, v184
	v_mul_i32_i24_e32 v183, v121, v31
	scratch_load_b32 v31, off, off offset:192 ; 4-byte Folded Reload
	v_mul_i32_i24_e32 v184, v122, v88
	v_cvt_f32_i32_e32 v180, v180
	v_add3_u32 v182, v182, v183, v184
	v_mul_i32_i24_e32 v183, v125, v47
	v_mul_i32_i24_e32 v184, v127, v56
	s_waitcnt vmcnt(1)
	ds_load_2addr_b64 v[0:3], v0 offset0:64 offset1:80
	s_waitcnt lgkmcnt(0)
	v_fma_mix_f32 v181, v150, v0, 0 op_sel:[0,1,0] op_sel_hi:[0,1,0]
	s_waitcnt vmcnt(0)
	v_mul_i32_i24_e32 v186, v124, v31
	v_fma_mix_f32 v180, v0, v180, 0 op_sel_hi:[1,0,0]
	s_delay_alu instid0(VALU_DEP_3) | instskip(NEXT) | instid1(VALU_DEP_3)
	v_fma_mix_f32 v181, v141, v1, v181 op_sel:[0,1,0] op_sel_hi:[0,1,0]
	v_add3_u32 v182, v182, v185, v186
	v_mul_i32_i24_e32 v185, v128, v41
	v_mul_i32_i24_e32 v186, v129, v66
	scratch_load_b32 v141, off, off offset:600 ; 4-byte Folded Reload
	v_mul_f32_e32 v181, v181, v146
	v_add3_u32 v182, v182, v183, v184
	v_mul_i32_i24_e32 v183, v130, v42
	v_mul_i32_i24_e32 v184, v131, v48
	s_delay_alu instid0(VALU_DEP_3) | instskip(SKIP_2) | instid1(VALU_DEP_3)
	v_add3_u32 v182, v182, v185, v186
	v_mul_i32_i24_e32 v185, v132, v45
	v_mul_i32_i24_e32 v186, v133, v51
	v_add3_u32 v182, v182, v183, v184
	v_mul_i32_i24_e32 v183, v168, v52
	v_mul_i32_i24_e32 v184, v169, v248
	s_delay_alu instid0(VALU_DEP_3) | instskip(SKIP_2) | instid1(VALU_DEP_3)
	v_add3_u32 v182, v182, v185, v186
	v_mul_i32_i24_e32 v185, v170, v55
	v_mul_i32_i24_e32 v186, v164, v57
	v_add3_u32 v182, v182, v183, v184
	v_mul_i32_i24_e32 v183, v171, v64
	v_mul_i32_i24_e32 v184, v172, v216
	s_delay_alu instid0(VALU_DEP_3) | instskip(SKIP_2) | instid1(VALU_DEP_3)
	v_add3_u32 v182, v182, v185, v186
	v_mul_i32_i24_e32 v185, v173, v253
	v_mul_i32_i24_e32 v186, v165, v67
	v_add3_u32 v182, v182, v183, v184
	v_mul_i32_i24_e32 v183, v174, v239
	v_mul_i32_i24_e32 v184, v175, v241
	s_delay_alu instid0(VALU_DEP_3)
	v_add3_u32 v182, v182, v185, v186
	v_mul_i32_i24_e32 v186, v166, v5
	scratch_load_b32 v5, off, off offset:1144 ; 4-byte Folded Reload
	v_mul_i32_i24_e32 v185, v176, v34
	v_add3_u32 v182, v182, v183, v184
	v_mul_i32_i24_e32 v183, v177, v54
	v_mul_i32_i24_e32 v184, v178, v21
	s_clause 0x1
	scratch_load_b32 v21, off, off offset:1140
	scratch_load_b32 v54, off, off offset:120
	v_add3_u32 v182, v182, v185, v186
	v_mul_i32_i24_e32 v185, v179, v50
	v_mul_i32_i24_e32 v186, v167, v142
	s_clause 0x1
	scratch_load_b32 v142, off, off offset:604
	scratch_load_b32 v50, off, off offset:904
	v_add3_u32 v182, v182, v183, v184
	v_mul_i32_i24_e32 v183, v159, v92
	v_mul_i32_i24_e32 v184, v160, v49
	s_delay_alu instid0(VALU_DEP_3) | instskip(SKIP_2) | instid1(VALU_DEP_3)
	v_add3_u32 v182, v182, v185, v186
	v_mul_i32_i24_e32 v185, v123, v101
	v_mul_i32_i24_e32 v186, v124, v69
	v_mul_lo_u32 v182, v182, v72
	scratch_load_b32 v72, off, off offset:592 ; 4-byte Folded Reload
	v_cvt_f32_i32_e32 v182, v182
	s_delay_alu instid0(VALU_DEP_1) | instskip(SKIP_1) | instid1(VALU_DEP_2)
	v_fma_mix_f32 v180, v1, v182, v180 op_sel_hi:[1,0,0]
	v_mul_i32_i24_e32 v182, v163, v86
	v_fma_f32 v180, v180, v147, -v181
	v_mul_i32_i24_e32 v181, v162, v85
	s_waitcnt vmcnt(5)
	s_delay_alu instid0(VALU_DEP_2) | instskip(SKIP_4) | instid1(VALU_DEP_1)
	v_add_f32_e32 v5, v5, v180
	v_mul_i32_i24_e32 v180, v161, v84
	scratch_store_b32 off, v5, off offset:1144 ; 4-byte Folded Spill
	scratch_load_b32 v5, off, off offset:8  ; 4-byte Folded Reload
	v_mad_i32_i24 v180, v156, v89, v180
	v_add3_u32 v180, v180, v181, v182
	v_mul_i32_i24_e32 v181, v157, v96
	v_mul_i32_i24_e32 v182, v158, v65
	s_delay_alu instid0(VALU_DEP_1) | instskip(SKIP_1) | instid1(VALU_DEP_2)
	v_add3_u32 v180, v180, v181, v182
	v_mul_i32_i24_e32 v181, v126, v93
	v_add3_u32 v180, v180, v183, v184
	v_mul_i32_i24_e32 v183, v154, v224
	s_waitcnt vmcnt(4)
	v_mul_i32_i24_e32 v184, v155, v54
	s_waitcnt vmcnt(0)
	v_mul_i32_i24_e32 v182, v153, v5
	v_mov_b32_e32 v5, v226
	scratch_load_b32 v226, off, off offset:1048 ; 4-byte Folded Reload
	v_add3_u32 v180, v180, v181, v182
	v_mul_i32_i24_e32 v181, v4, v94
	v_mul_i32_i24_e32 v182, v43, v102
	s_delay_alu instid0(VALU_DEP_3) | instskip(SKIP_2) | instid1(VALU_DEP_3)
	v_add3_u32 v180, v180, v183, v184
	v_mul_i32_i24_e32 v183, v46, v5
	v_mul_i32_i24_e32 v184, v63, v225
	v_add3_u32 v180, v180, v181, v182
	v_mul_i32_i24_e32 v181, v71, v212
	v_mul_i32_i24_e32 v182, v74, v139
	s_delay_alu instid0(VALU_DEP_3) | instskip(SKIP_2) | instid1(VALU_DEP_3)
	v_add3_u32 v180, v180, v183, v184
	v_mul_i32_i24_e32 v183, v75, v217
	v_mul_i32_i24_e32 v184, v76, v58
	;; [unrolled: 7-line block ×5, first 2 shown]
	v_add3_u32 v180, v180, v181, v182
	v_mul_i32_i24_e32 v182, v117, v97
	v_fma_mix_f32 v181, v95, v0, 0 op_sel:[0,1,0] op_sel_hi:[0,1,0]
	s_delay_alu instid0(VALU_DEP_3)
	v_add3_u32 v180, v180, v183, v184
	v_mul_i32_i24_e32 v183, v119, v98
	v_mul_i32_i24_e32 v184, v120, v99
	v_mad_i32_i24 v182, v118, v68, v182
	v_fma_mix_f32 v181, v106, v1, v181 op_sel:[0,1,0] op_sel_hi:[0,1,0]
	v_mul_lo_u32 v180, v180, v62
	s_delay_alu instid0(VALU_DEP_3) | instskip(SKIP_4) | instid1(VALU_DEP_3)
	v_add3_u32 v182, v182, v183, v184
	v_mul_i32_i24_e32 v183, v121, v250
	v_mul_i32_i24_e32 v184, v122, v100
	v_mul_f32_e32 v181, v181, v214
	v_cvt_f32_i32_e32 v180, v180
	v_add3_u32 v182, v182, v183, v184
	v_mul_i32_i24_e32 v183, v125, v231
	v_mul_i32_i24_e32 v184, v127, v232
	s_delay_alu instid0(VALU_DEP_4) | instskip(NEXT) | instid1(VALU_DEP_4)
	v_fma_mix_f32 v180, v0, v180, 0 op_sel_hi:[1,0,0]
	v_add3_u32 v182, v182, v185, v186
	v_mul_i32_i24_e32 v185, v128, v105
	v_mul_i32_i24_e32 v186, v129, v234
	s_delay_alu instid0(VALU_DEP_3) | instskip(SKIP_2) | instid1(VALU_DEP_3)
	v_add3_u32 v182, v182, v183, v184
	v_mul_i32_i24_e32 v183, v130, v107
	v_mul_i32_i24_e32 v184, v131, v113
	v_add3_u32 v182, v182, v185, v186
	v_mul_i32_i24_e32 v185, v132, v115
	v_mul_i32_i24_e32 v186, v133, v70
	s_delay_alu instid0(VALU_DEP_3) | instskip(SKIP_2) | instid1(VALU_DEP_3)
	v_add3_u32 v182, v182, v183, v184
	v_mul_i32_i24_e32 v183, v168, v213
	v_mul_i32_i24_e32 v184, v169, v218
	;; [unrolled: 7-line block ×5, first 2 shown]
	v_add3_u32 v182, v182, v185, v186
	v_mul_i32_i24_e32 v185, v179, v103
	v_mul_i32_i24_e32 v186, v167, v59
	s_delay_alu instid0(VALU_DEP_3) | instskip(SKIP_2) | instid1(VALU_DEP_1)
	v_add3_u32 v182, v182, v183, v184
	scratch_load_b32 v183, off, off offset:992 ; 4-byte Folded Reload
	v_add3_u32 v182, v182, v185, v186
	v_mul_lo_u32 v182, v182, v73
	s_delay_alu instid0(VALU_DEP_1) | instskip(NEXT) | instid1(VALU_DEP_1)
	v_cvt_f32_i32_e32 v182, v182
	v_fma_mix_f32 v180, v1, v182, v180 op_sel_hi:[1,0,0]
	s_delay_alu instid0(VALU_DEP_1) | instskip(NEXT) | instid1(VALU_DEP_1)
	v_fma_f32 v180, v180, v134, -v181
	v_add_f32_e32 v21, v21, v180
	scratch_store_b32 off, v21, off offset:1140 ; 4-byte Folded Spill
	scratch_load_b32 v21, off, off offset:148 ; 4-byte Folded Reload
	s_waitcnt vmcnt(0)
	v_mul_i32_i24_e32 v180, v161, v21
	scratch_load_b32 v21, off, off offset:388 ; 4-byte Folded Reload
	v_mad_i32_i24 v180, v156, v183, v180
	s_waitcnt vmcnt(0)
	v_mul_i32_i24_e32 v181, v162, v21
	scratch_load_b32 v21, off, off offset:152 ; 4-byte Folded Reload
	s_waitcnt vmcnt(0)
	v_mul_i32_i24_e32 v182, v163, v21
	scratch_load_b32 v21, off, off offset:960 ; 4-byte Folded Reload
	v_add3_u32 v180, v180, v181, v182
	v_mul_i32_i24_e32 v181, v157, v50
	s_clause 0x1
	scratch_load_b32 v50, off, off offset:476
	scratch_load_b32 v182, off, off offset:856
	s_waitcnt vmcnt(1)
	v_mul_i32_i24_e32 v183, v159, v50
	scratch_load_b32 v50, off, off offset:480 ; 4-byte Folded Reload
	s_waitcnt vmcnt(1)
	v_mul_i32_i24_e32 v182, v158, v182
	s_delay_alu instid0(VALU_DEP_1)
	v_add3_u32 v180, v180, v181, v182
	s_waitcnt vmcnt(0)
	v_mul_i32_i24_e32 v184, v160, v50
	scratch_load_b32 v50, off, off offset:932 ; 4-byte Folded Reload
	v_add3_u32 v180, v180, v183, v184
	s_waitcnt vmcnt(0)
	v_mul_i32_i24_e32 v181, v126, v50
	scratch_load_b32 v50, off, off offset:944 ; 4-byte Folded Reload
	v_mul_i32_i24_e32 v126, v126, v188
	s_waitcnt vmcnt(0)
	v_mul_i32_i24_e32 v182, v153, v50
	scratch_load_b32 v50, off, off offset:936 ; 4-byte Folded Reload
	v_mul_i32_i24_e32 v153, v153, v53
	scratch_load_b32 v53, off, off offset:20 ; 4-byte Folded Reload
	v_add3_u32 v180, v180, v181, v182
	s_waitcnt vmcnt(1)
	v_mul_i32_i24_e32 v183, v154, v50
	scratch_load_b32 v50, off, off offset:484 ; 4-byte Folded Reload
	v_mul_i32_i24_e32 v154, v154, v189
	s_waitcnt vmcnt(0)
	v_mul_i32_i24_e32 v184, v155, v50
	scratch_load_b32 v50, off, off offset:948 ; 4-byte Folded Reload
	v_mul_i32_i24_e32 v155, v155, v53
	scratch_load_b32 v53, off, off offset:12 ; 4-byte Folded Reload
	v_add3_u32 v180, v180, v183, v184
	s_waitcnt vmcnt(1)
	v_mul_i32_i24_e32 v181, v4, v50
	scratch_load_b32 v50, off, off offset:492 ; 4-byte Folded Reload
	s_waitcnt vmcnt(1)
	v_mul_i32_i24_e32 v4, v4, v53
	scratch_load_b32 v53, off, off offset:16 ; 4-byte Folded Reload
	;; [unrolled: 3-line block ×4, first 2 shown]
	v_add3_u32 v180, v180, v181, v182
	s_waitcnt vmcnt(1)
	v_mul_i32_i24_e32 v183, v46, v50
	scratch_load_b32 v50, off, off offset:952 ; 4-byte Folded Reload
	s_waitcnt vmcnt(1)
	v_mul_i32_i24_e32 v46, v46, v53
	s_waitcnt vmcnt(0)
	v_mul_i32_i24_e32 v184, v63, v50
	scratch_load_b32 v50, off, off offset:956 ; 4-byte Folded Reload
	v_add3_u32 v180, v180, v183, v184
	s_waitcnt vmcnt(0)
	v_mul_i32_i24_e32 v181, v71, v50
	scratch_load_b32 v50, off, off offset:940 ; 4-byte Folded Reload
	s_waitcnt vmcnt(0)
	v_mul_i32_i24_e32 v182, v74, v50
	scratch_load_b32 v50, off, off offset:460 ; 4-byte Folded Reload
	v_add3_u32 v180, v180, v181, v182
	s_waitcnt vmcnt(0)
	v_mul_i32_i24_e32 v183, v75, v50
	scratch_load_b32 v50, off, off offset:800 ; 4-byte Folded Reload
	;; [unrolled: 7-line block ×8, first 2 shown]
	s_waitcnt vmcnt(0)
	v_mul_i32_i24_e32 v184, v116, v50
	scratch_load_b32 v50, off, off offset:836 ; 4-byte Folded Reload
	v_add3_u32 v180, v180, v183, v184
	s_waitcnt vmcnt(0)
	s_delay_alu instid0(VALU_DEP_1) | instskip(SKIP_2) | instid1(VALU_DEP_1)
	v_mul_lo_u32 v180, v180, v50
	scratch_load_b32 v50, off, off offset:840 ; 4-byte Folded Reload
	v_cvt_f32_i32_e32 v180, v180
	v_fma_mix_f32 v180, v0, v180, 0 op_sel_hi:[1,0,0]
	s_waitcnt vmcnt(0)
	v_fma_mix_f32 v181, v50, v0, 0 op_sel:[0,1,0] op_sel_hi:[0,1,0]
	scratch_load_b32 v50, off, off offset:848 ; 4-byte Folded Reload
	v_fma_mix_f32 v181, v235, v1, v181 op_sel:[0,1,0] op_sel_hi:[0,1,0]
	s_delay_alu instid0(VALU_DEP_1)
	v_dual_mul_f32 v181, v181, v254 :: v_dual_mov_b32 v254, v19
	scratch_load_b32 v19, off, off offset:1136 ; 4-byte Folded Reload
	s_waitcnt vmcnt(1)
	v_mul_i32_i24_e32 v182, v117, v50
	scratch_load_b32 v50, off, off offset:852 ; 4-byte Folded Reload
	s_waitcnt vmcnt(0)
	v_mul_i32_i24_e32 v183, v119, v50
	;; [unrolled: 3-line block ×3, first 2 shown]
	scratch_load_b32 v50, off, off offset:844 ; 4-byte Folded Reload
	s_waitcnt vmcnt(0)
	v_mad_i32_i24 v182, v118, v50, v182
	scratch_load_b32 v50, off, off offset:916 ; 4-byte Folded Reload
	v_add3_u32 v182, v182, v183, v184
	s_waitcnt vmcnt(0)
	v_mul_i32_i24_e32 v183, v121, v50
	scratch_load_b32 v50, off, off offset:860 ; 4-byte Folded Reload
	s_waitcnt vmcnt(0)
	v_mul_i32_i24_e32 v184, v122, v50
	scratch_load_b32 v50, off, off offset:864 ; 4-byte Folded Reload
	v_add3_u32 v182, v182, v183, v184
	s_waitcnt vmcnt(0)
	v_mul_i32_i24_e32 v185, v123, v50
	scratch_load_b32 v50, off, off offset:868 ; 4-byte Folded Reload
	s_waitcnt vmcnt(0)
	v_mul_i32_i24_e32 v186, v124, v50
	;; [unrolled: 7-line block ×4, first 2 shown]
	scratch_load_b32 v50, off, off offset:888 ; 4-byte Folded Reload
	v_add3_u32 v182, v182, v185, v186
	v_mul_i32_i24_e32 v186, v133, v21
	scratch_load_b32 v21, off, off offset:156 ; 4-byte Folded Reload
	s_waitcnt vmcnt(1)
	v_mul_i32_i24_e32 v183, v130, v50
	scratch_load_b32 v50, off, off offset:892 ; 4-byte Folded Reload
	s_waitcnt vmcnt(0)
	v_mul_i32_i24_e32 v184, v131, v50
	scratch_load_b32 v50, off, off offset:896 ; 4-byte Folded Reload
	v_add3_u32 v182, v182, v183, v184
	v_mul_i32_i24_e32 v183, v168, v237
	v_mul_i32_i24_e32 v184, v169, v228
	s_waitcnt vmcnt(0)
	v_mul_i32_i24_e32 v185, v132, v50
	scratch_load_b32 v50, off, off offset:424 ; 4-byte Folded Reload
	v_add3_u32 v182, v182, v185, v186
	v_mul_i32_i24_e32 v185, v170, v236
	v_mul_i32_i24_e32 v186, v164, v238
	s_delay_alu instid0(VALU_DEP_3) | instskip(SKIP_2) | instid1(VALU_DEP_3)
	v_add3_u32 v182, v182, v183, v184
	v_mul_i32_i24_e32 v183, v171, v245
	v_mul_i32_i24_e32 v184, v172, v246
	v_add3_u32 v182, v182, v185, v186
	v_mul_i32_i24_e32 v185, v173, v21
	scratch_load_b32 v21, off, off offset:168 ; 4-byte Folded Reload
	v_add3_u32 v182, v182, v183, v184
	v_mul_i32_i24_e32 v183, v174, v252
	s_waitcnt vmcnt(0)
	v_mul_i32_i24_e32 v186, v165, v21
	scratch_load_b32 v21, off, off offset:172 ; 4-byte Folded Reload
	v_add3_u32 v182, v182, v185, v186
	v_mul_i32_i24_e32 v185, v176, v255
	v_mul_i32_i24_e32 v186, v166, v226
	s_waitcnt vmcnt(0)
	v_mul_i32_i24_e32 v184, v175, v21
	scratch_load_b32 v21, off, off offset:160 ; 4-byte Folded Reload
	v_add3_u32 v182, v182, v183, v184
	s_delay_alu instid0(VALU_DEP_1)
	v_add3_u32 v182, v182, v185, v186
	v_mul_i32_i24_e32 v185, v179, v50
	s_waitcnt vmcnt(0)
	v_mul_i32_i24_e32 v183, v177, v21
	scratch_load_b32 v21, off, off offset:164 ; 4-byte Folded Reload
	s_waitcnt vmcnt(0)
	v_mul_i32_i24_e32 v184, v178, v21
	scratch_load_b32 v21, off, off offset:488 ; 4-byte Folded Reload
	v_add3_u32 v182, v182, v183, v184
	s_waitcnt vmcnt(0)
	v_mul_i32_i24_e32 v186, v167, v21
	s_delay_alu instid0(VALU_DEP_1) | instskip(NEXT) | instid1(VALU_DEP_1)
	v_add3_u32 v182, v182, v185, v186
	v_mul_lo_u32 v182, v182, v233
	s_delay_alu instid0(VALU_DEP_1) | instskip(NEXT) | instid1(VALU_DEP_1)
	v_cvt_f32_i32_e32 v182, v182
	v_fma_mix_f32 v180, v1, v182, v180 op_sel_hi:[1,0,0]
	s_delay_alu instid0(VALU_DEP_1) | instskip(NEXT) | instid1(VALU_DEP_1)
	v_fma_f32 v180, v180, v254, -v181
	v_add_f32_e32 v19, v19, v180
	scratch_load_b32 v180, off, off offset:452 ; 4-byte Folded Reload
	scratch_store_b32 off, v19, off offset:1136 ; 4-byte Folded Spill
	scratch_load_b32 v19, off, off offset:924 ; 4-byte Folded Reload
	s_waitcnt vmcnt(1)
	v_mul_i32_i24_e32 v162, v162, v180
	scratch_load_b32 v180, off, off offset:456 ; 4-byte Folded Reload
	s_waitcnt vmcnt(1)
	v_mul_i32_i24_e32 v161, v161, v19
	s_waitcnt vmcnt(0)
	v_mul_i32_i24_e32 v163, v163, v180
	scratch_load_b32 v180, off, off offset:448 ; 4-byte Folded Reload
	s_waitcnt vmcnt(0)
	v_mad_i32_i24 v156, v156, v180, v161
	scratch_load_b32 v161, off, off offset:228 ; 4-byte Folded Reload
	v_add3_u32 v156, v156, v162, v163
	s_waitcnt vmcnt(0)
	v_mul_i32_i24_e32 v157, v157, v161
	scratch_load_b32 v161, off, off offset:28 ; 4-byte Folded Reload
	s_waitcnt vmcnt(0)
	v_mul_i32_i24_e32 v158, v158, v161
	scratch_load_b32 v161, off, off offset:32 ; 4-byte Folded Reload
	v_add3_u32 v156, v156, v157, v158
	s_waitcnt vmcnt(0)
	v_mul_i32_i24_e32 v159, v159, v161
	scratch_load_b32 v161, off, off offset:36 ; 4-byte Folded Reload
	s_waitcnt vmcnt(0)
	v_mul_i32_i24_e32 v160, v160, v161
	s_delay_alu instid0(VALU_DEP_1) | instskip(NEXT) | instid1(VALU_DEP_1)
	v_add3_u32 v156, v156, v159, v160
	v_add3_u32 v126, v156, v126, v153
	scratch_load_b32 v153, off, off offset:24 ; 4-byte Folded Reload
	v_add3_u32 v126, v126, v154, v155
	s_delay_alu instid0(VALU_DEP_1) | instskip(SKIP_3) | instid1(VALU_DEP_1)
	v_add3_u32 v4, v126, v4, v43
	scratch_load_b32 v43, off, off offset:40 ; 4-byte Folded Reload
	s_waitcnt vmcnt(1)
	v_mul_i32_i24_e32 v63, v63, v153
	v_add3_u32 v4, v4, v46, v63
	s_clause 0x1
	scratch_load_b32 v46, off, off offset:44
	scratch_load_b32 v63, off, off offset:48
	s_waitcnt vmcnt(2)
	v_mul_i32_i24_e32 v43, v71, v43
	scratch_load_b32 v71, off, off offset:56 ; 4-byte Folded Reload
	s_waitcnt vmcnt(2)
	v_mul_i32_i24_e32 v46, v74, v46
	s_waitcnt vmcnt(1)
	v_mul_i32_i24_e32 v63, v75, v63
	;; [unrolled: 2-line block ×3, first 2 shown]
	v_add3_u32 v4, v4, v43, v46
	s_clause 0x1
	scratch_load_b32 v43, off, off offset:52
	scratch_load_b32 v46, off, off offset:60
	v_add3_u32 v4, v4, v63, v71
	scratch_load_b32 v63, off, off offset:64 ; 4-byte Folded Reload
	v_mul_i32_i24_e32 v71, v82, v210
	scratch_load_b32 v82, off, off offset:648 ; 4-byte Folded Reload
	s_waitcnt vmcnt(3)
	v_mul_i32_i24_e32 v43, v77, v43
	s_waitcnt vmcnt(2)
	v_mul_i32_i24_e32 v46, v80, v46
	;; [unrolled: 2-line block ×3, first 2 shown]
	s_delay_alu instid0(VALU_DEP_2)
	v_add3_u32 v4, v4, v43, v46
	v_mul_i32_i24_e32 v43, v83, v206
	v_mul_i32_i24_e32 v46, v108, v190
	s_clause 0x1
	scratch_load_b32 v83, off, off offset:1056
	scratch_load_b32 v108, off, off offset:1060
	v_add3_u32 v4, v4, v63, v71
	v_mul_i32_i24_e32 v71, v110, v187
	scratch_load_b32 v110, off, off offset:640 ; 4-byte Folded Reload
	v_mul_i32_i24_e32 v63, v109, v199
	scratch_load_b32 v109, off, off offset:1064 ; 4-byte Folded Reload
	v_add3_u32 v4, v4, v43, v46
	s_delay_alu instid0(VALU_DEP_1)
	v_add3_u32 v4, v4, v63, v71
	s_waitcnt vmcnt(4)
	v_mul_i32_i24_e32 v63, v114, v82
	scratch_load_b32 v114, off, off offset:660 ; 4-byte Folded Reload
	s_waitcnt vmcnt(4)
	v_mul_i32_i24_e32 v71, v116, v83
	scratch_load_b32 v116, off, off offset:1068 ; 4-byte Folded Reload
	;; [unrolled: 3-line block ×4, first 2 shown]
	v_add3_u32 v4, v4, v43, v46
	v_mul_i32_i24_e32 v46, v119, v114
	scratch_load_b32 v119, off, off offset:928 ; 4-byte Folded Reload
	v_add3_u32 v4, v4, v63, v71
	v_mul_i32_i24_e32 v63, v120, v116
	scratch_load_b32 v120, off, off offset:656 ; 4-byte Folded Reload
	v_mul_lo_u32 v4, v4, v108
	s_delay_alu instid0(VALU_DEP_1) | instskip(NEXT) | instid1(VALU_DEP_1)
	v_cvt_f32_i32_e32 v4, v4
	v_fma_mix_f32 v4, v0, v4, 0 op_sel_hi:[1,0,0]
	v_fma_mix_f32 v0, v109, v0, 0 op_sel:[0,1,0] op_sel_hi:[0,1,0]
	s_delay_alu instid0(VALU_DEP_1)
	v_fma_mix_f32 v0, v191, v1, v0 op_sel:[0,1,0] op_sel_hi:[0,1,0]
	s_waitcnt vmcnt(2)
	v_mul_i32_i24_e32 v43, v117, v112
	scratch_load_b32 v117, off, off offset:652 ; 4-byte Folded Reload
	s_waitcnt vmcnt(0)
	v_mad_i32_i24 v43, v118, v117, v43
	scratch_load_b32 v118, off, off offset:664 ; 4-byte Folded Reload
	v_add3_u32 v43, v43, v46, v63
	v_mul_i32_i24_e32 v46, v121, v119
	scratch_load_b32 v121, off, off offset:668 ; 4-byte Folded Reload
	v_mul_i32_i24_e32 v63, v122, v120
	v_mov_b32_e32 v122, v27
	v_mul_f32_e32 v0, v0, v251
	s_delay_alu instid0(VALU_DEP_3)
	v_add3_u32 v43, v43, v46, v63
	v_mul_i32_i24_e32 v46, v125, v28
	v_mov_b32_e32 v125, v29
	s_waitcnt vmcnt(1)
	v_mul_i32_i24_e32 v71, v123, v118
	v_mov_b32_e32 v123, v28
	s_waitcnt vmcnt(0)
	v_mul_i32_i24_e32 v74, v124, v121
	scratch_load_b32 v124, off, off offset:1008 ; 4-byte Folded Reload
	v_add3_u32 v43, v43, v71, v74
	v_mul_i32_i24_e32 v71, v128, v29
	v_mul_i32_i24_e32 v74, v129, v27
	v_dual_mov_b32 v128, v11 :: v_dual_mov_b32 v27, v64
	v_mov_b32_e32 v29, v85
	s_waitcnt vmcnt(0)
	v_mul_i32_i24_e32 v63, v127, v124
	s_delay_alu instid0(VALU_DEP_1)
	v_add3_u32 v43, v43, v46, v63
	v_mul_i32_i24_e32 v46, v130, v11
	v_mul_i32_i24_e32 v63, v131, v10
	v_mov_b32_e32 v131, v209
	v_mov_b32_e32 v130, v9
	v_add3_u32 v43, v43, v71, v74
	v_mul_i32_i24_e32 v71, v132, v9
	v_mul_i32_i24_e32 v74, v133, v8
	v_mov_b32_e32 v9, v82
	v_mov_b32_e32 v133, v211
	v_add3_u32 v43, v43, v46, v63
	v_mul_i32_i24_e32 v46, v168, v6
	v_mul_i32_i24_e32 v63, v169, v207
	s_delay_alu instid0(VALU_DEP_3) | instskip(SKIP_2) | instid1(VALU_DEP_3)
	v_add3_u32 v43, v43, v71, v74
	v_mul_i32_i24_e32 v71, v170, v208
	v_mul_i32_i24_e32 v74, v164, v209
	v_add3_u32 v43, v43, v46, v63
	v_mul_i32_i24_e32 v46, v171, v202
	v_mul_i32_i24_e32 v63, v172, v203
	s_delay_alu instid0(VALU_DEP_3) | instskip(SKIP_2) | instid1(VALU_DEP_3)
	v_add3_u32 v43, v43, v71, v74
	v_mul_i32_i24_e32 v71, v173, v204
	v_mul_i32_i24_e32 v74, v165, v205
	;; [unrolled: 7-line block ×4, first 2 shown]
	v_add3_u32 v43, v43, v46, v63
	s_delay_alu instid0(VALU_DEP_1) | instskip(NEXT) | instid1(VALU_DEP_1)
	v_add3_u32 v43, v43, v71, v74
	v_mul_lo_u32 v43, v43, v192
	s_delay_alu instid0(VALU_DEP_1) | instskip(NEXT) | instid1(VALU_DEP_1)
	v_cvt_f32_i32_e32 v43, v43
	v_fma_mix_f32 v4, v1, v43, v4 op_sel_hi:[1,0,0]
	scratch_load_b32 v1, off, off offset:1132 ; 4-byte Folded Reload
	v_fma_f32 v0, v4, v211, -v0
	s_waitcnt vmcnt(0)
	s_delay_alu instid0(VALU_DEP_1)
	v_add_f32_e32 v1, v1, v0
	scratch_load_b32 v0, off, off           ; 4-byte Folded Reload
	scratch_store_b32 off, v1, off offset:1132 ; 4-byte Folded Spill
	s_waitcnt vmcnt(0)
	ds_load_b128 v[153:156], v0 offset:5120
	scratch_load_b32 v0, off, off           ; 4-byte Folded Reload
	s_waitcnt lgkmcnt(0)
	v_bfe_i32 v208, v153, 0, 8
	v_bfe_i32 v207, v153, 8, 8
	v_bfe_i32 v209, v153, 16, 8
	v_ashrrev_i32_e32 v210, 24, v153
	v_bfe_i32 v187, v154, 0, 8
	v_bfe_i32 v188, v154, 8, 8
	v_bfe_i32 v189, v154, 16, 8
	v_ashrrev_i32_e32 v190, 24, v154
	v_bfe_i32 v183, v155, 0, 8
	v_bfe_i32 v184, v155, 8, 8
	v_bfe_i32 v185, v155, 16, 8
	v_ashrrev_i32_e32 v186, 24, v155
	v_bfe_i32 v171, v156, 0, 8
	v_bfe_i32 v180, v156, 8, 8
	v_bfe_i32 v181, v156, 16, 8
	v_ashrrev_i32_e32 v182, 24, v156
	v_mul_i32_i24_e32 v77, v190, v12
	scratch_load_b32 v12, off, off offset:224 ; 4-byte Folded Reload
	v_mul_i32_i24_e32 v71, v208, v38
	v_mul_i32_i24_e32 v74, v209, v39
	;; [unrolled: 1-line block ×4, first 2 shown]
	v_mov_b32_e32 v13, v67
	v_mad_i32_i24 v71, v207, v7, v71
	s_clause 0x3
	scratch_load_b32 v7, off, off offset:1160
	scratch_load_b32 v242, off, off offset:948
	;; [unrolled: 1-line block ×4, first 2 shown]
	v_add3_u32 v71, v71, v74, v75
	v_mul_i32_i24_e32 v74, v187, v240
	v_mul_i32_i24_e32 v75, v188, v135
	s_clause 0x1
	scratch_load_b32 v240, off, off offset:936
	scratch_load_b32 v135, off, off offset:64
	v_add3_u32 v71, v71, v74, v75
	v_mul_i32_i24_e32 v74, v183, v136
	v_mul_i32_i24_e32 v75, v184, v23
	s_clause 0x1
	scratch_load_b32 v136, off, off offset:496
	scratch_load_b32 v23, off, off offset:180
	v_add3_u32 v71, v71, v76, v77
	v_mul_i32_i24_e32 v76, v185, v138
	v_mul_i32_i24_e32 v77, v186, v18
	scratch_load_b32 v138, off, off offset:824 ; 4-byte Folded Reload
	v_add3_u32 v71, v71, v74, v75
	v_mul_i32_i24_e32 v74, v171, v17
	v_mul_i32_i24_e32 v75, v180, v30
	v_mov_b32_e32 v17, v26
	scratch_load_b32 v30, off, off offset:544 ; 4-byte Folded Reload
	v_add3_u32 v71, v71, v76, v77
	v_mul_i32_i24_e32 v76, v181, v32
	v_mul_i32_i24_e32 v77, v182, v33
	v_mov_b32_e32 v33, v24
	scratch_load_b32 v32, off, off offset:528 ; 4-byte Folded Reload
	v_add3_u32 v71, v71, v74, v75
	s_delay_alu instid0(VALU_DEP_1)
	v_add3_u32 v71, v71, v76, v77
	s_waitcnt vmcnt(12)
	ds_load_b128 v[153:156], v0 offset:5136
	scratch_load_b32 v0, off, off           ; 4-byte Folded Reload
	s_waitcnt lgkmcnt(0)
	v_bfe_i32 v203, v153, 0, 8
	v_bfe_i32 v204, v153, 8, 8
	v_bfe_i32 v205, v153, 16, 8
	v_ashrrev_i32_e32 v206, 24, v153
	v_bfe_i32 v199, v154, 0, 8
	v_bfe_i32 v200, v154, 8, 8
	v_bfe_i32 v201, v154, 16, 8
	v_ashrrev_i32_e32 v202, 24, v154
	;; [unrolled: 4-line block ×4, first 2 shown]
	v_mul_i32_i24_e32 v74, v203, v35
	v_dual_mov_b32 v35, v53 :: v_dual_mov_b32 v132, v6
	scratch_load_b32 v6, off, off offset:500 ; 4-byte Folded Reload
	v_mul_i32_i24_e32 v75, v204, v36
	v_mul_i32_i24_e32 v76, v205, v37
	;; [unrolled: 1-line block ×3, first 2 shown]
	v_dual_mov_b32 v53, v116 :: v_dual_mov_b32 v18, v247
	s_delay_alu instid0(VALU_DEP_4)
	v_add3_u32 v71, v71, v74, v75
	v_mul_i32_i24_e32 v74, v199, v20
	v_mul_i32_i24_e32 v75, v200, v15
	s_clause 0x1
	scratch_load_b32 v36, off, off offset:48
	scratch_load_b32 v37, off, off offset:52
	v_add3_u32 v71, v71, v76, v77
	v_mul_i32_i24_e32 v76, v201, v14
	v_mul_i32_i24_e32 v77, v202, v16
	v_mov_b32_e32 v14, v125
	scratch_load_b32 v22, off, off offset:632 ; 4-byte Folded Reload
	v_add3_u32 v71, v71, v74, v75
	v_mul_i32_i24_e32 v74, v195, v24
	v_mul_i32_i24_e32 v75, v196, v25
	scratch_load_b32 v24, off, off offset:204 ; 4-byte Folded Reload
	v_add3_u32 v71, v71, v76, v77
	v_mul_i32_i24_e32 v76, v197, v26
	v_mul_i32_i24_e32 v77, v198, v247
	scratch_load_b32 v247, off, off offset:820 ; 4-byte Folded Reload
	v_mov_b32_e32 v26, v57
	v_add3_u32 v71, v71, v74, v75
	v_mul_i32_i24_e32 v74, v191, v145
	v_mul_i32_i24_e32 v75, v192, v243
	s_clause 0x1
	scratch_load_b32 v145, off, off offset:800
	scratch_load_b32 v243, off, off offset:816
	v_add3_u32 v71, v71, v76, v77
	v_mul_i32_i24_e32 v76, v193, v244
	v_mul_i32_i24_e32 v77, v194, v148
	s_clause 0x1
	scratch_load_b32 v148, off, off offset:464
	scratch_load_b32 v244, off, off offset:472
	v_add3_u32 v71, v71, v74, v75
	v_fma_mix_f32 v74, v150, v2, 0 op_sel:[0,1,0] op_sel_hi:[0,1,0]
	scratch_load_b32 v150, off, off offset:940 ; 4-byte Folded Reload
	v_add3_u32 v71, v71, v76, v77
	s_delay_alu instid0(VALU_DEP_1) | instskip(SKIP_2) | instid1(VALU_DEP_1)
	v_mul_lo_u32 v71, v71, v149
	scratch_load_b32 v149, off, off offset:944 ; 4-byte Folded Reload
	v_cvt_f32_i32_e32 v71, v71
	v_fma_mix_f32 v71, v2, v71, 0 op_sel_hi:[1,0,0]
	s_waitcnt vmcnt(12)
	ds_load_b128 v[153:156], v0 offset:5152
	scratch_load_b32 v0, off, off           ; 4-byte Folded Reload
	s_waitcnt lgkmcnt(0)
	v_bfe_i32 v177, v153, 0, 8
	v_bfe_i32 v176, v153, 8, 8
	;; [unrolled: 1-line block ×3, first 2 shown]
	v_ashrrev_i32_e32 v179, 24, v153
	v_bfe_i32 v174, v154, 16, 8
	v_mul_i32_i24_e32 v75, v177, v151
	v_bfe_i32 v172, v154, 0, 8
	v_bfe_i32 v173, v154, 8, 8
	v_mul_i32_i24_e32 v76, v178, v152
	v_mul_i32_i24_e32 v80, v174, v79
	v_mad_i32_i24 v75, v176, v215, v75
	v_mov_b32_e32 v79, v86
	v_mov_b32_e32 v129, v10
	v_mul_i32_i24_e32 v77, v179, v78
	v_ashrrev_i32_e32 v175, 24, v154
	v_bfe_i32 v167, v155, 0, 8
	v_bfe_i32 v168, v155, 8, 8
	;; [unrolled: 1-line block ×3, first 2 shown]
	v_add3_u32 v75, v75, v76, v77
	v_mul_i32_i24_e32 v76, v172, v12
	v_mul_i32_i24_e32 v77, v173, v88
	v_ashrrev_i32_e32 v170, 24, v155
	v_bfe_i32 v163, v156, 0, 8
	v_bfe_i32 v164, v156, 8, 8
	;; [unrolled: 1-line block ×3, first 2 shown]
	v_ashrrev_i32_e32 v166, 24, v156
	v_mul_i32_i24_e32 v81, v175, v31
	v_add3_u32 v75, v75, v76, v77
	v_mul_i32_i24_e32 v76, v167, v47
	v_mul_i32_i24_e32 v77, v168, v56
	s_clause 0x1
	scratch_load_b32 v151, off, off offset:956
	scratch_load_b32 v152, off, off offset:460
	v_add3_u32 v75, v75, v80, v81
	v_mul_i32_i24_e32 v80, v169, v41
	v_mul_i32_i24_e32 v81, v170, v66
	v_mov_b32_e32 v41, v65
	v_mov_b32_e32 v127, v8
	v_add3_u32 v75, v75, v76, v77
	v_mul_i32_i24_e32 v76, v163, v42
	v_mul_i32_i24_e32 v77, v164, v48
	scratch_load_b32 v215, off, off offset:796 ; 4-byte Folded Reload
	v_mov_b32_e32 v10, v84
	v_add3_u32 v75, v75, v80, v81
	v_mul_i32_i24_e32 v80, v165, v45
	v_mul_i32_i24_e32 v81, v166, v51
	s_clause 0x1
	scratch_load_b32 v51, off, off offset:832
	scratch_load_b32 v78, off, off offset:872
	v_add3_u32 v75, v75, v76, v77
	scratch_load_b32 v88, off, off offset:892 ; 4-byte Folded Reload
	v_mov_b32_e32 v31, v89
	s_clause 0x1
	scratch_load_b32 v66, off, off offset:1084
	scratch_load_b32 v56, off, off offset:452
	v_add3_u32 v75, v75, v80, v81
	s_clause 0x3
	scratch_load_b32 v48, off, off offset:36
	scratch_load_b32 v47, off, off offset:240
	;; [unrolled: 1-line block ×4, first 2 shown]
	s_waitcnt vmcnt(12)
	ds_load_b128 v[153:156], v0 offset:5168
	s_waitcnt lgkmcnt(0)
	v_bfe_i32 v159, v153, 0, 8
	v_bfe_i32 v160, v153, 8, 8
	v_bfe_i32 v161, v153, 16, 8
	v_ashrrev_i32_e32 v162, 24, v153
	v_bfe_i32 v211, v154, 0, 8
	v_mul_i32_i24_e32 v76, v159, v52
	v_mul_i32_i24_e32 v77, v160, v248
	v_bfe_i32 v11, v154, 8, 8
	v_mul_i32_i24_e32 v80, v161, v55
	v_mul_i32_i24_e32 v81, v162, v57
	v_bfe_i32 v157, v154, 16, 8
	v_add3_u32 v75, v75, v76, v77
	v_ashrrev_i32_e32 v158, 24, v154
	v_mul_i32_i24_e32 v76, v211, v64
	v_mul_i32_i24_e32 v77, v11, v216
	v_ashrrev_i32_e32 v153, 24, v155
	v_add3_u32 v75, v75, v80, v81
	v_mul_i32_i24_e32 v80, v157, v253
	v_mul_i32_i24_e32 v81, v158, v67
	v_bfe_i32 v63, v155, 0, 8
	v_bfe_i32 v126, v155, 8, 8
	v_add3_u32 v75, v75, v76, v77
	v_bfe_i32 v0, v156, 0, 8
	v_bfe_i32 v1, v156, 8, 8
	v_mul_i32_i24_e32 v76, v63, v239
	v_mul_i32_i24_e32 v77, v126, v241
	v_add3_u32 v75, v75, v80, v81
	v_mul_i32_i24_e32 v81, v153, v6
	scratch_load_b32 v6, off, off offset:504 ; 4-byte Folded Reload
	v_bfe_i32 v4, v155, 16, 8
	v_bfe_i32 v43, v156, 16, 8
	v_add3_u32 v75, v75, v76, v77
	v_ashrrev_i32_e32 v46, 24, v156
	v_mov_b32_e32 v248, v5
	v_mul_i32_i24_e32 v80, v4, v34
	s_clause 0x3
	scratch_load_b32 v67, off, off offset:904
	scratch_load_b32 v241, off, off offset:932
	;; [unrolled: 1-line block ×4, first 2 shown]
	v_add3_u32 v75, v75, v80, v81
	s_clause 0x1
	scratch_load_b32 v253, off, off offset:468
	scratch_load_b32 v64, off, off offset:852
	v_dual_mov_b32 v57, v109 :: v_dual_mov_b32 v52, v112
	s_waitcnt vmcnt(6)
	v_mul_i32_i24_e32 v76, v0, v6
	scratch_load_b32 v6, off, off offset:508 ; 4-byte Folded Reload
	s_waitcnt vmcnt(0)
	v_mul_i32_i24_e32 v77, v1, v6
	scratch_load_b32 v6, off, off offset:512 ; 4-byte Folded Reload
	v_add3_u32 v75, v75, v76, v77
	v_mul_i32_i24_e32 v76, v189, v92
	v_mul_i32_i24_e32 v77, v190, v49
	s_clause 0x1
	scratch_load_b32 v49, off, off offset:476
	scratch_load_b32 v92, off, off offset:248
	s_waitcnt vmcnt(2)
	v_mul_i32_i24_e32 v80, v43, v6
	scratch_load_b32 v6, off, off offset:516 ; 4-byte Folded Reload
	s_waitcnt vmcnt(0)
	v_mul_i32_i24_e32 v81, v46, v6
	scratch_load_b32 v6, off, off offset:520 ; 4-byte Folded Reload
	v_add3_u32 v75, v75, v80, v81
	v_mul_i32_i24_e32 v80, v174, v101
	v_mul_i32_i24_e32 v81, v175, v69
	s_clause 0x1
	scratch_load_b32 v101, off, off offset:856
	scratch_load_b32 v69, off, off offset:864
	s_waitcnt vmcnt(2)
	v_mul_lo_u32 v75, v75, v6
	scratch_load_b32 v6, off, off offset:524 ; 4-byte Folded Reload
	v_cvt_f32_i32_e32 v75, v75
	s_delay_alu instid0(VALU_DEP_1)
	v_fma_mix_f32 v71, v3, v75, v71 op_sel_hi:[1,0,0]
	v_mul_i32_i24_e32 v75, v210, v86
	scratch_load_b32 v86, off, off offset:884 ; 4-byte Folded Reload
	s_waitcnt vmcnt(1)
	v_fma_mix_f32 v74, v6, v3, v74 op_sel:[0,1,0] op_sel_hi:[0,1,0]
	scratch_load_b32 v6, off, off offset:8  ; 4-byte Folded Reload
	v_mul_f32_e32 v74, v74, v146
	s_delay_alu instid0(VALU_DEP_1)
	v_fma_f32 v71, v71, v147, -v74
	v_mul_i32_i24_e32 v74, v209, v85
	scratch_load_b32 v85, off, off offset:880 ; 4-byte Folded Reload
	v_add_f32_e32 v7, v7, v71
	v_mul_i32_i24_e32 v71, v208, v84
	scratch_load_b32 v84, off, off offset:876 ; 4-byte Folded Reload
	scratch_store_b32 off, v7, off offset:1160 ; 4-byte Folded Spill
	v_mad_i32_i24 v71, v207, v89, v71
	s_clause 0x1
	scratch_load_b32 v89, off, off offset:896
	scratch_load_b32 v7, off, off offset:1152
	v_add3_u32 v71, v71, v74, v75
	v_mul_i32_i24_e32 v74, v187, v96
	v_mul_i32_i24_e32 v75, v188, v65
	s_clause 0x1
	scratch_load_b32 v65, off, off offset:908
	scratch_load_b32 v96, off, off offset:264
	v_add3_u32 v71, v71, v74, v75
	v_mul_i32_i24_e32 v74, v183, v93
	scratch_load_b32 v93, off, off offset:252 ; 4-byte Folded Reload
	v_add3_u32 v71, v71, v76, v77
	v_mul_i32_i24_e32 v76, v185, v224
	v_mul_i32_i24_e32 v77, v186, v54
	scratch_load_b32 v224, off, off offset:992 ; 4-byte Folded Reload
	v_mov_b32_e32 v54, v83
	s_waitcnt vmcnt(8)
	v_mul_i32_i24_e32 v75, v184, v6
	scratch_load_b32 v6, off, off offset:1156 ; 4-byte Folded Reload
	v_add3_u32 v71, v71, v74, v75
	v_mul_i32_i24_e32 v74, v171, v94
	v_mul_i32_i24_e32 v75, v180, v102
	s_clause 0x1
	scratch_load_b32 v102, off, off offset:24
	scratch_load_b32 v94, off, off offset:256
	v_add3_u32 v71, v71, v76, v77
	v_mul_i32_i24_e32 v76, v181, v5
	scratch_load_b32 v5, off, off offset:148 ; 4-byte Folded Reload
	v_mul_i32_i24_e32 v77, v182, v225
	v_add3_u32 v71, v71, v74, v75
	v_mul_i32_i24_e32 v74, v203, v212
	v_mul_i32_i24_e32 v75, v204, v139
	scratch_load_b32 v212, off, off offset:960 ; 4-byte Folded Reload
	v_add3_u32 v71, v71, v76, v77
	v_mul_i32_i24_e32 v76, v205, v217
	v_mul_i32_i24_e32 v77, v206, v58
	scratch_load_b32 v217, off, off offset:952 ; 4-byte Folded Reload
	v_add3_u32 v71, v71, v74, v75
	v_mul_i32_i24_e32 v74, v199, v72
	v_mul_i32_i24_e32 v75, v200, v44
	s_delay_alu instid0(VALU_DEP_3)
	v_add3_u32 v71, v71, v76, v77
	v_mul_i32_i24_e32 v76, v201, v40
	v_mul_i32_i24_e32 v77, v202, v60
	scratch_load_b32 v60, off, off offset:840 ; 4-byte Folded Reload
	v_add3_u32 v71, v71, v74, v75
	v_mul_i32_i24_e32 v74, v195, v140
	v_mul_i32_i24_e32 v75, v196, v220
	scratch_load_b32 v220, off, off offset:20 ; 4-byte Folded Reload
	;; [unrolled: 4-line block ×3, first 2 shown]
	v_add3_u32 v71, v71, v74, v75
	v_mul_i32_i24_e32 v74, v191, v141
	v_mul_i32_i24_e32 v75, v192, v142
	s_delay_alu instid0(VALU_DEP_3) | instskip(SKIP_2) | instid1(VALU_DEP_3)
	v_add3_u32 v71, v71, v76, v77
	v_mul_i32_i24_e32 v76, v193, v143
	v_mul_i32_i24_e32 v77, v194, v144
	v_add3_u32 v71, v71, v74, v75
	v_mul_i32_i24_e32 v75, v177, v97
	v_fma_mix_f32 v74, v95, v2, 0 op_sel:[0,1,0] op_sel_hi:[0,1,0]
	scratch_load_b32 v95, off, off offset:260 ; 4-byte Folded Reload
	v_mov_b32_e32 v97, v120
	v_add3_u32 v71, v71, v76, v77
	v_mul_i32_i24_e32 v76, v178, v98
	v_mul_i32_i24_e32 v77, v179, v99
	v_mad_i32_i24 v75, v176, v68, v75
	v_fma_mix_f32 v74, v106, v3, v74 op_sel:[0,1,0] op_sel_hi:[0,1,0]
	v_mul_lo_u32 v71, v71, v62
	s_clause 0x1
	scratch_load_b32 v106, off, off offset:484
	scratch_load_b32 v62, off, off offset:848
	v_add3_u32 v75, v75, v76, v77
	v_mul_i32_i24_e32 v76, v172, v250
	v_mul_i32_i24_e32 v77, v173, v100
	v_mul_f32_e32 v74, v74, v214
	scratch_load_b32 v100, off, off offset:480 ; 4-byte Folded Reload
	v_cvt_f32_i32_e32 v71, v71
	scratch_load_b32 v68, off, off offset:860 ; 4-byte Folded Reload
	v_add3_u32 v75, v75, v76, v77
	v_mul_i32_i24_e32 v76, v167, v231
	v_mul_i32_i24_e32 v77, v168, v232
	v_fma_mix_f32 v71, v2, v71, 0 op_sel_hi:[1,0,0]
	v_mov_b32_e32 v99, v121
	v_add3_u32 v75, v75, v80, v81
	v_mul_i32_i24_e32 v80, v169, v105
	v_mul_i32_i24_e32 v81, v170, v234
	v_dual_mov_b32 v105, v117 :: v_dual_mov_b32 v58, v254
	s_delay_alu instid0(VALU_DEP_4)
	v_add3_u32 v75, v75, v76, v77
	v_mul_i32_i24_e32 v76, v163, v107
	v_mul_i32_i24_e32 v77, v164, v113
	s_clause 0x1
	scratch_load_b32 v113, off, off offset:492
	scratch_load_b32 v107, off, off offset:228
	v_add3_u32 v75, v75, v80, v81
	v_mul_i32_i24_e32 v80, v165, v115
	v_mul_i32_i24_e32 v81, v166, v70
	s_clause 0x1
	scratch_load_b32 v70, off, off offset:916
	scratch_load_b32 v115, off, off offset:60
	v_add3_u32 v75, v75, v76, v77
	v_mul_i32_i24_e32 v76, v159, v213
	v_mul_i32_i24_e32 v77, v160, v218
	scratch_load_b32 v218, off, off offset:812 ; 4-byte Folded Reload
	v_mov_b32_e32 v254, v19
	v_add3_u32 v75, v75, v80, v81
	v_mul_i32_i24_e32 v80, v161, v219
	v_mul_i32_i24_e32 v81, v162, v87
	scratch_load_b32 v87, off, off offset:888 ; 4-byte Folded Reload
	v_mov_b32_e32 v8, v111
	v_add3_u32 v75, v75, v76, v77
	v_mul_i32_i24_e32 v76, v211, v221
	v_mul_i32_i24_e32 v77, v11, v222
	s_clause 0x1
	scratch_load_b32 v221, off, off offset:456
	scratch_load_b32 v222, off, off offset:44
	v_add3_u32 v75, v75, v80, v81
	v_mul_i32_i24_e32 v80, v157, v223
	v_mul_i32_i24_e32 v81, v158, v90
	scratch_load_b32 v90, off, off offset:32 ; 4-byte Folded Reload
	v_mov_b32_e32 v250, v133
	v_add3_u32 v75, v75, v76, v77
	v_mul_i32_i24_e32 v76, v63, v227
	v_mul_i32_i24_e32 v77, v126, v104
	s_clause 0x1
	scratch_load_b32 v227, off, off offset:828
	scratch_load_b32 v104, off, off offset:28
	;; [unrolled: 11-line block ×3, first 2 shown]
	v_add3_u32 v75, v75, v80, v81
	v_mul_i32_i24_e32 v80, v43, v103
	v_mul_i32_i24_e32 v81, v46, v59
	s_clause 0x1
	scratch_load_b32 v59, off, off offset:836
	scratch_load_b32 v103, off, off offset:232
	v_add3_u32 v75, v75, v76, v77
	v_mul_i32_i24_e32 v76, v189, v49
	s_clause 0x2
	scratch_load_b32 v229, off, off offset:556
	scratch_load_b32 v231, off, off offset:196
	;; [unrolled: 1-line block ×3, first 2 shown]
	v_add3_u32 v75, v75, v80, v81
	v_mul_i32_i24_e32 v80, v174, v69
	s_delay_alu instid0(VALU_DEP_2) | instskip(SKIP_2) | instid1(VALU_DEP_1)
	v_mul_lo_u32 v75, v75, v73
	scratch_load_b32 v73, off, off offset:868 ; 4-byte Folded Reload
	v_cvt_f32_i32_e32 v75, v75
	v_fma_mix_f32 v71, v3, v75, v71 op_sel_hi:[1,0,0]
	s_delay_alu instid0(VALU_DEP_1) | instskip(SKIP_1) | instid1(VALU_DEP_1)
	v_fma_f32 v71, v71, v134, -v74
	s_waitcnt vmcnt(33)
	v_add_f32_e32 v6, v6, v71
	s_waitcnt vmcnt(30)
	v_mul_i32_i24_e32 v71, v208, v5
	scratch_load_b32 v5, off, off offset:388 ; 4-byte Folded Reload
	v_mad_i32_i24 v71, v207, v224, v71
	s_waitcnt vmcnt(22)
	v_mul_i32_i24_e32 v77, v190, v100
	s_waitcnt vmcnt(1)
	v_mul_i32_i24_e32 v81, v175, v73
	;; [unrolled: 2-line block ×3, first 2 shown]
	scratch_load_b32 v5, off, off offset:152 ; 4-byte Folded Reload
	s_waitcnt vmcnt(0)
	v_mul_i32_i24_e32 v75, v210, v5
	scratch_load_b32 v5, off, off offset:156 ; 4-byte Folded Reload
	v_add3_u32 v71, v71, v74, v75
	v_mul_i32_i24_e32 v74, v187, v67
	v_mul_i32_i24_e32 v75, v188, v101
	s_delay_alu instid0(VALU_DEP_1) | instskip(SKIP_2) | instid1(VALU_DEP_3)
	v_add3_u32 v71, v71, v74, v75
	v_mul_i32_i24_e32 v74, v183, v241
	v_mul_i32_i24_e32 v75, v184, v149
	v_add3_u32 v71, v71, v76, v77
	v_mul_i32_i24_e32 v76, v185, v240
	v_mul_i32_i24_e32 v77, v186, v106
	s_delay_alu instid0(VALU_DEP_3) | instskip(SKIP_2) | instid1(VALU_DEP_3)
	v_add3_u32 v71, v71, v74, v75
	v_mul_i32_i24_e32 v74, v171, v242
	v_mul_i32_i24_e32 v75, v180, v113
	v_add3_u32 v71, v71, v76, v77
	v_mul_i32_i24_e32 v76, v181, v136
	v_mul_i32_i24_e32 v77, v182, v217
	s_delay_alu instid0(VALU_DEP_3) | instskip(SKIP_2) | instid1(VALU_DEP_3)
	;; [unrolled: 7-line block ×6, first 2 shown]
	v_add3_u32 v71, v71, v74, v75
	v_mul_i32_i24_e32 v75, v177, v62
	v_fma_mix_f32 v74, v60, v2, 0 op_sel:[0,1,0] op_sel_hi:[0,1,0]
	v_add3_u32 v71, v71, v76, v77
	v_mul_i32_i24_e32 v76, v178, v64
	v_mul_i32_i24_e32 v77, v179, v65
	v_mad_i32_i24 v75, v176, v61, v75
	v_fma_mix_f32 v74, v235, v3, v74 op_sel:[0,1,0] op_sel_hi:[0,1,0]
	v_mul_lo_u32 v71, v71, v59
	s_delay_alu instid0(VALU_DEP_3) | instskip(SKIP_4) | instid1(VALU_DEP_3)
	v_add3_u32 v75, v75, v76, v77
	v_mul_i32_i24_e32 v76, v172, v70
	v_mul_i32_i24_e32 v77, v173, v68
	v_mul_f32_e32 v74, v74, v66
	v_cvt_f32_i32_e32 v71, v71
	v_add3_u32 v75, v75, v76, v77
	v_mul_i32_i24_e32 v76, v167, v78
	v_mul_i32_i24_e32 v77, v168, v84
	s_delay_alu instid0(VALU_DEP_4) | instskip(NEXT) | instid1(VALU_DEP_4)
	v_fma_mix_f32 v71, v2, v71, 0 op_sel_hi:[1,0,0]
	v_add3_u32 v75, v75, v80, v81
	v_mul_i32_i24_e32 v80, v169, v85
	v_mul_i32_i24_e32 v81, v170, v86
	s_delay_alu instid0(VALU_DEP_3) | instskip(SKIP_2) | instid1(VALU_DEP_3)
	v_add3_u32 v75, v75, v76, v77
	v_mul_i32_i24_e32 v76, v163, v87
	v_mul_i32_i24_e32 v77, v164, v88
	v_add3_u32 v75, v75, v80, v81
	v_mul_i32_i24_e32 v80, v165, v89
	v_mul_i32_i24_e32 v81, v166, v212
	s_delay_alu instid0(VALU_DEP_3) | instskip(SKIP_2) | instid1(VALU_DEP_3)
	v_add3_u32 v75, v75, v76, v77
	v_mul_i32_i24_e32 v76, v159, v237
	v_mul_i32_i24_e32 v77, v160, v228
	;; [unrolled: 7-line block ×3, first 2 shown]
	v_add3_u32 v75, v75, v80, v81
	s_delay_alu instid0(VALU_DEP_1)
	v_add3_u32 v75, v75, v76, v77
	v_mul_i32_i24_e32 v76, v63, v252
	s_waitcnt vmcnt(0)
	v_mul_i32_i24_e32 v80, v157, v5
	scratch_load_b32 v5, off, off offset:168 ; 4-byte Folded Reload
	s_waitcnt vmcnt(0)
	v_mul_i32_i24_e32 v81, v158, v5
	scratch_load_b32 v5, off, off offset:172 ; 4-byte Folded Reload
	v_add3_u32 v75, v75, v80, v81
	v_mul_i32_i24_e32 v80, v4, v255
	v_mul_i32_i24_e32 v81, v153, v226
	s_waitcnt vmcnt(0)
	v_mul_i32_i24_e32 v77, v126, v5
	scratch_load_b32 v5, off, off offset:160 ; 4-byte Folded Reload
	v_add3_u32 v75, v75, v76, v77
	s_delay_alu instid0(VALU_DEP_1)
	v_add3_u32 v75, v75, v80, v81
	v_mul_i32_i24_e32 v80, v43, v50
	v_mul_i32_i24_e32 v81, v46, v21
	v_mov_b32_e32 v50, v119
	scratch_load_b32 v21, off, off offset:216 ; 4-byte Folded Reload
	s_waitcnt vmcnt(1)
	v_mul_i32_i24_e32 v76, v0, v5
	scratch_load_b32 v5, off, off offset:164 ; 4-byte Folded Reload
	s_waitcnt vmcnt(0)
	v_mul_i32_i24_e32 v77, v1, v5
	v_mov_b32_e32 v5, v114
	s_delay_alu instid0(VALU_DEP_2)
	v_add3_u32 v75, v75, v76, v77
	v_mul_i32_i24_e32 v76, v189, v90
	v_mul_i32_i24_e32 v77, v190, v48
	s_clause 0x1
	scratch_load_b32 v189, off, off offset:676
	scratch_load_b32 v190, off, off offset:680
	v_add3_u32 v75, v75, v80, v81
	s_delay_alu instid0(VALU_DEP_1) | instskip(NEXT) | instid1(VALU_DEP_1)
	v_mul_lo_u32 v75, v75, v233
	v_cvt_f32_i32_e32 v75, v75
	s_delay_alu instid0(VALU_DEP_1) | instskip(SKIP_2) | instid1(VALU_DEP_3)
	v_fma_mix_f32 v71, v3, v75, v71 op_sel_hi:[1,0,0]
	v_mul_i32_i24_e32 v75, v210, v221
	v_mov_b32_e32 v210, v124
	v_fma_f32 v71, v71, v58, -v74
	v_mul_i32_i24_e32 v74, v209, v56
	v_mov_b32_e32 v209, v123
	v_dual_mov_b32 v20, v15 :: v_dual_mov_b32 v15, v122
	s_delay_alu instid0(VALU_DEP_4) | instskip(SKIP_2) | instid1(VALU_DEP_2)
	v_add_f32_e32 v7, v7, v71
	v_mul_i32_i24_e32 v71, v208, v254
	v_mov_b32_e32 v208, v127
	v_mad_i32_i24 v71, v207, v249, v71
	v_dual_mov_b32 v207, v130 :: v_dual_mov_b32 v34, v20
	scratch_load_b32 v20, off, off offset:212 ; 4-byte Folded Reload
	v_add3_u32 v71, v71, v74, v75
	v_mul_i32_i24_e32 v74, v187, v107
	v_mul_i32_i24_e32 v75, v188, v104
	s_clause 0x1
	scratch_load_b32 v188, off, off offset:1004
	scratch_load_b32 v187, off, off offset:1000
	v_add3_u32 v71, v71, v74, v75
	v_mul_i32_i24_e32 v74, v183, v103
	v_mul_i32_i24_e32 v75, v184, v91
	s_delay_alu instid0(VALU_DEP_3) | instskip(SKIP_2) | instid1(VALU_DEP_3)
	v_add3_u32 v71, v71, v76, v77
	v_mul_i32_i24_e32 v76, v185, v47
	v_mul_i32_i24_e32 v77, v186, v220
	v_add3_u32 v71, v71, v74, v75
	v_mul_i32_i24_e32 v74, v171, v42
	v_mul_i32_i24_e32 v75, v180, v45
	s_delay_alu instid0(VALU_DEP_3) | instskip(SKIP_2) | instid1(VALU_DEP_3)
	v_add3_u32 v71, v71, v76, v77
	v_mul_i32_i24_e32 v76, v181, v35
	v_mul_i32_i24_e32 v77, v182, v102
	v_add3_u32 v71, v71, v74, v75
	v_mul_i32_i24_e32 v74, v203, v39
	v_mul_i32_i24_e32 v75, v204, v222
	scratch_load_b32 v203, off, off offset:988 ; 4-byte Folded Reload
	v_mov_b32_e32 v204, v131
	v_add3_u32 v71, v71, v76, v77
	v_mul_i32_i24_e32 v76, v205, v36
	v_mul_i32_i24_e32 v77, v206, v38
	v_dual_mov_b32 v205, v128 :: v_dual_mov_b32 v206, v129
	s_delay_alu instid0(VALU_DEP_4)
	v_add3_u32 v71, v71, v74, v75
	v_mul_i32_i24_e32 v74, v199, v37
	v_mul_i32_i24_e32 v75, v200, v115
	s_clause 0x1
	scratch_load_b32 v199, off, off offset:784
	scratch_load_b32 v200, off, off offset:788
	v_add3_u32 v71, v71, v76, v77
	v_mul_i32_i24_e32 v77, v202, v92
	scratch_load_b32 v202, off, off offset:792 ; 4-byte Folded Reload
	v_mul_i32_i24_e32 v76, v201, v135
	v_mov_b32_e32 v201, v132
	v_add3_u32 v71, v71, v74, v75
	v_mul_i32_i24_e32 v74, v195, v93
	v_mul_i32_i24_e32 v75, v196, v94
	s_clause 0x1
	scratch_load_b32 v195, off, off offset:768
	scratch_load_b32 v196, off, off offset:772
	v_add3_u32 v71, v71, v76, v77
	v_mul_i32_i24_e32 v76, v197, v95
	v_mul_i32_i24_e32 v77, v198, v96
	s_clause 0x1
	scratch_load_b32 v197, off, off offset:780
	scratch_load_b32 v198, off, off offset:776
	;; [unrolled: 6-line block ×4, first 2 shown]
	v_add3_u32 v71, v71, v74, v75
	v_mul_i32_i24_e32 v74, v178, v114
	v_mul_i32_i24_e32 v75, v179, v116
	v_dual_mov_b32 v219, v18 :: v_dual_mov_b32 v232, v139
	s_delay_alu instid0(VALU_DEP_4)
	v_add3_u32 v71, v71, v76, v77
	v_mul_i32_i24_e32 v76, v174, v118
	v_mul_i32_i24_e32 v77, v175, v121
	scratch_load_b32 v139, off, off offset:208 ; 4-byte Folded Reload
	v_mov_b32_e32 v230, v225
	v_mul_lo_u32 v71, v71, v108
	scratch_load_b32 v225, off, off offset:440 ; 4-byte Folded Reload
	v_cvt_f32_i32_e32 v71, v71
	s_delay_alu instid0(VALU_DEP_1) | instskip(SKIP_2) | instid1(VALU_DEP_2)
	v_fma_mix_f32 v171, v2, v71, 0 op_sel_hi:[1,0,0]
	v_mul_i32_i24_e32 v71, v177, v112
	v_fma_mix_f32 v2, v109, v2, 0 op_sel:[0,1,0] op_sel_hi:[0,1,0]
	v_mad_i32_i24 v71, v176, v117, v71
	s_delay_alu instid0(VALU_DEP_1) | instskip(SKIP_2) | instid1(VALU_DEP_1)
	v_add3_u32 v71, v71, v74, v75
	v_mul_i32_i24_e32 v74, v172, v119
	v_mul_i32_i24_e32 v75, v173, v120
	v_add3_u32 v71, v71, v74, v75
	v_mul_i32_i24_e32 v74, v167, v209
	v_mul_i32_i24_e32 v75, v168, v210
	s_delay_alu instid0(VALU_DEP_3) | instskip(SKIP_2) | instid1(VALU_DEP_3)
	v_add3_u32 v71, v71, v76, v77
	v_mul_i32_i24_e32 v76, v169, v14
	v_mul_i32_i24_e32 v77, v170, v15
	v_add3_u32 v71, v71, v74, v75
	v_mul_i32_i24_e32 v74, v163, v205
	v_mul_i32_i24_e32 v75, v164, v206
	s_delay_alu instid0(VALU_DEP_3) | instskip(SKIP_2) | instid1(VALU_DEP_3)
	v_add3_u32 v71, v71, v76, v77
	v_mul_i32_i24_e32 v76, v165, v207
	v_mul_i32_i24_e32 v77, v166, v208
	v_add3_u32 v71, v71, v74, v75
	v_mul_i32_i24_e32 v74, v159, v201
	s_delay_alu instid0(VALU_DEP_2)
	v_add3_u32 v71, v71, v76, v77
	v_mul_i32_i24_e32 v77, v162, v204
	s_waitcnt vmcnt(18)
	v_mul_i32_i24_e32 v0, v0, v189
	s_waitcnt vmcnt(17)
	;; [unrolled: 2-line block ×4, first 2 shown]
	v_mul_i32_i24_e32 v75, v160, v202
	s_delay_alu instid0(VALU_DEP_1) | instskip(SKIP_2) | instid1(VALU_DEP_2)
	v_add3_u32 v71, v71, v74, v75
	s_waitcnt vmcnt(9)
	v_mul_i32_i24_e32 v4, v4, v195
	v_add3_u32 v71, v71, v76, v77
	s_waitcnt vmcnt(7)
	v_mul_i32_i24_e32 v74, v211, v197
	s_waitcnt vmcnt(6)
	v_mul_i32_i24_e32 v75, v11, v198
	v_mul_i32_i24_e32 v76, v157, v199
	;; [unrolled: 1-line block ×3, first 2 shown]
	scratch_load_b32 v11, off, off offset:220 ; 4-byte Folded Reload
	s_waitcnt vmcnt(6)
	v_mul_i32_i24_e32 v43, v43, v191
	v_add3_u32 v71, v71, v74, v75
	v_mul_i32_i24_e32 v75, v153, v196
	s_waitcnt vmcnt(5)
	v_mul_i32_i24_e32 v46, v46, v192
	v_mov_b32_e32 v211, v27
	s_waitcnt vmcnt(4)
	v_mul_i32_i24_e32 v63, v63, v193
	v_add3_u32 v71, v71, v76, v77
	s_waitcnt vmcnt(3)
	v_mul_i32_i24_e32 v74, v126, v194
	v_mov_b32_e32 v213, v26
	v_mov_b32_e32 v223, v10
	s_delay_alu instid0(VALU_DEP_3) | instskip(NEXT) | instid1(VALU_DEP_1)
	v_add3_u32 v63, v71, v63, v74
	v_add3_u32 v4, v63, v4, v75
	s_delay_alu instid0(VALU_DEP_1) | instskip(SKIP_3) | instid1(VALU_DEP_4)
	v_add3_u32 v0, v4, v0, v1
	v_fma_mix_f32 v1, v187, v3, v2 op_sel:[0,1,0] op_sel_hi:[0,1,0]
	v_mov_b32_e32 v28, v16
	v_dual_mov_b32 v16, v25 :: v_dual_mov_b32 v25, v55
	v_add3_u32 v0, v0, v43, v46
	s_delay_alu instid0(VALU_DEP_4) | instskip(SKIP_1) | instid1(VALU_DEP_3)
	v_mul_f32_e32 v1, v1, v251
	v_mov_b32_e32 v55, v108
	v_mul_lo_u32 v0, v0, v188
	s_delay_alu instid0(VALU_DEP_1) | instskip(NEXT) | instid1(VALU_DEP_1)
	v_cvt_f32_i32_e32 v0, v0
	v_fma_mix_f32 v0, v3, v0, v171 op_sel_hi:[1,0,0]
	s_delay_alu instid0(VALU_DEP_1)
	v_fma_f32 v0, v0, v250, -v1
	scratch_load_b32 v1, off, off offset:1148 ; 4-byte Folded Reload
	s_waitcnt vmcnt(0)
	v_add_f32_e32 v1, v1, v0
	s_clause 0x1
	scratch_store_b32 off, v6, off offset:1156
	scratch_store_b32 off, v7, off offset:1152
	s_clause 0x1
	scratch_load_b32 v7, off, off
	scratch_load_b32 v0, off, off
	scratch_store_b32 off, v1, off offset:1148 ; 4-byte Folded Spill
	v_mov_b32_e32 v6, v110
	s_waitcnt vmcnt(1)
	ds_load_b128 v[153:156], v7 offset:6176
	scratch_load_b32 v7, off, off           ; 4-byte Folded Reload
	s_waitcnt vmcnt(1)
	ds_load_b128 v[0:3], v0 offset:6144
	s_waitcnt lgkmcnt(1)
	v_bfe_i32 v129, v153, 0, 8
	v_bfe_i32 v130, v153, 8, 8
	v_bfe_i32 v131, v153, 16, 8
	v_ashrrev_i32_e32 v132, 24, v153
	v_bfe_i32 v133, v154, 0, 8
	v_bfe_i32 v157, v154, 8, 8
	v_bfe_i32 v158, v154, 16, 8
	v_ashrrev_i32_e32 v159, 24, v154
	;; [unrolled: 4-line block ×4, first 2 shown]
	s_waitcnt lgkmcnt(0)
	v_bfe_i32 v4, v0, 0, 8
	v_bfe_i32 v46, v0, 16, 8
	v_ashrrev_i32_e32 v63, 24, v0
	v_bfe_i32 v43, v0, 8, 8
	v_bfe_i32 v71, v1, 0, 8
	;; [unrolled: 1-line block ×4, first 2 shown]
	v_ashrrev_i32_e32 v76, 24, v1
	v_bfe_i32 v77, v2, 0, 8
	v_bfe_i32 v80, v2, 8, 8
	;; [unrolled: 1-line block ×3, first 2 shown]
	v_ashrrev_i32_e32 v82, 24, v2
	v_bfe_i32 v83, v3, 0, 8
	v_bfe_i32 v108, v3, 8, 8
	;; [unrolled: 1-line block ×3, first 2 shown]
	scratch_load_b32 v0, off, off           ; 4-byte Folded Reload
	v_ashrrev_i32_e32 v110, 24, v3
	s_waitcnt vmcnt(1)
	ds_load_b128 v[153:156], v7 offset:6192
	scratch_load_b32 v7, off, off offset:396 ; 4-byte Folded Reload
	s_waitcnt lgkmcnt(0)
	v_bfe_i32 v168, v153, 0, 8
	v_bfe_i32 v169, v153, 8, 8
	;; [unrolled: 1-line block ×3, first 2 shown]
	v_ashrrev_i32_e32 v153, 24, v153
	v_bfe_i32 v173, v154, 16, 8
	v_bfe_i32 v171, v154, 0, 8
	;; [unrolled: 1-line block ×4, first 2 shown]
	v_ashrrev_i32_e32 v154, 24, v154
	v_bfe_i32 v174, v155, 0, 8
	v_bfe_i32 v176, v155, 16, 8
	v_ashrrev_i32_e32 v155, 24, v155
	v_bfe_i32 v177, v156, 0, 8
	v_bfe_i32 v178, v156, 8, 8
	;; [unrolled: 1-line block ×3, first 2 shown]
	v_ashrrev_i32_e32 v156, 24, v156
	s_waitcnt vmcnt(1)
	ds_load_b128 v[0:3], v0 offset:6160
	s_waitcnt lgkmcnt(0)
	v_bfe_i32 v111, v0, 0, 8
	v_bfe_i32 v112, v0, 8, 8
	;; [unrolled: 1-line block ×3, first 2 shown]
	v_ashrrev_i32_e32 v116, 24, v0
	v_bfe_i32 v117, v1, 0, 8
	v_bfe_i32 v118, v1, 8, 8
	;; [unrolled: 1-line block ×3, first 2 shown]
	v_ashrrev_i32_e32 v120, 24, v1
	v_ashrrev_i32_e32 v124, 24, v2
	v_bfe_i32 v121, v2, 0, 8
	v_bfe_i32 v122, v2, 8, 8
	;; [unrolled: 1-line block ×5, first 2 shown]
	scratch_load_b32 v0, off, off offset:176 ; 4-byte Folded Reload
	v_bfe_i32 v127, v3, 16, 8
	v_ashrrev_i32_e32 v128, 24, v3
	s_waitcnt vmcnt(1)
	v_mul_i32_i24_e32 v180, v4, v7
	scratch_load_b32 v7, off, off offset:268 ; 4-byte Folded Reload
	s_waitcnt vmcnt(1)
	ds_load_2addr_b64 v[0:3], v0 offset0:96 offset1:112
	s_waitcnt vmcnt(0)
	v_mul_i32_i24_e32 v181, v46, v7
	scratch_load_b32 v7, off, off offset:436 ; 4-byte Folded Reload
	s_waitcnt vmcnt(0)
	v_mul_i32_i24_e32 v182, v63, v7
	scratch_load_b32 v7, off, off offset:272 ; 4-byte Folded Reload
	s_waitcnt vmcnt(0)
	v_mad_i32_i24 v180, v43, v7, v180
	scratch_load_b32 v7, off, off offset:696 ; 4-byte Folded Reload
	v_add3_u32 v180, v180, v181, v182
	s_waitcnt vmcnt(0)
	v_mul_i32_i24_e32 v181, v71, v7
	scratch_load_b32 v7, off, off offset:340 ; 4-byte Folded Reload
	s_waitcnt vmcnt(0)
	v_mul_i32_i24_e32 v182, v74, v7
	scratch_load_b32 v7, off, off offset:692 ; 4-byte Folded Reload
	v_add3_u32 v180, v180, v181, v182
	s_waitcnt vmcnt(0)
	v_mul_i32_i24_e32 v183, v75, v7
	scratch_load_b32 v7, off, off offset:332 ; 4-byte Folded Reload
	s_waitcnt vmcnt(0)
	v_mul_i32_i24_e32 v184, v76, v7
	;; [unrolled: 7-line block ×6, first 2 shown]
	scratch_load_b32 v7, off, off offset:716 ; 4-byte Folded Reload
	v_add3_u32 v180, v180, v183, v184
	v_mul_i32_i24_e32 v184, v116, v22
	s_waitcnt vmcnt(0)
	v_mul_i32_i24_e32 v181, v111, v7
	scratch_load_b32 v7, off, off offset:352 ; 4-byte Folded Reload
	s_waitcnt vmcnt(0)
	v_mul_i32_i24_e32 v182, v112, v7
	scratch_load_b32 v7, off, off offset:356 ; 4-byte Folded Reload
	v_add3_u32 v180, v180, v181, v182
	v_mul_i32_i24_e32 v182, v118, v34
	s_waitcnt vmcnt(0)
	v_mul_i32_i24_e32 v183, v114, v7
	scratch_load_b32 v7, off, off offset:720 ; 4-byte Folded Reload
	v_add3_u32 v180, v180, v183, v184
	v_mul_i32_i24_e32 v183, v119, v11
	v_mul_i32_i24_e32 v184, v120, v28
	s_waitcnt vmcnt(0)
	v_mul_i32_i24_e32 v181, v117, v7
	scratch_load_b32 v7, off, off offset:376 ; 4-byte Folded Reload
	v_add3_u32 v180, v180, v181, v182
	v_mul_i32_i24_e32 v181, v121, v33
	v_mul_i32_i24_e32 v182, v122, v16
	s_delay_alu instid0(VALU_DEP_3)
	v_add3_u32 v180, v180, v183, v184
	v_mul_i32_i24_e32 v184, v124, v18
	scratch_load_b32 v18, off, off offset:200 ; 4-byte Folded Reload
	v_mul_i32_i24_e32 v183, v123, v17
	v_add3_u32 v180, v180, v181, v182
	v_mul_i32_i24_e32 v182, v126, v19
	s_delay_alu instid0(VALU_DEP_2) | instskip(SKIP_4) | instid1(VALU_DEP_1)
	v_add3_u32 v180, v180, v183, v184
	v_mul_i32_i24_e32 v183, v127, v20
	v_mul_i32_i24_e32 v184, v128, v21
	s_waitcnt vmcnt(0)
	v_mul_i32_i24_e32 v181, v125, v18
	v_add3_u32 v180, v180, v181, v182
	s_delay_alu instid0(VALU_DEP_1) | instskip(SKIP_1) | instid1(VALU_DEP_2)
	v_add3_u32 v180, v180, v183, v184
	v_mul_i32_i24_e32 v183, v131, v23
	v_mul_lo_u32 v180, v180, v7
	scratch_load_b32 v7, off, off offset:380 ; 4-byte Folded Reload
	v_cvt_f32_i32_e32 v180, v180
	s_waitcnt lgkmcnt(0)
	s_delay_alu instid0(VALU_DEP_1)
	v_fma_mix_f32 v180, v0, v180, 0 op_sel_hi:[1,0,0]
	s_waitcnt vmcnt(0)
	v_fma_mix_f32 v181, v7, v0, 0 op_sel:[0,1,0] op_sel_hi:[0,1,0]
	scratch_load_b32 v7, off, off offset:392 ; 4-byte Folded Reload
	s_waitcnt vmcnt(0)
	v_mul_i32_i24_e32 v182, v129, v7
	scratch_load_b32 v7, off, off offset:728 ; 4-byte Folded Reload
	v_mad_i32_i24 v182, v130, v24, v182
	s_waitcnt vmcnt(0)
	v_mul_i32_i24_e32 v184, v132, v7
	scratch_load_b32 v7, off, off offset:744 ; 4-byte Folded Reload
	v_add3_u32 v182, v182, v183, v184
	v_mul_i32_i24_e32 v183, v133, v12
	scratch_load_b32 v12, off, off offset:192 ; 4-byte Folded Reload
	s_waitcnt vmcnt(1)
	v_mul_i32_i24_e32 v184, v157, v7
	scratch_load_b32 v7, off, off offset:404 ; 4-byte Folded Reload
	v_add3_u32 v182, v182, v183, v184
	s_waitcnt vmcnt(1)
	v_mul_i32_i24_e32 v186, v159, v12
	s_waitcnt vmcnt(0)
	v_mul_i32_i24_e32 v185, v158, v7
	scratch_load_b32 v7, off, off offset:408 ; 4-byte Folded Reload
	v_add3_u32 v182, v182, v185, v186
	v_mul_i32_i24_e32 v186, v163, v30
	s_waitcnt vmcnt(0)
	v_mul_i32_i24_e32 v183, v160, v7
	scratch_load_b32 v7, off, off offset:748 ; 4-byte Folded Reload
	s_waitcnt vmcnt(0)
	v_mul_i32_i24_e32 v184, v161, v7
	scratch_load_b32 v7, off, off offset:412 ; 4-byte Folded Reload
	v_add3_u32 v182, v182, v183, v184
	s_waitcnt vmcnt(0)
	v_mul_i32_i24_e32 v185, v162, v7
	scratch_load_b32 v7, off, off offset:416 ; 4-byte Folded Reload
	v_add3_u32 v182, v182, v185, v186
	v_mul_i32_i24_e32 v185, v166, v32
	s_waitcnt vmcnt(0)
	v_mul_i32_i24_e32 v183, v164, v7
	scratch_load_b32 v7, off, off offset:420 ; 4-byte Folded Reload
	s_waitcnt vmcnt(0)
	v_mul_i32_i24_e32 v184, v165, v7
	scratch_load_b32 v7, off, off offset:428 ; 4-byte Folded Reload
	v_add3_u32 v182, v182, v183, v184
	s_waitcnt vmcnt(0)
	v_mul_i32_i24_e32 v186, v167, v7
	scratch_load_b32 v7, off, off offset:432 ; 4-byte Folded Reload
	v_add3_u32 v182, v182, v185, v186
	v_mul_i32_i24_e32 v185, v170, v25
	v_mul_i32_i24_e32 v186, v153, v26
	s_clause 0x1
	scratch_load_b32 v25, off, off offset:184
	scratch_load_b32 v26, off, off offset:624
	s_waitcnt vmcnt(2)
	v_mul_i32_i24_e32 v183, v168, v7
	scratch_load_b32 v7, off, off offset:752 ; 4-byte Folded Reload
	s_waitcnt vmcnt(0)
	v_mul_i32_i24_e32 v184, v169, v7
	scratch_load_b32 v7, off, off offset:756 ; 4-byte Folded Reload
	v_add3_u32 v182, v182, v183, v184
	v_mul_i32_i24_e32 v183, v171, v27
	v_mul_i32_i24_e32 v184, v172, v25
	scratch_load_b32 v27, off, off offset:188 ; 4-byte Folded Reload
	v_add3_u32 v182, v182, v185, v186
	v_mul_i32_i24_e32 v186, v154, v13
	s_delay_alu instid0(VALU_DEP_2)
	v_add3_u32 v182, v182, v183, v184
	v_mul_i32_i24_e32 v183, v174, v26
	s_waitcnt vmcnt(1)
	v_mul_i32_i24_e32 v185, v173, v7
	scratch_load_b32 v7, off, off offset:740 ; 4-byte Folded Reload
	v_add3_u32 v182, v182, v185, v186
	s_waitcnt vmcnt(1)
	v_mul_i32_i24_e32 v185, v176, v27
	s_waitcnt vmcnt(0)
	v_mul_i32_i24_e32 v184, v175, v7
	scratch_load_b32 v7, off, off offset:500 ; 4-byte Folded Reload
	v_add3_u32 v182, v182, v183, v184
	s_waitcnt vmcnt(0)
	v_mul_i32_i24_e32 v186, v155, v7
	scratch_load_b32 v7, off, off offset:504 ; 4-byte Folded Reload
	v_add3_u32 v182, v182, v185, v186
	s_waitcnt vmcnt(0)
	v_mul_i32_i24_e32 v183, v177, v7
	scratch_load_b32 v7, off, off offset:508 ; 4-byte Folded Reload
	s_waitcnt vmcnt(0)
	v_mul_i32_i24_e32 v184, v178, v7
	scratch_load_b32 v7, off, off offset:512 ; 4-byte Folded Reload
	v_add3_u32 v182, v182, v183, v184
	s_waitcnt vmcnt(0)
	v_mul_i32_i24_e32 v185, v179, v7
	scratch_load_b32 v7, off, off offset:516 ; 4-byte Folded Reload
	s_waitcnt vmcnt(0)
	v_mul_i32_i24_e32 v186, v156, v7
	scratch_load_b32 v7, off, off offset:520 ; 4-byte Folded Reload
	v_add3_u32 v182, v182, v185, v186
	v_mul_i32_i24_e32 v186, v159, v225
	s_waitcnt vmcnt(0)
	s_delay_alu instid0(VALU_DEP_2) | instskip(SKIP_2) | instid1(VALU_DEP_1)
	v_mul_lo_u32 v182, v182, v7
	scratch_load_b32 v7, off, off offset:524 ; 4-byte Folded Reload
	v_cvt_f32_i32_e32 v182, v182
	v_fma_mix_f32 v180, v1, v182, v180 op_sel_hi:[1,0,0]
	v_mul_i32_i24_e32 v182, v63, v79
	s_waitcnt vmcnt(0)
	v_fma_mix_f32 v181, v7, v1, v181 op_sel:[0,1,0] op_sel_hi:[0,1,0]
	scratch_load_b32 v7, off, off offset:1172 ; 4-byte Folded Reload
	v_mul_f32_e32 v181, v181, v146
	s_delay_alu instid0(VALU_DEP_1) | instskip(SKIP_2) | instid1(VALU_DEP_2)
	v_fma_f32 v180, v180, v147, -v181
	v_mul_i32_i24_e32 v181, v46, v29
	s_waitcnt vmcnt(0)
	v_add_f32_e32 v7, v7, v180
	v_mul_i32_i24_e32 v180, v4, v10
	scratch_store_b32 off, v7, off offset:1172 ; 4-byte Folded Spill
	scratch_load_b32 v7, off, off offset:292 ; 4-byte Folded Reload
	v_mad_i32_i24 v180, v43, v31, v180
	s_delay_alu instid0(VALU_DEP_1)
	v_add3_u32 v180, v180, v181, v182
	v_mul_i32_i24_e32 v182, v74, v41
	s_waitcnt vmcnt(0)
	v_mul_i32_i24_e32 v181, v71, v7
	scratch_load_b32 v7, off, off offset:68 ; 4-byte Folded Reload
	v_add3_u32 v180, v180, v181, v182
	s_waitcnt vmcnt(0)
	v_mul_i32_i24_e32 v183, v75, v7
	scratch_load_b32 v7, off, off offset:72 ; 4-byte Folded Reload
	s_waitcnt vmcnt(0)
	v_mul_i32_i24_e32 v184, v76, v7
	scratch_load_b32 v7, off, off offset:76 ; 4-byte Folded Reload
	v_add3_u32 v180, v180, v183, v184
	s_waitcnt vmcnt(0)
	v_mul_i32_i24_e32 v181, v77, v7
	scratch_load_b32 v7, off, off offset:8  ; 4-byte Folded Reload
	s_waitcnt vmcnt(0)
	v_mul_i32_i24_e32 v182, v80, v7
	scratch_load_b32 v7, off, off offset:80 ; 4-byte Folded Reload
	v_add3_u32 v180, v180, v181, v182
	v_mul_i32_i24_e32 v182, v108, v229
	s_waitcnt vmcnt(0)
	v_mul_i32_i24_e32 v183, v81, v7
	scratch_load_b32 v7, off, off offset:120 ; 4-byte Folded Reload
	s_waitcnt vmcnt(0)
	v_mul_i32_i24_e32 v184, v82, v7
	scratch_load_b32 v7, off, off offset:124 ; 4-byte Folded Reload
	v_add3_u32 v180, v180, v183, v184
	v_mul_i32_i24_e32 v183, v109, v248
	v_mul_i32_i24_e32 v184, v110, v230
	s_waitcnt vmcnt(0)
	v_mul_i32_i24_e32 v181, v83, v7
	scratch_load_b32 v7, off, off offset:276 ; 4-byte Folded Reload
	v_add3_u32 v180, v180, v181, v182
	v_mul_i32_i24_e32 v181, v111, v231
	v_mul_i32_i24_e32 v182, v112, v232
	s_delay_alu instid0(VALU_DEP_3) | instskip(SKIP_2) | instid1(VALU_DEP_3)
	v_add3_u32 v180, v180, v183, v184
	v_mul_i32_i24_e32 v183, v114, v234
	v_mul_i32_i24_e32 v184, v116, v139
	v_add3_u32 v180, v180, v181, v182
	v_mul_i32_i24_e32 v181, v117, v72
	v_mul_i32_i24_e32 v182, v118, v44
	s_delay_alu instid0(VALU_DEP_3) | instskip(SKIP_1) | instid1(VALU_DEP_2)
	v_add3_u32 v180, v180, v183, v184
	v_mul_i32_i24_e32 v183, v119, v40
	v_add3_u32 v180, v180, v181, v182
	v_mul_i32_i24_e32 v181, v121, v140
	s_waitcnt vmcnt(0)
	v_mul_i32_i24_e32 v184, v120, v7
	scratch_load_b32 v7, off, off offset:320 ; 4-byte Folded Reload
	v_add3_u32 v180, v180, v183, v184
	v_mul_i32_i24_e32 v183, v123, v137
	s_waitcnt vmcnt(0)
	v_mul_i32_i24_e32 v182, v122, v7
	scratch_load_b32 v7, off, off offset:100 ; 4-byte Folded Reload
	v_add3_u32 v180, v180, v181, v182
	v_mul_i32_i24_e32 v181, v125, v141
	v_mul_i32_i24_e32 v182, v126, v142
	s_waitcnt vmcnt(0)
	v_mul_i32_i24_e32 v184, v124, v7
	scratch_load_b32 v7, off, off offset:296 ; 4-byte Folded Reload
	v_add3_u32 v180, v180, v183, v184
	v_mul_i32_i24_e32 v183, v127, v143
	v_mul_i32_i24_e32 v184, v128, v144
	s_delay_alu instid0(VALU_DEP_3) | instskip(NEXT) | instid1(VALU_DEP_1)
	v_add3_u32 v180, v180, v181, v182
	v_add3_u32 v180, v180, v183, v184
	s_waitcnt vmcnt(0)
	s_delay_alu instid0(VALU_DEP_1) | instskip(SKIP_2) | instid1(VALU_DEP_1)
	v_mul_lo_u32 v180, v180, v7
	scratch_load_b32 v7, off, off offset:300 ; 4-byte Folded Reload
	v_cvt_f32_i32_e32 v180, v180
	v_fma_mix_f32 v180, v0, v180, 0 op_sel_hi:[1,0,0]
	s_waitcnt vmcnt(0)
	v_fma_mix_f32 v181, v7, v0, 0 op_sel:[0,1,0] op_sel_hi:[0,1,0]
	scratch_load_b32 v7, off, off offset:328 ; 4-byte Folded Reload
	s_waitcnt vmcnt(0)
	v_mul_i32_i24_e32 v182, v129, v7
	scratch_load_b32 v7, off, off offset:400 ; 4-byte Folded Reload
	s_waitcnt vmcnt(0)
	v_mul_i32_i24_e32 v183, v131, v7
	;; [unrolled: 3-line block ×3, first 2 shown]
	scratch_load_b32 v7, off, off offset:304 ; 4-byte Folded Reload
	s_waitcnt vmcnt(0)
	v_mad_i32_i24 v182, v130, v7, v182
	scratch_load_b32 v7, off, off offset:324 ; 4-byte Folded Reload
	v_add3_u32 v182, v182, v183, v184
	s_waitcnt vmcnt(0)
	v_mul_i32_i24_e32 v183, v133, v7
	scratch_load_b32 v7, off, off offset:384 ; 4-byte Folded Reload
	s_waitcnt vmcnt(0)
	v_mul_i32_i24_e32 v184, v157, v7
	scratch_load_b32 v7, off, off offset:112 ; 4-byte Folded Reload
	v_add3_u32 v182, v182, v183, v184
	s_waitcnt vmcnt(0)
	v_mul_i32_i24_e32 v185, v158, v7
	scratch_load_b32 v7, off, off offset:736 ; 4-byte Folded Reload
	v_add3_u32 v182, v182, v185, v186
	s_waitcnt vmcnt(0)
	v_mul_i32_i24_e32 v183, v160, v7
	scratch_load_b32 v7, off, off offset:732 ; 4-byte Folded Reload
	s_waitcnt vmcnt(0)
	v_mul_i32_i24_e32 v184, v161, v7
	scratch_load_b32 v7, off, off offset:724 ; 4-byte Folded Reload
	v_add3_u32 v182, v182, v183, v184
	s_waitcnt vmcnt(0)
	v_mul_i32_i24_e32 v185, v162, v7
	scratch_load_b32 v7, off, off offset:688 ; 4-byte Folded Reload
	;; [unrolled: 7-line block ×11, first 2 shown]
	s_waitcnt vmcnt(0)
	v_mul_i32_i24_e32 v184, v178, v7
	scratch_load_b32 v7, off, off offset:312 ; 4-byte Folded Reload
	v_add3_u32 v182, v182, v183, v184
	v_mul_i32_i24_e32 v183, v75, v49
	v_mul_i32_i24_e32 v184, v76, v100
	v_mov_b32_e32 v49, v145
	s_waitcnt vmcnt(0)
	v_mul_i32_i24_e32 v185, v179, v7
	scratch_load_b32 v7, off, off offset:316 ; 4-byte Folded Reload
	s_waitcnt vmcnt(0)
	v_mul_i32_i24_e32 v186, v156, v7
	scratch_load_b32 v7, off, off offset:144 ; 4-byte Folded Reload
	v_add3_u32 v182, v182, v185, v186
	v_mul_i32_i24_e32 v185, v158, v69
	v_mul_i32_i24_e32 v186, v159, v73
	s_waitcnt vmcnt(0)
	s_delay_alu instid0(VALU_DEP_3) | instskip(SKIP_2) | instid1(VALU_DEP_1)
	v_mul_lo_u32 v182, v182, v7
	scratch_load_b32 v7, off, off offset:108 ; 4-byte Folded Reload
	v_cvt_f32_i32_e32 v182, v182
	v_fma_mix_f32 v180, v1, v182, v180 op_sel_hi:[1,0,0]
	s_waitcnt vmcnt(0)
	v_fma_mix_f32 v181, v7, v1, v181 op_sel:[0,1,0] op_sel_hi:[0,1,0]
	scratch_load_b32 v7, off, off offset:1168 ; 4-byte Folded Reload
	v_mul_f32_e32 v181, v181, v214
	s_delay_alu instid0(VALU_DEP_1) | instskip(SKIP_1) | instid1(VALU_DEP_1)
	v_fma_f32 v180, v180, v134, -v181
	s_waitcnt vmcnt(0)
	v_add_f32_e32 v7, v7, v180
	scratch_store_b32 off, v7, off offset:1168 ; 4-byte Folded Spill
	scratch_load_b32 v7, off, off offset:148 ; 4-byte Folded Reload
	s_waitcnt vmcnt(0)
	v_mul_i32_i24_e32 v180, v4, v7
	scratch_load_b32 v7, off, off offset:388 ; 4-byte Folded Reload
	v_mul_i32_i24_e32 v4, v4, v254
	v_mad_i32_i24 v180, v43, v224, v180
	s_delay_alu instid0(VALU_DEP_2)
	v_mad_i32_i24 v4, v43, v249, v4
	v_mul_i32_i24_e32 v43, v71, v107
	s_waitcnt vmcnt(0)
	v_mul_i32_i24_e32 v181, v46, v7
	scratch_load_b32 v7, off, off offset:152 ; 4-byte Folded Reload
	v_mul_i32_i24_e32 v46, v46, v56
	s_waitcnt vmcnt(0)
	v_mul_i32_i24_e32 v182, v63, v7
	scratch_load_b32 v7, off, off offset:156 ; 4-byte Folded Reload
	v_mul_i32_i24_e32 v63, v63, v221
	v_add3_u32 v180, v180, v181, v182
	v_mul_i32_i24_e32 v181, v71, v67
	v_mul_i32_i24_e32 v182, v74, v101
	s_delay_alu instid0(VALU_DEP_4)
	v_add3_u32 v4, v4, v46, v63
	v_mul_i32_i24_e32 v46, v74, v104
	v_mul_i32_i24_e32 v63, v75, v90
	;; [unrolled: 1-line block ×3, first 2 shown]
	v_add3_u32 v180, v180, v181, v182
	v_mul_i32_i24_e32 v181, v77, v241
	v_mul_i32_i24_e32 v182, v80, v149
	v_add3_u32 v4, v4, v43, v46
	v_mul_i32_i24_e32 v43, v77, v103
	v_add3_u32 v180, v180, v183, v184
	v_mul_i32_i24_e32 v183, v81, v240
	v_mul_i32_i24_e32 v184, v82, v106
	scratch_load_b32 v77, off, off offset:1192 ; 4-byte Folded Reload
	v_add3_u32 v4, v4, v63, v71
	v_add3_u32 v180, v180, v181, v182
	v_mul_i32_i24_e32 v181, v83, v242
	v_mul_i32_i24_e32 v182, v108, v113
	v_mul_i32_i24_e32 v46, v80, v91
	v_mul_i32_i24_e32 v63, v81, v47
	v_add3_u32 v180, v180, v183, v184
	v_mul_i32_i24_e32 v183, v109, v136
	v_mul_i32_i24_e32 v184, v110, v217
	v_mul_i32_i24_e32 v71, v82, v220
	v_add3_u32 v4, v4, v43, v46
	v_add3_u32 v180, v180, v181, v182
	v_mul_i32_i24_e32 v181, v111, v151
	v_mul_i32_i24_e32 v182, v112, v150
	v_mul_i32_i24_e32 v43, v83, v42
	v_add3_u32 v4, v4, v63, v71
	v_add3_u32 v180, v180, v183, v184
	v_mul_i32_i24_e32 v183, v114, v152
	v_mul_i32_i24_e32 v184, v116, v145
	v_mul_i32_i24_e32 v46, v108, v45
	v_mul_i32_i24_e32 v63, v109, v35
	v_add3_u32 v180, v180, v181, v182
	v_mul_i32_i24_e32 v181, v117, v215
	v_mul_i32_i24_e32 v182, v118, v148
	v_mul_i32_i24_e32 v71, v110, v102
	v_add3_u32 v4, v4, v43, v46
	v_add3_u32 v180, v180, v183, v184
	v_mul_i32_i24_e32 v183, v119, v216
	v_mul_i32_i24_e32 v184, v120, v239
	v_mul_i32_i24_e32 v43, v111, v39
	;; [unrolled: 15-line block ×3, first 2 shown]
	v_add3_u32 v4, v4, v63, v71
	v_add3_u32 v180, v180, v183, v184
	v_mul_i32_i24_e32 v183, v127, v227
	v_mul_i32_i24_e32 v184, v128, v51
	;; [unrolled: 1-line block ×4, first 2 shown]
	v_add3_u32 v180, v180, v181, v182
	v_mul_i32_i24_e32 v182, v129, v62
	v_fma_mix_f32 v181, v60, v0, 0 op_sel:[0,1,0] op_sel_hi:[0,1,0]
	v_mul_i32_i24_e32 v71, v120, v92
	v_add3_u32 v4, v4, v43, v46
	v_add3_u32 v180, v180, v183, v184
	v_mul_i32_i24_e32 v183, v131, v64
	v_mul_i32_i24_e32 v184, v132, v65
	v_mad_i32_i24 v182, v130, v61, v182
	v_fma_mix_f32 v181, v235, v1, v181 op_sel:[0,1,0] op_sel_hi:[0,1,0]
	v_mul_lo_u32 v180, v180, v59
	v_add3_u32 v4, v4, v63, v71
	v_mul_i32_i24_e32 v43, v121, v93
	v_add3_u32 v182, v182, v183, v184
	v_mul_i32_i24_e32 v183, v133, v70
	v_mul_i32_i24_e32 v184, v157, v68
	;; [unrolled: 1-line block ×3, first 2 shown]
	v_mul_f32_e32 v181, v181, v66
	v_cvt_f32_i32_e32 v180, v180
	v_mul_i32_i24_e32 v63, v123, v95
	v_add3_u32 v182, v182, v183, v184
	v_mul_i32_i24_e32 v183, v160, v78
	v_mul_i32_i24_e32 v184, v161, v84
	v_fma_mix_f32 v180, v0, v180, 0 op_sel_hi:[1,0,0]
	v_mul_i32_i24_e32 v71, v124, v96
	v_add3_u32 v182, v182, v185, v186
	v_mul_i32_i24_e32 v185, v162, v85
	v_mul_i32_i24_e32 v186, v163, v86
	v_add3_u32 v4, v4, v43, v46
	v_mov_b32_e32 v145, v148
	v_add3_u32 v182, v182, v183, v184
	v_mul_i32_i24_e32 v183, v164, v87
	v_mul_i32_i24_e32 v184, v165, v88
	v_mov_b32_e32 v253, v218
	v_add3_u32 v4, v4, v63, v71
	v_add3_u32 v182, v182, v185, v186
	v_mul_i32_i24_e32 v185, v166, v89
	v_mul_i32_i24_e32 v186, v167, v212
	;; [unrolled: 1-line block ×4, first 2 shown]
	v_add3_u32 v182, v182, v183, v184
	v_mul_i32_i24_e32 v183, v168, v237
	v_mul_i32_i24_e32 v184, v169, v228
	;; [unrolled: 1-line block ×4, first 2 shown]
	v_add3_u32 v182, v182, v185, v186
	v_mul_i32_i24_e32 v185, v170, v236
	v_mul_i32_i24_e32 v186, v153, v238
	v_add3_u32 v4, v4, v43, v46
	v_mul_i32_i24_e32 v46, v131, v5
	v_add3_u32 v182, v182, v183, v184
	v_mul_i32_i24_e32 v183, v171, v245
	v_mul_i32_i24_e32 v184, v172, v246
	v_add3_u32 v4, v4, v63, v71
	v_mul_i32_i24_e32 v63, v132, v53
	v_add3_u32 v182, v182, v185, v186
	v_dual_mov_b32 v81, v220 :: v_dual_mov_b32 v80, v91
	v_mov_b32_e32 v119, v200
	v_mov_b32_e32 v91, v47
	s_delay_alu instid0(VALU_DEP_4)
	v_add3_u32 v182, v182, v183, v184
	v_mul_i32_i24_e32 v183, v174, v252
	v_mul_i32_i24_e32 v71, v158, v98
	;; [unrolled: 1-line block ×3, first 2 shown]
	v_dual_mov_b32 v47, v42 :: v_dual_mov_b32 v106, v228
	v_dual_mov_b32 v117, v198 :: v_dual_mov_b32 v228, v45
	v_mov_b32_e32 v111, v194
	v_mov_b32_e32 v45, v35
	v_dual_mov_b32 v35, v102 :: v_dual_mov_b32 v136, v92
	v_dual_mov_b32 v92, v93 :: v_dual_mov_b32 v93, v94
	;; [unrolled: 1-line block ×3, first 2 shown]
	v_mul_lo_u32 v4, v4, v55
	v_dual_mov_b32 v113, v8 :: v_dual_mov_b32 v100, v6
	scratch_load_b32 v6, off, off offset:268 ; 4-byte Folded Reload
	v_dual_mov_b32 v220, v36 :: v_dual_mov_b32 v83, v190
	v_mov_b32_e32 v36, v5
	scratch_load_b32 v5, off, off offset:436 ; 4-byte Folded Reload
	v_cvt_f32_i32_e32 v4, v4
	v_dual_mov_b32 v42, v38 :: v_dual_mov_b32 v131, v251
	v_mov_b32_e32 v128, v208
	v_dual_mov_b32 v148, v212 :: v_dual_mov_b32 v127, v207
	s_delay_alu instid0(VALU_DEP_4)
	v_fma_mix_f32 v4, v0, v4, 0 op_sel_hi:[1,0,0]
	v_fma_mix_f32 v0, v57, v0, 0 op_sel:[0,1,0] op_sel_hi:[0,1,0]
	v_mov_b32_e32 v96, v50
	v_mov_b32_e32 v132, v187
	;; [unrolled: 1-line block ×3, first 2 shown]
	v_dual_mov_b32 v82, v222 :: v_dual_mov_b32 v109, v192
	v_fma_mix_f32 v0, v187, v1, v0 op_sel:[0,1,0] op_sel_hi:[0,1,0]
	v_mov_b32_e32 v222, v37
	v_dual_mov_b32 v37, v189 :: v_dual_mov_b32 v122, v203
	v_dual_mov_b32 v212, v226 :: v_dual_mov_b32 v123, v204
	s_delay_alu instid0(VALU_DEP_4)
	v_mul_f32_e32 v0, v0, v251
	v_dual_mov_b32 v124, v205 :: v_dual_mov_b32 v125, v206
	v_dual_mov_b32 v120, v201 :: v_dual_mov_b32 v121, v202
	v_mov_b32_e32 v116, v197
	v_mov_b32_e32 v118, v199
	;; [unrolled: 1-line block ×6, first 2 shown]
	s_waitcnt vmcnt(3)
	v_mul_i32_i24_e32 v185, v173, v7
	scratch_load_b32 v7, off, off offset:168 ; 4-byte Folded Reload
	s_waitcnt vmcnt(0)
	v_mul_i32_i24_e32 v186, v154, v7
	scratch_load_b32 v7, off, off offset:172 ; 4-byte Folded Reload
	v_add3_u32 v182, v182, v185, v186
	v_mul_i32_i24_e32 v185, v176, v255
	v_mul_i32_i24_e32 v186, v155, v226
	s_waitcnt vmcnt(0)
	v_mul_i32_i24_e32 v184, v175, v7
	scratch_load_b32 v7, off, off offset:160 ; 4-byte Folded Reload
	v_add3_u32 v182, v182, v183, v184
	s_delay_alu instid0(VALU_DEP_1)
	v_add3_u32 v182, v182, v185, v186
	s_waitcnt vmcnt(0)
	v_mul_i32_i24_e32 v183, v177, v7
	scratch_load_b32 v7, off, off offset:164 ; 4-byte Folded Reload
	s_waitcnt vmcnt(0)
	v_mul_i32_i24_e32 v184, v178, v7
	scratch_load_b32 v7, off, off offset:424 ; 4-byte Folded Reload
	v_add3_u32 v182, v182, v183, v184
	s_waitcnt vmcnt(0)
	v_mul_i32_i24_e32 v185, v179, v7
	scratch_load_b32 v7, off, off offset:488 ; 4-byte Folded Reload
	s_waitcnt vmcnt(0)
	v_mul_i32_i24_e32 v186, v156, v7
	scratch_load_b32 v7, off, off offset:1164 ; 4-byte Folded Reload
	v_add3_u32 v182, v182, v185, v186
	s_delay_alu instid0(VALU_DEP_1) | instskip(NEXT) | instid1(VALU_DEP_1)
	v_mul_lo_u32 v182, v182, v233
	v_cvt_f32_i32_e32 v182, v182
	s_delay_alu instid0(VALU_DEP_1) | instskip(NEXT) | instid1(VALU_DEP_1)
	v_fma_mix_f32 v180, v1, v182, v180 op_sel_hi:[1,0,0]
	v_fma_f32 v180, v180, v58, -v181
	s_waitcnt vmcnt(0)
	s_delay_alu instid0(VALU_DEP_1)
	v_add_f32_e32 v7, v7, v180
	v_mul_i32_i24_e32 v43, v129, v52
	v_mov_b32_e32 v129, v209
	scratch_store_b32 off, v7, off offset:1164 ; 4-byte Folded Spill
	v_mad_i32_i24 v43, v130, v105, v43
	v_mov_b32_e32 v130, v210
	s_delay_alu instid0(VALU_DEP_2) | instskip(SKIP_3) | instid1(VALU_DEP_2)
	v_add3_u32 v43, v43, v46, v63
	v_mul_i32_i24_e32 v46, v133, v50
	v_mul_i32_i24_e32 v63, v157, v97
	v_mov_b32_e32 v50, v188
	v_add3_u32 v43, v43, v46, v63
	v_mul_i32_i24_e32 v46, v160, v209
	v_mul_i32_i24_e32 v63, v161, v210
	s_delay_alu instid0(VALU_DEP_3) | instskip(SKIP_2) | instid1(VALU_DEP_3)
	v_add3_u32 v43, v43, v71, v74
	v_mul_i32_i24_e32 v71, v162, v14
	v_mul_i32_i24_e32 v74, v163, v15
	v_add3_u32 v43, v43, v46, v63
	v_mul_i32_i24_e32 v46, v164, v205
	v_mul_i32_i24_e32 v63, v165, v206
	s_delay_alu instid0(VALU_DEP_3) | instskip(SKIP_2) | instid1(VALU_DEP_3)
	v_add3_u32 v43, v43, v71, v74
	v_mul_i32_i24_e32 v71, v166, v207
	v_mul_i32_i24_e32 v74, v167, v208
	;; [unrolled: 7-line block ×6, first 2 shown]
	v_add3_u32 v43, v43, v46, v63
	s_delay_alu instid0(VALU_DEP_1) | instskip(NEXT) | instid1(VALU_DEP_1)
	v_add3_u32 v43, v43, v71, v74
	v_mul_lo_u32 v43, v43, v188
	s_delay_alu instid0(VALU_DEP_1) | instskip(NEXT) | instid1(VALU_DEP_1)
	v_cvt_f32_i32_e32 v43, v43
	v_fma_mix_f32 v4, v1, v43, v4 op_sel_hi:[1,0,0]
	s_delay_alu instid0(VALU_DEP_1)
	v_fma_f32 v0, v4, v250, -v0
	scratch_load_b32 v4, off, off offset:396 ; 4-byte Folded Reload
	v_add_f32_e32 v77, v77, v0
	scratch_load_b32 v0, off, off           ; 4-byte Folded Reload
	s_waitcnt vmcnt(0)
	ds_load_b128 v[153:156], v0 offset:7168
	scratch_load_b32 v0, off, off           ; 4-byte Folded Reload
	s_waitcnt lgkmcnt(0)
	v_bfe_i32 v209, v153, 16, 8
	v_ashrrev_i32_e32 v210, 24, v153
	v_bfe_i32 v208, v153, 0, 8
	v_bfe_i32 v207, v153, 8, 8
	;; [unrolled: 1-line block ×3, first 2 shown]
	v_mul_i32_i24_e32 v71, v209, v6
	scratch_load_b32 v6, off, off offset:272 ; 4-byte Folded Reload
	v_mul_i32_i24_e32 v74, v210, v5
	scratch_load_b32 v5, off, off offset:340 ; 4-byte Folded Reload
	v_mul_i32_i24_e32 v4, v208, v4
	v_bfe_i32 v187, v154, 0, 8
	v_bfe_i32 v183, v155, 0, 8
	;; [unrolled: 1-line block ×4, first 2 shown]
	v_ashrrev_i32_e32 v190, 24, v154
	v_bfe_i32 v185, v155, 16, 8
	v_ashrrev_i32_e32 v186, 24, v155
	v_bfe_i32 v179, v156, 0, 8
	v_bfe_i32 v180, v156, 8, 8
	;; [unrolled: 1-line block ×3, first 2 shown]
	v_ashrrev_i32_e32 v182, 24, v156
	s_waitcnt vmcnt(2)
	ds_load_b128 v[153:156], v0 offset:7184
	scratch_load_b32 v0, off, off           ; 4-byte Folded Reload
	s_waitcnt lgkmcnt(0)
	v_bfe_i32 v203, v153, 0, 8
	v_bfe_i32 v204, v153, 8, 8
	;; [unrolled: 1-line block ×3, first 2 shown]
	v_ashrrev_i32_e32 v206, 24, v153
	v_bfe_i32 v199, v154, 0, 8
	s_waitcnt vmcnt(2)
	v_mad_i32_i24 v4, v207, v6, v4
	scratch_load_b32 v6, off, off offset:696 ; 4-byte Folded Reload
	v_bfe_i32 v200, v154, 8, 8
	v_bfe_i32 v201, v154, 16, 8
	v_ashrrev_i32_e32 v202, 24, v154
	v_add3_u32 v4, v4, v71, v74
	s_waitcnt vmcnt(2)
	v_mul_i32_i24_e32 v74, v188, v5
	scratch_load_b32 v5, off, off offset:980 ; 4-byte Folded Reload
	v_bfe_i32 v195, v155, 0, 8
	v_bfe_i32 v196, v155, 8, 8
	;; [unrolled: 1-line block ×3, first 2 shown]
	v_ashrrev_i32_e32 v198, 24, v155
	v_bfe_i32 v191, v156, 0, 8
	v_bfe_i32 v192, v156, 8, 8
	;; [unrolled: 1-line block ×3, first 2 shown]
	v_ashrrev_i32_e32 v194, 24, v156
	v_mul_i32_i24_e32 v7, v206, v22
	s_waitcnt vmcnt(2)
	ds_load_b128 v[153:156], v0 offset:7200
	scratch_load_b32 v0, off, off           ; 4-byte Folded Reload
	s_waitcnt lgkmcnt(0)
	v_bfe_i32 v176, v153, 0, 8
	v_bfe_i32 v175, v153, 8, 8
	;; [unrolled: 1-line block ×3, first 2 shown]
	v_ashrrev_i32_e32 v178, 24, v153
	v_bfe_i32 v171, v154, 0, 8
	s_waitcnt vmcnt(2)
	v_mul_i32_i24_e32 v71, v187, v6
	scratch_load_b32 v6, off, off offset:692 ; 4-byte Folded Reload
	v_bfe_i32 v172, v154, 8, 8
	v_bfe_i32 v173, v154, 16, 8
	v_ashrrev_i32_e32 v174, 24, v154
	v_add3_u32 v4, v4, v71, v74
	s_waitcnt vmcnt(2)
	v_mul_i32_i24_e32 v71, v183, v5
	scratch_load_b32 v5, off, off offset:984 ; 4-byte Folded Reload
	v_bfe_i32 v167, v155, 0, 8
	v_bfe_i32 v168, v155, 8, 8
	;; [unrolled: 1-line block ×3, first 2 shown]
	v_ashrrev_i32_e32 v170, 24, v155
	v_bfe_i32 v163, v156, 0, 8
	v_bfe_i32 v164, v156, 8, 8
	v_bfe_i32 v165, v156, 16, 8
	v_ashrrev_i32_e32 v166, 24, v156
	v_mul_i32_i24_e32 v12, v174, v12
	s_waitcnt vmcnt(2)
	ds_load_b128 v[153:156], v0 offset:7216
	s_waitcnt lgkmcnt(0)
	v_bfe_i32 v159, v153, 0, 8
	v_bfe_i32 v160, v153, 8, 8
	;; [unrolled: 1-line block ×3, first 2 shown]
	v_ashrrev_i32_e32 v162, 24, v153
	v_bfe_i32 v157, v154, 16, 8
	s_waitcnt vmcnt(1)
	v_mul_i32_i24_e32 v75, v189, v6
	scratch_load_b32 v6, off, off offset:332 ; 4-byte Folded Reload
	v_bfe_i32 v133, v154, 0, 8
	v_bfe_i32 v251, v154, 8, 8
	;; [unrolled: 1-line block ×3, first 2 shown]
	v_ashrrev_i32_e32 v158, 24, v154
	s_waitcnt vmcnt(1)
	v_mul_i32_i24_e32 v74, v184, v5
	scratch_load_b32 v5, off, off offset:700 ; 4-byte Folded Reload
	v_ashrrev_i32_e32 v154, 24, v155
	v_bfe_i32 v63, v155, 0, 8
	v_bfe_i32 v0, v156, 0, 8
	;; [unrolled: 1-line block ×5, first 2 shown]
	v_ashrrev_i32_e32 v46, 24, v156
	s_waitcnt vmcnt(1)
	v_mul_i32_i24_e32 v76, v190, v6
	s_delay_alu instid0(VALU_DEP_1)
	v_add3_u32 v4, v4, v75, v76
	s_waitcnt vmcnt(0)
	v_mul_i32_i24_e32 v75, v185, v5
	scratch_load_b32 v5, off, off offset:704 ; 4-byte Folded Reload
	v_add3_u32 v4, v4, v71, v74
	s_waitcnt vmcnt(0)
	v_mul_i32_i24_e32 v76, v186, v5
	scratch_load_b32 v5, off, off offset:344 ; 4-byte Folded Reload
	;; [unrolled: 4-line block ×3, first 2 shown]
	s_waitcnt vmcnt(0)
	v_mul_i32_i24_e32 v74, v180, v5
	scratch_load_b32 v5, off, off offset:348 ; 4-byte Folded Reload
	v_add3_u32 v4, v4, v71, v74
	s_waitcnt vmcnt(0)
	v_mul_i32_i24_e32 v75, v181, v5
	scratch_load_b32 v5, off, off offset:712 ; 4-byte Folded Reload
	s_waitcnt vmcnt(0)
	v_mul_i32_i24_e32 v76, v182, v5
	scratch_load_b32 v5, off, off offset:716 ; 4-byte Folded Reload
	v_add3_u32 v4, v4, v75, v76
	s_waitcnt vmcnt(0)
	v_mul_i32_i24_e32 v71, v203, v5
	scratch_load_b32 v5, off, off offset:352 ; 4-byte Folded Reload
	s_waitcnt vmcnt(0)
	v_mul_i32_i24_e32 v74, v204, v5
	scratch_load_b32 v5, off, off offset:356 ; 4-byte Folded Reload
	v_add3_u32 v4, v4, v71, v74
	v_mul_i32_i24_e32 v71, v200, v34
	v_mul_i32_i24_e32 v74, v201, v11
	s_waitcnt vmcnt(0)
	v_mul_i32_i24_e32 v75, v205, v5
	scratch_load_b32 v5, off, off offset:720 ; 4-byte Folded Reload
	v_add3_u32 v4, v4, v75, v7
	v_mul_i32_i24_e32 v75, v202, v28
	s_waitcnt vmcnt(0)
	v_mul_i32_i24_e32 v7, v199, v5
	s_delay_alu instid0(VALU_DEP_1) | instskip(SKIP_2) | instid1(VALU_DEP_3)
	v_add3_u32 v4, v4, v7, v71
	v_mul_i32_i24_e32 v7, v195, v33
	v_mul_i32_i24_e32 v71, v196, v16
	v_add3_u32 v4, v4, v74, v75
	v_mul_i32_i24_e32 v74, v197, v17
	v_mul_i32_i24_e32 v75, v198, v219
	s_delay_alu instid0(VALU_DEP_3) | instskip(SKIP_2) | instid1(VALU_DEP_3)
	v_add3_u32 v4, v4, v7, v71
	v_mul_i32_i24_e32 v7, v191, v18
	v_mul_i32_i24_e32 v71, v192, v19
	v_add3_u32 v4, v4, v74, v75
	v_mul_i32_i24_e32 v74, v193, v20
	v_mul_i32_i24_e32 v75, v194, v21
	s_delay_alu instid0(VALU_DEP_3)
	v_add3_u32 v4, v4, v7, v71
	scratch_load_b32 v71, off, off offset:1196 ; 4-byte Folded Reload
	v_add3_u32 v4, v4, v74, v75
	s_clause 0x3
	scratch_load_b32 v75, off, off offset:1268
	scratch_load_b32 v74, off, off offset:1200
	;; [unrolled: 1-line block ×4, first 2 shown]
	v_mov_b32_e32 v226, v9
	v_mul_i32_i24_e32 v9, v177, v23
	s_waitcnt vmcnt(1)
	v_mul_lo_u32 v4, v4, v5
	s_waitcnt vmcnt(0)
	v_add_nc_u32_e32 v17, 32, v17
	scratch_load_b32 v5, off, off offset:380 ; 4-byte Folded Reload
	v_cvt_f32_i32_e32 v4, v4
	s_delay_alu instid0(VALU_DEP_1)
	v_fma_mix_f32 v4, v2, v4, 0 op_sel_hi:[1,0,0]
	s_waitcnt vmcnt(0)
	v_fma_mix_f32 v7, v5, v2, 0 op_sel:[0,1,0] op_sel_hi:[0,1,0]
	scratch_load_b32 v5, off, off offset:392 ; 4-byte Folded Reload
	s_waitcnt vmcnt(0)
	v_mul_i32_i24_e32 v8, v176, v5
	scratch_load_b32 v5, off, off offset:728 ; 4-byte Folded Reload
	v_mad_i32_i24 v8, v175, v24, v8
	s_waitcnt vmcnt(0)
	v_mul_i32_i24_e32 v11, v178, v5
	scratch_load_b32 v5, off, off offset:224 ; 4-byte Folded Reload
	v_add3_u32 v8, v8, v9, v11
	s_waitcnt vmcnt(0)
	v_mul_i32_i24_e32 v9, v171, v5
	scratch_load_b32 v5, off, off offset:744 ; 4-byte Folded Reload
	s_waitcnt vmcnt(0)
	v_mul_i32_i24_e32 v10, v172, v5
	scratch_load_b32 v5, off, off offset:404 ; 4-byte Folded Reload
	v_add3_u32 v8, v8, v9, v10
	s_waitcnt vmcnt(0)
	v_mul_i32_i24_e32 v11, v173, v5
	scratch_load_b32 v5, off, off offset:408 ; 4-byte Folded Reload
	v_add3_u32 v8, v8, v11, v12
	v_mul_i32_i24_e32 v12, v170, v30
	s_waitcnt vmcnt(0)
	v_mul_i32_i24_e32 v9, v167, v5
	scratch_load_b32 v5, off, off offset:748 ; 4-byte Folded Reload
	s_waitcnt vmcnt(0)
	v_mul_i32_i24_e32 v10, v168, v5
	scratch_load_b32 v5, off, off offset:412 ; 4-byte Folded Reload
	v_add3_u32 v8, v8, v9, v10
	s_waitcnt vmcnt(0)
	v_mul_i32_i24_e32 v11, v169, v5
	scratch_load_b32 v5, off, off offset:416 ; 4-byte Folded Reload
	v_add3_u32 v8, v8, v11, v12
	v_mul_i32_i24_e32 v11, v165, v32
	;; [unrolled: 12-line block ×3, first 2 shown]
	s_waitcnt vmcnt(0)
	v_mul_i32_i24_e32 v9, v159, v5
	scratch_load_b32 v5, off, off offset:752 ; 4-byte Folded Reload
	s_waitcnt vmcnt(0)
	v_mul_i32_i24_e32 v10, v160, v5
	scratch_load_b32 v5, off, off offset:920 ; 4-byte Folded Reload
	v_add3_u32 v8, v8, v9, v10
	v_mul_i32_i24_e32 v9, v133, v211
	v_mul_i32_i24_e32 v10, v251, v25
	s_waitcnt vmcnt(0)
	v_mul_i32_i24_e32 v11, v161, v5
	s_clause 0x3
	scratch_load_b32 v30, off, off offset:1176
	scratch_load_b32 v5, off, off offset:756
	;; [unrolled: 1-line block ×4, first 2 shown]
	v_add3_u32 v8, v8, v11, v12
	v_mul_i32_i24_e32 v12, v158, v13
	s_delay_alu instid0(VALU_DEP_2)
	v_add3_u32 v8, v8, v9, v10
	v_mul_i32_i24_e32 v9, v63, v26
	s_waitcnt vmcnt(2)
	v_mul_i32_i24_e32 v11, v157, v5
	scratch_load_b32 v5, off, off offset:740 ; 4-byte Folded Reload
	v_add3_u32 v8, v8, v11, v12
	v_mul_i32_i24_e32 v11, v153, v27
	s_waitcnt vmcnt(0)
	v_mul_i32_i24_e32 v10, v126, v5
	scratch_load_b32 v5, off, off offset:500 ; 4-byte Folded Reload
	v_add3_u32 v8, v8, v9, v10
	s_waitcnt vmcnt(0)
	v_mul_i32_i24_e32 v12, v154, v5
	scratch_load_b32 v5, off, off offset:504 ; 4-byte Folded Reload
	v_add3_u32 v8, v8, v11, v12
	s_waitcnt vmcnt(0)
	v_mul_i32_i24_e32 v9, v0, v5
	s_clause 0x3
	scratch_load_b32 v38, off, off offset:1260
	scratch_load_b32 v5, off, off offset:508
	;; [unrolled: 1-line block ×4, first 2 shown]
	s_waitcnt vmcnt(2)
	v_mul_i32_i24_e32 v10, v1, v5
	scratch_load_b32 v5, off, off offset:512 ; 4-byte Folded Reload
	s_waitcnt vmcnt(2)
	v_add_nc_u32_e32 v18, 8, v18
	v_add3_u32 v8, v8, v9, v10
	s_waitcnt vmcnt(0)
	v_mul_i32_i24_e32 v11, v43, v5
	scratch_load_b32 v5, off, off offset:516 ; 4-byte Folded Reload
	s_waitcnt vmcnt(0)
	v_mul_i32_i24_e32 v12, v46, v5
	scratch_load_b32 v5, off, off offset:520 ; 4-byte Folded Reload
	v_add3_u32 v8, v8, v11, v12
	v_mul_i32_i24_e32 v12, v174, v225
	s_waitcnt vmcnt(0)
	s_delay_alu instid0(VALU_DEP_2) | instskip(SKIP_2) | instid1(VALU_DEP_1)
	v_mul_lo_u32 v8, v8, v5
	scratch_load_b32 v5, off, off offset:524 ; 4-byte Folded Reload
	v_cvt_f32_i32_e32 v8, v8
	v_fma_mix_f32 v4, v3, v8, v4 op_sel_hi:[1,0,0]
	v_mul_i32_i24_e32 v8, v210, v79
	s_waitcnt vmcnt(0)
	v_fma_mix_f32 v7, v5, v3, v7 op_sel:[0,1,0] op_sel_hi:[0,1,0]
	scratch_load_b32 v5, off, off offset:292 ; 4-byte Folded Reload
	v_mul_f32_e32 v7, v7, v146
	s_delay_alu instid0(VALU_DEP_1) | instskip(SKIP_1) | instid1(VALU_DEP_2)
	v_fma_f32 v4, v4, v147, -v7
	v_mul_i32_i24_e32 v7, v209, v29
	v_add_f32_e32 v33, v33, v4
	v_mul_i32_i24_e32 v4, v208, v223
	s_delay_alu instid0(VALU_DEP_1) | instskip(NEXT) | instid1(VALU_DEP_1)
	v_mad_i32_i24 v4, v207, v31, v4
	v_add3_u32 v4, v4, v7, v8
	v_mul_i32_i24_e32 v8, v188, v41
	s_waitcnt vmcnt(0)
	v_mul_i32_i24_e32 v7, v187, v5
	scratch_load_b32 v5, off, off offset:68 ; 4-byte Folded Reload
	v_add3_u32 v4, v4, v7, v8
	s_waitcnt vmcnt(0)
	v_mul_i32_i24_e32 v9, v189, v5
	scratch_load_b32 v5, off, off offset:72 ; 4-byte Folded Reload
	s_waitcnt vmcnt(0)
	v_mul_i32_i24_e32 v10, v190, v5
	scratch_load_b32 v5, off, off offset:76 ; 4-byte Folded Reload
	v_add3_u32 v4, v4, v9, v10
	s_waitcnt vmcnt(0)
	v_mul_i32_i24_e32 v7, v183, v5
	scratch_load_b32 v5, off, off offset:8  ; 4-byte Folded Reload
	s_waitcnt vmcnt(0)
	v_mul_i32_i24_e32 v8, v184, v5
	scratch_load_b32 v5, off, off offset:80 ; 4-byte Folded Reload
	v_add3_u32 v4, v4, v7, v8
	v_mul_i32_i24_e32 v8, v180, v229
	s_waitcnt vmcnt(0)
	v_mul_i32_i24_e32 v9, v185, v5
	scratch_load_b32 v5, off, off offset:120 ; 4-byte Folded Reload
	s_waitcnt vmcnt(0)
	v_mul_i32_i24_e32 v10, v186, v5
	scratch_load_b32 v5, off, off offset:124 ; 4-byte Folded Reload
	v_add3_u32 v4, v4, v9, v10
	v_mul_i32_i24_e32 v9, v181, v248
	v_mul_i32_i24_e32 v10, v182, v230
	s_waitcnt vmcnt(0)
	v_mul_i32_i24_e32 v7, v179, v5
	scratch_load_b32 v5, off, off offset:276 ; 4-byte Folded Reload
	v_add3_u32 v4, v4, v7, v8
	v_mul_i32_i24_e32 v7, v203, v231
	v_mul_i32_i24_e32 v8, v204, v232
	s_delay_alu instid0(VALU_DEP_3) | instskip(SKIP_2) | instid1(VALU_DEP_3)
	v_add3_u32 v4, v4, v9, v10
	v_mul_i32_i24_e32 v9, v205, v234
	v_mul_i32_i24_e32 v10, v206, v139
	v_add3_u32 v4, v4, v7, v8
	v_mul_i32_i24_e32 v7, v199, v72
	v_mul_i32_i24_e32 v8, v200, v44
	scratch_load_b32 v72, off, off offset:1272 ; 4-byte Folded Reload
	v_add3_u32 v4, v4, v9, v10
	v_mul_i32_i24_e32 v9, v201, v40
	s_delay_alu instid0(VALU_DEP_2)
	v_add3_u32 v4, v4, v7, v8
	v_mul_i32_i24_e32 v7, v195, v140
	s_waitcnt vmcnt(1)
	v_mul_i32_i24_e32 v10, v202, v5
	scratch_load_b32 v5, off, off offset:320 ; 4-byte Folded Reload
	v_add3_u32 v4, v4, v9, v10
	v_mul_i32_i24_e32 v9, v197, v137
	s_waitcnt vmcnt(0)
	v_mul_i32_i24_e32 v8, v196, v5
	scratch_load_b32 v5, off, off offset:100 ; 4-byte Folded Reload
	v_add3_u32 v4, v4, v7, v8
	v_mul_i32_i24_e32 v7, v191, v141
	v_mul_i32_i24_e32 v8, v192, v142
	s_waitcnt vmcnt(0)
	v_mul_i32_i24_e32 v10, v198, v5
	scratch_load_b32 v5, off, off offset:296 ; 4-byte Folded Reload
	v_add3_u32 v4, v4, v9, v10
	v_mul_i32_i24_e32 v9, v193, v143
	v_mul_i32_i24_e32 v10, v194, v144
	s_delay_alu instid0(VALU_DEP_3) | instskip(NEXT) | instid1(VALU_DEP_1)
	v_add3_u32 v4, v4, v7, v8
	v_add3_u32 v4, v4, v9, v10
	s_waitcnt vmcnt(0)
	s_delay_alu instid0(VALU_DEP_1) | instskip(SKIP_2) | instid1(VALU_DEP_1)
	v_mul_lo_u32 v4, v4, v5
	scratch_load_b32 v5, off, off offset:300 ; 4-byte Folded Reload
	v_cvt_f32_i32_e32 v4, v4
	v_fma_mix_f32 v4, v2, v4, 0 op_sel_hi:[1,0,0]
	s_waitcnt vmcnt(0)
	v_fma_mix_f32 v7, v5, v2, 0 op_sel:[0,1,0] op_sel_hi:[0,1,0]
	scratch_load_b32 v5, off, off offset:328 ; 4-byte Folded Reload
	s_waitcnt vmcnt(0)
	v_mul_i32_i24_e32 v8, v176, v5
	scratch_load_b32 v5, off, off offset:400 ; 4-byte Folded Reload
	s_waitcnt vmcnt(0)
	v_mul_i32_i24_e32 v9, v177, v5
	;; [unrolled: 3-line block ×3, first 2 shown]
	scratch_load_b32 v5, off, off offset:304 ; 4-byte Folded Reload
	s_waitcnt vmcnt(0)
	v_mad_i32_i24 v8, v175, v5, v8
	scratch_load_b32 v5, off, off offset:324 ; 4-byte Folded Reload
	v_add3_u32 v8, v8, v9, v10
	s_waitcnt vmcnt(0)
	v_mul_i32_i24_e32 v9, v171, v5
	s_clause 0x1
	scratch_load_b32 v31, off, off offset:1180
	scratch_load_b32 v5, off, off offset:384
	s_waitcnt vmcnt(0)
	v_mul_i32_i24_e32 v10, v172, v5
	scratch_load_b32 v5, off, off offset:112 ; 4-byte Folded Reload
	v_add3_u32 v8, v8, v9, v10
	s_waitcnt vmcnt(0)
	v_mul_i32_i24_e32 v11, v173, v5
	scratch_load_b32 v5, off, off offset:736 ; 4-byte Folded Reload
	v_add3_u32 v8, v8, v11, v12
	s_waitcnt vmcnt(0)
	v_mul_i32_i24_e32 v9, v167, v5
	scratch_load_b32 v5, off, off offset:732 ; 4-byte Folded Reload
	s_waitcnt vmcnt(0)
	v_mul_i32_i24_e32 v10, v168, v5
	scratch_load_b32 v5, off, off offset:724 ; 4-byte Folded Reload
	v_add3_u32 v8, v8, v9, v10
	s_waitcnt vmcnt(0)
	v_mul_i32_i24_e32 v11, v169, v5
	scratch_load_b32 v5, off, off offset:688 ; 4-byte Folded Reload
	;; [unrolled: 7-line block ×11, first 2 shown]
	s_waitcnt vmcnt(0)
	v_mul_i32_i24_e32 v10, v1, v5
	scratch_load_b32 v5, off, off offset:312 ; 4-byte Folded Reload
	v_add3_u32 v8, v8, v9, v10
	v_mul_i32_i24_e32 v9, v173, v69
	v_mul_i32_i24_e32 v10, v174, v73
	s_waitcnt vmcnt(0)
	v_mul_i32_i24_e32 v11, v43, v5
	scratch_load_b32 v5, off, off offset:316 ; 4-byte Folded Reload
	s_waitcnt vmcnt(0)
	v_mul_i32_i24_e32 v12, v46, v5
	scratch_load_b32 v5, off, off offset:144 ; 4-byte Folded Reload
	v_add3_u32 v8, v8, v11, v12
	s_waitcnt vmcnt(0)
	s_delay_alu instid0(VALU_DEP_1) | instskip(SKIP_4) | instid1(VALU_DEP_1)
	v_mul_lo_u32 v6, v8, v5
	s_clause 0x1
	scratch_load_b32 v5, off, off offset:108
	scratch_load_b32 v8, off, off offset:480
	v_cvt_f32_i32_e32 v6, v6
	v_fma_mix_f32 v4, v3, v6, v4 op_sel_hi:[1,0,0]
	scratch_load_b32 v6, off, off offset:152 ; 4-byte Folded Reload
	s_waitcnt vmcnt(2)
	v_fma_mix_f32 v5, v5, v3, v7 op_sel:[0,1,0] op_sel_hi:[0,1,0]
	scratch_load_b32 v7, off, off offset:476 ; 4-byte Folded Reload
	s_waitcnt vmcnt(2)
	v_mul_i32_i24_e32 v8, v190, v8
	v_mul_f32_e32 v5, v5, v214
	s_delay_alu instid0(VALU_DEP_1)
	v_fma_f32 v4, v4, v134, -v5
	scratch_load_b32 v5, off, off offset:388 ; 4-byte Folded Reload
	s_waitcnt vmcnt(2)
	v_mul_i32_i24_e32 v6, v210, v6
	v_add_f32_e32 v32, v32, v4
	scratch_load_b32 v4, off, off offset:148 ; 4-byte Folded Reload
	s_waitcnt vmcnt(2)
	v_mul_i32_i24_e32 v7, v189, v7
	s_waitcnt vmcnt(1)
	v_mul_i32_i24_e32 v5, v209, v5
	;; [unrolled: 2-line block ×3, first 2 shown]
	s_delay_alu instid0(VALU_DEP_1) | instskip(NEXT) | instid1(VALU_DEP_1)
	v_mad_i32_i24 v4, v207, v224, v4
	v_add3_u32 v4, v4, v5, v6
	v_mul_i32_i24_e32 v5, v187, v67
	v_mul_i32_i24_e32 v6, v188, v101
	s_delay_alu instid0(VALU_DEP_1) | instskip(SKIP_2) | instid1(VALU_DEP_3)
	v_add3_u32 v4, v4, v5, v6
	v_mul_i32_i24_e32 v5, v183, v241
	v_mul_i32_i24_e32 v6, v184, v149
	v_add3_u32 v4, v4, v7, v8
	scratch_load_b32 v8, off, off offset:484 ; 4-byte Folded Reload
	v_mul_i32_i24_e32 v7, v185, v240
	v_add3_u32 v4, v4, v5, v6
	scratch_load_b32 v6, off, off offset:492 ; 4-byte Folded Reload
	v_mul_i32_i24_e32 v5, v179, v242
	s_waitcnt vmcnt(1)
	v_mul_i32_i24_e32 v8, v186, v8
	s_delay_alu instid0(VALU_DEP_1) | instskip(SKIP_4) | instid1(VALU_DEP_2)
	v_add3_u32 v4, v4, v7, v8
	scratch_load_b32 v7, off, off offset:496 ; 4-byte Folded Reload
	s_waitcnt vmcnt(1)
	v_mul_i32_i24_e32 v6, v180, v6
	v_mul_i32_i24_e32 v8, v182, v217
	v_add3_u32 v4, v4, v5, v6
	v_mul_i32_i24_e32 v5, v203, v151
	v_mul_i32_i24_e32 v6, v204, v150
	s_waitcnt vmcnt(0)
	v_mul_i32_i24_e32 v7, v181, v7
	s_delay_alu instid0(VALU_DEP_1) | instskip(SKIP_2) | instid1(VALU_DEP_3)
	v_add3_u32 v4, v4, v7, v8
	v_mul_i32_i24_e32 v7, v205, v152
	v_mul_i32_i24_e32 v8, v206, v49
	v_add3_u32 v4, v4, v5, v6
	v_mul_i32_i24_e32 v5, v199, v215
	v_mul_i32_i24_e32 v6, v200, v145
	s_delay_alu instid0(VALU_DEP_3) | instskip(SKIP_2) | instid1(VALU_DEP_3)
	v_add3_u32 v4, v4, v7, v8
	v_mul_i32_i24_e32 v7, v201, v216
	v_mul_i32_i24_e32 v8, v202, v239
	v_add3_u32 v4, v4, v5, v6
	scratch_load_b32 v5, off, off offset:468 ; 4-byte Folded Reload
	v_mul_i32_i24_e32 v6, v196, v253
	v_add3_u32 v4, v4, v7, v8
	v_mul_i32_i24_e32 v7, v197, v243
	v_mul_i32_i24_e32 v8, v198, v247
	s_waitcnt vmcnt(0)
	v_mul_i32_i24_e32 v5, v195, v5
	s_delay_alu instid0(VALU_DEP_1) | instskip(SKIP_2) | instid1(VALU_DEP_3)
	v_add3_u32 v4, v4, v5, v6
	v_mul_i32_i24_e32 v5, v191, v244
	v_mul_i32_i24_e32 v6, v192, v138
	v_add3_u32 v4, v4, v7, v8
	v_mul_i32_i24_e32 v7, v193, v227
	v_mul_i32_i24_e32 v8, v194, v51
	s_delay_alu instid0(VALU_DEP_3) | instskip(SKIP_2) | instid1(VALU_DEP_3)
	v_add3_u32 v4, v4, v5, v6
	v_mul_i32_i24_e32 v6, v176, v62
	v_fma_mix_f32 v5, v60, v2, 0 op_sel:[0,1,0] op_sel_hi:[0,1,0]
	v_add3_u32 v4, v4, v7, v8
	v_mul_i32_i24_e32 v7, v177, v64
	v_mul_i32_i24_e32 v8, v178, v65
	v_mad_i32_i24 v6, v175, v61, v6
	v_fma_mix_f32 v5, v235, v3, v5 op_sel:[0,1,0] op_sel_hi:[0,1,0]
	v_mul_lo_u32 v4, v4, v59
	s_delay_alu instid0(VALU_DEP_3) | instskip(SKIP_4) | instid1(VALU_DEP_3)
	v_add3_u32 v6, v6, v7, v8
	v_mul_i32_i24_e32 v7, v171, v70
	v_mul_i32_i24_e32 v8, v172, v68
	v_mul_f32_e32 v5, v5, v66
	v_cvt_f32_i32_e32 v4, v4
	v_add3_u32 v6, v6, v7, v8
	v_mul_i32_i24_e32 v7, v167, v78
	v_mul_i32_i24_e32 v8, v168, v84
	s_delay_alu instid0(VALU_DEP_4) | instskip(NEXT) | instid1(VALU_DEP_4)
	v_fma_mix_f32 v4, v2, v4, 0 op_sel_hi:[1,0,0]
	v_add3_u32 v6, v6, v9, v10
	v_mul_i32_i24_e32 v9, v169, v85
	v_mul_i32_i24_e32 v10, v170, v86
	s_delay_alu instid0(VALU_DEP_3) | instskip(SKIP_2) | instid1(VALU_DEP_3)
	v_add3_u32 v6, v6, v7, v8
	v_mul_i32_i24_e32 v7, v163, v87
	v_mul_i32_i24_e32 v8, v164, v88
	v_add3_u32 v6, v6, v9, v10
	v_mul_i32_i24_e32 v9, v165, v89
	v_mul_i32_i24_e32 v10, v166, v148
	s_delay_alu instid0(VALU_DEP_3) | instskip(SKIP_2) | instid1(VALU_DEP_3)
	v_add3_u32 v6, v6, v7, v8
	v_mul_i32_i24_e32 v7, v159, v237
	v_mul_i32_i24_e32 v8, v160, v106
	;; [unrolled: 7-line block ×3, first 2 shown]
	v_add3_u32 v6, v6, v9, v10
	s_clause 0x1
	scratch_load_b32 v9, off, off offset:156
	scratch_load_b32 v10, off, off offset:168
	v_add3_u32 v6, v6, v7, v8
	scratch_load_b32 v8, off, off offset:172 ; 4-byte Folded Reload
	v_mul_i32_i24_e32 v7, v63, v252
	s_waitcnt vmcnt(2)
	v_mul_i32_i24_e32 v9, v157, v9
	s_waitcnt vmcnt(1)
	;; [unrolled: 2-line block ×3, first 2 shown]
	v_mul_i32_i24_e32 v8, v126, v8
	s_delay_alu instid0(VALU_DEP_2) | instskip(SKIP_2) | instid1(VALU_DEP_3)
	v_add3_u32 v6, v6, v9, v10
	v_mul_i32_i24_e32 v9, v153, v255
	v_mul_i32_i24_e32 v10, v154, v212
	v_add3_u32 v6, v6, v7, v8
	s_clause 0x1
	scratch_load_b32 v7, off, off offset:160
	scratch_load_b32 v8, off, off offset:164
	v_add3_u32 v6, v6, v9, v10
	s_clause 0x1
	scratch_load_b32 v9, off, off offset:424
	scratch_load_b32 v10, off, off offset:488
	s_waitcnt vmcnt(3)
	v_mul_i32_i24_e32 v7, v0, v7
	s_waitcnt vmcnt(2)
	v_mul_i32_i24_e32 v8, v1, v8
	v_mul_i32_i24_e32 v0, v0, v37
	;; [unrolled: 1-line block ×3, first 2 shown]
	s_waitcnt vmcnt(1)
	v_mul_i32_i24_e32 v9, v43, v9
	s_waitcnt vmcnt(0)
	v_mul_i32_i24_e32 v10, v46, v10
	v_add3_u32 v6, v6, v7, v8
	v_mul_i32_i24_e32 v7, v189, v90
	v_mul_i32_i24_e32 v8, v190, v48
	s_delay_alu instid0(VALU_DEP_3) | instskip(SKIP_1) | instid1(VALU_DEP_2)
	v_add3_u32 v6, v6, v9, v10
	v_mul_i32_i24_e32 v9, v174, v99
	v_mul_lo_u32 v6, v6, v233
	s_delay_alu instid0(VALU_DEP_1) | instskip(NEXT) | instid1(VALU_DEP_1)
	v_cvt_f32_i32_e32 v6, v6
	v_fma_mix_f32 v4, v3, v6, v4 op_sel_hi:[1,0,0]
	v_mul_i32_i24_e32 v6, v210, v221
	s_delay_alu instid0(VALU_DEP_2) | instskip(SKIP_1) | instid1(VALU_DEP_2)
	v_fma_f32 v4, v4, v58, -v5
	v_mul_i32_i24_e32 v5, v209, v56
	v_add_f32_e32 v31, v31, v4
	v_mul_i32_i24_e32 v4, v208, v254
	s_delay_alu instid0(VALU_DEP_1) | instskip(NEXT) | instid1(VALU_DEP_1)
	v_mad_i32_i24 v4, v207, v249, v4
	v_add3_u32 v4, v4, v5, v6
	v_mul_i32_i24_e32 v5, v187, v107
	v_mul_i32_i24_e32 v6, v188, v104
	s_delay_alu instid0(VALU_DEP_1) | instskip(SKIP_2) | instid1(VALU_DEP_3)
	v_add3_u32 v4, v4, v5, v6
	v_mul_i32_i24_e32 v5, v183, v103
	v_mul_i32_i24_e32 v6, v184, v80
	v_add3_u32 v4, v4, v7, v8
	v_mul_i32_i24_e32 v7, v185, v91
	v_mul_i32_i24_e32 v8, v186, v81
	s_delay_alu instid0(VALU_DEP_3) | instskip(SKIP_2) | instid1(VALU_DEP_3)
	v_add3_u32 v4, v4, v5, v6
	v_mul_i32_i24_e32 v5, v179, v47
	v_mul_i32_i24_e32 v6, v180, v228
	v_add3_u32 v4, v4, v7, v8
	v_mul_i32_i24_e32 v7, v181, v45
	v_mul_i32_i24_e32 v8, v182, v35
	s_delay_alu instid0(VALU_DEP_3) | instskip(SKIP_2) | instid1(VALU_DEP_3)
	;; [unrolled: 7-line block ×6, first 2 shown]
	v_add3_u32 v4, v4, v5, v6
	v_mul_i32_i24_e32 v5, v176, v52
	v_mul_i32_i24_e32 v6, v177, v36
	v_add3_u32 v4, v4, v7, v8
	v_mul_i32_i24_e32 v7, v178, v53
	s_delay_alu instid0(VALU_DEP_4) | instskip(SKIP_1) | instid1(VALU_DEP_4)
	v_mad_i32_i24 v5, v175, v105, v5
	v_mul_i32_i24_e32 v8, v173, v98
	v_mul_lo_u32 v4, v4, v55
	s_delay_alu instid0(VALU_DEP_3) | instskip(SKIP_2) | instid1(VALU_DEP_4)
	v_add3_u32 v5, v5, v6, v7
	v_mul_i32_i24_e32 v6, v171, v96
	v_mul_i32_i24_e32 v7, v172, v97
	v_cvt_f32_i32_e32 v4, v4
	s_delay_alu instid0(VALU_DEP_2) | instskip(SKIP_2) | instid1(VALU_DEP_4)
	v_add3_u32 v5, v5, v6, v7
	v_mul_i32_i24_e32 v6, v167, v129
	v_mul_i32_i24_e32 v7, v168, v130
	v_fma_mix_f32 v4, v2, v4, 0 op_sel_hi:[1,0,0]
	s_delay_alu instid0(VALU_DEP_4) | instskip(SKIP_3) | instid1(VALU_DEP_4)
	v_add3_u32 v5, v5, v8, v9
	v_mul_i32_i24_e32 v8, v169, v14
	v_mul_i32_i24_e32 v9, v170, v15
	v_fma_mix_f32 v2, v57, v2, 0 op_sel:[0,1,0] op_sel_hi:[0,1,0]
	v_add3_u32 v5, v5, v6, v7
	v_mul_i32_i24_e32 v6, v166, v128
	s_delay_alu instid0(VALU_DEP_2) | instskip(SKIP_3) | instid1(VALU_DEP_2)
	v_add3_u32 v7, v5, v8, v9
	v_mul_i32_i24_e32 v8, v163, v124
	v_mul_i32_i24_e32 v9, v164, v125
	;; [unrolled: 1-line block ×3, first 2 shown]
	v_add3_u32 v7, v7, v8, v9
	v_mul_i32_i24_e32 v8, v161, v122
	v_mul_i32_i24_e32 v9, v162, v123
	s_delay_alu instid0(VALU_DEP_3) | instskip(SKIP_2) | instid1(VALU_DEP_1)
	v_add3_u32 v5, v7, v5, v6
	v_mul_i32_i24_e32 v6, v159, v120
	v_mul_i32_i24_e32 v7, v160, v121
	v_add3_u32 v5, v5, v6, v7
	v_mul_i32_i24_e32 v6, v133, v116
	v_mul_i32_i24_e32 v7, v251, v117
	s_delay_alu instid0(VALU_DEP_3) | instskip(SKIP_2) | instid1(VALU_DEP_3)
	v_add3_u32 v5, v5, v8, v9
	v_mul_i32_i24_e32 v8, v157, v118
	v_mul_i32_i24_e32 v9, v158, v119
	v_add3_u32 v5, v5, v6, v7
	v_mul_i32_i24_e32 v6, v63, v110
	v_mul_i32_i24_e32 v7, v126, v111
	s_delay_alu instid0(VALU_DEP_3) | instskip(SKIP_2) | instid1(VALU_DEP_3)
	v_add3_u32 v5, v5, v8, v9
	v_mul_i32_i24_e32 v8, v153, v112
	v_mul_i32_i24_e32 v9, v154, v114
	v_add3_u32 v5, v5, v6, v7
	v_mul_i32_i24_e32 v6, v43, v108
	v_mul_i32_i24_e32 v7, v46, v109
	s_delay_alu instid0(VALU_DEP_3) | instskip(NEXT) | instid1(VALU_DEP_1)
	v_add3_u32 v5, v5, v8, v9
	v_add3_u32 v0, v5, v0, v1
	scratch_load_b32 v5, off, off           ; 4-byte Folded Reload
	v_fma_mix_f32 v1, v132, v3, v2 op_sel:[0,1,0] op_sel_hi:[0,1,0]
	v_add3_u32 v0, v0, v6, v7
	s_delay_alu instid0(VALU_DEP_2) | instskip(NEXT) | instid1(VALU_DEP_2)
	v_mul_f32_e32 v1, v1, v131
	v_mul_lo_u32 v0, v0, v50
	s_delay_alu instid0(VALU_DEP_1) | instskip(NEXT) | instid1(VALU_DEP_1)
	v_cvt_f32_i32_e32 v0, v0
	v_fma_mix_f32 v0, v3, v0, v4 op_sel_hi:[1,0,0]
	s_delay_alu instid0(VALU_DEP_1) | instskip(SKIP_1) | instid1(VALU_DEP_1)
	v_fma_f32 v0, v0, v250, -v1
	s_waitcnt vmcnt(0)
	v_dual_add_f32 v30, v30, v0 :: v_dual_add_nc_u32 v5, 64, v5
	s_cbranch_scc1 .LBB131_7
; %bb.8:                                ;   in Loop: Header=BB131_6 Depth=2
	s_clause 0x2
	scratch_load_b32 v35, off, off offset:1080
	scratch_load_b32 v34, off, off offset:1076
	;; [unrolled: 1-line block ×3, first 2 shown]
	s_mov_b32 s15, 1
	s_and_b32 vcc_lo, exec_lo, s14
	s_mov_b32 s14, 0
	s_waitcnt vmcnt(0)
	s_waitcnt_vscnt null, 0x0
	s_barrier
	buffer_gl0_inv
	s_cbranch_vccz .LBB131_6
; %bb.9:                                ;   in Loop: Header=BB131_5 Depth=1
	s_add_i32 s13, s13, 1
	s_delay_alu instid0(SALU_CYCLE_1)
	s_cmp_eq_u32 s13, s5
	s_cbranch_scc0 .LBB131_5
; %bb.10:
	s_clause 0x2
	scratch_load_b32 v1, off, off offset:1576
	scratch_load_b32 v0, off, off offset:1284
	;; [unrolled: 1-line block ×3, first 2 shown]
	v_dual_mov_b32 v8, v29 :: v_dual_mov_b32 v9, v34
	v_mov_b32_e32 v10, v35
.LBB131_11:
	s_mov_b32 s0, exec_lo
	s_waitcnt vmcnt(0)
	v_cmpx_gt_u32_e64 s4, v2
	s_cbranch_execz .LBB131_62
; %bb.12:
	v_add_nc_u32_e32 v0, s10, v0
	v_mul_lo_u32 v5, v2, s6
	s_delay_alu instid0(VALU_DEP_2)
	v_cmp_gt_u32_e32 vcc_lo, s6, v0
	s_and_saveexec_b32 s1, vcc_lo
	s_cbranch_execz .LBB131_14
; %bb.13:
	s_delay_alu instid0(VALU_DEP_2) | instskip(NEXT) | instid1(VALU_DEP_1)
	v_dual_mov_b32 v3, 0 :: v_dual_add_nc_u32 v2, v0, v5
	v_lshlrev_b64 v[2:3], 2, v[2:3]
	s_waitcnt lgkmcnt(0)
	s_delay_alu instid0(VALU_DEP_1) | instskip(NEXT) | instid1(VALU_DEP_1)
	v_add_co_u32 v2, s0, s8, v2
	v_add_co_ci_u32_e64 v3, s0, s9, v3, s0
	global_store_b32 v[2:3], v71, off
.LBB131_14:
	s_or_b32 exec_lo, exec_lo, s1
	v_add_nc_u32_e32 v2, 32, v0
	s_delay_alu instid0(VALU_DEP_1) | instskip(NEXT) | instid1(VALU_DEP_1)
	v_cmp_gt_u32_e64 s0, s6, v2
	s_and_saveexec_b32 s2, s0
	s_cbranch_execz .LBB131_16
; %bb.15:
	v_dual_mov_b32 v4, 0 :: v_dual_add_nc_u32 v3, v2, v5
	s_delay_alu instid0(VALU_DEP_1) | instskip(SKIP_1) | instid1(VALU_DEP_1)
	v_lshlrev_b64 v[3:4], 2, v[3:4]
	s_waitcnt lgkmcnt(0)
	v_add_co_u32 v3, s1, s8, v3
	s_delay_alu instid0(VALU_DEP_1)
	v_add_co_ci_u32_e64 v4, s1, s9, v4, s1
	global_store_b32 v[3:4], v74, off
.LBB131_16:
	s_or_b32 exec_lo, exec_lo, s2
	v_add_nc_u32_e32 v3, 64, v0
	s_delay_alu instid0(VALU_DEP_1) | instskip(NEXT) | instid1(VALU_DEP_1)
	v_cmp_gt_u32_e64 s1, s6, v3
	s_and_saveexec_b32 s3, s1
	s_cbranch_execz .LBB131_18
; %bb.17:
	v_dual_mov_b32 v7, 0 :: v_dual_add_nc_u32 v6, v3, v5
	s_delay_alu instid0(VALU_DEP_1) | instskip(SKIP_1) | instid1(VALU_DEP_1)
	v_lshlrev_b64 v[6:7], 2, v[6:7]
	s_waitcnt lgkmcnt(0)
	v_add_co_u32 v6, s2, s8, v6
	s_delay_alu instid0(VALU_DEP_1)
	v_add_co_ci_u32_e64 v7, s2, s9, v7, s2
	global_store_b32 v[6:7], v10, off
.LBB131_18:
	s_or_b32 exec_lo, exec_lo, s3
	v_add_nc_u32_e32 v4, 0x60, v0
	s_delay_alu instid0(VALU_DEP_1) | instskip(NEXT) | instid1(VALU_DEP_1)
	v_cmp_gt_u32_e64 s2, s6, v4
	s_and_saveexec_b32 s5, s2
	s_cbranch_execz .LBB131_20
; %bb.19:
	v_dual_mov_b32 v6, 0 :: v_dual_add_nc_u32 v5, v4, v5
	s_delay_alu instid0(VALU_DEP_1) | instskip(SKIP_1) | instid1(VALU_DEP_1)
	v_lshlrev_b64 v[5:6], 2, v[5:6]
	s_waitcnt lgkmcnt(0)
	v_add_co_u32 v5, s3, s8, v5
	s_delay_alu instid0(VALU_DEP_1)
	v_add_co_ci_u32_e64 v6, s3, s9, v6, s3
	global_store_b32 v[5:6], v9, off
.LBB131_20:
	s_or_b32 exec_lo, exec_lo, s5
	v_add3_u32 v5, v1, s7, 8
	s_delay_alu instid0(VALU_DEP_1) | instskip(NEXT) | instid1(VALU_DEP_1)
	v_cmp_gt_u32_e64 s3, s4, v5
	s_and_b32 exec_lo, exec_lo, s3
	s_cbranch_execz .LBB131_62
; %bb.21:
	v_mul_lo_u32 v5, v5, s6
	s_and_saveexec_b32 s5, vcc_lo
	s_cbranch_execnz .LBB131_63
; %bb.22:
	s_or_b32 exec_lo, exec_lo, s5
	s_and_saveexec_b32 s5, s0
	s_cbranch_execnz .LBB131_64
.LBB131_23:
	s_or_b32 exec_lo, exec_lo, s5
	s_and_saveexec_b32 s5, s1
	s_cbranch_execnz .LBB131_65
.LBB131_24:
	s_or_b32 exec_lo, exec_lo, s5
	s_and_saveexec_b32 s5, s2
	s_cbranch_execz .LBB131_26
.LBB131_25:
	scratch_load_b32 v7, off, off offset:1088 ; 4-byte Folded Reload
	v_dual_mov_b32 v6, 0 :: v_dual_add_nc_u32 v5, v5, v4
	s_delay_alu instid0(VALU_DEP_1) | instskip(SKIP_1) | instid1(VALU_DEP_1)
	v_lshlrev_b64 v[5:6], 2, v[5:6]
	s_waitcnt lgkmcnt(0)
	v_add_co_u32 v5, s3, s8, v5
	s_delay_alu instid0(VALU_DEP_1)
	v_add_co_ci_u32_e64 v6, s3, s9, v6, s3
	s_waitcnt vmcnt(0)
	global_store_b32 v[5:6], v7, off
.LBB131_26:
	s_or_b32 exec_lo, exec_lo, s5
	v_add3_u32 v5, v1, s7, 16
	s_delay_alu instid0(VALU_DEP_1) | instskip(NEXT) | instid1(VALU_DEP_1)
	v_cmp_gt_u32_e64 s3, s4, v5
	s_and_b32 exec_lo, exec_lo, s3
	s_cbranch_execz .LBB131_62
; %bb.27:
	v_mul_lo_u32 v5, v5, s6
	s_and_saveexec_b32 s5, vcc_lo
	s_cbranch_execnz .LBB131_66
; %bb.28:
	s_or_b32 exec_lo, exec_lo, s5
	s_and_saveexec_b32 s5, s0
	s_cbranch_execnz .LBB131_67
.LBB131_29:
	s_or_b32 exec_lo, exec_lo, s5
	s_and_saveexec_b32 s5, s1
	s_cbranch_execnz .LBB131_68
.LBB131_30:
	s_or_b32 exec_lo, exec_lo, s5
	s_and_saveexec_b32 s5, s2
	s_cbranch_execz .LBB131_32
.LBB131_31:
	scratch_load_b32 v7, off, off offset:1100 ; 4-byte Folded Reload
	v_dual_mov_b32 v6, 0 :: v_dual_add_nc_u32 v5, v5, v4
	s_delay_alu instid0(VALU_DEP_1) | instskip(SKIP_1) | instid1(VALU_DEP_1)
	v_lshlrev_b64 v[5:6], 2, v[5:6]
	s_waitcnt lgkmcnt(0)
	v_add_co_u32 v5, s3, s8, v5
	s_delay_alu instid0(VALU_DEP_1)
	v_add_co_ci_u32_e64 v6, s3, s9, v6, s3
	s_waitcnt vmcnt(0)
	global_store_b32 v[5:6], v7, off
.LBB131_32:
	s_or_b32 exec_lo, exec_lo, s5
	v_add3_u32 v5, v1, s7, 24
	s_delay_alu instid0(VALU_DEP_1) | instskip(NEXT) | instid1(VALU_DEP_1)
	v_cmp_gt_u32_e64 s3, s4, v5
	s_and_b32 exec_lo, exec_lo, s3
	s_cbranch_execz .LBB131_62
; %bb.33:
	v_mul_lo_u32 v5, v5, s6
	s_and_saveexec_b32 s5, vcc_lo
	s_cbranch_execnz .LBB131_69
; %bb.34:
	s_or_b32 exec_lo, exec_lo, s5
	s_and_saveexec_b32 s5, s0
	s_cbranch_execnz .LBB131_70
.LBB131_35:
	s_or_b32 exec_lo, exec_lo, s5
	s_and_saveexec_b32 s5, s1
	s_cbranch_execnz .LBB131_71
.LBB131_36:
	s_or_b32 exec_lo, exec_lo, s5
	s_and_saveexec_b32 s5, s2
	s_cbranch_execz .LBB131_38
.LBB131_37:
	scratch_load_b32 v7, off, off offset:1116 ; 4-byte Folded Reload
	v_dual_mov_b32 v6, 0 :: v_dual_add_nc_u32 v5, v5, v4
	s_delay_alu instid0(VALU_DEP_1) | instskip(SKIP_1) | instid1(VALU_DEP_1)
	v_lshlrev_b64 v[5:6], 2, v[5:6]
	s_waitcnt lgkmcnt(0)
	v_add_co_u32 v5, s3, s8, v5
	s_delay_alu instid0(VALU_DEP_1)
	v_add_co_ci_u32_e64 v6, s3, s9, v6, s3
	s_waitcnt vmcnt(0)
	global_store_b32 v[5:6], v7, off
.LBB131_38:
	s_or_b32 exec_lo, exec_lo, s5
	v_add3_u32 v5, v1, s7, 32
	s_delay_alu instid0(VALU_DEP_1) | instskip(NEXT) | instid1(VALU_DEP_1)
	v_cmp_gt_u32_e64 s3, s4, v5
	s_and_b32 exec_lo, exec_lo, s3
	s_cbranch_execz .LBB131_62
; %bb.39:
	v_mul_lo_u32 v5, v5, s6
	s_and_saveexec_b32 s5, vcc_lo
	s_cbranch_execnz .LBB131_72
; %bb.40:
	s_or_b32 exec_lo, exec_lo, s5
	s_and_saveexec_b32 s5, s0
	s_cbranch_execnz .LBB131_73
.LBB131_41:
	s_or_b32 exec_lo, exec_lo, s5
	s_and_saveexec_b32 s5, s1
	s_cbranch_execnz .LBB131_74
.LBB131_42:
	s_or_b32 exec_lo, exec_lo, s5
	s_and_saveexec_b32 s5, s2
	s_cbranch_execz .LBB131_44
.LBB131_43:
	scratch_load_b32 v7, off, off offset:1132 ; 4-byte Folded Reload
	v_dual_mov_b32 v6, 0 :: v_dual_add_nc_u32 v5, v5, v4
	s_delay_alu instid0(VALU_DEP_1) | instskip(SKIP_1) | instid1(VALU_DEP_1)
	v_lshlrev_b64 v[5:6], 2, v[5:6]
	s_waitcnt lgkmcnt(0)
	v_add_co_u32 v5, s3, s8, v5
	s_delay_alu instid0(VALU_DEP_1)
	v_add_co_ci_u32_e64 v6, s3, s9, v6, s3
	s_waitcnt vmcnt(0)
	global_store_b32 v[5:6], v7, off
.LBB131_44:
	s_or_b32 exec_lo, exec_lo, s5
	v_add3_u32 v5, v1, s7, 40
	s_delay_alu instid0(VALU_DEP_1) | instskip(NEXT) | instid1(VALU_DEP_1)
	v_cmp_gt_u32_e64 s3, s4, v5
	s_and_b32 exec_lo, exec_lo, s3
	s_cbranch_execz .LBB131_62
; %bb.45:
	v_mul_lo_u32 v5, v5, s6
	s_and_saveexec_b32 s5, vcc_lo
	s_cbranch_execnz .LBB131_75
; %bb.46:
	s_or_b32 exec_lo, exec_lo, s5
	s_and_saveexec_b32 s5, s0
	s_cbranch_execnz .LBB131_76
.LBB131_47:
	s_or_b32 exec_lo, exec_lo, s5
	s_and_saveexec_b32 s5, s1
	s_cbranch_execnz .LBB131_77
.LBB131_48:
	s_or_b32 exec_lo, exec_lo, s5
	s_and_saveexec_b32 s5, s2
	s_cbranch_execz .LBB131_50
.LBB131_49:
	scratch_load_b32 v7, off, off offset:1148 ; 4-byte Folded Reload
	v_dual_mov_b32 v6, 0 :: v_dual_add_nc_u32 v5, v5, v4
	s_delay_alu instid0(VALU_DEP_1) | instskip(SKIP_1) | instid1(VALU_DEP_1)
	v_lshlrev_b64 v[5:6], 2, v[5:6]
	s_waitcnt lgkmcnt(0)
	v_add_co_u32 v5, s3, s8, v5
	s_delay_alu instid0(VALU_DEP_1)
	v_add_co_ci_u32_e64 v6, s3, s9, v6, s3
	s_waitcnt vmcnt(0)
	global_store_b32 v[5:6], v7, off
.LBB131_50:
	s_or_b32 exec_lo, exec_lo, s5
	v_add3_u32 v5, v1, s7, 48
	s_delay_alu instid0(VALU_DEP_1) | instskip(NEXT) | instid1(VALU_DEP_1)
	v_cmp_gt_u32_e64 s3, s4, v5
	s_and_b32 exec_lo, exec_lo, s3
	s_cbranch_execz .LBB131_62
; %bb.51:
	v_mul_lo_u32 v5, v5, s6
	s_and_saveexec_b32 s5, vcc_lo
	s_cbranch_execnz .LBB131_78
; %bb.52:
	s_or_b32 exec_lo, exec_lo, s5
	s_and_saveexec_b32 s5, s0
	s_cbranch_execnz .LBB131_79
.LBB131_53:
	s_or_b32 exec_lo, exec_lo, s5
	s_and_saveexec_b32 s5, s1
	s_cbranch_execnz .LBB131_80
.LBB131_54:
	s_or_b32 exec_lo, exec_lo, s5
	s_and_saveexec_b32 s5, s2
	s_cbranch_execz .LBB131_56
.LBB131_55:
	v_dual_mov_b32 v6, 0 :: v_dual_add_nc_u32 v5, v5, v4
	s_delay_alu instid0(VALU_DEP_1) | instskip(SKIP_1) | instid1(VALU_DEP_1)
	v_lshlrev_b64 v[5:6], 2, v[5:6]
	s_waitcnt lgkmcnt(0)
	v_add_co_u32 v5, s3, s8, v5
	s_delay_alu instid0(VALU_DEP_1)
	v_add_co_ci_u32_e64 v6, s3, s9, v6, s3
	global_store_b32 v[5:6], v77, off
.LBB131_56:
	s_or_b32 exec_lo, exec_lo, s5
	v_add3_u32 v1, v1, s7, 56
	s_delay_alu instid0(VALU_DEP_1) | instskip(NEXT) | instid1(VALU_DEP_1)
	v_cmp_gt_u32_e64 s3, s4, v1
	s_and_b32 exec_lo, exec_lo, s3
	s_cbranch_execz .LBB131_62
; %bb.57:
	v_mul_lo_u32 v1, v1, s6
	s_and_saveexec_b32 s3, vcc_lo
	s_cbranch_execnz .LBB131_81
; %bb.58:
	s_or_b32 exec_lo, exec_lo, s3
	s_and_saveexec_b32 s3, s0
	s_cbranch_execnz .LBB131_82
.LBB131_59:
	s_or_b32 exec_lo, exec_lo, s3
	s_and_saveexec_b32 s0, s1
	s_cbranch_execnz .LBB131_83
.LBB131_60:
	s_or_b32 exec_lo, exec_lo, s0
	s_delay_alu instid0(SALU_CYCLE_1)
	s_and_b32 exec_lo, exec_lo, s2
	s_cbranch_execz .LBB131_62
.LBB131_61:
	v_dual_mov_b32 v1, 0 :: v_dual_add_nc_u32 v0, v1, v4
	s_delay_alu instid0(VALU_DEP_1) | instskip(SKIP_1) | instid1(VALU_DEP_1)
	v_lshlrev_b64 v[0:1], 2, v[0:1]
	s_waitcnt lgkmcnt(0)
	v_add_co_u32 v0, vcc_lo, s8, v0
	s_delay_alu instid0(VALU_DEP_2)
	v_add_co_ci_u32_e32 v1, vcc_lo, s9, v1, vcc_lo
	global_store_b32 v[0:1], v30, off
.LBB131_62:
	s_endpgm
.LBB131_63:
	s_delay_alu instid0(VALU_DEP_1) | instskip(NEXT) | instid1(VALU_DEP_1)
	v_dual_mov_b32 v7, 0 :: v_dual_add_nc_u32 v6, v5, v0
	v_lshlrev_b64 v[6:7], 2, v[6:7]
	s_waitcnt lgkmcnt(0)
	s_delay_alu instid0(VALU_DEP_1) | instskip(NEXT) | instid1(VALU_DEP_1)
	v_add_co_u32 v6, s3, s8, v6
	v_add_co_ci_u32_e64 v7, s3, s9, v7, s3
	global_store_b32 v[6:7], v8, off
	s_or_b32 exec_lo, exec_lo, s5
	s_and_saveexec_b32 s5, s0
	s_cbranch_execz .LBB131_23
.LBB131_64:
	scratch_load_b32 v8, off, off offset:1096 ; 4-byte Folded Reload
	v_dual_mov_b32 v7, 0 :: v_dual_add_nc_u32 v6, v5, v2
	s_delay_alu instid0(VALU_DEP_1) | instskip(SKIP_1) | instid1(VALU_DEP_1)
	v_lshlrev_b64 v[6:7], 2, v[6:7]
	s_waitcnt lgkmcnt(0)
	v_add_co_u32 v6, s3, s8, v6
	s_delay_alu instid0(VALU_DEP_1)
	v_add_co_ci_u32_e64 v7, s3, s9, v7, s3
	s_waitcnt vmcnt(0)
	global_store_b32 v[6:7], v8, off
	s_or_b32 exec_lo, exec_lo, s5
	s_and_saveexec_b32 s5, s1
	s_cbranch_execz .LBB131_24
.LBB131_65:
	scratch_load_b32 v8, off, off offset:1092 ; 4-byte Folded Reload
	v_dual_mov_b32 v7, 0 :: v_dual_add_nc_u32 v6, v5, v3
	s_delay_alu instid0(VALU_DEP_1) | instskip(SKIP_1) | instid1(VALU_DEP_1)
	v_lshlrev_b64 v[6:7], 2, v[6:7]
	s_waitcnt lgkmcnt(0)
	v_add_co_u32 v6, s3, s8, v6
	s_delay_alu instid0(VALU_DEP_1)
	v_add_co_ci_u32_e64 v7, s3, s9, v7, s3
	s_waitcnt vmcnt(0)
	global_store_b32 v[6:7], v8, off
	s_or_b32 exec_lo, exec_lo, s5
	s_and_saveexec_b32 s5, s2
	s_cbranch_execnz .LBB131_25
	s_branch .LBB131_26
.LBB131_66:
	scratch_load_b32 v8, off, off offset:1112 ; 4-byte Folded Reload
	v_dual_mov_b32 v7, 0 :: v_dual_add_nc_u32 v6, v5, v0
	s_delay_alu instid0(VALU_DEP_1) | instskip(SKIP_1) | instid1(VALU_DEP_1)
	v_lshlrev_b64 v[6:7], 2, v[6:7]
	s_waitcnt lgkmcnt(0)
	v_add_co_u32 v6, s3, s8, v6
	s_delay_alu instid0(VALU_DEP_1)
	v_add_co_ci_u32_e64 v7, s3, s9, v7, s3
	s_waitcnt vmcnt(0)
	global_store_b32 v[6:7], v8, off
	s_or_b32 exec_lo, exec_lo, s5
	s_and_saveexec_b32 s5, s0
	s_cbranch_execz .LBB131_29
.LBB131_67:
	scratch_load_b32 v8, off, off offset:1108 ; 4-byte Folded Reload
	v_dual_mov_b32 v7, 0 :: v_dual_add_nc_u32 v6, v5, v2
	s_delay_alu instid0(VALU_DEP_1) | instskip(SKIP_1) | instid1(VALU_DEP_1)
	v_lshlrev_b64 v[6:7], 2, v[6:7]
	s_waitcnt lgkmcnt(0)
	v_add_co_u32 v6, s3, s8, v6
	s_delay_alu instid0(VALU_DEP_1)
	v_add_co_ci_u32_e64 v7, s3, s9, v7, s3
	s_waitcnt vmcnt(0)
	global_store_b32 v[6:7], v8, off
	s_or_b32 exec_lo, exec_lo, s5
	s_and_saveexec_b32 s5, s1
	s_cbranch_execz .LBB131_30
.LBB131_68:
	scratch_load_b32 v8, off, off offset:1104 ; 4-byte Folded Reload
	v_dual_mov_b32 v7, 0 :: v_dual_add_nc_u32 v6, v5, v3
	s_delay_alu instid0(VALU_DEP_1) | instskip(SKIP_1) | instid1(VALU_DEP_1)
	v_lshlrev_b64 v[6:7], 2, v[6:7]
	s_waitcnt lgkmcnt(0)
	v_add_co_u32 v6, s3, s8, v6
	s_delay_alu instid0(VALU_DEP_1)
	v_add_co_ci_u32_e64 v7, s3, s9, v7, s3
	s_waitcnt vmcnt(0)
	global_store_b32 v[6:7], v8, off
	s_or_b32 exec_lo, exec_lo, s5
	s_and_saveexec_b32 s5, s2
	s_cbranch_execnz .LBB131_31
	s_branch .LBB131_32
.LBB131_69:
	scratch_load_b32 v8, off, off offset:1128 ; 4-byte Folded Reload
	v_dual_mov_b32 v7, 0 :: v_dual_add_nc_u32 v6, v5, v0
	s_delay_alu instid0(VALU_DEP_1) | instskip(SKIP_1) | instid1(VALU_DEP_1)
	v_lshlrev_b64 v[6:7], 2, v[6:7]
	s_waitcnt lgkmcnt(0)
	v_add_co_u32 v6, s3, s8, v6
	s_delay_alu instid0(VALU_DEP_1)
	v_add_co_ci_u32_e64 v7, s3, s9, v7, s3
	s_waitcnt vmcnt(0)
	global_store_b32 v[6:7], v8, off
	s_or_b32 exec_lo, exec_lo, s5
	s_and_saveexec_b32 s5, s0
	s_cbranch_execz .LBB131_35
.LBB131_70:
	scratch_load_b32 v8, off, off offset:1124 ; 4-byte Folded Reload
	v_dual_mov_b32 v7, 0 :: v_dual_add_nc_u32 v6, v5, v2
	s_delay_alu instid0(VALU_DEP_1) | instskip(SKIP_1) | instid1(VALU_DEP_1)
	v_lshlrev_b64 v[6:7], 2, v[6:7]
	s_waitcnt lgkmcnt(0)
	v_add_co_u32 v6, s3, s8, v6
	s_delay_alu instid0(VALU_DEP_1)
	v_add_co_ci_u32_e64 v7, s3, s9, v7, s3
	s_waitcnt vmcnt(0)
	global_store_b32 v[6:7], v8, off
	s_or_b32 exec_lo, exec_lo, s5
	s_and_saveexec_b32 s5, s1
	s_cbranch_execz .LBB131_36
.LBB131_71:
	scratch_load_b32 v8, off, off offset:1120 ; 4-byte Folded Reload
	v_dual_mov_b32 v7, 0 :: v_dual_add_nc_u32 v6, v5, v3
	s_delay_alu instid0(VALU_DEP_1) | instskip(SKIP_1) | instid1(VALU_DEP_1)
	v_lshlrev_b64 v[6:7], 2, v[6:7]
	s_waitcnt lgkmcnt(0)
	v_add_co_u32 v6, s3, s8, v6
	s_delay_alu instid0(VALU_DEP_1)
	v_add_co_ci_u32_e64 v7, s3, s9, v7, s3
	s_waitcnt vmcnt(0)
	global_store_b32 v[6:7], v8, off
	s_or_b32 exec_lo, exec_lo, s5
	s_and_saveexec_b32 s5, s2
	s_cbranch_execnz .LBB131_37
	s_branch .LBB131_38
.LBB131_72:
	scratch_load_b32 v8, off, off offset:1144 ; 4-byte Folded Reload
	v_dual_mov_b32 v7, 0 :: v_dual_add_nc_u32 v6, v5, v0
	s_delay_alu instid0(VALU_DEP_1) | instskip(SKIP_1) | instid1(VALU_DEP_1)
	v_lshlrev_b64 v[6:7], 2, v[6:7]
	s_waitcnt lgkmcnt(0)
	v_add_co_u32 v6, s3, s8, v6
	s_delay_alu instid0(VALU_DEP_1)
	v_add_co_ci_u32_e64 v7, s3, s9, v7, s3
	s_waitcnt vmcnt(0)
	global_store_b32 v[6:7], v8, off
	s_or_b32 exec_lo, exec_lo, s5
	s_and_saveexec_b32 s5, s0
	s_cbranch_execz .LBB131_41
.LBB131_73:
	scratch_load_b32 v8, off, off offset:1140 ; 4-byte Folded Reload
	v_dual_mov_b32 v7, 0 :: v_dual_add_nc_u32 v6, v5, v2
	s_delay_alu instid0(VALU_DEP_1) | instskip(SKIP_1) | instid1(VALU_DEP_1)
	v_lshlrev_b64 v[6:7], 2, v[6:7]
	s_waitcnt lgkmcnt(0)
	v_add_co_u32 v6, s3, s8, v6
	s_delay_alu instid0(VALU_DEP_1)
	v_add_co_ci_u32_e64 v7, s3, s9, v7, s3
	s_waitcnt vmcnt(0)
	global_store_b32 v[6:7], v8, off
	s_or_b32 exec_lo, exec_lo, s5
	s_and_saveexec_b32 s5, s1
	s_cbranch_execz .LBB131_42
.LBB131_74:
	scratch_load_b32 v8, off, off offset:1136 ; 4-byte Folded Reload
	v_dual_mov_b32 v7, 0 :: v_dual_add_nc_u32 v6, v5, v3
	s_delay_alu instid0(VALU_DEP_1) | instskip(SKIP_1) | instid1(VALU_DEP_1)
	v_lshlrev_b64 v[6:7], 2, v[6:7]
	s_waitcnt lgkmcnt(0)
	v_add_co_u32 v6, s3, s8, v6
	s_delay_alu instid0(VALU_DEP_1)
	v_add_co_ci_u32_e64 v7, s3, s9, v7, s3
	s_waitcnt vmcnt(0)
	global_store_b32 v[6:7], v8, off
	s_or_b32 exec_lo, exec_lo, s5
	s_and_saveexec_b32 s5, s2
	s_cbranch_execnz .LBB131_43
	s_branch .LBB131_44
.LBB131_75:
	scratch_load_b32 v8, off, off offset:1160 ; 4-byte Folded Reload
	v_dual_mov_b32 v7, 0 :: v_dual_add_nc_u32 v6, v5, v0
	s_delay_alu instid0(VALU_DEP_1) | instskip(SKIP_1) | instid1(VALU_DEP_1)
	v_lshlrev_b64 v[6:7], 2, v[6:7]
	s_waitcnt lgkmcnt(0)
	v_add_co_u32 v6, s3, s8, v6
	s_delay_alu instid0(VALU_DEP_1)
	v_add_co_ci_u32_e64 v7, s3, s9, v7, s3
	s_waitcnt vmcnt(0)
	global_store_b32 v[6:7], v8, off
	s_or_b32 exec_lo, exec_lo, s5
	s_and_saveexec_b32 s5, s0
	s_cbranch_execz .LBB131_47
.LBB131_76:
	scratch_load_b32 v8, off, off offset:1156 ; 4-byte Folded Reload
	v_dual_mov_b32 v7, 0 :: v_dual_add_nc_u32 v6, v5, v2
	s_delay_alu instid0(VALU_DEP_1) | instskip(SKIP_1) | instid1(VALU_DEP_1)
	v_lshlrev_b64 v[6:7], 2, v[6:7]
	s_waitcnt lgkmcnt(0)
	v_add_co_u32 v6, s3, s8, v6
	s_delay_alu instid0(VALU_DEP_1)
	v_add_co_ci_u32_e64 v7, s3, s9, v7, s3
	s_waitcnt vmcnt(0)
	global_store_b32 v[6:7], v8, off
	s_or_b32 exec_lo, exec_lo, s5
	s_and_saveexec_b32 s5, s1
	s_cbranch_execz .LBB131_48
.LBB131_77:
	scratch_load_b32 v8, off, off offset:1152 ; 4-byte Folded Reload
	v_dual_mov_b32 v7, 0 :: v_dual_add_nc_u32 v6, v5, v3
	s_delay_alu instid0(VALU_DEP_1) | instskip(SKIP_1) | instid1(VALU_DEP_1)
	v_lshlrev_b64 v[6:7], 2, v[6:7]
	s_waitcnt lgkmcnt(0)
	v_add_co_u32 v6, s3, s8, v6
	s_delay_alu instid0(VALU_DEP_1)
	v_add_co_ci_u32_e64 v7, s3, s9, v7, s3
	s_waitcnt vmcnt(0)
	global_store_b32 v[6:7], v8, off
	s_or_b32 exec_lo, exec_lo, s5
	s_and_saveexec_b32 s5, s2
	s_cbranch_execnz .LBB131_49
	s_branch .LBB131_50
.LBB131_78:
	scratch_load_b32 v8, off, off offset:1172 ; 4-byte Folded Reload
	v_dual_mov_b32 v7, 0 :: v_dual_add_nc_u32 v6, v5, v0
	s_delay_alu instid0(VALU_DEP_1) | instskip(SKIP_1) | instid1(VALU_DEP_1)
	v_lshlrev_b64 v[6:7], 2, v[6:7]
	s_waitcnt lgkmcnt(0)
	v_add_co_u32 v6, s3, s8, v6
	s_delay_alu instid0(VALU_DEP_1)
	v_add_co_ci_u32_e64 v7, s3, s9, v7, s3
	s_waitcnt vmcnt(0)
	global_store_b32 v[6:7], v8, off
	s_or_b32 exec_lo, exec_lo, s5
	s_and_saveexec_b32 s5, s0
	s_cbranch_execz .LBB131_53
.LBB131_79:
	scratch_load_b32 v8, off, off offset:1168 ; 4-byte Folded Reload
	v_dual_mov_b32 v7, 0 :: v_dual_add_nc_u32 v6, v5, v2
	s_delay_alu instid0(VALU_DEP_1) | instskip(SKIP_1) | instid1(VALU_DEP_1)
	v_lshlrev_b64 v[6:7], 2, v[6:7]
	s_waitcnt lgkmcnt(0)
	v_add_co_u32 v6, s3, s8, v6
	s_delay_alu instid0(VALU_DEP_1)
	v_add_co_ci_u32_e64 v7, s3, s9, v7, s3
	s_waitcnt vmcnt(0)
	global_store_b32 v[6:7], v8, off
	s_or_b32 exec_lo, exec_lo, s5
	s_and_saveexec_b32 s5, s1
	s_cbranch_execz .LBB131_54
.LBB131_80:
	scratch_load_b32 v8, off, off offset:1164 ; 4-byte Folded Reload
	v_dual_mov_b32 v7, 0 :: v_dual_add_nc_u32 v6, v5, v3
	s_delay_alu instid0(VALU_DEP_1) | instskip(SKIP_1) | instid1(VALU_DEP_1)
	v_lshlrev_b64 v[6:7], 2, v[6:7]
	s_waitcnt lgkmcnt(0)
	v_add_co_u32 v6, s3, s8, v6
	s_delay_alu instid0(VALU_DEP_1)
	v_add_co_ci_u32_e64 v7, s3, s9, v7, s3
	s_waitcnt vmcnt(0)
	global_store_b32 v[6:7], v8, off
	s_or_b32 exec_lo, exec_lo, s5
	s_and_saveexec_b32 s5, s2
	s_cbranch_execnz .LBB131_55
	s_branch .LBB131_56
.LBB131_81:
	s_delay_alu instid0(VALU_DEP_1) | instskip(NEXT) | instid1(VALU_DEP_1)
	v_dual_mov_b32 v6, 0 :: v_dual_add_nc_u32 v5, v1, v0
	v_lshlrev_b64 v[5:6], 2, v[5:6]
	s_waitcnt lgkmcnt(0)
	s_delay_alu instid0(VALU_DEP_1) | instskip(NEXT) | instid1(VALU_DEP_2)
	v_add_co_u32 v5, vcc_lo, s8, v5
	v_add_co_ci_u32_e32 v6, vcc_lo, s9, v6, vcc_lo
	global_store_b32 v[5:6], v33, off
	s_or_b32 exec_lo, exec_lo, s3
	s_and_saveexec_b32 s3, s0
	s_cbranch_execz .LBB131_59
.LBB131_82:
	s_delay_alu instid0(VALU_DEP_1) | instskip(NEXT) | instid1(VALU_DEP_1)
	v_dual_mov_b32 v6, 0 :: v_dual_add_nc_u32 v5, v1, v2
	v_lshlrev_b64 v[5:6], 2, v[5:6]
	s_waitcnt lgkmcnt(0)
	s_delay_alu instid0(VALU_DEP_1) | instskip(NEXT) | instid1(VALU_DEP_2)
	v_add_co_u32 v5, vcc_lo, s8, v5
	v_add_co_ci_u32_e32 v6, vcc_lo, s9, v6, vcc_lo
	global_store_b32 v[5:6], v32, off
	s_or_b32 exec_lo, exec_lo, s3
	s_and_saveexec_b32 s0, s1
	s_cbranch_execz .LBB131_60
.LBB131_83:
	v_dual_mov_b32 v3, 0 :: v_dual_add_nc_u32 v2, v1, v3
	s_delay_alu instid0(VALU_DEP_1) | instskip(SKIP_1) | instid1(VALU_DEP_1)
	v_lshlrev_b64 v[2:3], 2, v[2:3]
	s_waitcnt lgkmcnt(0)
	v_add_co_u32 v2, vcc_lo, s8, v2
	s_delay_alu instid0(VALU_DEP_2) | instskip(SKIP_2) | instid1(SALU_CYCLE_1)
	v_add_co_ci_u32_e32 v3, vcc_lo, s9, v3, vcc_lo
	global_store_b32 v[2:3], v31, off
	s_or_b32 exec_lo, exec_lo, s0
	s_and_b32 exec_lo, exec_lo, s2
	s_cbranch_execnz .LBB131_61
	s_branch .LBB131_62
	.section	.rodata,"a",@progbits
	.p2align	6, 0x0
	.amdhsa_kernel _ZL12mul_mat_q4_KIfLb0EEvPKvS1_PT_iiiii
		.amdhsa_group_segment_fixed_size 28752
		.amdhsa_private_segment_fixed_size 1588
		.amdhsa_kernarg_size 44
		.amdhsa_user_sgpr_count 14
		.amdhsa_user_sgpr_dispatch_ptr 0
		.amdhsa_user_sgpr_queue_ptr 0
		.amdhsa_user_sgpr_kernarg_segment_ptr 1
		.amdhsa_user_sgpr_dispatch_id 0
		.amdhsa_user_sgpr_private_segment_size 0
		.amdhsa_wavefront_size32 1
		.amdhsa_uses_dynamic_stack 0
		.amdhsa_enable_private_segment 1
		.amdhsa_system_sgpr_workgroup_id_x 1
		.amdhsa_system_sgpr_workgroup_id_y 1
		.amdhsa_system_sgpr_workgroup_id_z 0
		.amdhsa_system_sgpr_workgroup_info 0
		.amdhsa_system_vgpr_workitem_id 1
		.amdhsa_next_free_vgpr 256
		.amdhsa_next_free_sgpr 18
		.amdhsa_reserve_vcc 1
		.amdhsa_float_round_mode_32 0
		.amdhsa_float_round_mode_16_64 0
		.amdhsa_float_denorm_mode_32 3
		.amdhsa_float_denorm_mode_16_64 3
		.amdhsa_dx10_clamp 1
		.amdhsa_ieee_mode 1
		.amdhsa_fp16_overflow 0
		.amdhsa_workgroup_processor_mode 1
		.amdhsa_memory_ordered 1
		.amdhsa_forward_progress 0
		.amdhsa_shared_vgpr_count 0
		.amdhsa_exception_fp_ieee_invalid_op 0
		.amdhsa_exception_fp_denorm_src 0
		.amdhsa_exception_fp_ieee_div_zero 0
		.amdhsa_exception_fp_ieee_overflow 0
		.amdhsa_exception_fp_ieee_underflow 0
		.amdhsa_exception_fp_ieee_inexact 0
		.amdhsa_exception_int_div_zero 0
	.end_amdhsa_kernel
	.section	.text._ZL12mul_mat_q4_KIfLb0EEvPKvS1_PT_iiiii,"axG",@progbits,_ZL12mul_mat_q4_KIfLb0EEvPKvS1_PT_iiiii,comdat
.Lfunc_end131:
	.size	_ZL12mul_mat_q4_KIfLb0EEvPKvS1_PT_iiiii, .Lfunc_end131-_ZL12mul_mat_q4_KIfLb0EEvPKvS1_PT_iiiii
                                        ; -- End function
	.section	.AMDGPU.csdata,"",@progbits
; Kernel info:
; codeLenInByte = 48936
; NumSgprs: 20
; NumVgprs: 256
; ScratchSize: 1588
; MemoryBound: 0
; FloatMode: 240
; IeeeMode: 1
; LDSByteSize: 28752 bytes/workgroup (compile time only)
; SGPRBlocks: 2
; VGPRBlocks: 31
; NumSGPRsForWavesPerEU: 20
; NumVGPRsForWavesPerEU: 256
; Occupancy: 5
; WaveLimiterHint : 0
; COMPUTE_PGM_RSRC2:SCRATCH_EN: 1
; COMPUTE_PGM_RSRC2:USER_SGPR: 14
; COMPUTE_PGM_RSRC2:TRAP_HANDLER: 0
; COMPUTE_PGM_RSRC2:TGID_X_EN: 1
; COMPUTE_PGM_RSRC2:TGID_Y_EN: 1
; COMPUTE_PGM_RSRC2:TGID_Z_EN: 0
; COMPUTE_PGM_RSRC2:TIDIG_COMP_CNT: 1
	.section	.text._ZL12mul_mat_q4_KIfLb1EEvPKvS1_PT_iiiii,"axG",@progbits,_ZL12mul_mat_q4_KIfLb1EEvPKvS1_PT_iiiii,comdat
	.globl	_ZL12mul_mat_q4_KIfLb1EEvPKvS1_PT_iiiii ; -- Begin function _ZL12mul_mat_q4_KIfLb1EEvPKvS1_PT_iiiii
	.p2align	8
	.type	_ZL12mul_mat_q4_KIfLb1EEvPKvS1_PT_iiiii,@function
_ZL12mul_mat_q4_KIfLb1EEvPKvS1_PT_iiiii: ; @_ZL12mul_mat_q4_KIfLb1EEvPKvS1_PT_iiiii
; %bb.0:
	s_clause 0x1
	s_load_b128 s[4:7], s[0:1], 0x18
	s_load_b32 s10, s[0:1], 0x28
	v_bfe_u32 v36, v0, 10, 10
	v_and_b32_e32 v1, 0x3ff, v0
	s_lshl_b32 s11, s15, 6
	scratch_store_b32 off, v1, off offset:1280 ; 4-byte Folded Spill
	s_waitcnt lgkmcnt(0)
	s_cmpk_gt_i32 s4, 0xff
	s_cbranch_scc1 .LBB132_2
; %bb.1:
	v_bfe_u32 v1, v0, 10, 10
	v_and_b32_e32 v0, 0x3ff, v0
	s_mov_b32 s2, 0
	s_mov_b32 s3, 0
	s_delay_alu instid0(VALU_DEP_2)
	v_add_nc_u32_e32 v2, s11, v1
	s_branch .LBB132_3
.LBB132_2:
	s_mov_b32 s2, -1
                                        ; implicit-def: $sgpr3
                                        ; implicit-def: $vgpr1
                                        ; implicit-def: $vgpr0
                                        ; implicit-def: $vgpr2
.LBB132_3:
	s_load_b64 s[8:9], s[0:1], 0x10
	v_dual_mov_b32 v30, s3 :: v_dual_mov_b32 v31, s3
	v_dual_mov_b32 v76, s3 :: v_dual_mov_b32 v251, s3
	;; [unrolled: 1-line block ×3, first 2 shown]
	v_mov_b32_e32 v32, s3
	v_mov_b32_e32 v72, s3
	;; [unrolled: 1-line block ×3, first 2 shown]
	s_and_not1_b32 vcc_lo, exec_lo, s2
	s_lshl_b32 s12, s14, 7
	s_clause 0x16
	scratch_store_b32 off, v30, off offset:1116
	scratch_store_b32 off, v30, off offset:1100
	scratch_store_b32 off, v30, off offset:1084
	scratch_store_b32 off, v30, off offset:1080
	scratch_store_b32 off, v30, off offset:1060
	scratch_store_b32 off, v30, off offset:1044
	scratch_store_b32 off, v30, off offset:1120
	scratch_store_b32 off, v30, off offset:1104
	scratch_store_b32 off, v30, off offset:1096
	scratch_store_b32 off, v30, off offset:1076
	scratch_store_b32 off, v30, off offset:1056
	scratch_store_b32 off, v30, off offset:1048
	scratch_store_b32 off, v30, off offset:1128
	scratch_store_b32 off, v30, off offset:1108
	scratch_store_b32 off, v30, off offset:1092
	scratch_store_b32 off, v30, off offset:1072
	scratch_store_b32 off, v30, off offset:1052
	scratch_store_b32 off, v30, off offset:1132
	scratch_store_b32 off, v30, off offset:1124
	scratch_store_b32 off, v30, off offset:1112
	scratch_store_b32 off, v30, off offset:1088
	scratch_store_b32 off, v30, off offset:1068
	scratch_store_b32 off, v30, off offset:1064
	s_cbranch_vccnz .LBB132_11
; %bb.4:
	scratch_load_b32 v37, off, off offset:1280 ; 4-byte Folded Reload
	s_load_b128 s[0:3], s[0:1], 0x0
	s_ashr_i32 s13, s4, 31
	s_ashr_i32 s14, s7, 31
	s_lshr_b32 s13, s13, 24
	v_dual_mov_b32 v251, 0 :: v_dual_add_nc_u32 v20, 8, v36
	s_add_i32 s4, s4, s13
	s_lshr_b32 s13, s14, 27
	s_ashr_i32 s4, s4, 8
	s_add_i32 s7, s7, s13
	s_mul_i32 s13, s4, s12
	s_ashr_i32 s14, s7, 5
	s_mul_i32 s7, s13, 0x90
	s_mul_hi_i32 s13, s13, 0x90
	v_dual_mov_b32 v70, 0 :: v_dual_add_nc_u32 v9, 0x60, v36
	v_add_nc_u32_e32 v21, 16, v36
	v_add_nc_u32_e32 v22, 24, v36
	v_add_nc_u32_e32 v23, 32, v36
	v_add_nc_u32_e32 v28, s11, v36
	s_waitcnt lgkmcnt(0)
	s_add_u32 s7, s0, s7
	s_addc_u32 s13, s1, s13
	s_not_b32 s0, s12
	v_add_nc_u32_e32 v24, 40, v36
	s_add_i32 s0, s0, s5
	v_add_nc_u32_e32 v25, 48, v36
	v_min_i32_e32 v1, s0, v36
	v_min_i32_e32 v19, s0, v9
	;; [unrolled: 1-line block ×3, first 2 shown]
	v_add_nc_u32_e32 v26, 56, v36
	s_add_i32 s1, s6, -1
	v_mul_lo_u32 v4, v1, s4
	v_mul_lo_u32 v29, v19, s4
	v_add_nc_u32_e32 v10, 24, v28
	v_dual_mov_b32 v72, 0 :: v_dual_lshlrev_b32 v27, 5, v36
	v_add_nc_u32_e32 v7, 16, v28
	v_add_nc_u32_e32 v17, 0x68, v36
	s_delay_alu instid0(VALU_DEP_4)
	v_cvt_f64_u32_e32 v[9:10], v10
	v_add_nc_u32_e32 v11, 32, v28
	v_add_nc_u32_e32 v13, 40, v28
	v_add_nc_u32_e32 v16, 48, v28
	v_cvt_f64_u32_e32 v[7:8], v7
	v_add_nc_u32_e32 v30, 0x70, v36
	v_cvt_f64_u32_e32 v[11:12], v11
	v_cvt_f64_u32_e32 v[13:14], v13
	s_mov_b32 s5, 0
	s_clause 0x1
	scratch_store_b32 off, v4, off offset:1396
	scratch_store_b32 off, v28, off offset:1640
	v_mov_b32_e32 v214, 0
	v_mov_b32_e32 v76, 0
	s_waitcnt vmcnt(0)
	v_lshlrev_b32_e32 v0, 2, v37
	v_add_nc_u32_e32 v15, v27, v37
	v_lshrrev_b32_e32 v38, 5, v37
	s_delay_alu instid0(VALU_DEP_3) | instskip(SKIP_1) | instid1(VALU_DEP_4)
	v_and_b32_e32 v2, 0x7c, v0
	v_mad_u64_u32 v[4:5], null, 0x84, v1, v[0:1]
	v_and_b32_e32 v18, 0x7f, v15
	v_cvt_f64_u32_e32 v[15:16], v16
	scratch_store_b32 off, v2, off offset:1392 ; 4-byte Folded Spill
	v_min_i32_e32 v2, s0, v20
	scratch_store_b32 off, v38, off offset:1388 ; 4-byte Folded Spill
	v_min_i32_e32 v31, s0, v18
	v_mul_lo_u32 v1, v2, s4
	scratch_store_b64 off, v[4:5], off offset:1400 ; 8-byte Folded Spill
	v_mad_u64_u32 v[4:5], null, 0x84, v2, v[0:1]
	scratch_store_b32 off, v1, off offset:1408 ; 4-byte Folded Spill
	v_mul_lo_u32 v1, v3, s4
	v_min_i32_e32 v2, s0, v23
	s_clause 0x1
	scratch_store_b64 off, v[4:5], off offset:1412
	scratch_store_b32 off, v1, off offset:1420
	v_min_i32_e32 v1, s0, v22
	s_delay_alu instid0(VALU_DEP_1)
	v_mad_u64_u32 v[4:5], null, 0x84, v3, v[0:1]
	v_mul_lo_u32 v3, v1, s4
	s_clause 0x1
	scratch_store_b64 off, v[4:5], off offset:1424
	scratch_store_b32 off, v3, off offset:1432
	v_mad_u64_u32 v[3:4], null, 0x84, v1, v[0:1]
	v_min_i32_e32 v1, s0, v24
	scratch_store_b64 off, v[3:4], off offset:1436 ; 8-byte Folded Spill
	v_mul_lo_u32 v3, v2, s4
	scratch_store_b32 off, v3, off offset:1444 ; 4-byte Folded Spill
	v_mad_u64_u32 v[3:4], null, 0x84, v2, v[0:1]
	v_mul_lo_u32 v2, v1, s4
	scratch_store_b64 off, v[3:4], off offset:1448 ; 8-byte Folded Spill
	v_mad_u64_u32 v[3:4], null, 0x84, v1, v[0:1]
	scratch_store_b32 off, v2, off offset:1456 ; 4-byte Folded Spill
	v_min_i32_e32 v2, s0, v25
	v_add_nc_u32_e32 v1, 64, v36
	scratch_store_b64 off, v[3:4], off offset:1460 ; 8-byte Folded Spill
	v_mul_lo_u32 v4, v2, s4
	v_min_i32_e32 v3, s0, v26
	scratch_store_b32 off, v4, off offset:1468 ; 4-byte Folded Spill
	v_mad_u64_u32 v[4:5], null, 0x84, v2, v[0:1]
	v_min_i32_e32 v1, s0, v1
	v_mul_lo_u32 v2, v3, s4
	scratch_store_b64 off, v[4:5], off offset:1472 ; 8-byte Folded Spill
	v_mad_u64_u32 v[4:5], null, 0x84, v3, v[0:1]
	scratch_store_b32 off, v2, off offset:1480 ; 4-byte Folded Spill
	v_add_nc_u32_e32 v2, 0x48, v36
	v_mul_lo_u32 v3, v1, s4
	scratch_store_b64 off, v[4:5], off offset:1484 ; 8-byte Folded Spill
	v_mad_u64_u32 v[4:5], null, 0x84, v1, v[0:1]
	v_min_i32_e32 v2, s0, v2
	scratch_store_b32 off, v3, off offset:1492 ; 4-byte Folded Spill
	v_add_nc_u32_e32 v3, 0x50, v36
	v_add_nc_u32_e32 v1, 0x58, v36
	scratch_store_b64 off, v[4:5], off offset:1496 ; 8-byte Folded Spill
	v_mul_lo_u32 v4, v2, s4
	v_min_i32_e32 v3, s0, v3
	scratch_store_b32 off, v4, off offset:1504 ; 4-byte Folded Spill
	v_mad_u64_u32 v[4:5], null, 0x84, v2, v[0:1]
	v_mul_lo_u32 v2, v3, s4
	v_min_i32_e32 v1, s0, v1
	scratch_store_b64 off, v[4:5], off offset:1508 ; 8-byte Folded Spill
	v_mad_u64_u32 v[4:5], null, 0x84, v3, v[0:1]
	scratch_store_b32 off, v2, off offset:1516 ; 4-byte Folded Spill
	v_mul_lo_u32 v2, v1, s4
	scratch_store_b64 off, v[4:5], off offset:1520 ; 8-byte Folded Spill
	v_add_nc_u32_e32 v5, 8, v28
	scratch_store_b32 off, v2, off offset:1528 ; 4-byte Folded Spill
	v_mad_u64_u32 v[2:3], null, 0x84, v1, v[0:1]
	v_cvt_f64_u32_e32 v[5:6], v5
	scratch_store_b64 off, v[2:3], off offset:1532 ; 8-byte Folded Spill
	v_cvt_f64_i32_e32 v[1:2], s1
	v_cvt_f64_u32_e32 v[3:4], v28
	v_add_nc_u32_e32 v28, 56, v28
	s_delay_alu instid0(VALU_DEP_3)
	v_mad_u64_u32 v[32:33], null, 0x84, v19, v[0:1]
	scratch_store_b32 off, v29, off offset:1540 ; 4-byte Folded Spill
	v_min_i32_e32 v29, s0, v17
	v_cvt_f64_u32_e32 v[17:18], v28
	v_min_f64 v[3:4], v[3:4], v[1:2]
	v_ashrrev_i32_e32 v28, 31, v31
	v_min_f64 v[9:10], v[9:10], v[1:2]
	v_mul_lo_u32 v19, v29, s4
	scratch_store_b64 off, v[32:33], off offset:1544 ; 8-byte Folded Spill
	v_mad_u64_u32 v[32:33], null, 0x84, v29, v[0:1]
	v_min_f64 v[5:6], v[5:6], v[1:2]
	v_lshrrev_b32_e32 v28, 27, v28
	v_min_f64 v[7:8], v[7:8], v[1:2]
	v_min_f64 v[11:12], v[11:12], v[1:2]
	scratch_store_b32 off, v19, off offset:1552 ; 4-byte Folded Spill
	v_min_i32_e32 v19, s0, v30
	v_add_nc_u32_e32 v30, 0x78, v36
	v_min_f64 v[13:14], v[13:14], v[1:2]
	v_min_f64 v[15:16], v[15:16], v[1:2]
	s_delay_alu instid0(VALU_DEP_4)
	v_mul_lo_u32 v29, v19, s4
	scratch_store_b64 off, v[32:33], off offset:1556 ; 8-byte Folded Spill
	v_mad_u64_u32 v[32:33], null, 0x84, v19, v[0:1]
	v_add_nc_u32_e32 v19, v31, v28
	scratch_store_b32 off, v29, off offset:1564 ; 4-byte Folded Spill
	v_min_i32_e32 v29, s0, v30
	v_lshrrev_b32_e32 v30, 2, v37
	v_ashrrev_i32_e32 v19, 5, v19
	s_delay_alu instid0(VALU_DEP_3)
	v_mul_lo_u32 v28, v29, s4
	scratch_store_b64 off, v[32:33], off offset:1568 ; 8-byte Folded Spill
	v_mad_u64_u32 v[32:33], null, 0x84, v29, v[0:1]
	v_min_f64 v[1:2], v[17:18], v[1:2]
	v_mul_lo_u32 v17, v31, s4
	scratch_store_b32 off, v28, off offset:1576 ; 4-byte Folded Spill
	v_lshl_add_u32 v28, v36, 3, v30
	v_lshlrev_b32_e32 v30, 2, v19
	v_and_b32_e32 v19, 3, v37
	scratch_store_b64 off, v[32:33], off offset:1580 ; 8-byte Folded Spill
	v_lshlrev_b32_e32 v33, 2, v31
	v_and_b32_e32 v29, 0x7f, v28
	v_cvt_i32_f64_e32 v3, v[3:4]
	v_add_nc_u32_e32 v34, 0xfe, v19
	v_cmp_gt_u32_e32 vcc_lo, 2, v19
	v_cvt_i32_f64_e32 v9, v[9:10]
	v_min_i32_e32 v32, s0, v29
	v_xor_b32_e32 v29, 64, v29
	v_cvt_i32_f64_e32 v5, v[5:6]
	v_cndmask_b32_e32 v34, v34, v19, vcc_lo
	v_cmp_ne_u32_e32 vcc_lo, 0, v19
	v_ashrrev_i32_e32 v35, 31, v32
	v_min_i32_e32 v18, s0, v29
	v_add3_u32 v29, v30, v33, 0x6e40
	scratch_store_b32 off, v17, off offset:1588 ; 4-byte Folded Spill
	v_mul_lo_u32 v10, v32, s4
	v_lshrrev_b32_e32 v17, 29, v35
	v_ashrrev_i32_e32 v31, 31, v18
	scratch_store_b32 off, v29, off offset:1592 ; 4-byte Folded Spill
	v_and_b32_e32 v29, 0xff, v34
	v_dual_mov_b32 v35, 0 :: v_dual_and_b32 v30, 4, v0
	v_add_nc_u32_e32 v17, v32, v17
	v_lshrrev_b32_e32 v31, 29, v31
	s_delay_alu instid0(VALU_DEP_4) | instskip(SKIP_1) | instid1(VALU_DEP_4)
	v_add_co_ci_u32_e32 v33, vcc_lo, 0, v29, vcc_lo
	v_cmp_lt_u32_e32 vcc_lo, 1, v19
	v_ashrrev_i32_e32 v17, 3, v17
	v_cvt_i32_f64_e32 v7, v[7:8]
	scratch_store_b32 off, v10, off offset:1604 ; 4-byte Folded Spill
	v_cvt_i32_f64_e32 v10, v[11:12]
	v_cndmask_b32_e32 v30, 0, v30, vcc_lo
	v_lshlrev_b32_e32 v6, 2, v17
	v_lshlrev_b32_e32 v17, 1, v29
	v_cvt_i32_f64_e32 v12, v[13:14]
	v_mul_lo_u32 v14, v18, s4
	scratch_store_b32 off, v30, off offset:1596 ; 4-byte Folded Spill
	v_add_nc_u32_e32 v30, v18, v31
	scratch_store_b32 off, v17, off offset:1600 ; 4-byte Folded Spill
	v_cvt_i32_f64_e32 v1, v[1:2]
	v_lshlrev_b32_e32 v8, 2, v19
	v_and_b32_e32 v2, 31, v37
	v_ashrrev_i32_e32 v17, 3, v30
	scratch_store_b32 off, v14, off offset:1608 ; 4-byte Folded Spill
	v_cvt_i32_f64_e32 v14, v[15:16]
	v_and_b32_e32 v15, 63, v28
	v_add3_u32 v6, v6, v8, 0x6200
	v_lshlrev_b32_e32 v11, 2, v17
	v_and_b32_e32 v17, 28, v0
	v_mul_lo_u32 v3, s14, v3
	v_lshlrev_b32_e32 v16, 4, v18
	v_or_b32_e32 v18, s11, v15
	v_add3_u32 v11, v11, v8, 0x6200
	v_lshl_or_b32 v8, v15, 4, v8
	v_add_co_u32 v28, s0, s2, v17
	v_lshlrev_b32_e32 v15, 2, v2
	v_or_b32_e32 v2, v27, v2
	v_add_co_ci_u32_e64 v29, null, s3, 0, s0
	v_dual_mov_b32 v31, 0 :: v_dual_add_nc_u32 v8, 0x6a40, v8
	s_delay_alu instid0(VALU_DEP_3)
	v_lshl_add_u32 v2, v2, 2, 0x4200
	s_clause 0x2
	scratch_store_b64 off, v[28:29], off offset:1284
	scratch_store_b32 off, v3, off offset:1296
	scratch_store_b32 off, v8, off offset:1292
	v_mul_lo_u32 v3, s14, v5
	v_lshl_or_b32 v8, v20, 7, v15
	scratch_store_b32 off, v2, off offset:1300 ; 4-byte Folded Spill
	v_lshl_or_b32 v2, v21, 7, v15
	v_mul_lo_u32 v5, s14, v9
	v_min_i32_e32 v17, s1, v18
	v_lshl_or_b32 v9, v26, 7, v15
	v_mov_b32_e32 v30, 0
	v_add_nc_u32_e32 v2, 0x4200, v2
	scratch_store_b32 off, v3, off offset:1304 ; 4-byte Folded Spill
	v_add_nc_u32_e32 v3, 0x4200, v8
	v_mul_lo_u32 v1, s14, v1
	v_mad_u64_u32 v[27:28], null, v17, s14, v[19:20]
	s_clause 0x1
	scratch_store_b32 off, v2, off offset:1316
	scratch_store_b32 off, v3, off offset:1308
	v_mul_lo_u32 v3, s14, v7
	v_lshl_or_b32 v2, v23, 7, v15
	v_add_nc_u32_e32 v9, 0x4200, v9
	scratch_store_b32 off, v1, off offset:1352 ; 4-byte Folded Spill
	v_add_nc_u32_e32 v7, 0x60, v37
	v_cndmask_b32_e64 v4, 0, 1, vcc_lo
	v_add_nc_u32_e32 v2, 0x4200, v2
	s_clause 0x1
	scratch_store_b32 off, v9, off offset:1356
	scratch_store_b32 off, v3, off offset:1312
	v_lshl_or_b32 v3, v22, 7, v15
	v_lshrrev_b32_e32 v8, 3, v7
	scratch_store_b32 off, v2, off offset:1332 ; 4-byte Folded Spill
	v_mul_lo_u32 v2, s14, v12
	scratch_store_b64 off, v[27:28], off offset:1612 ; 8-byte Folded Spill
	v_add_nc_u32_e32 v3, 0x4200, v3
	scratch_store_b32 off, v5, off offset:1320 ; 4-byte Folded Spill
	v_lshl_or_b32 v5, v24, 7, v15
	v_and_b32_e32 v8, 60, v8
	v_lshlrev_b32_e32 v13, 4, v32
	scratch_store_b32 off, v3, off offset:1324 ; 4-byte Folded Spill
	v_mul_lo_u32 v3, s14, v10
	v_lshlrev_b32_e32 v10, 2, v38
	v_lshlrev_b32_e32 v34, 4, v37
	v_mov_b32_e32 v32, 0
	s_delay_alu instid0(VALU_DEP_3)
	v_add3_u32 v9, v10, v0, 0x6e40
	scratch_store_b32 off, v2, off offset:1336 ; 4-byte Folded Spill
	v_add_nc_u32_e32 v2, 0x4200, v5
	scratch_store_b32 off, v3, off offset:1328 ; 4-byte Folded Spill
	v_mul_lo_u32 v3, s14, v14
	v_add_nc_u32_e32 v5, 64, v37
	scratch_store_b32 off, v2, off offset:1340 ; 4-byte Folded Spill
	v_lshl_or_b32 v2, v25, 7, v15
	s_delay_alu instid0(VALU_DEP_1) | instskip(SKIP_2) | instid1(VALU_DEP_1)
	v_add_nc_u32_e32 v2, 0x4200, v2
	scratch_store_b32 off, v3, off offset:1344 ; 4-byte Folded Spill
	v_add_nc_u32_e32 v3, 32, v37
	v_lshrrev_b32_e32 v1, 3, v3
	s_delay_alu instid0(VALU_DEP_1) | instskip(NEXT) | instid1(VALU_DEP_1)
	v_and_b32_e32 v1, 60, v1
	v_add3_u32 v1, v0, v1, 0x6e40
	scratch_store_b32 off, v2, off offset:1348 ; 4-byte Folded Spill
	v_lshrrev_b32_e32 v2, 3, v5
	scratch_store_b32 off, v1, off offset:1364 ; 4-byte Folded Spill
	v_and_b32_e32 v2, 60, v2
	s_delay_alu instid0(VALU_DEP_1)
	v_add3_u32 v1, v0, v2, 0x6e40
	v_add3_u32 v0, v0, v8, 0x6e40
	scratch_store_b32 off, v9, off offset:1360 ; 4-byte Folded Spill
	v_lshrrev_b32_e32 v2, 1, v3
	v_lshrrev_b32_e32 v3, 1, v37
	s_clause 0x1
	scratch_store_b32 off, v1, off offset:1368
	scratch_store_b32 off, v0, off offset:1372
	v_mul_u32_u24_e32 v0, 0x84, v37
	v_lshrrev_b32_e32 v1, 1, v5
	scratch_store_b32 off, v0, off offset:1376 ; 4-byte Folded Spill
	v_lshl_add_u32 v0, v36, 4, 0x6a40
	s_clause 0x1
	scratch_store_b32 off, v0, off offset:1380
	scratch_store_b32 off, v36, off offset:1636
	v_lshl_add_u32 v0, v36, 7, 0x4200
	v_and_b32_e32 v73, 0xfc, v1
	v_and_b32_e32 v36, 0x7c, v3
	scratch_store_b32 off, v0, off offset:1384 ; 4-byte Folded Spill
	v_lshrrev_b32_e32 v0, 1, v7
	s_delay_alu instid0(VALU_DEP_1)
	v_and_b32_e32 v0, 0xfc, v0
	scratch_store_b32 off, v0, off offset:1268 ; 4-byte Folded Spill
	v_and_b32_e32 v0, 0xfc, v2
	scratch_store_b32 off, v0, off offset:1272 ; 4-byte Folded Spill
	v_lshlrev_b32_e32 v0, 2, v33
	scratch_store_b32 off, v0, off offset:1620 ; 4-byte Folded Spill
	v_lshlrev_b32_e32 v0, 2, v4
	scratch_store_b32 off, v0, off offset:1624 ; 4-byte Folded Spill
	v_add_nc_u32_e32 v0, v6, v13
	scratch_store_b32 off, v0, off offset:1628 ; 4-byte Folded Spill
	v_add_nc_u32_e32 v0, v11, v16
	scratch_store_b32 off, v0, off offset:1632 ; 4-byte Folded Spill
	v_mov_b32_e32 v0, 0
	scratch_store_b32 off, v0, off offset:1064 ; 4-byte Folded Spill
	v_mov_b32_e32 v0, 0
	;; [unrolled: 2-line block ×23, first 2 shown]
	s_clause 0x3
	scratch_store_b32 off, v0, off offset:1116
	scratch_store_b32 off, v34, off offset:1256
	;; [unrolled: 1-line block ×4, first 2 shown]
.LBB132_5:                              ; =>This Loop Header: Depth=1
                                        ;     Child Loop BB132_6 Depth 2
                                        ;       Child Loop BB132_7 Depth 3
	s_clause 0x5
	scratch_load_b32 v2, off, off offset:1388
	scratch_load_b32 v4, off, off offset:1396
	;; [unrolled: 1-line block ×6, first 2 shown]
	s_mul_i32 s0, s5, 0x90
	s_mul_hi_u32 s1, s5, 0x90
	s_add_u32 s0, s7, s0
	s_addc_u32 s1, s13, s1
	s_mov_b32 s14, -1
	s_mov_b32 s15, 0
	s_clause 0x3
	scratch_load_b32 v6, off, off offset:1408
	scratch_load_b32 v10, off, off offset:1432
	scratch_load_b32 v14, off, off offset:1456
	scratch_load_b32 v18, off, off offset:1480
	s_waitcnt vmcnt(9)
	v_mad_u64_u32 v[0:1], null, 0x90, v2, s[0:1]
	scratch_load_b32 v2, off, off offset:1392 ; 4-byte Folded Reload
	s_waitcnt vmcnt(0)
	v_add_co_u32 v0, vcc_lo, v0, v2
	v_add_co_ci_u32_e32 v1, vcc_lo, 0, v1, vcc_lo
	s_delay_alu instid0(VALU_DEP_2) | instskip(NEXT) | instid1(VALU_DEP_2)
	v_add_co_u32 v0, vcc_lo, v0, 16
	v_add_co_ci_u32_e32 v1, vcc_lo, 0, v1, vcc_lo
	s_delay_alu instid0(VALU_DEP_1)
	v_mad_i64_i32 v[2:3], null, 0x90, v4, v[0:1]
	v_mad_i64_i32 v[4:5], null, 0x90, v6, v[0:1]
	;; [unrolled: 1-line block ×9, first 2 shown]
	s_clause 0x7
	global_load_b32 v20, v[2:3], off
	global_load_b32 v21, v[4:5], off
	;; [unrolled: 1-line block ×8, first 2 shown]
	s_clause 0x5
	scratch_load_b32 v4, off, off offset:1492
	scratch_load_b32 v6, off, off offset:1504
	;; [unrolled: 1-line block ×6, first 2 shown]
	v_add_co_u32 v12, vcc_lo, v18, 4
	v_add_co_ci_u32_e32 v13, vcc_lo, 0, v19, vcc_lo
	s_waitcnt vmcnt(5)
	v_mad_i64_i32 v[2:3], null, 0x90, v4, v[0:1]
	s_waitcnt vmcnt(4)
	v_mad_i64_i32 v[4:5], null, 0x90, v6, v[0:1]
	;; [unrolled: 2-line block ×4, first 2 shown]
	v_add_co_u32 v10, vcc_lo, v12, v16
	v_add_co_ci_u32_e32 v11, vcc_lo, 0, v13, vcc_lo
	s_delay_alu instid0(VALU_DEP_4) | instskip(SKIP_3) | instid1(VALU_DEP_4)
	v_add_co_u32 v14, vcc_lo, v6, 4
	v_add_co_ci_u32_e32 v15, vcc_lo, 0, v7, vcc_lo
	v_add_co_u32 v6, vcc_lo, v12, v17
	v_add_co_ci_u32_e32 v7, vcc_lo, 0, v13, vcc_lo
	v_add_co_u32 v12, vcc_lo, v14, v16
	s_delay_alu instid0(VALU_DEP_4)
	v_add_co_ci_u32_e32 v13, vcc_lo, 0, v15, vcc_lo
	v_add_co_u32 v14, vcc_lo, v14, v17
	v_add_co_ci_u32_e32 v15, vcc_lo, 0, v15, vcc_lo
	s_clause 0x2
	global_load_b32 v18, v[10:11], off
	global_load_b32 v19, v[6:7], off
	global_load_b32 v28, v[12:13], off
	scratch_load_b32 v10, off, off offset:1528 ; 4-byte Folded Reload
	global_load_b32 v29, v[14:15], off
	s_clause 0x3
	scratch_load_b32 v12, off, off offset:1540
	scratch_load_b32 v14, off, off offset:1552
	;; [unrolled: 1-line block ×4, first 2 shown]
	s_waitcnt vmcnt(5)
	v_mad_i64_i32 v[6:7], null, 0x90, v10, v[0:1]
	s_waitcnt vmcnt(3)
	v_mad_i64_i32 v[10:11], null, 0x90, v12, v[0:1]
	;; [unrolled: 2-line block ×5, first 2 shown]
	scratch_load_b32 v33, off, off offset:1588 ; 4-byte Folded Reload
	s_waitcnt vmcnt(0)
	v_mad_i64_i32 v[0:1], null, 0x90, v33, s[0:1]
	s_clause 0x8
	global_load_b32 v2, v[2:3], off
	global_load_b32 v3, v[4:5], off
	;; [unrolled: 1-line block ×9, first 2 shown]
	s_clause 0x3
	scratch_load_b32 v10, off, off offset:1596
	scratch_load_b64 v[11:12], off, off offset:1612
	scratch_load_b64 v[13:14], off, off offset:1400
	scratch_load_b32 v12, off, off offset:1600
	s_lshl_b32 s0, s5, 3
	s_waitcnt vmcnt(3)
	v_ashrrev_i32_e32 v1, v10, v18
	s_waitcnt vmcnt(2)
	v_add_nc_u32_e32 v11, s0, v11
	s_waitcnt vmcnt(1)
	ds_store_b32 v13, v20
	scratch_load_b64 v[13:14], off, off offset:1412 ; 8-byte Folded Reload
	v_ashrrev_i32_e32 v10, v10, v28
	v_and_b32_e32 v1, 0xf0f0f0f, v1
	scratch_store_b32 off, v11, off offset:1276 ; 4-byte Folded Spill
	s_waitcnt vmcnt(1)
	v_ashrrev_i32_e32 v11, v12, v19
	v_ashrrev_i32_e32 v12, v12, v29
	v_and_b32_e32 v10, 0xf0f0f0f, v10
	s_delay_alu instid0(VALU_DEP_3)
	v_and_or_b32 v1, 0x30303030, v11, v1
	s_waitcnt vmcnt(0)
	ds_store_b32 v13, v21
	scratch_load_b64 v[13:14], off, off offset:1424 ; 8-byte Folded Reload
	s_waitcnt vmcnt(0)
	ds_store_b32 v13, v22
	scratch_load_b64 v[13:14], off, off offset:1436 ; 8-byte Folded Reload
	;; [unrolled: 3-line block ×11, first 2 shown]
	s_waitcnt vmcnt(0)
	ds_store_b32 v2, v6
	s_clause 0x1
	scratch_load_b64 v[2:3], off, off offset:1556
	scratch_load_b64 v[3:4], off, off offset:1568
	s_waitcnt vmcnt(1)
	ds_store_b32 v2, v7
	s_waitcnt vmcnt(0)
	ds_store_b32 v3, v8
	scratch_load_b64 v[3:4], off, off offset:1580 ; 8-byte Folded Reload
	v_and_or_b32 v2, 0x30303030, v12, v10
	s_waitcnt vmcnt(0)
	ds_store_b32 v3, v9
	scratch_load_b32 v3, off, off offset:1592 ; 4-byte Folded Reload
	s_waitcnt vmcnt(0)
	ds_store_b32 v3, v0
	scratch_load_b32 v0, off, off offset:1628 ; 4-byte Folded Reload
	s_waitcnt vmcnt(0)
	ds_store_b32 v0, v1
	scratch_load_b32 v0, off, off offset:1632 ; 4-byte Folded Reload
	s_waitcnt vmcnt(0)
	ds_store_b32 v0, v2
.LBB132_6:                              ;   Parent Loop BB132_5 Depth=1
                                        ; =>  This Loop Header: Depth=2
                                        ;       Child Loop BB132_7 Depth 3
	s_clause 0x1
	scratch_load_b32 v0, off, off offset:1280
	scratch_load_b64 v[19:20], off, off offset:1284
	s_lshl_b32 s1, s15, 4
	s_xor_b32 s14, s14, -1
	s_mov_b32 s16, 0
	s_waitcnt vmcnt(1)
	v_lshl_add_u32 v0, s15, 5, v0
	s_delay_alu instid0(VALU_DEP_1) | instskip(NEXT) | instid1(VALU_DEP_1)
	v_lshrrev_b32_e32 v0, 3, v0
	v_add_nc_u32_e32 v12, s0, v0
	scratch_load_b32 v0, off, off offset:1296 ; 4-byte Folded Reload
	s_waitcnt vmcnt(0)
	v_add_nc_u32_e32 v2, v12, v0
	scratch_load_b32 v0, off, off offset:1304 ; 4-byte Folded Reload
	s_waitcnt vmcnt(0)
	;; [unrolled: 3-line block ×7, first 2 shown]
	v_add_nc_u32_e32 v14, v12, v0
	v_mad_i64_i32 v[0:1], null, v2, 36, v[19:20]
	v_mad_i64_i32 v[2:3], null, v4, 36, v[19:20]
	;; [unrolled: 1-line block ×6, first 2 shown]
	scratch_load_b32 v13, off, off offset:1352 ; 4-byte Folded Reload
	s_waitcnt vmcnt(0)
	v_add_nc_u32_e32 v16, v12, v13
	scratch_load_b32 v12, off, off offset:1276 ; 4-byte Folded Reload
	s_waitcnt vmcnt(0)
	v_lshl_add_u32 v18, s15, 2, v12
	v_mad_i64_i32 v[12:13], null, v14, 36, v[19:20]
	v_mad_i64_i32 v[14:15], null, v16, 36, v[19:20]
	s_delay_alu instid0(VALU_DEP_3)
	v_mad_u64_u32 v[16:17], null, v18, 36, s[2:3]
	s_clause 0x8
	global_load_b32 v0, v[0:1], off offset:4
	global_load_b32 v1, v[2:3], off offset:4
	;; [unrolled: 1-line block ×8, first 2 shown]
	global_load_b32 v8, v[16:17], off
	scratch_load_b32 v9, off, off offset:1300 ; 4-byte Folded Reload
	s_waitcnt vmcnt(0)
	ds_store_b32 v9, v0
	scratch_load_b32 v0, off, off offset:1308 ; 4-byte Folded Reload
	s_waitcnt vmcnt(0)
	ds_store_b32 v0, v1
	;; [unrolled: 3-line block ×9, first 2 shown]
	s_waitcnt lgkmcnt(0)
	s_waitcnt_vscnt null, 0x0
	s_barrier
	buffer_gl0_inv
	s_clause 0x6
	scratch_load_b32 v0, off, off offset:1360
	scratch_load_b32 v1, off, off offset:1364
	;; [unrolled: 1-line block ×7, first 2 shown]
	s_waitcnt vmcnt(6)
	ds_load_b32 v0, v0
	s_waitcnt vmcnt(5)
	ds_load_b32 v1, v1 offset:128
	s_waitcnt vmcnt(4)
	ds_load_b32 v2, v2 offset:256
	;; [unrolled: 2-line block ×3, first 2 shown]
	s_waitcnt vmcnt(2)
	v_lshl_add_u32 v18, s15, 6, v4
	s_add_i32 s15, s1, 16
	s_waitcnt lgkmcnt(3)
	v_cvt_f32_f16_e32 v4, v0
	v_lshrrev_b32_e32 v0, 16, v0
	s_delay_alu instid0(VALU_DEP_1)
	v_cvt_f32_f16_e32 v0, v0
	scratch_store_b32 off, v4, off offset:1028 ; 4-byte Folded Spill
	s_waitcnt lgkmcnt(2)
	v_cvt_f32_f16_e32 v4, v1
	v_lshrrev_b32_e32 v1, 16, v1
	s_clause 0x1
	scratch_store_b32 off, v0, off offset:1036
	scratch_store_b32 off, v4, off offset:1240
	s_waitcnt lgkmcnt(1)
	v_cvt_f32_f16_e32 v4, v2
	v_lshrrev_b32_e32 v2, 16, v2
	v_cvt_f32_f16_e32 v0, v1
	scratch_store_b32 off, v0, off offset:1248 ; 4-byte Folded Spill
	v_cvt_f32_f16_e32 v0, v2
	scratch_store_b32 off, v4, off offset:1032 ; 4-byte Folded Spill
	s_waitcnt lgkmcnt(0)
	v_lshrrev_b32_e32 v4, 16, v3
	v_cvt_f32_f16_e32 v3, v3
	scratch_store_b32 off, v0, off offset:1040 ; 4-byte Folded Spill
	v_cvt_f32_f16_e32 v0, v4
	s_clause 0x1
	scratch_store_b32 off, v3, off offset:1244
	scratch_store_b32 off, v0, off offset:1252
.LBB132_7:                              ;   Parent Loop BB132_5 Depth=1
                                        ;     Parent Loop BB132_6 Depth=2
                                        ; =>    This Inner Loop Header: Depth=3
	s_clause 0x2
	scratch_store_b32 off, v18, off
	scratch_store_b32 off, v251, off offset:1168
	scratch_store_b32 off, v214, off offset:1164
	s_waitcnt vmcnt(1)
	s_clause 0x5
	scratch_store_b32 off, v17, off offset:212
	scratch_store_b32 off, v76, off offset:1152
	;; [unrolled: 1-line block ×6, first 2 shown]
	s_waitcnt vmcnt(0)
	ds_load_b128 v[0:3], v216
	ds_load_b128 v[5:8], v216 offset:16
	ds_load_b128 v[9:12], v216 offset:32
	;; [unrolled: 1-line block ×3, first 2 shown]
	s_lshr_b32 s17, s1, 2
	s_add_i32 s1, s1, 8
	s_and_b32 s17, s17, 0x3ffffffc
	s_waitcnt lgkmcnt(3)
	v_bfe_i32 v211, v0, 0, 8
	s_waitcnt lgkmcnt(2)
	v_bfe_i32 v197, v5, 0, 8
	;; [unrolled: 2-line block ×3, first 2 shown]
	v_bfe_i32 v180, v9, 8, 8
	v_bfe_i32 v179, v9, 16, 8
	v_ashrrev_i32_e32 v178, 24, v9
	scratch_load_b32 v9, off, off           ; 4-byte Folded Reload
	v_bfe_i32 v196, v5, 8, 8
	v_bfe_i32 v195, v5, 16, 8
	v_ashrrev_i32_e32 v194, 24, v5
	v_bfe_i32 v193, v6, 0, 8
	v_bfe_i32 v192, v6, 8, 8
	;; [unrolled: 1-line block ×3, first 2 shown]
	v_ashrrev_i32_e32 v190, 24, v6
	ds_load_2addr_b32 v[5:6], v18 offset1:1
	v_bfe_i32 v189, v7, 0, 8
	v_bfe_i32 v188, v7, 8, 8
	;; [unrolled: 1-line block ×3, first 2 shown]
	v_ashrrev_i32_e32 v186, 24, v7
	v_bfe_i32 v210, v0, 16, 8
	s_waitcnt lgkmcnt(1)
	v_bfe_i32 v161, v14, 0, 8
	v_bfe_i32 v160, v14, 8, 8
	;; [unrolled: 1-line block ×3, first 2 shown]
	v_ashrrev_i32_e32 v158, 24, v14
	v_ashrrev_i32_e32 v209, 24, v0
	v_bfe_i32 v153, v16, 0, 8
	v_bfe_i32 v126, v16, 8, 8
	;; [unrolled: 1-line block ×3, first 2 shown]
	v_ashrrev_i32_e32 v71, 24, v16
	v_bfe_i32 v4, v0, 8, 8
	v_bfe_i32 v174, v1, 0, 8
	;; [unrolled: 1-line block ×4, first 2 shown]
	v_ashrrev_i32_e32 v206, 24, v1
	s_waitcnt lgkmcnt(0)
	v_and_b32_e32 v7, 15, v5
	v_add_nc_u32_e32 v213, s16, v34
	v_bfe_i32 v205, v2, 0, 8
	v_bfe_i32 v204, v2, 8, 8
	;; [unrolled: 1-line block ×3, first 2 shown]
	v_mov_b32_e32 v128, v7
	v_mul_i32_i24_e32 v14, v7, v211
	v_bfe_u32 v7, v5, 16, 4
	v_ashrrev_i32_e32 v202, 24, v2
	v_bfe_i32 v201, v3, 0, 8
	v_bfe_i32 v200, v3, 8, 8
	v_bfe_i32 v199, v3, 16, 8
	v_mul_i32_i24_e32 v16, v7, v210
	v_mov_b32_e32 v131, v7
	v_bfe_u32 v7, v5, 24, 4
	v_ashrrev_i32_e32 v198, 24, v3
	ds_load_2addr_b64 v[0:3], v17 offset1:16
	v_bfe_i32 v69, v10, 0, 8
	v_bfe_i32 v177, v10, 8, 8
	;; [unrolled: 1-line block ×3, first 2 shown]
	v_ashrrev_i32_e32 v175, 24, v10
	v_mul_i32_i24_e32 v17, v7, v209
	v_bfe_i32 v173, v11, 0, 8
	v_bfe_i32 v172, v11, 8, 8
	;; [unrolled: 1-line block ×3, first 2 shown]
	v_ashrrev_i32_e32 v170, 24, v11
	scratch_load_b32 v11, off, off          ; 4-byte Folded Reload
	v_bfe_i32 v185, v8, 0, 8
	v_bfe_i32 v184, v8, 8, 8
	;; [unrolled: 1-line block ×3, first 2 shown]
	v_ashrrev_i32_e32 v182, 24, v8
	v_bfe_u32 v148, v5, 8, 4
	v_bfe_i32 v157, v15, 0, 8
	v_bfe_i32 v156, v15, 8, 8
	;; [unrolled: 1-line block ×3, first 2 shown]
	v_ashrrev_i32_e32 v154, 24, v15
	v_mul_i32_i24_e32 v15, v148, v4
	v_bfe_u32 v144, v6, 8, 4
	v_bfe_i32 v169, v12, 0, 8
	v_bfe_i32 v168, v12, 8, 8
	;; [unrolled: 1-line block ×3, first 2 shown]
	v_ashrrev_i32_e32 v166, 24, v12
	v_mul_i32_i24_e32 v18, v144, v208
	v_bfe_i32 v165, v13, 0, 8
	v_bfe_i32 v164, v13, 8, 8
	;; [unrolled: 1-line block ×3, first 2 shown]
	v_ashrrev_i32_e32 v162, 24, v13
	v_add3_u32 v13, v36, s17, v213
	scratch_store_b32 off, v128, off offset:548 ; 4-byte Folded Spill
	v_ashrrev_i32_e32 v5, 4, v5
	s_add_i32 s16, s16, 2
	s_cmp_lt_u32 s1, s15
	s_waitcnt vmcnt(1)
	ds_load_2addr_b32 v[9:10], v9 offset0:4 offset1:5
	v_mov_b32_e32 v215, v7
	v_bfe_u32 v7, v6, 16, 4
	s_delay_alu instid0(VALU_DEP_1) | instskip(SKIP_2) | instid1(VALU_DEP_3)
	v_dual_mov_b32 v140, v7 :: v_dual_and_b32 v23, 15, v6
	v_mul_i32_i24_e32 v19, v7, v207
	v_bfe_u32 v7, v6, 24, 4
	v_mad_i32_i24 v14, v23, v174, v14
	scratch_store_b32 off, v23, off offset:552 ; 4-byte Folded Spill
	v_ashrrev_i32_e32 v6, 4, v6
	v_mul_i32_i24_e32 v20, v7, v206
	v_mov_b32_e32 v132, v7
	scratch_load_b32 v7, off, off           ; 4-byte Folded Reload
	v_and_b32_e32 v23, 15, v6
	s_waitcnt lgkmcnt(0)
	v_and_b32_e32 v137, 15, v9
	v_and_b32_e32 v134, 15, v10
	v_bfe_u32 v136, v9, 8, 4
	v_bfe_u32 v135, v9, 16, 4
	;; [unrolled: 1-line block ×3, first 2 shown]
	v_mul_i32_i24_e32 v30, v137, v197
	v_mul_i32_i24_e32 v34, v134, v193
	;; [unrolled: 1-line block ×5, first 2 shown]
	v_bfe_u32 v130, v10, 8, 4
	v_bfe_u32 v127, v10, 16, 4
	;; [unrolled: 1-line block ×3, first 2 shown]
	s_clause 0x3
	scratch_store_b32 off, v215, off offset:952
	scratch_store_b32 off, v133, off offset:584
	;; [unrolled: 1-line block ×4, first 2 shown]
	v_mul_i32_i24_e32 v35, v130, v192
	v_mul_i32_i24_e32 v36, v127, v191
	;; [unrolled: 1-line block ×3, first 2 shown]
	v_ashrrev_i32_e32 v9, 4, v9
	v_ashrrev_i32_e32 v10, 4, v10
	s_clause 0x2
	scratch_store_b32 off, v137, off offset:572
	scratch_store_b32 off, v135, off offset:576
	scratch_store_b32 off, v134, off offset:580
	s_waitcnt vmcnt(1)
	ds_load_2addr_b32 v[11:12], v11 offset0:6 offset1:7
	s_waitcnt lgkmcnt(0)
	v_and_b32_e32 v67, 15, v11
	v_and_b32_e32 v64, 15, v12
	v_bfe_u32 v66, v11, 8, 4
	v_bfe_u32 v57, v11, 16, 4
	;; [unrolled: 1-line block ×3, first 2 shown]
	v_mul_i32_i24_e32 v38, v67, v189
	v_bfe_u32 v53, v12, 8, 4
	v_bfe_u32 v62, v12, 16, 4
	;; [unrolled: 1-line block ×3, first 2 shown]
	v_mul_i32_i24_e32 v42, v64, v185
	s_clause 0x9
	scratch_store_b32 off, v136, off offset:288
	scratch_store_b32 off, v68, off offset:596
	;; [unrolled: 1-line block ×10, first 2 shown]
	v_mul_i32_i24_e32 v39, v66, v188
	v_mul_i32_i24_e32 v40, v57, v187
	v_mul_i32_i24_e32 v41, v129, v186
	v_mul_i32_i24_e32 v43, v53, v184
	v_mul_i32_i24_e32 v44, v62, v183
	v_mul_i32_i24_e32 v45, v45, v182
	v_ashrrev_i32_e32 v11, 4, v11
	v_ashrrev_i32_e32 v12, 4, v12
	s_waitcnt vmcnt(0)
	ds_load_2addr_b32 v[7:8], v7 offset0:2 offset1:3
	s_waitcnt lgkmcnt(0)
	v_and_b32_e32 v152, 15, v7
	v_and_b32_e32 v143, 15, v8
	v_bfe_u32 v150, v7, 8, 4
	v_bfe_u32 v151, v7, 16, 4
	;; [unrolled: 1-line block ×3, first 2 shown]
	v_mul_i32_i24_e32 v21, v152, v205
	v_mul_i32_i24_e32 v26, v143, v201
	;; [unrolled: 1-line block ×5, first 2 shown]
	v_add3_u32 v14, v14, v21, v15
	v_bfe_u32 v141, v8, 8, 4
	v_bfe_u32 v149, v8, 16, 4
	v_bfe_u32 v138, v8, 24, 4
	scratch_store_b32 off, v131, off offset:776 ; 4-byte Folded Spill
	v_add3_u32 v14, v14, v16, v17
	v_mul_i32_i24_e32 v27, v141, v200
	v_mul_i32_i24_e32 v28, v149, v199
	;; [unrolled: 1-line block ×3, first 2 shown]
	s_clause 0x5
	scratch_store_b32 off, v140, off offset:264
	scratch_store_b32 off, v132, off offset:268
	;; [unrolled: 1-line block ×6, first 2 shown]
	v_add3_u32 v14, v14, v26, v18
	s_clause 0x2
	scratch_store_b32 off, v150, off offset:560
	scratch_store_b32 off, v151, off offset:564
	scratch_store_b32 off, v141, off offset:568
	ds_load_u16 v15, v13 offset:25088
	ds_load_u16 v13, v13 offset:25096
	v_add3_u32 v14, v14, v19, v20
	v_ashrrev_i32_e32 v7, 4, v7
	v_ashrrev_i32_e32 v8, 4, v8
	v_bfe_u32 v26, v5, 16, 4
	s_delay_alu instid0(VALU_DEP_4) | instskip(NEXT) | instid1(VALU_DEP_3)
	v_add3_u32 v14, v14, v30, v22
	v_and_b32_e32 v30, 15, v8
	s_delay_alu instid0(VALU_DEP_3) | instskip(NEXT) | instid1(VALU_DEP_3)
	v_mul_i32_i24_e32 v19, v26, v179
	v_add3_u32 v14, v14, v24, v25
	v_bfe_u32 v25, v5, 24, 4
	v_and_b32_e32 v24, 15, v9
	s_delay_alu instid0(VALU_DEP_3)
	v_add3_u32 v14, v14, v34, v27
	v_bfe_u32 v27, v8, 16, 4
	scratch_store_b32 off, v24, off offset:688 ; 4-byte Folded Spill
	s_waitcnt lgkmcnt(1)
	v_lshrrev_b16 v16, 8, v15
	v_and_b32_e32 v15, 0xff, v15
	v_add3_u32 v14, v14, v28, v29
	s_waitcnt lgkmcnt(0)
	v_cvt_f32_ubyte0_e32 v17, v13
	v_bfe_u32 v28, v8, 8, 4
	v_bfe_u32 v8, v8, 24, 4
	scratch_store_b32 off, v27, off offset:680 ; 4-byte Folded Spill
	v_add3_u32 v14, v14, v38, v31
	v_dual_mov_b32 v38, v15 :: v_dual_and_b32 v31, 15, v5
	scratch_store_b32 off, v8, off offset:684 ; 4-byte Folded Spill
	v_mul_i32_i24_e32 v47, v24, v165
	v_add3_u32 v14, v14, v32, v33
	v_bfe_u32 v24, v9, 8, 4
	v_bfe_u32 v32, v7, 16, 4
	;; [unrolled: 1-line block ×3, first 2 shown]
	v_mul_i32_i24_e32 v46, v27, v167
	v_add3_u32 v14, v14, v42, v35
	v_mul_i32_i24_e32 v42, v30, v169
	scratch_store_b32 off, v24, off offset:692 ; 4-byte Folded Spill
	v_mul_i32_i24_e32 v48, v24, v164
	v_bfe_u32 v24, v9, 16, 4
	v_add3_u32 v14, v14, v36, v37
	v_and_b32_e32 v37, 15, v7
	v_bfe_u32 v36, v6, 24, 4
	v_bfe_u32 v35, v7, 8, 4
	v_mul_i32_i24_e32 v50, v24, v163
	v_add3_u32 v14, v14, v39, v40
	v_mul_i32_i24_e32 v22, v37, v173
	v_bfe_u32 v40, v6, 8, 4
	v_bfe_u32 v39, v6, 16, 4
	v_mul_i32_i24_e32 v6, v36, v175
	v_add3_u32 v14, v14, v41, v43
	v_mov_b32_e32 v41, v17
	v_bfe_u32 v43, v5, 8, 4
	v_mul_i32_i24_e32 v5, v25, v178
	v_mul_i32_i24_e32 v20, v40, v177
	v_add3_u32 v14, v14, v44, v45
	v_mul_i32_i24_e32 v21, v39, v176
	v_mul_i32_i24_e32 v18, v43, v180
	v_bfe_u32 v9, v9, 24, 4
	scratch_store_b32 off, v24, off offset:696 ; 4-byte Folded Spill
	v_mul_lo_u32 v14, v14, v15
	v_fma_mix_f32 v15, v0, v17, 0 op_sel:[1,0,0] op_sel_hi:[1,0,0]
	v_mul_i32_i24_e32 v17, v31, v181
	v_and_b32_e32 v24, 15, v10
	v_mul_i32_i24_e32 v33, v35, v172
	scratch_store_b32 off, v9, off offset:700 ; 4-byte Folded Spill
	v_mul_i32_i24_e32 v34, v32, v171
	v_mad_i32_i24 v17, v23, v69, v17
	scratch_store_b32 off, v24, off offset:704 ; 4-byte Folded Spill
	v_mul_i32_i24_e32 v51, v24, v161
	v_bfe_u32 v24, v10, 8, 4
	v_mul_i32_i24_e32 v7, v29, v170
	v_add3_u32 v17, v17, v22, v18
	v_mul_i32_i24_e32 v45, v28, v168
	v_mul_i32_i24_e32 v8, v8, v166
	scratch_store_b32 off, v24, off offset:708 ; 4-byte Folded Spill
	v_mul_i32_i24_e32 v52, v24, v160
	v_add3_u32 v5, v17, v19, v5
	v_bfe_u32 v24, v10, 16, 4
	v_bfe_u32 v10, v10, 24, 4
	v_mul_i32_i24_e32 v9, v9, v162
	scratch_load_b32 v44, off, off offset:1036 ; 4-byte Folded Reload
	v_add3_u32 v5, v5, v42, v20
	scratch_store_b32 off, v24, off offset:712 ; 4-byte Folded Spill
	v_mul_i32_i24_e32 v54, v24, v159
	v_and_b32_e32 v24, 15, v11
	scratch_store_b32 off, v10, off offset:716 ; 4-byte Folded Spill
	v_add3_u32 v5, v5, v21, v6
	v_mul_i32_i24_e32 v10, v10, v158
	v_cvt_f32_i32_e32 v14, v14
	scratch_store_b32 off, v24, off offset:720 ; 4-byte Folded Spill
	v_mul_i32_i24_e32 v55, v24, v157
	v_add3_u32 v5, v5, v47, v33
	v_bfe_u32 v24, v11, 8, 4
	v_fma_mix_f32 v14, v0, v14, 0 op_sel_hi:[1,0,0]
	s_clause 0x1
	scratch_store_b32 off, v38, off offset:628
	scratch_store_b32 off, v41, off offset:632
	v_add3_u32 v5, v5, v34, v7
	scratch_store_b32 off, v24, off offset:724 ; 4-byte Folded Spill
	v_mul_i32_i24_e32 v56, v24, v156
	v_bfe_u32 v24, v11, 16, 4
	v_bfe_u32 v11, v11, 24, 4
	v_add3_u32 v5, v5, v51, v45
	s_clause 0x4
	scratch_store_b32 off, v43, off offset:648
	scratch_store_b32 off, v36, off offset:652
	;; [unrolled: 1-line block ×5, first 2 shown]
	v_add3_u32 v5, v5, v46, v8
	scratch_store_b32 off, v24, off offset:728 ; 4-byte Folded Spill
	v_mul_i32_i24_e32 v58, v24, v155
	v_and_b32_e32 v24, 15, v12
	scratch_store_b32 off, v11, off offset:732 ; 4-byte Folded Spill
	v_add3_u32 v5, v5, v55, v48
	v_mul_i32_i24_e32 v11, v11, v154
	v_cvt_f32_ubyte1_e32 v8, v13
	scratch_store_b32 off, v24, off offset:736 ; 4-byte Folded Spill
	v_mul_i32_i24_e32 v59, v24, v153
	v_add3_u32 v5, v5, v50, v9
	v_bfe_u32 v24, v12, 8, 4
	v_and_b32_e32 v9, 0xffff, v16
	v_fma_mix_f32 v6, v1, v8, v15 op_sel:[1,0,0] op_sel_hi:[1,0,0]
	scratch_store_b32 off, v39, off offset:304 ; 4-byte Folded Spill
	v_add3_u32 v5, v5, v59, v52
	scratch_load_b32 v52, off, off offset:1028 ; 4-byte Folded Reload
	scratch_store_b32 off, v24, off offset:740 ; 4-byte Folded Spill
	v_mul_i32_i24_e32 v61, v24, v126
	v_bfe_u32 v24, v12, 16, 4
	v_add3_u32 v5, v5, v54, v10
	s_clause 0x3
	scratch_store_b32 off, v23, off offset:312
	scratch_store_b32 off, v9, off offset:752
	;; [unrolled: 1-line block ×4, first 2 shown]
	v_mul_i32_i24_e32 v65, v24, v75
	v_bfe_u32 v24, v12, 24, 4
	v_add3_u32 v5, v5, v56, v58
	s_clause 0x1
	scratch_store_b32 off, v28, off offset:676
	scratch_store_b32 off, v24, off offset:748
	v_mul_i32_i24_e32 v12, v24, v71
	v_add3_u32 v5, v5, v11, v61
	s_delay_alu instid0(VALU_DEP_1) | instskip(NEXT) | instid1(VALU_DEP_1)
	v_add3_u32 v5, v5, v65, v12
	v_mul_lo_u32 v5, v5, v9
	s_delay_alu instid0(VALU_DEP_1) | instskip(NEXT) | instid1(VALU_DEP_1)
	v_cvt_f32_i32_e32 v5, v5
	v_fma_mix_f32 v5, v1, v5, v14 op_sel_hi:[1,0,0]
	s_waitcnt vmcnt(1)
	v_mul_f32_e32 v6, v6, v44
	s_waitcnt vmcnt(0)
	s_delay_alu instid0(VALU_DEP_1) | instskip(NEXT) | instid1(VALU_DEP_1)
	v_fma_f32 v5, v5, v52, -v6
	v_add_f32_e32 v70, v70, v5
	scratch_load_b32 v5, off, off offset:1272 ; 4-byte Folded Reload
	scratch_store_b32 off, v70, off offset:1156 ; 4-byte Folded Spill
	s_waitcnt vmcnt(0)
	v_add3_u32 v13, v5, s17, v213
	scratch_load_b32 v5, off, off           ; 4-byte Folded Reload
	s_waitcnt vmcnt(0)
	v_add_nc_u32_e32 v5, 0x1080, v5
	ds_load_2addr_b32 v[18:19], v5 offset1:1
	s_waitcnt lgkmcnt(0)
	v_bfe_u32 v5, v18, 8, 4
	v_and_b32_e32 v42, 15, v18
	v_and_b32_e32 v6, 15, v19
	v_bfe_u32 v33, v18, 16, 4
	scratch_store_b32 off, v5, off offset:232 ; 4-byte Folded Spill
	v_mul_i32_i24_e32 v15, v5, v4
	v_bfe_u32 v5, v18, 24, 4
	v_mul_i32_i24_e32 v14, v42, v211
	v_mov_b32_e32 v139, v6
	v_mul_i32_i24_e32 v16, v33, v210
	s_clause 0x2
	scratch_store_b32 off, v29, off offset:668
	scratch_store_b32 off, v30, off offset:672
	;; [unrolled: 1-line block ×3, first 2 shown]
	v_mul_i32_i24_e32 v17, v5, v209
	v_bfe_u32 v5, v19, 8, 4
	v_mad_i32_i24 v14, v6, v174, v14
	scratch_store_b32 off, v42, off offset:536 ; 4-byte Folded Spill
	v_ashrrev_i32_e32 v18, 4, v18
	scratch_store_b32 off, v5, off offset:156 ; 4-byte Folded Spill
	v_mul_i32_i24_e32 v22, v5, v208
	v_bfe_u32 v5, v19, 16, 4
	scratch_store_b32 off, v5, off offset:476 ; 4-byte Folded Spill
	v_mul_i32_i24_e32 v34, v5, v207
	v_bfe_u32 v5, v19, 24, 4
	scratch_store_b32 off, v5, off offset:160 ; 4-byte Folded Spill
	v_mul_i32_i24_e32 v50, v5, v206
	scratch_load_b32 v5, off, off           ; 4-byte Folded Reload
	s_waitcnt vmcnt(0)
	v_add_nc_u32_e32 v5, 0x1088, v5
	ds_load_2addr_b32 v[20:21], v5 offset1:1
	s_waitcnt lgkmcnt(0)
	v_and_b32_e32 v5, 15, v20
	scratch_store_b32 off, v5, off offset:164 ; 4-byte Folded Spill
	v_mul_i32_i24_e32 v51, v5, v205
	v_bfe_u32 v5, v20, 8, 4
	s_delay_alu instid0(VALU_DEP_2)
	v_add3_u32 v14, v14, v51, v15
	scratch_store_b32 off, v5, off offset:908 ; 4-byte Folded Spill
	v_mul_i32_i24_e32 v82, v5, v204
	v_bfe_u32 v5, v20, 16, 4
	v_add3_u32 v14, v14, v16, v17
	scratch_store_b32 off, v5, off offset:480 ; 4-byte Folded Spill
	v_mul_i32_i24_e32 v83, v5, v203
	v_bfe_u32 v5, v20, 24, 4
	v_ashrrev_i32_e32 v20, 4, v20
	scratch_store_b32 off, v5, off offset:916 ; 4-byte Folded Spill
	v_mul_i32_i24_e32 v84, v5, v202
	v_and_b32_e32 v5, 15, v21
	scratch_store_b32 off, v5, off offset:912 ; 4-byte Folded Spill
	v_mul_i32_i24_e32 v85, v5, v201
	v_bfe_u32 v5, v21, 8, 4
	s_delay_alu instid0(VALU_DEP_2)
	v_add3_u32 v14, v14, v85, v22
	scratch_store_b32 off, v5, off offset:484 ; 4-byte Folded Spill
	v_mul_i32_i24_e32 v86, v5, v200
	v_bfe_u32 v5, v21, 16, 4
	v_add3_u32 v14, v14, v34, v50
	v_ashrrev_i32_e32 v34, 4, v19
	scratch_store_b32 off, v5, off offset:488 ; 4-byte Folded Spill
	v_mul_i32_i24_e32 v87, v5, v199
	v_bfe_u32 v5, v21, 24, 4
	v_ashrrev_i32_e32 v21, 4, v21
	scratch_store_b32 off, v5, off offset:492 ; 4-byte Folded Spill
	v_mul_i32_i24_e32 v88, v5, v198
	scratch_load_b32 v5, off, off           ; 4-byte Folded Reload
	v_bfe_u32 v22, v21, 8, 4
	v_bfe_u32 v54, v21, 16, 4
	;; [unrolled: 1-line block ×3, first 2 shown]
	s_delay_alu instid0(VALU_DEP_3) | instskip(NEXT) | instid1(VALU_DEP_3)
	v_mul_i32_i24_e32 v227, v22, v168
	v_mul_i32_i24_e32 v228, v54, v167
	s_waitcnt vmcnt(0)
	v_add_nc_u32_e32 v5, 0x1090, v5
	ds_load_2addr_b32 v[45:46], v5 offset1:1
	s_waitcnt lgkmcnt(0)
	v_and_b32_e32 v5, 15, v45
	scratch_store_b32 off, v5, off offset:168 ; 4-byte Folded Spill
	v_mul_i32_i24_e32 v89, v5, v197
	v_bfe_u32 v5, v45, 8, 4
	s_delay_alu instid0(VALU_DEP_2)
	v_add3_u32 v14, v14, v89, v82
	scratch_store_b32 off, v5, off offset:172 ; 4-byte Folded Spill
	v_mul_i32_i24_e32 v90, v5, v196
	v_bfe_u32 v5, v45, 16, 4
	v_add3_u32 v14, v14, v83, v84
	scratch_store_b32 off, v5, off offset:176 ; 4-byte Folded Spill
	v_mul_i32_i24_e32 v91, v5, v195
	v_bfe_u32 v5, v45, 24, 4
	scratch_store_b32 off, v5, off offset:184 ; 4-byte Folded Spill
	v_mul_i32_i24_e32 v92, v5, v194
	v_and_b32_e32 v5, 15, v46
	scratch_store_b32 off, v5, off offset:180 ; 4-byte Folded Spill
	v_mul_i32_i24_e32 v93, v5, v193
	v_bfe_u32 v5, v46, 8, 4
	s_delay_alu instid0(VALU_DEP_2)
	v_add3_u32 v14, v14, v93, v86
	scratch_store_b32 off, v5, off offset:188 ; 4-byte Folded Spill
	v_mul_i32_i24_e32 v94, v5, v192
	v_bfe_u32 v5, v46, 16, 4
	v_and_b32_e32 v93, 15, v21
	v_add3_u32 v14, v14, v87, v88
	v_mul_i32_i24_e32 v21, v19, v166
	scratch_store_b32 off, v5, off offset:880 ; 4-byte Folded Spill
	v_mul_i32_i24_e32 v95, v5, v191
	v_bfe_u32 v5, v46, 24, 4
	v_mul_i32_i24_e32 v226, v93, v169
	scratch_store_b32 off, v5, off offset:196 ; 4-byte Folded Spill
	v_mul_i32_i24_e32 v96, v5, v190
	scratch_load_b32 v5, off, off           ; 4-byte Folded Reload
	s_waitcnt vmcnt(0)
	v_add_nc_u32_e32 v5, 0x1098, v5
	ds_load_2addr_b32 v[47:48], v5 offset1:1
	s_waitcnt lgkmcnt(0)
	v_and_b32_e32 v5, 15, v47
	scratch_store_b32 off, v5, off offset:884 ; 4-byte Folded Spill
	v_mul_i32_i24_e32 v97, v5, v189
	v_bfe_u32 v5, v47, 8, 4
	s_delay_alu instid0(VALU_DEP_2)
	v_add3_u32 v14, v14, v97, v90
	scratch_store_b32 off, v5, off offset:200 ; 4-byte Folded Spill
	v_mul_i32_i24_e32 v98, v5, v188
	v_bfe_u32 v5, v47, 16, 4
	v_and_b32_e32 v97, 15, v20
	v_add3_u32 v14, v14, v91, v92
	v_bfe_u32 v92, v20, 24, 4
	scratch_store_b32 off, v5, off offset:204 ; 4-byte Folded Spill
	v_mul_i32_i24_e32 v99, v5, v187
	v_bfe_u32 v5, v47, 24, 4
	v_mul_i32_i24_e32 v223, v97, v173
	scratch_store_b32 off, v5, off offset:520 ; 4-byte Folded Spill
	v_mul_i32_i24_e32 v100, v5, v186
	v_and_b32_e32 v5, 15, v48
	scratch_store_b32 off, v5, off offset:236 ; 4-byte Folded Spill
	v_mul_i32_i24_e32 v101, v5, v185
	v_bfe_u32 v5, v48, 8, 4
	s_delay_alu instid0(VALU_DEP_2)
	v_add3_u32 v14, v14, v101, v94
	scratch_store_b32 off, v5, off offset:240 ; 4-byte Folded Spill
	v_mul_i32_i24_e32 v102, v5, v184
	v_bfe_u32 v5, v48, 16, 4
	v_bfe_u32 v101, v18, 16, 4
	v_add3_u32 v14, v14, v95, v96
	v_bfe_u32 v96, v34, 24, 4
	v_bfe_u32 v95, v20, 8, 4
	scratch_store_b32 off, v5, off offset:920 ; 4-byte Folded Spill
	v_mul_i32_i24_e32 v103, v5, v183
	v_bfe_u32 v5, v48, 24, 4
	v_add3_u32 v14, v14, v98, v99
	v_bfe_u32 v98, v34, 16, 4
	scratch_store_b32 off, v33, off offset:808 ; 4-byte Folded Spill
	v_bfe_u32 v99, v18, 24, 4
	scratch_store_b32 off, v5, off offset:924 ; 4-byte Folded Spill
	ds_load_u16 v15, v13 offset:25600
	ds_load_u16 v50, v13 offset:25608
	v_mul_i32_i24_e32 v104, v5, v182
	v_add3_u32 v14, v14, v100, v102
	v_and_b32_e32 v102, 15, v18
	scratch_load_b32 v87, off, off offset:1248 ; 4-byte Folded Reload
	v_bfe_u32 v100, v34, 8, 4
	v_mul_i32_i24_e32 v218, v101, v179
	v_add3_u32 v14, v14, v103, v104
	v_mul_i32_i24_e32 v212, v102, v181
	v_bfe_u32 v103, v18, 8, 4
	scratch_load_b32 v18, off, off offset:1240 ; 4-byte Folded Reload
	v_mul_i32_i24_e32 v219, v99, v178
	v_mul_i32_i24_e32 v220, v100, v177
	;; [unrolled: 1-line block ×6, first 2 shown]
	v_bfe_u32 v94, v20, 16, 4
	v_mul_i32_i24_e32 v20, v92, v170
	s_waitcnt lgkmcnt(1)
	v_and_b32_e32 v5, 0xff, v15
	v_ashrrev_i32_e32 v48, 4, v48
	v_lshrrev_b16 v51, 8, v15
	v_mul_i32_i24_e32 v225, v94, v171
	s_waitcnt lgkmcnt(0)
	v_cvt_f32_ubyte0_e32 v104, v50
	s_clause 0x1
	scratch_store_b32 off, v5, off offset:888
	scratch_store_b32 off, v99, off offset:892
	v_mul_lo_u32 v14, v14, v5
	v_and_b32_e32 v5, 15, v34
	v_ashrrev_i32_e32 v34, 4, v45
	v_and_b32_e32 v82, 15, v48
	v_bfe_u32 v65, v48, 16, 4
	v_bfe_u32 v12, v48, 24, 4
	v_mad_i32_i24 v212, v5, v69, v212
	v_bfe_u32 v55, v34, 16, 4
	scratch_store_b32 off, v5, off offset:540 ; 4-byte Folded Spill
	scratch_load_b32 v5, off, off           ; 4-byte Folded Reload
	v_and_b32_e32 v58, 15, v34
	v_add3_u32 v212, v212, v223, v217
	v_bfe_u32 v59, v34, 8, 4
	v_bfe_u32 v56, v34, 24, 4
	v_ashrrev_i32_e32 v34, 4, v46
	v_mul_i32_i24_e32 v45, v58, v165
	v_add3_u32 v212, v212, v218, v219
	v_mul_i32_i24_e32 v229, v59, v164
	v_mul_i32_i24_e32 v230, v55, v163
	v_and_b32_e32 v89, 15, v34
	v_bfe_u32 v86, v34, 8, 4
	v_add3_u32 v212, v212, v226, v220
	v_bfe_u32 v84, v34, 16, 4
	v_bfe_u32 v85, v34, 24, 4
	v_mul_i32_i24_e32 v46, v89, v161
	v_ashrrev_i32_e32 v34, 4, v47
	v_add3_u32 v212, v212, v221, v222
	v_mul_i32_i24_e32 v231, v56, v162
	v_mul_i32_i24_e32 v232, v86, v160
	v_mul_i32_i24_e32 v238, v82, v153
	v_and_b32_e32 v91, 15, v34
	v_add3_u32 v45, v212, v45, v224
	v_mul_i32_i24_e32 v233, v84, v159
	v_mul_i32_i24_e32 v234, v85, v158
	v_bfe_u32 v90, v34, 8, 4
	v_mul_i32_i24_e32 v47, v91, v157
	v_add3_u32 v20, v45, v225, v20
	v_bfe_u32 v83, v34, 16, 4
	v_bfe_u32 v61, v34, 24, 4
	v_mul_i32_i24_e32 v235, v90, v156
	v_bfe_u32 v34, v48, 8, 4
	v_add3_u32 v20, v20, v46, v227
	v_mul_i32_i24_e32 v236, v83, v155
	v_mul_i32_i24_e32 v237, v61, v154
	;; [unrolled: 1-line block ×4, first 2 shown]
	v_add3_u32 v20, v20, v228, v21
	v_mul_i32_i24_e32 v48, v12, v71
	v_and_b32_e32 v11, 0xffff, v51
	v_cvt_f32_i32_e32 v14, v14
	v_fma_mix_f32 v117, v0, v104, 0 op_sel:[1,0,0] op_sel_hi:[1,0,0]
	v_add3_u32 v20, v20, v47, v229
	v_cvt_f32_ubyte1_e32 v10, v50
	s_clause 0x1
	scratch_store_b32 off, v82, off offset:840
	scratch_store_b32 off, v34, off offset:844
	v_fma_mix_f32 v116, v0, v14, 0 op_sel_hi:[1,0,0]
	v_add3_u32 v20, v20, v230, v231
	v_fma_mix_f32 v46, v1, v10, v117 op_sel:[1,0,0] op_sel_hi:[1,0,0]
	s_clause 0x2
	scratch_store_b32 off, v19, off offset:848
	scratch_store_b32 off, v12, off offset:852
	;; [unrolled: 1-line block ×3, first 2 shown]
	v_add3_u32 v20, v20, v238, v232
	v_add3_u32 v212, v73, s17, v213
	s_clause 0x5
	scratch_store_b32 off, v102, off offset:896
	scratch_store_b32 off, v103, off offset:968
	;; [unrolled: 1-line block ×6, first 2 shown]
	v_add3_u32 v20, v20, v233, v234
	s_clause 0x3
	scratch_store_b32 off, v98, off offset:812
	scratch_store_b32 off, v96, off offset:816
	;; [unrolled: 1-line block ×4, first 2 shown]
	v_add3_u32 v20, v20, v235, v236
	s_clause 0x4
	scratch_store_b32 off, v59, off offset:256
	scratch_store_b32 off, v55, off offset:544
	;; [unrolled: 1-line block ×5, first 2 shown]
	v_add3_u32 v20, v20, v237, v239
	s_clause 0x3
	scratch_store_b32 off, v84, off offset:244
	scratch_store_b32 off, v85, off offset:248
	;; [unrolled: 1-line block ×4, first 2 shown]
	v_add3_u32 v21, v20, v240, v48
	s_clause 0x1
	scratch_store_b32 off, v83, off offset:556
	scratch_store_b32 off, v56, off offset:412
	v_mul_lo_u32 v21, v21, v11
	s_delay_alu instid0(VALU_DEP_1) | instskip(NEXT) | instid1(VALU_DEP_1)
	v_cvt_f32_i32_e32 v21, v21
	v_fma_mix_f32 v45, v1, v21, v116 op_sel_hi:[1,0,0]
	s_waitcnt vmcnt(2)
	v_mul_f32_e32 v46, v46, v87
	s_waitcnt vmcnt(1)
	s_delay_alu instid0(VALU_DEP_1) | instskip(NEXT) | instid1(VALU_DEP_1)
	v_fma_f32 v45, v45, v18, -v46
	v_add_f32_e32 v72, v72, v45
	scratch_store_b32 off, v72, off offset:1160 ; 4-byte Folded Spill
	s_waitcnt vmcnt(0)
	v_add_nc_u32_e32 v45, 0x2100, v5
	ds_load_2addr_b32 v[45:46], v45 offset1:1
	s_waitcnt lgkmcnt(0)
	v_and_b32_e32 v5, 15, v45
	v_and_b32_e32 v6, 15, v46
	scratch_store_b32 off, v5, off offset:132 ; 4-byte Folded Spill
	v_mul_i32_i24_e32 v227, v5, v211
	v_bfe_u32 v5, v45, 8, 4
	scratch_store_b32 off, v6, off offset:208 ; 4-byte Folded Spill
	v_mad_i32_i24 v227, v6, v174, v227
	scratch_store_b32 off, v5, off offset:12 ; 4-byte Folded Spill
	v_mul_i32_i24_e32 v228, v5, v4
	v_bfe_u32 v5, v45, 16, 4
	scratch_store_b32 off, v5, off offset:16 ; 4-byte Folded Spill
	v_mul_i32_i24_e32 v229, v5, v210
	v_bfe_u32 v5, v45, 24, 4
	v_ashrrev_i32_e32 v45, 4, v45
	scratch_store_b32 off, v5, off offset:20 ; 4-byte Folded Spill
	v_mul_i32_i24_e32 v230, v5, v209
	v_bfe_u32 v5, v46, 8, 4
	scratch_store_b32 off, v5, off offset:124 ; 4-byte Folded Spill
	v_mul_i32_i24_e32 v231, v5, v208
	v_bfe_u32 v5, v46, 16, 4
	s_clause 0x1
	scratch_store_b32 off, v54, off offset:416
	scratch_store_b32 off, v5, off offset:420
	v_mul_i32_i24_e32 v232, v5, v207
	v_bfe_u32 v5, v46, 24, 4
	scratch_store_b32 off, v5, off offset:424 ; 4-byte Folded Spill
	v_mul_i32_i24_e32 v233, v5, v206
	scratch_load_b32 v5, off, off           ; 4-byte Folded Reload
	s_waitcnt vmcnt(0)
	v_add_nc_u32_e32 v47, 0x2108, v5
	ds_load_2addr_b32 v[47:48], v47 offset1:1
	s_waitcnt lgkmcnt(0)
	v_and_b32_e32 v5, 15, v47
	scratch_store_b32 off, v5, off offset:128 ; 4-byte Folded Spill
	v_mul_i32_i24_e32 v234, v5, v205
	v_bfe_u32 v5, v47, 8, 4
	s_delay_alu instid0(VALU_DEP_2)
	v_add3_u32 v227, v227, v234, v228
	scratch_store_b32 off, v5, off offset:428 ; 4-byte Folded Spill
	v_mul_i32_i24_e32 v235, v5, v204
	v_bfe_u32 v5, v47, 16, 4
	v_add3_u32 v227, v227, v229, v230
	scratch_store_b32 off, v5, off offset:432 ; 4-byte Folded Spill
	v_mul_i32_i24_e32 v236, v5, v203
	v_bfe_u32 v5, v47, 24, 4
	scratch_store_b32 off, v5, off offset:440 ; 4-byte Folded Spill
	v_mul_i32_i24_e32 v237, v5, v202
	v_and_b32_e32 v5, 15, v48
	scratch_store_b32 off, v5, off offset:436 ; 4-byte Folded Spill
	v_mul_i32_i24_e32 v238, v5, v201
	v_bfe_u32 v5, v48, 8, 4
	s_delay_alu instid0(VALU_DEP_2)
	v_add3_u32 v227, v227, v238, v231
	scratch_store_b32 off, v5, off offset:444 ; 4-byte Folded Spill
	v_mul_i32_i24_e32 v239, v5, v200
	v_bfe_u32 v5, v48, 16, 4
	v_add3_u32 v227, v227, v232, v233
	scratch_store_b32 off, v5, off offset:448 ; 4-byte Folded Spill
	v_mul_i32_i24_e32 v240, v5, v199
	v_bfe_u32 v5, v48, 24, 4
	scratch_store_b32 off, v5, off offset:452 ; 4-byte Folded Spill
	v_mul_i32_i24_e32 v241, v5, v198
	scratch_load_b32 v5, off, off           ; 4-byte Folded Reload
	s_waitcnt vmcnt(0)
	v_add_nc_u32_e32 v50, 0x2110, v5
	ds_load_2addr_b32 v[50:51], v50 offset1:1
	s_waitcnt lgkmcnt(0)
	v_and_b32_e32 v5, 15, v50
	scratch_store_b32 off, v5, off offset:456 ; 4-byte Folded Spill
	v_mul_i32_i24_e32 v242, v5, v197
	v_bfe_u32 v5, v50, 8, 4
	s_delay_alu instid0(VALU_DEP_2)
	v_add3_u32 v227, v227, v242, v235
	scratch_store_b32 off, v5, off offset:136 ; 4-byte Folded Spill
	v_mul_i32_i24_e32 v243, v5, v196
	v_bfe_u32 v5, v50, 16, 4
	v_add3_u32 v227, v227, v236, v237
	scratch_store_b32 off, v5, off offset:140 ; 4-byte Folded Spill
	v_mul_i32_i24_e32 v244, v5, v195
	v_bfe_u32 v5, v50, 24, 4
	s_clause 0x1
	scratch_store_b32 off, v10, off offset:860
	scratch_store_b32 off, v5, off offset:864
	v_mul_i32_i24_e32 v245, v5, v194
	v_and_b32_e32 v5, 15, v51
	scratch_store_b32 off, v5, off offset:460 ; 4-byte Folded Spill
	v_mul_i32_i24_e32 v246, v5, v193
	v_bfe_u32 v5, v51, 8, 4
	s_delay_alu instid0(VALU_DEP_2)
	v_add3_u32 v227, v227, v246, v239
	scratch_store_b32 off, v5, off offset:464 ; 4-byte Folded Spill
	v_mul_i32_i24_e32 v247, v5, v192
	v_bfe_u32 v5, v51, 16, 4
	v_mov_b32_e32 v246, v139
	v_add3_u32 v227, v227, v240, v241
	scratch_store_b32 off, v5, off offset:868 ; 4-byte Folded Spill
	v_mul_i32_i24_e32 v248, v5, v191
	v_bfe_u32 v5, v51, 24, 4
	scratch_store_b32 off, v5, off offset:468 ; 4-byte Folded Spill
	v_mul_i32_i24_e32 v249, v5, v190
	scratch_load_b32 v5, off, off           ; 4-byte Folded Reload
	s_waitcnt vmcnt(0)
	v_add_nc_u32_e32 v116, 0x2118, v5
	ds_load_2addr_b32 v[116:117], v116 offset1:1
	s_waitcnt lgkmcnt(0)
	v_and_b32_e32 v5, 15, v116
	scratch_store_b32 off, v5, off offset:144 ; 4-byte Folded Spill
	v_mul_i32_i24_e32 v250, v5, v189
	v_bfe_u32 v5, v116, 8, 4
	s_delay_alu instid0(VALU_DEP_2)
	v_add3_u32 v227, v227, v250, v243
	scratch_store_b32 off, v5, off offset:872 ; 4-byte Folded Spill
	v_mul_i32_i24_e32 v251, v5, v188
	v_bfe_u32 v5, v116, 16, 4
	v_add3_u32 v227, v227, v244, v245
	scratch_store_b32 off, v5, off offset:876 ; 4-byte Folded Spill
	v_mul_i32_i24_e32 v252, v5, v187
	v_bfe_u32 v5, v116, 24, 4
	scratch_store_b32 off, v5, off offset:92 ; 4-byte Folded Spill
	v_mul_i32_i24_e32 v253, v5, v186
	v_and_b32_e32 v5, 15, v117
	s_delay_alu instid0(VALU_DEP_1)
	v_mul_i32_i24_e32 v254, v5, v185
	scratch_store_b32 off, v5, off offset:472 ; 4-byte Folded Spill
	v_bfe_u32 v5, v117, 8, 4
	v_add3_u32 v227, v227, v254, v247
	scratch_store_b32 off, v5, off offset:96 ; 4-byte Folded Spill
	v_mul_i32_i24_e32 v255, v5, v184
	v_bfe_u32 v5, v117, 16, 4
	v_add3_u32 v227, v227, v248, v249
	scratch_store_b32 off, v5, off offset:100 ; 4-byte Folded Spill
	v_mul_i32_i24_e32 v214, v5, v183
	v_bfe_u32 v5, v117, 24, 4
	v_add3_u32 v227, v227, v251, v252
	s_delay_alu instid0(VALU_DEP_2) | instskip(NEXT) | instid1(VALU_DEP_2)
	v_mul_i32_i24_e32 v70, v5, v182
	v_add3_u32 v227, v227, v253, v255
	scratch_store_b32 off, v5, off offset:348 ; 4-byte Folded Spill
	v_add3_u32 v70, v227, v214, v70
	ds_load_u16 v214, v212 offset:26112
	ds_load_u16 v227, v212 offset:26120
	s_waitcnt lgkmcnt(1)
	v_and_b32_e32 v5, 0xff, v214
	v_lshrrev_b16 v228, 8, v214
	s_waitcnt lgkmcnt(0)
	v_cvt_f32_ubyte1_e32 v244, v227
	scratch_store_b32 off, v5, off offset:352 ; 4-byte Folded Spill
	v_mul_lo_u32 v70, v70, v5
	v_cvt_f32_ubyte0_e32 v5, v227
	v_and_b32_e32 v20, 0xffff, v228
	scratch_store_b32 off, v5, off offset:104 ; 4-byte Folded Spill
	v_fma_mix_f32 v73, v0, v5, 0 op_sel:[1,0,0] op_sel_hi:[1,0,0]
	v_and_b32_e32 v5, 15, v45
	v_cvt_f32_i32_e32 v70, v70
	scratch_store_b32 off, v5, off offset:108 ; 4-byte Folded Spill
	v_mul_i32_i24_e32 v74, v5, v181
	v_bfe_u32 v5, v45, 8, 4
	v_fma_mix_f32 v72, v0, v70, 0 op_sel_hi:[1,0,0]
	scratch_store_b32 off, v5, off offset:356 ; 4-byte Folded Spill
	v_mul_i32_i24_e32 v76, v5, v180
	v_bfe_u32 v5, v45, 16, 4
	scratch_store_b32 off, v5, off offset:112 ; 4-byte Folded Spill
	v_mul_i32_i24_e32 v77, v5, v179
	v_bfe_u32 v5, v45, 24, 4
	v_ashrrev_i32_e32 v45, 4, v46
	scratch_store_b32 off, v5, off offset:116 ; 4-byte Folded Spill
	v_mul_i32_i24_e32 v80, v5, v178
	v_bfe_u32 v5, v45, 8, 4
	v_and_b32_e32 v243, 15, v45
	scratch_store_b32 off, v5, off offset:148 ; 4-byte Folded Spill
	v_mul_i32_i24_e32 v81, v5, v177
	v_bfe_u32 v5, v45, 16, 4
	v_mad_i32_i24 v74, v243, v69, v74
	scratch_store_b32 off, v5, off offset:152 ; 4-byte Folded Spill
	v_mul_i32_i24_e32 v113, v5, v176
	v_bfe_u32 v5, v45, 24, 4
	v_ashrrev_i32_e32 v45, 4, v47
	scratch_store_b32 off, v5, off offset:988 ; 4-byte Folded Spill
	v_mul_i32_i24_e32 v114, v5, v175
	v_and_b32_e32 v5, 15, v45
	scratch_store_b32 off, v5, off offset:28 ; 4-byte Folded Spill
	v_mul_i32_i24_e32 v78, v5, v173
	v_bfe_u32 v5, v45, 8, 4
	s_delay_alu instid0(VALU_DEP_2)
	v_add3_u32 v74, v74, v78, v76
	scratch_store_b32 off, v5, off offset:32 ; 4-byte Folded Spill
	v_mul_i32_i24_e32 v79, v5, v172
	v_bfe_u32 v5, v45, 16, 4
	v_add3_u32 v74, v74, v77, v80
	scratch_store_b32 off, v5, off offset:36 ; 4-byte Folded Spill
	v_mul_i32_i24_e32 v111, v5, v171
	v_bfe_u32 v5, v45, 24, 4
	v_ashrrev_i32_e32 v45, 4, v48
	v_ashrrev_i32_e32 v48, 4, v117
	scratch_store_b32 off, v5, off offset:360 ; 4-byte Folded Spill
	v_mul_i32_i24_e32 v112, v5, v170
	v_and_b32_e32 v5, 15, v45
	v_bfe_u32 v251, v48, 8, 4
	v_bfe_u32 v249, v48, 16, 4
	;; [unrolled: 1-line block ×3, first 2 shown]
	scratch_store_b32 off, v5, off offset:40 ; 4-byte Folded Spill
	v_mul_i32_i24_e32 v105, v5, v169
	v_bfe_u32 v5, v45, 8, 4
	v_mul_i32_i24_e32 v124, v251, v126
	v_mul_i32_i24_e32 v125, v249, v75
	;; [unrolled: 1-line block ×3, first 2 shown]
	v_add3_u32 v74, v74, v105, v81
	scratch_store_b32 off, v5, off offset:44 ; 4-byte Folded Spill
	v_mul_i32_i24_e32 v115, v5, v168
	v_bfe_u32 v5, v45, 16, 4
	v_add3_u32 v74, v74, v113, v114
	scratch_store_b32 off, v5, off offset:48 ; 4-byte Folded Spill
	v_mul_i32_i24_e32 v106, v5, v167
	v_bfe_u32 v5, v45, 24, 4
	v_ashrrev_i32_e32 v45, 4, v50
	scratch_store_b32 off, v5, off offset:316 ; 4-byte Folded Spill
	v_mul_i32_i24_e32 v107, v5, v166
	v_and_b32_e32 v5, 15, v45
	scratch_store_b32 off, v5, off offset:52 ; 4-byte Folded Spill
	v_mul_i32_i24_e32 v50, v5, v165
	v_bfe_u32 v5, v45, 8, 4
	s_delay_alu instid0(VALU_DEP_2)
	v_add3_u32 v50, v74, v50, v79
	scratch_store_b32 off, v5, off offset:56 ; 4-byte Folded Spill
	v_mul_i32_i24_e32 v108, v5, v164
	v_bfe_u32 v5, v45, 16, 4
	v_add3_u32 v50, v50, v111, v112
	scratch_store_b32 off, v5, off offset:60 ; 4-byte Folded Spill
	v_mul_i32_i24_e32 v109, v5, v163
	v_bfe_u32 v5, v45, 24, 4
	v_ashrrev_i32_e32 v45, 4, v51
	scratch_store_b32 off, v5, off offset:320 ; 4-byte Folded Spill
	v_mul_i32_i24_e32 v110, v5, v162
	v_and_b32_e32 v5, 15, v45
	scratch_store_b32 off, v5, off offset:64 ; 4-byte Folded Spill
	v_mul_i32_i24_e32 v51, v5, v161
	v_bfe_u32 v5, v45, 8, 4
	s_delay_alu instid0(VALU_DEP_2)
	v_add3_u32 v50, v50, v51, v115
	scratch_store_b32 off, v5, off offset:68 ; 4-byte Folded Spill
	v_mul_i32_i24_e32 v118, v5, v160
	v_bfe_u32 v5, v45, 16, 4
	v_add3_u32 v50, v50, v106, v107
	scratch_store_b32 off, v5, off offset:72 ; 4-byte Folded Spill
	v_mul_i32_i24_e32 v119, v5, v159
	v_bfe_u32 v5, v45, 24, 4
	v_ashrrev_i32_e32 v45, 4, v116
	scratch_store_b32 off, v5, off offset:324 ; 4-byte Folded Spill
	v_mul_i32_i24_e32 v120, v5, v158
	v_and_b32_e32 v5, 15, v45
	v_bfe_u32 v252, v45, 24, 4
	scratch_store_b32 off, v5, off offset:76 ; 4-byte Folded Spill
	v_mul_i32_i24_e32 v116, v5, v157
	v_bfe_u32 v5, v45, 8, 4
	v_mul_i32_i24_e32 v123, v252, v154
	s_delay_alu instid0(VALU_DEP_3)
	v_add3_u32 v50, v50, v116, v108
	scratch_store_b32 off, v5, off offset:80 ; 4-byte Folded Spill
	v_mul_i32_i24_e32 v121, v5, v156
	v_bfe_u32 v5, v45, 16, 4
	v_add3_u32 v50, v50, v109, v110
	scratch_store_b32 off, v5, off offset:84 ; 4-byte Folded Spill
	v_mul_i32_i24_e32 v122, v5, v155
	v_and_b32_e32 v5, 15, v48
	scratch_store_b32 off, v5, off offset:88 ; 4-byte Folded Spill
	s_clause 0xa
	scratch_load_b32 v145, off, off offset:1068
	scratch_load_b32 v146, off, off offset:1060
	;; [unrolled: 1-line block ×10, first 2 shown]
	scratch_load_b32 v13, off, off
	v_mul_i32_i24_e32 v117, v5, v153
	s_delay_alu instid0(VALU_DEP_1) | instskip(NEXT) | instid1(VALU_DEP_1)
	v_add3_u32 v50, v50, v117, v118
	v_add3_u32 v50, v50, v119, v120
	s_delay_alu instid0(VALU_DEP_1) | instskip(NEXT) | instid1(VALU_DEP_1)
	v_add3_u32 v50, v50, v121, v122
	v_add3_u32 v50, v50, v123, v124
	s_delay_alu instid0(VALU_DEP_1) | instskip(SKIP_1) | instid1(VALU_DEP_2)
	v_add3_u32 v23, v50, v125, v23
	v_mov_b32_e32 v50, v101
	v_mul_lo_u32 v23, v23, v20
	s_delay_alu instid0(VALU_DEP_1) | instskip(NEXT) | instid1(VALU_DEP_1)
	v_cvt_f32_i32_e32 v23, v23
	v_fma_mix_f32 v23, v1, v23, v72 op_sel_hi:[1,0,0]
	v_fma_mix_f32 v72, v1, v244, v73 op_sel:[1,0,0] op_sel_hi:[1,0,0]
	s_waitcnt vmcnt(2)
	s_delay_alu instid0(VALU_DEP_1) | instskip(SKIP_1) | instid1(VALU_DEP_1)
	v_mul_f32_e32 v72, v72, v6
	s_waitcnt vmcnt(1)
	v_fma_f32 v23, v23, v16, -v72
	s_waitcnt vmcnt(0)
	v_add_nc_u32_e32 v72, 0x3180, v13
	s_delay_alu instid0(VALU_DEP_2)
	v_add_f32_e32 v14, v14, v23
	ds_load_2addr_b32 v[116:117], v72 offset1:1
	v_add3_u32 v23, v74, s17, v213
	scratch_store_b32 off, v14, off offset:1048 ; 4-byte Folded Spill
	scratch_load_b32 v14, off, off          ; 4-byte Folded Reload
	s_waitcnt lgkmcnt(0)
	v_and_b32_e32 v5, 15, v116
	v_and_b32_e32 v7, 15, v117
	v_bfe_u32 v213, v117, 8, 4
	scratch_store_b32 off, v5, off offset:408 ; 4-byte Folded Spill
	v_mul_i32_i24_e32 v72, v5, v211
	v_bfe_u32 v5, v116, 8, 4
	v_mul_i32_i24_e32 v76, v213, v208
	scratch_store_b32 off, v7, off offset:120 ; 4-byte Folded Spill
	v_mad_i32_i24 v72, v7, v174, v72
	scratch_store_b32 off, v5, off offset:8 ; 4-byte Folded Spill
	v_mul_i32_i24_e32 v4, v5, v4
	v_bfe_u32 v5, v116, 16, 4
	scratch_store_b32 off, v5, off offset:4 ; 4-byte Folded Spill
	v_mul_i32_i24_e32 v73, v5, v210
	v_bfe_u32 v5, v116, 24, 4
	;; [unrolled: 3-line block ×4, first 2 shown]
	s_delay_alu instid0(VALU_DEP_1)
	v_mul_i32_i24_e32 v78, v5, v206
	scratch_store_b32 off, v5, off offset:376 ; 4-byte Folded Spill
	s_waitcnt vmcnt(0)
	v_add_nc_u32_e32 v79, 0x3188, v14
	scratch_load_b32 v14, off, off          ; 4-byte Folded Reload
	ds_load_2addr_b32 v[206:207], v79 offset1:1
	s_waitcnt lgkmcnt(0)
	v_bfe_u32 v5, v206, 16, 4
	v_and_b32_e32 v221, 15, v206
	v_bfe_u32 v219, v206, 8, 4
	v_bfe_u32 v211, v206, 24, 4
	s_clause 0x1
	scratch_store_b32 off, v213, off offset:772
	scratch_store_b32 off, v5, off offset:780
	v_mul_i32_i24_e32 v81, v5, v203
	v_and_b32_e32 v5, 15, v207
	v_mul_i32_i24_e32 v79, v221, v205
	v_mul_i32_i24_e32 v80, v219, v204
	;; [unrolled: 1-line block ×3, first 2 shown]
	s_clause 0x1
	scratch_store_b32 off, v221, off offset:768
	scratch_store_b32 off, v5, off offset:956
	v_mul_i32_i24_e32 v106, v5, v201
	v_bfe_u32 v5, v207, 8, 4
	v_add3_u32 v4, v72, v79, v4
	s_clause 0x2
	scratch_store_b32 off, v219, off offset:524
	scratch_store_b32 off, v211, off offset:528
	;; [unrolled: 1-line block ×3, first 2 shown]
	v_mul_i32_i24_e32 v107, v5, v200
	v_bfe_u32 v5, v207, 16, 4
	v_add3_u32 v4, v4, v73, v74
	scratch_store_b32 off, v5, off offset:784 ; 4-byte Folded Spill
	v_mul_i32_i24_e32 v108, v5, v199
	v_bfe_u32 v5, v207, 24, 4
	v_add3_u32 v4, v4, v106, v76
	s_delay_alu instid0(VALU_DEP_2) | instskip(SKIP_3) | instid1(VALU_DEP_1)
	v_mul_i32_i24_e32 v109, v5, v198
	scratch_store_b32 off, v5, off offset:364 ; 4-byte Folded Spill
	v_add3_u32 v4, v4, v77, v78
	v_ashrrev_i32_e32 v78, 4, v117
	v_bfe_u32 v227, v78, 8, 4
	v_bfe_u32 v226, v78, 16, 4
	;; [unrolled: 1-line block ×3, first 2 shown]
	s_delay_alu instid0(VALU_DEP_3)
	v_mul_i32_i24_e32 v79, v227, v177
	s_waitcnt vmcnt(0)
	v_add_nc_u32_e32 v110, 0x3190, v14
	scratch_load_b32 v14, off, off          ; 4-byte Folded Reload
	ds_load_2addr_b32 v[198:199], v110 offset1:1
	s_waitcnt lgkmcnt(0)
	v_and_b32_e32 v5, 15, v198
	scratch_store_b32 off, v5, off offset:368 ; 4-byte Folded Spill
	v_mul_i32_i24_e32 v110, v5, v197
	v_bfe_u32 v5, v198, 8, 4
	s_delay_alu instid0(VALU_DEP_2)
	v_add3_u32 v4, v4, v110, v80
	scratch_store_b32 off, v5, off offset:788 ; 4-byte Folded Spill
	v_mul_i32_i24_e32 v111, v5, v196
	v_bfe_u32 v5, v198, 16, 4
	v_mul_i32_i24_e32 v80, v226, v176
	v_add3_u32 v4, v4, v81, v105
	v_ashrrev_i32_e32 v81, 4, v206
	scratch_store_b32 off, v5, off offset:796 ; 4-byte Folded Spill
	v_mul_i32_i24_e32 v112, v5, v195
	v_bfe_u32 v5, v198, 24, 4
	scratch_store_b32 off, v5, off offset:380 ; 4-byte Folded Spill
	v_mul_i32_i24_e32 v113, v5, v194
	v_and_b32_e32 v5, 15, v199
	scratch_store_b32 off, v5, off offset:372 ; 4-byte Folded Spill
	v_mul_i32_i24_e32 v114, v5, v193
	v_bfe_u32 v5, v199, 8, 4
	s_delay_alu instid0(VALU_DEP_2)
	v_add3_u32 v4, v4, v114, v107
	scratch_store_b32 off, v5, off offset:384 ; 4-byte Folded Spill
	v_mul_i32_i24_e32 v115, v5, v192
	v_bfe_u32 v5, v199, 16, 4
	v_add3_u32 v4, v4, v108, v109
	v_ashrrev_i32_e32 v108, 4, v207
	scratch_store_b32 off, v5, off offset:388 ; 4-byte Folded Spill
	v_mul_i32_i24_e32 v118, v5, v191
	v_bfe_u32 v5, v199, 24, 4
	s_delay_alu instid0(VALU_DEP_1)
	v_mul_i32_i24_e32 v119, v5, v190
	scratch_store_b32 off, v5, off offset:392 ; 4-byte Folded Spill
	s_waitcnt vmcnt(0)
	v_add_nc_u32_e32 v120, 0x3198, v14
	ds_load_2addr_b32 v[190:191], v120 offset1:1
	s_waitcnt lgkmcnt(0)
	v_and_b32_e32 v5, 15, v190
	v_bfe_u32 v46, v191, 8, 4
	v_bfe_u32 v70, v191, 24, 4
	scratch_store_b32 off, v5, off offset:396 ; 4-byte Folded Spill
	v_mul_i32_i24_e32 v120, v5, v189
	v_bfe_u32 v5, v190, 8, 4
	s_clause 0x1
	scratch_store_b32 off, v46, off offset:1232
	scratch_store_b32 off, v70, off offset:308
	v_mul_i32_i24_e32 v125, v46, v184
	v_add3_u32 v4, v4, v120, v111
	scratch_store_b32 off, v5, off offset:800 ; 4-byte Folded Spill
	v_mul_i32_i24_e32 v121, v5, v188
	v_bfe_u32 v5, v190, 16, 4
	v_ashrrev_i32_e32 v120, 4, v190
	v_add3_u32 v4, v4, v112, v113
	v_ashrrev_i32_e32 v112, 4, v198
	v_mul_i32_i24_e32 v182, v70, v182
	scratch_store_b32 off, v5, off offset:400 ; 4-byte Folded Spill
	v_mul_i32_i24_e32 v122, v5, v187
	v_bfe_u32 v5, v190, 24, 4
	scratch_store_b32 off, v5, off offset:404 ; 4-byte Folded Spill
	v_mul_i32_i24_e32 v123, v5, v186
	v_and_b32_e32 v5, 15, v191
	scratch_store_b32 off, v5, off offset:804 ; 4-byte Folded Spill
	v_mul_i32_i24_e32 v124, v5, v185
	v_bfe_u32 v5, v191, 16, 4
	s_delay_alu instid0(VALU_DEP_2)
	v_add3_u32 v4, v4, v124, v115
	scratch_store_b32 off, v5, off offset:964 ; 4-byte Folded Spill
	v_mul_i32_i24_e32 v183, v5, v183
	v_and_b32_e32 v5, 15, v81
	ds_load_u16 v72, v23 offset:26624
	ds_load_u16 v23, v23 offset:26632
	v_add3_u32 v4, v4, v118, v119
	v_ashrrev_i32_e32 v124, 4, v191
	s_clause 0x1
	scratch_load_b32 v228, off, off offset:1244
	scratch_load_b32 v7, off, off offset:956
	scratch_store_b32 off, v5, off offset:1220 ; 4-byte Folded Spill
	v_mul_i32_i24_e32 v105, v5, v173
	v_bfe_u32 v5, v81, 8, 4
	v_add3_u32 v4, v4, v121, v122
	s_clause 0x5
	scratch_load_b32 v239, off, off offset:728
	scratch_load_b32 v240, off, off offset:732
	;; [unrolled: 1-line block ×6, first 2 shown]
	scratch_store_b32 off, v5, off offset:1216 ; 4-byte Folded Spill
	v_mul_i32_i24_e32 v106, v5, v172
	v_bfe_u32 v5, v81, 16, 4
	v_add3_u32 v4, v4, v123, v125
	s_waitcnt lgkmcnt(1)
	v_lshrrev_b16 v73, 8, v72
	v_and_b32_e32 v63, 0xff, v72
	v_ashrrev_i32_e32 v72, 4, v116
	scratch_store_b32 off, v5, off offset:1224 ; 4-byte Folded Spill
	v_mul_i32_i24_e32 v107, v5, v171
	v_bfe_u32 v5, v81, 24, 4
	v_ashrrev_i32_e32 v116, 4, v199
	v_and_b32_e32 v60, 0xffff, v73
	v_and_b32_e32 v224, 15, v72
	v_add3_u32 v4, v4, v183, v182
	scratch_store_b32 off, v5, off offset:1228 ; 4-byte Folded Spill
	v_mul_i32_i24_e32 v81, v5, v170
	v_and_b32_e32 v5, 15, v108
	v_mul_i32_i24_e32 v74, v224, v181
	v_bfe_u32 v225, v72, 8, 4
	s_clause 0x6
	scratch_load_b32 v45, off, off offset:164
	scratch_load_b32 v217, off, off offset:420
	;; [unrolled: 1-line block ×7, first 2 shown]
	scratch_store_b32 off, v5, off offset:1204 ; 4-byte Folded Spill
	v_mul_i32_i24_e32 v109, v5, v169
	v_bfe_u32 v5, v108, 8, 4
	scratch_load_b32 v47, off, off offset:408 ; 4-byte Folded Reload
	v_and_b32_e32 v14, 15, v78
	v_mul_lo_u32 v4, v4, v63
	v_mul_i32_i24_e32 v76, v225, v180
	scratch_store_b32 off, v5, off offset:1200 ; 4-byte Folded Spill
	v_mul_i32_i24_e32 v110, v5, v168
	v_bfe_u32 v5, v108, 16, 4
	v_bfe_u32 v223, v72, 16, 4
	;; [unrolled: 1-line block ×3, first 2 shown]
	v_mad_i32_i24 v69, v14, v69, v74
	v_cvt_f32_i32_e32 v4, v4
	scratch_store_b32 off, v5, off offset:1208 ; 4-byte Folded Spill
	v_mul_i32_i24_e32 v111, v5, v167
	v_bfe_u32 v5, v108, 24, 4
	s_waitcnt lgkmcnt(0)
	v_cvt_f32_ubyte0_e32 v51, v23
	v_mul_i32_i24_e32 v77, v223, v179
	v_mul_i32_i24_e32 v72, v222, v178
	v_add3_u32 v69, v69, v105, v76
	scratch_store_b32 off, v5, off offset:1212 ; 4-byte Folded Spill
	v_mul_i32_i24_e32 v108, v5, v166
	v_and_b32_e32 v5, 15, v112
	v_fma_mix_f32 v4, v0, v4, 0 op_sel_hi:[1,0,0]
	v_fma_mix_f32 v0, v0, v51, 0 op_sel:[1,0,0] op_sel_hi:[1,0,0]
	v_add3_u32 v69, v69, v77, v72
	v_cvt_f32_ubyte1_e32 v23, v23
	scratch_store_b32 off, v5, off offset:1192 ; 4-byte Folded Spill
	v_mul_i32_i24_e32 v113, v5, v165
	v_bfe_u32 v5, v112, 8, 4
	v_add3_u32 v69, v69, v109, v79
	v_fma_mix_f32 v0, v1, v23, v0 op_sel:[1,0,0] op_sel_hi:[1,0,0]
	v_mov_b32_e32 v79, v23
	v_mul_i32_i24_e32 v78, v13, v175
	scratch_store_b32 off, v5, off offset:1184 ; 4-byte Folded Spill
	v_mul_i32_i24_e32 v114, v5, v164
	v_bfe_u32 v5, v112, 16, 4
	s_clause 0x2
	scratch_load_b32 v229, off, off offset:684
	scratch_load_b32 v230, off, off offset:688
	;; [unrolled: 1-line block ×3, first 2 shown]
	v_add3_u32 v69, v69, v80, v78
	scratch_store_b32 off, v5, off offset:1188 ; 4-byte Folded Spill
	v_mul_i32_i24_e32 v115, v5, v163
	v_bfe_u32 v5, v112, 24, 4
	s_clause 0x7
	scratch_load_b32 v232, off, off offset:696
	scratch_load_b32 v233, off, off offset:700
	;; [unrolled: 1-line block ×8, first 2 shown]
	scratch_store_b32 off, v5, off offset:1196 ; 4-byte Folded Spill
	v_mul_i32_i24_e32 v112, v5, v162
	v_and_b32_e32 v5, 15, v116
	v_add3_u32 v69, v69, v113, v106
	v_mov_b32_e32 v80, v60
	s_clause 0x2
	scratch_load_b32 v247, off, off offset:484
	scratch_load_b32 v21, off, off offset:488
	;; [unrolled: 1-line block ×3, first 2 shown]
	scratch_store_b32 off, v5, off offset:948 ; 4-byte Folded Spill
	v_mul_i32_i24_e32 v117, v5, v161
	v_bfe_u32 v5, v116, 8, 4
	v_add3_u32 v69, v69, v107, v81
	scratch_store_b32 off, v226, off offset:1020 ; 4-byte Folded Spill
	s_clause 0x1
	scratch_load_b32 v255, off, off offset:456
	scratch_load_b32 v254, off, off offset:472
	scratch_store_b32 off, v5, off offset:1172 ; 4-byte Folded Spill
	v_mul_i32_i24_e32 v118, v5, v160
	v_bfe_u32 v5, v116, 16, 4
	v_add3_u32 v69, v69, v117, v110
	scratch_load_b32 v139, off, off offset:868 ; 4-byte Folded Reload
	s_clause 0x2
	scratch_store_b32 off, v63, off offset:296
	scratch_store_b32 off, v51, off offset:300
	;; [unrolled: 1-line block ×3, first 2 shown]
	v_mul_i32_i24_e32 v119, v5, v159
	v_bfe_u32 v5, v116, 24, 4
	v_add3_u32 v69, v69, v111, v108
	s_clause 0x3
	scratch_store_b32 off, v224, off offset:496
	scratch_store_b32 off, v223, off offset:500
	scratch_store_b32 off, v243, off offset:900
	scratch_store_b32 off, v5, off offset:1180
	v_mul_i32_i24_e32 v116, v5, v158
	v_and_b32_e32 v5, 15, v120
	s_clause 0x4
	scratch_store_b32 off, v252, off offset:328
	scratch_store_b32 off, v251, off offset:332
	;; [unrolled: 1-line block ×5, first 2 shown]
	v_mul_i32_i24_e32 v121, v5, v157
	v_bfe_u32 v5, v120, 8, 4
	s_delay_alu instid0(VALU_DEP_2)
	v_add3_u32 v69, v69, v121, v114
	scratch_store_b32 off, v5, off offset:760 ; 4-byte Folded Spill
	v_mul_i32_i24_e32 v122, v5, v156
	v_bfe_u32 v5, v120, 16, 4
	v_add3_u32 v69, v69, v115, v112
	scratch_store_b32 off, v5, off offset:516 ; 4-byte Folded Spill
	v_mul_i32_i24_e32 v123, v5, v155
	v_bfe_u32 v5, v120, 24, 4
	scratch_store_b32 off, v5, off offset:532 ; 4-byte Folded Spill
	v_mul_i32_i24_e32 v120, v5, v154
	v_and_b32_e32 v5, 15, v124
	s_delay_alu instid0(VALU_DEP_1)
	v_mul_i32_i24_e32 v125, v5, v153
	ds_load_b128 v[153:156], v216 offset:1024
	scratch_store_b32 off, v5, off offset:224 ; 4-byte Folded Spill
	v_bfe_u32 v5, v124, 8, 4
	v_add3_u32 v69, v69, v125, v118
	scratch_store_b32 off, v5, off offset:228 ; 4-byte Folded Spill
	v_mul_i32_i24_e32 v126, v5, v126
	v_bfe_u32 v5, v124, 16, 4
	v_add3_u32 v69, v69, v119, v116
	scratch_store_b32 off, v5, off offset:216 ; 4-byte Folded Spill
	v_mul_i32_i24_e32 v75, v5, v75
	v_bfe_u32 v5, v124, 24, 4
	v_add3_u32 v69, v69, v122, v123
	v_mov_b32_e32 v124, v14
	scratch_store_b32 off, v225, off offset:1008 ; 4-byte Folded Spill
	s_waitcnt lgkmcnt(0)
	v_ashrrev_i32_e32 v210, 24, v153
	v_bfe_i32 v208, v153, 0, 8
	v_bfe_i32 v207, v153, 8, 8
	scratch_store_b32 off, v124, off offset:1012 ; 4-byte Folded Spill
	v_bfe_i32 v209, v153, 16, 8
	v_mul_i32_i24_e32 v73, v210, v215
	scratch_load_b32 v215, off, off offset:552 ; 4-byte Folded Reload
	v_mul_i32_i24_e32 v23, v208, v128
	v_bfe_i32 v190, v154, 0, 8
	v_bfe_i32 v187, v154, 8, 8
	v_mul_i32_i24_e32 v72, v209, v131
	v_bfe_i32 v188, v154, 16, 8
	v_mad_i32_i24 v23, v207, v148, v23
	v_ashrrev_i32_e32 v189, 24, v154
	v_bfe_i32 v183, v155, 0, 8
	v_bfe_i32 v184, v155, 8, 8
	;; [unrolled: 1-line block ×3, first 2 shown]
	v_add3_u32 v23, v23, v72, v73
	v_mul_i32_i24_e32 v73, v187, v144
	v_ashrrev_i32_e32 v186, 24, v155
	v_bfe_i32 v167, v156, 0, 8
	v_bfe_i32 v180, v156, 8, 8
	;; [unrolled: 1-line block ×3, first 2 shown]
	v_ashrrev_i32_e32 v182, 24, v156
	ds_load_b128 v[153:156], v216 offset:1040
	v_mul_i32_i24_e32 v74, v188, v140
	v_mul_i32_i24_e32 v76, v189, v132
	scratch_load_b32 v128, off, off offset:292 ; 4-byte Folded Reload
	v_mul_i32_i24_e32 v71, v5, v71
	v_add3_u32 v69, v69, v120, v126
	s_clause 0x1
	scratch_store_b32 off, v227, off offset:1016
	scratch_store_b32 off, v5, off offset:220
	scratch_load_b32 v5, off, off offset:132 ; 4-byte Folded Reload
	v_mov_b32_e32 v14, v144
	v_add3_u32 v69, v69, v75, v71
	s_clause 0x1
	scratch_load_b32 v144, off, off offset:432
	scratch_load_b32 v132, off, off offset:468
	v_dual_mov_b32 v131, v143 :: v_dual_mov_b32 v140, v100
	v_mul_lo_u32 v69, v69, v60
	scratch_load_b32 v60, off, off offset:1252 ; 4-byte Folded Reload
	s_waitcnt lgkmcnt(0)
	v_bfe_i32 v203, v153, 0, 8
	v_bfe_i32 v204, v153, 8, 8
	;; [unrolled: 1-line block ×3, first 2 shown]
	v_ashrrev_i32_e32 v206, 24, v153
	v_bfe_i32 v199, v154, 0, 8
	v_bfe_i32 v200, v154, 8, 8
	;; [unrolled: 1-line block ×4, first 2 shown]
	v_ashrrev_i32_e32 v202, 24, v154
	v_bfe_i32 v196, v155, 8, 8
	v_bfe_i32 v197, v155, 16, 8
	v_ashrrev_i32_e32 v198, 24, v155
	v_bfe_i32 v191, v156, 0, 8
	v_bfe_i32 v192, v156, 8, 8
	;; [unrolled: 1-line block ×3, first 2 shown]
	v_ashrrev_i32_e32 v194, 24, v156
	ds_load_b128 v[153:156], v216 offset:1056
	v_cvt_f32_i32_e32 v69, v69
	s_delay_alu instid0(VALU_DEP_1)
	v_fma_mix_f32 v4, v1, v69, v4 op_sel_hi:[1,0,0]
	s_waitcnt lgkmcnt(0)
	v_bfe_i32 v177, v153, 0, 8
	v_bfe_i32 v176, v153, 8, 8
	v_bfe_i32 v178, v153, 16, 8
	v_ashrrev_i32_e32 v179, 24, v153
	v_bfe_i32 v175, v154, 0, 8
	v_bfe_i32 v172, v154, 8, 8
	v_bfe_i32 v173, v154, 16, 8
	v_ashrrev_i32_e32 v174, 24, v154
	;; [unrolled: 4-line block ×4, first 2 shown]
	ds_load_b128 v[153:156], v216 offset:1072
	v_mul_i32_i24_e32 v77, v173, v39
	v_mul_i32_i24_e32 v78, v174, v36
	s_clause 0x1
	scratch_load_b32 v39, off, off offset:156
	scratch_load_b32 v36, off, off offset:196
	s_waitcnt lgkmcnt(0)
	v_bfe_i32 v162, v153, 0, 8
	v_bfe_i32 v159, v153, 8, 8
	v_bfe_i32 v160, v153, 16, 8
	v_ashrrev_i32_e32 v161, 24, v153
	v_bfe_i32 v158, v154, 0, 8
	v_bfe_i32 v105, v154, 8, 8
	;; [unrolled: 1-line block ×3, first 2 shown]
	v_ashrrev_i32_e32 v157, 24, v154
	v_bfe_i32 v153, v155, 0, 8
	v_bfe_i32 v75, v155, 8, 8
	;; [unrolled: 1-line block ×5, first 2 shown]
	v_ashrrev_i32_e32 v71, 24, v156
	s_waitcnt vmcnt(7)
	v_mul_i32_i24_e32 v72, v190, v215
	s_delay_alu instid0(VALU_DEP_1)
	v_add3_u32 v23, v23, v72, v73
	v_mul_i32_i24_e32 v72, v183, v152
	v_mul_i32_i24_e32 v73, v184, v150
	v_mov_b32_e32 v150, v26
	v_mov_b32_e32 v152, v40
	v_add3_u32 v23, v23, v74, v76
	v_mul_i32_i24_e32 v74, v185, v151
	v_mul_i32_i24_e32 v76, v186, v142
	v_mov_b32_e32 v151, v25
	scratch_load_b32 v142, off, off offset:144 ; 4-byte Folded Reload
	v_add3_u32 v23, v23, v72, v73
	v_mul_i32_i24_e32 v72, v167, v143
	v_mul_i32_i24_e32 v73, v180, v141
	s_clause 0x1
	scratch_load_b32 v141, off, off offset:428
	scratch_load_b32 v143, off, off offset:872
	v_add3_u32 v23, v23, v74, v76
	v_mul_i32_i24_e32 v74, v181, v149
	v_mul_i32_i24_e32 v76, v182, v138
	v_mov_b32_e32 v149, v31
	scratch_load_b32 v138, off, off offset:464 ; 4-byte Folded Reload
	v_add3_u32 v23, v23, v72, v73
	v_mul_i32_i24_e32 v72, v203, v137
	v_mul_i32_i24_e32 v73, v204, v136
	s_clause 0x1
	scratch_load_b32 v137, off, off offset:440
	scratch_load_b32 v136, off, off offset:460
	v_add3_u32 v23, v23, v74, v76
	v_mul_i32_i24_e32 v74, v205, v135
	v_mul_i32_i24_e32 v76, v206, v133
	scratch_load_b32 v133, off, off offset:356 ; 4-byte Folded Reload
	s_waitcnt vmcnt(9)
	v_mul_f32_e32 v0, v0, v60
	v_add3_u32 v23, v23, v72, v73
	v_mul_i32_i24_e32 v72, v199, v134
	v_mul_i32_i24_e32 v73, v200, v130
	v_mov_b32_e32 v81, v60
	v_fma_f32 v0, v4, v228, -v0
	v_add3_u32 v23, v23, v74, v76
	v_mul_i32_i24_e32 v74, v201, v127
	v_mul_i32_i24_e32 v76, v202, v68
	v_ashrrev_i32_e32 v4, 24, v155
	v_add_f32_e32 v49, v49, v0
	v_add3_u32 v23, v23, v72, v73
	v_mul_i32_i24_e32 v72, v195, v67
	scratch_load_b32 v67, off, off offset:312 ; 4-byte Folded Reload
	v_mul_i32_i24_e32 v73, v196, v66
	v_bfe_i32 v0, v156, 0, 8
	v_add3_u32 v23, v23, v74, v76
	v_mul_i32_i24_e32 v74, v197, v57
	v_mul_i32_i24_e32 v76, v198, v129
	s_clause 0x1
	scratch_store_b32 off, v13, off offset:1024
	scratch_store_b32 off, v49, off offset:1044
	v_add3_u32 v23, v23, v72, v73
	v_mul_i32_i24_e32 v72, v191, v64
	v_mul_i32_i24_e32 v73, v192, v53
	scratch_load_b32 v49, off, off offset:480 ; 4-byte Folded Reload
	v_mov_b32_e32 v127, v97
	v_add3_u32 v23, v23, v74, v76
	v_mul_i32_i24_e32 v74, v193, v62
	v_mul_i32_i24_e32 v76, v194, v128
	s_clause 0x1
	scratch_load_b32 v62, off, off offset:200
	scratch_load_b32 v60, off, off offset:864
	v_add3_u32 v23, v23, v72, v73
	v_fma_mix_f32 v72, v41, v2, 0 op_sel:[0,1,0] op_sel_hi:[0,1,0]
	v_mul_i32_i24_e32 v73, v177, v31
	s_clause 0x1
	scratch_load_b32 v41, off, off offset:204
	scratch_load_b32 v135, off, off offset:988
	v_add3_u32 v23, v23, v74, v76
	v_fma_mix_f32 v72, v8, v3, v72 op_sel:[0,1,0] op_sel_hi:[0,1,0]
	scratch_load_b32 v8, off, off offset:232 ; 4-byte Folded Reload
	v_mul_i32_i24_e32 v74, v178, v26
	v_mul_i32_i24_e32 v76, v179, v25
	v_mad_i32_i24 v73, v176, v43, v73
	v_mul_lo_u32 v23, v23, v38
	v_mul_f32_e32 v72, v72, v44
	s_clause 0x1
	scratch_load_b32 v43, off, off offset:192
	scratch_load_b32 v25, off, off offset:176
	v_add3_u32 v73, v73, v74, v76
	v_mul_i32_i24_e32 v76, v172, v40
	s_clause 0x1
	scratch_load_b32 v26, off, off offset:180
	scratch_load_b32 v38, off, off offset:884
	v_cvt_f32_i32_e32 v23, v23
	s_clause 0x1
	scratch_load_b32 v134, off, off offset:360
	scratch_load_b32 v130, off, off offset:1216
	v_mov_b32_e32 v53, v14
	v_fma_mix_f32 v23, v2, v23, 0 op_sel_hi:[1,0,0]
	s_waitcnt vmcnt(12)
	v_mul_i32_i24_e32 v74, v175, v67
	s_delay_alu instid0(VALU_DEP_1)
	v_add3_u32 v73, v73, v74, v76
	v_mul_i32_i24_e32 v74, v171, v37
	v_mul_i32_i24_e32 v76, v168, v35
	scratch_load_b32 v35, off, off offset:168 ; 4-byte Folded Reload
	v_mov_b32_e32 v37, v128
	v_add3_u32 v73, v73, v77, v78
	v_mul_i32_i24_e32 v77, v169, v32
	v_mul_i32_i24_e32 v78, v170, v29
	scratch_load_b32 v29, off, off offset:880 ; 4-byte Folded Reload
	v_add3_u32 v73, v73, v74, v76
	v_mul_i32_i24_e32 v74, v166, v30
	v_mul_i32_i24_e32 v76, v163, v28
	s_clause 0x1
	scratch_load_b32 v30, off, off offset:476
	scratch_load_b32 v28, off, off offset:188
	v_add3_u32 v73, v73, v77, v78
	v_mul_i32_i24_e32 v77, v164, v27
	v_mul_i32_i24_e32 v78, v165, v229
	scratch_load_b32 v27, off, off offset:184 ; 4-byte Folded Reload
	v_add3_u32 v73, v73, v74, v76
	v_mul_i32_i24_e32 v74, v162, v230
	v_mul_i32_i24_e32 v76, v159, v231
	s_delay_alu instid0(VALU_DEP_3) | instskip(SKIP_2) | instid1(VALU_DEP_3)
	v_add3_u32 v73, v73, v77, v78
	v_mul_i32_i24_e32 v77, v160, v232
	v_mul_i32_i24_e32 v78, v161, v233
	v_add3_u32 v73, v73, v74, v76
	v_mul_i32_i24_e32 v74, v158, v234
	v_mul_i32_i24_e32 v76, v105, v235
	s_delay_alu instid0(VALU_DEP_3) | instskip(SKIP_2) | instid1(VALU_DEP_3)
	v_add3_u32 v73, v73, v77, v78
	v_mul_i32_i24_e32 v77, v106, v236
	v_mul_i32_i24_e32 v78, v157, v237
	;; [unrolled: 7-line block ×3, first 2 shown]
	v_add3_u32 v73, v73, v74, v76
	v_mul_i32_i24_e32 v74, v0, v241
	v_mul_i32_i24_e32 v76, v1, v242
	s_delay_alu instid0(VALU_DEP_3) | instskip(SKIP_4) | instid1(VALU_DEP_1)
	v_add3_u32 v73, v73, v77, v78
	v_mul_i32_i24_e32 v77, v69, v248
	v_mul_i32_i24_e32 v78, v71, v24
	scratch_load_b32 v24, off, off offset:172 ; 4-byte Folded Reload
	v_add3_u32 v73, v73, v74, v76
	v_add3_u32 v73, v73, v77, v78
	v_mul_i32_i24_e32 v77, v173, v98
	v_mul_i32_i24_e32 v78, v174, v96
	s_delay_alu instid0(VALU_DEP_3) | instskip(SKIP_2) | instid1(VALU_DEP_1)
	v_mul_lo_u32 v73, v73, v9
	scratch_load_b32 v9, off, off offset:792 ; 4-byte Folded Reload
	v_cvt_f32_i32_e32 v73, v73
	v_fma_mix_f32 v23, v3, v73, v23 op_sel_hi:[1,0,0]
	s_waitcnt vmcnt(12)
	v_mul_i32_i24_e32 v73, v210, v43
	s_delay_alu instid0(VALU_DEP_2)
	v_fma_f32 v23, v23, v52, -v72
	v_mul_i32_i24_e32 v72, v209, v33
	scratch_load_b32 v33, off, off offset:492 ; 4-byte Folded Reload
	v_add_f32_e32 v88, v88, v23
	v_mul_i32_i24_e32 v23, v208, v42
	scratch_load_b32 v42, off, off offset:160 ; 4-byte Folded Reload
	v_mad_i32_i24 v23, v207, v8, v23
	scratch_load_b32 v8, off, off offset:908 ; 4-byte Folded Reload
	v_add3_u32 v23, v23, v72, v73
	v_mul_i32_i24_e32 v72, v190, v246
	v_mul_i32_i24_e32 v73, v187, v39
	s_delay_alu instid0(VALU_DEP_1)
	v_add3_u32 v23, v23, v72, v73
	v_mul_i32_i24_e32 v72, v183, v45
	s_waitcnt vmcnt(7)
	v_mul_i32_i24_e32 v74, v188, v30
	s_waitcnt vmcnt(1)
	;; [unrolled: 2-line block ×3, first 2 shown]
	v_mul_i32_i24_e32 v73, v184, v8
	scratch_load_b32 v8, off, off offset:916 ; 4-byte Folded Reload
	v_add3_u32 v23, v23, v74, v76
	v_mul_i32_i24_e32 v74, v185, v49
	s_delay_alu instid0(VALU_DEP_2)
	v_add3_u32 v23, v23, v72, v73
	v_mul_i32_i24_e32 v73, v180, v247
	s_waitcnt vmcnt(0)
	v_mul_i32_i24_e32 v76, v186, v8
	scratch_load_b32 v8, off, off offset:912 ; 4-byte Folded Reload
	v_add3_u32 v23, v23, v74, v76
	v_mul_i32_i24_e32 v74, v181, v21
	v_mul_i32_i24_e32 v76, v182, v33
	s_waitcnt vmcnt(0)
	v_mul_i32_i24_e32 v72, v167, v8
	scratch_load_b32 v8, off, off offset:520 ; 4-byte Folded Reload
	v_add3_u32 v23, v23, v72, v73
	v_mul_i32_i24_e32 v72, v203, v35
	v_mul_i32_i24_e32 v73, v204, v24
	s_delay_alu instid0(VALU_DEP_3) | instskip(SKIP_2) | instid1(VALU_DEP_3)
	v_add3_u32 v23, v23, v74, v76
	v_mul_i32_i24_e32 v74, v205, v25
	v_mul_i32_i24_e32 v76, v206, v27
	v_add3_u32 v23, v23, v72, v73
	v_mul_i32_i24_e32 v72, v199, v26
	v_mul_i32_i24_e32 v73, v200, v28
	s_delay_alu instid0(VALU_DEP_3) | instskip(SKIP_2) | instid1(VALU_DEP_3)
	v_add3_u32 v23, v23, v74, v76
	v_mul_i32_i24_e32 v74, v201, v29
	v_mul_i32_i24_e32 v76, v202, v36
	v_add3_u32 v23, v23, v72, v73
	v_mul_i32_i24_e32 v72, v195, v38
	v_mul_i32_i24_e32 v73, v196, v62
	s_delay_alu instid0(VALU_DEP_3) | instskip(SKIP_1) | instid1(VALU_DEP_2)
	v_add3_u32 v23, v23, v74, v76
	v_mul_i32_i24_e32 v74, v197, v41
	v_add3_u32 v23, v23, v72, v73
	s_waitcnt vmcnt(0)
	v_mul_i32_i24_e32 v76, v198, v8
	scratch_load_b32 v8, off, off offset:236 ; 4-byte Folded Reload
	v_add3_u32 v23, v23, v74, v76
	s_waitcnt vmcnt(0)
	v_mul_i32_i24_e32 v72, v191, v8
	scratch_load_b32 v8, off, off offset:240 ; 4-byte Folded Reload
	s_waitcnt vmcnt(0)
	v_mul_i32_i24_e32 v73, v192, v8
	scratch_load_b32 v8, off, off offset:920 ; 4-byte Folded Reload
	v_add3_u32 v23, v23, v72, v73
	v_mul_i32_i24_e32 v73, v177, v102
	v_fma_mix_f32 v72, v104, v2, 0 op_sel:[0,1,0] op_sel_hi:[0,1,0]
	s_delay_alu instid0(VALU_DEP_2) | instskip(NEXT) | instid1(VALU_DEP_2)
	v_mad_i32_i24 v73, v176, v103, v73
	v_fma_mix_f32 v72, v10, v3, v72 op_sel:[0,1,0] op_sel_hi:[0,1,0]
	scratch_load_b32 v10, off, off offset:1204 ; 4-byte Folded Reload
	v_mul_f32_e32 v72, v72, v87
	s_waitcnt vmcnt(1)
	v_mul_i32_i24_e32 v74, v193, v8
	scratch_load_b32 v8, off, off offset:924 ; 4-byte Folded Reload
	s_waitcnt vmcnt(0)
	v_mul_i32_i24_e32 v76, v194, v8
	scratch_load_b32 v8, off, off offset:888 ; 4-byte Folded Reload
	v_add3_u32 v23, v23, v74, v76
	v_mul_i32_i24_e32 v74, v178, v101
	v_mul_i32_i24_e32 v76, v179, v99
	s_delay_alu instid0(VALU_DEP_1) | instskip(SKIP_2) | instid1(VALU_DEP_1)
	v_add3_u32 v73, v73, v74, v76
	v_mul_i32_i24_e32 v74, v175, v245
	v_mul_i32_i24_e32 v76, v172, v100
	v_add3_u32 v73, v73, v74, v76
	v_mul_i32_i24_e32 v74, v171, v97
	v_mul_i32_i24_e32 v76, v168, v95
	s_delay_alu instid0(VALU_DEP_3) | instskip(SKIP_2) | instid1(VALU_DEP_3)
	v_add3_u32 v73, v73, v77, v78
	v_mul_i32_i24_e32 v77, v169, v94
	v_mul_i32_i24_e32 v78, v170, v92
	v_add3_u32 v73, v73, v74, v76
	v_mul_i32_i24_e32 v74, v166, v93
	v_mul_i32_i24_e32 v76, v163, v22
	s_delay_alu instid0(VALU_DEP_3) | instskip(SKIP_2) | instid1(VALU_DEP_3)
	v_add3_u32 v73, v73, v77, v78
	v_mul_i32_i24_e32 v77, v164, v54
	v_mul_i32_i24_e32 v78, v165, v19
	v_add3_u32 v73, v73, v74, v76
	v_mul_i32_i24_e32 v74, v162, v58
	v_mul_i32_i24_e32 v76, v159, v59
	s_delay_alu instid0(VALU_DEP_3) | instskip(SKIP_3) | instid1(VALU_DEP_4)
	v_add3_u32 v73, v73, v77, v78
	v_mul_i32_i24_e32 v77, v160, v55
	v_mul_i32_i24_e32 v78, v161, v56
	v_mov_b32_e32 v55, v127
	v_add3_u32 v73, v73, v74, v76
	v_mul_i32_i24_e32 v74, v158, v89
	v_mul_i32_i24_e32 v76, v105, v86
	s_delay_alu instid0(VALU_DEP_3) | instskip(SKIP_2) | instid1(VALU_DEP_3)
	v_add3_u32 v73, v73, v77, v78
	v_mul_i32_i24_e32 v77, v106, v84
	v_mul_i32_i24_e32 v78, v157, v85
	v_add3_u32 v73, v73, v74, v76
	v_mul_i32_i24_e32 v74, v153, v91
	v_mul_i32_i24_e32 v76, v75, v90
	s_delay_alu instid0(VALU_DEP_3) | instskip(SKIP_2) | instid1(VALU_DEP_3)
	v_add3_u32 v73, v73, v77, v78
	v_mul_i32_i24_e32 v77, v126, v83
	v_mul_i32_i24_e32 v78, v4, v61
	v_add3_u32 v73, v73, v74, v76
	v_mul_i32_i24_e32 v74, v0, v82
	v_mul_i32_i24_e32 v76, v1, v34
	s_delay_alu instid0(VALU_DEP_3)
	v_add3_u32 v73, v73, v77, v78
	v_mul_i32_i24_e32 v77, v69, v65
	v_mul_i32_i24_e32 v78, v71, v12
	scratch_load_b32 v12, off, off offset:1228 ; 4-byte Folded Reload
	v_add3_u32 v73, v73, v74, v76
	v_mul_i32_i24_e32 v74, v188, v217
	v_mul_i32_i24_e32 v76, v189, v17
	s_delay_alu instid0(VALU_DEP_3) | instskip(SKIP_1) | instid1(VALU_DEP_2)
	v_add3_u32 v73, v73, v77, v78
	v_mul_i32_i24_e32 v78, v174, v135
	v_mul_lo_u32 v73, v73, v11
	scratch_load_b32 v11, off, off offset:1224 ; 4-byte Folded Reload
	v_cvt_f32_i32_e32 v73, v73
	s_waitcnt vmcnt(2)
	v_mul_lo_u32 v23, v23, v8
	scratch_load_b32 v8, off, off offset:796 ; 4-byte Folded Reload
	v_cvt_f32_i32_e32 v23, v23
	s_delay_alu instid0(VALU_DEP_1) | instskip(NEXT) | instid1(VALU_DEP_1)
	v_fma_mix_f32 v23, v2, v23, 0 op_sel_hi:[1,0,0]
	v_fma_mix_f32 v23, v3, v73, v23 op_sel_hi:[1,0,0]
	s_delay_alu instid0(VALU_DEP_1) | instskip(NEXT) | instid1(VALU_DEP_1)
	v_fma_f32 v23, v23, v18, -v72
	v_add_f32_e32 v250, v250, v23
	v_mul_i32_i24_e32 v23, v208, v5
	scratch_load_b32 v5, off, off offset:16 ; 4-byte Folded Reload
	scratch_store_b32 off, v250, off offset:1052 ; 4-byte Folded Spill
	scratch_load_b32 v250, off, off offset:124 ; 4-byte Folded Reload
	s_waitcnt vmcnt(1)
	v_mul_i32_i24_e32 v72, v209, v5
	scratch_load_b32 v5, off, off offset:20 ; 4-byte Folded Reload
	s_waitcnt vmcnt(0)
	v_mul_i32_i24_e32 v73, v210, v5
	scratch_load_b32 v5, off, off offset:12 ; 4-byte Folded Reload
	s_waitcnt vmcnt(0)
	v_mad_i32_i24 v23, v207, v5, v23
	scratch_load_b32 v5, off, off offset:208 ; 4-byte Folded Reload
	v_add3_u32 v23, v23, v72, v73
	v_mul_i32_i24_e32 v73, v187, v250
	s_waitcnt vmcnt(0)
	v_mul_i32_i24_e32 v72, v190, v5
	scratch_load_b32 v5, off, off offset:128 ; 4-byte Folded Reload
	v_add3_u32 v23, v23, v72, v73
	v_mul_i32_i24_e32 v73, v184, v141
	s_delay_alu instid0(VALU_DEP_2)
	v_add3_u32 v23, v23, v74, v76
	v_mul_i32_i24_e32 v74, v185, v144
	v_mul_i32_i24_e32 v76, v186, v137
	s_waitcnt vmcnt(0)
	v_mul_i32_i24_e32 v72, v183, v5
	scratch_load_b32 v5, off, off offset:136 ; 4-byte Folded Reload
	v_add3_u32 v23, v23, v72, v73
	v_mul_i32_i24_e32 v72, v167, v212
	v_mul_i32_i24_e32 v73, v180, v218
	s_delay_alu instid0(VALU_DEP_3) | instskip(SKIP_2) | instid1(VALU_DEP_3)
	v_add3_u32 v23, v23, v74, v76
	v_mul_i32_i24_e32 v74, v181, v214
	v_mul_i32_i24_e32 v76, v182, v48
	v_add3_u32 v23, v23, v72, v73
	v_mul_i32_i24_e32 v72, v203, v255
	s_delay_alu instid0(VALU_DEP_2)
	v_add3_u32 v23, v23, v74, v76
	v_mul_i32_i24_e32 v76, v206, v60
	s_waitcnt vmcnt(0)
	v_mul_i32_i24_e32 v73, v204, v5
	scratch_load_b32 v5, off, off offset:140 ; 4-byte Folded Reload
	v_add3_u32 v23, v23, v72, v73
	v_mul_i32_i24_e32 v72, v199, v136
	v_mul_i32_i24_e32 v73, v200, v138
	s_waitcnt vmcnt(0)
	v_mul_i32_i24_e32 v74, v205, v5
	scratch_load_b32 v5, off, off offset:92 ; 4-byte Folded Reload
	v_add3_u32 v23, v23, v74, v76
	v_mul_i32_i24_e32 v74, v201, v139
	v_mul_i32_i24_e32 v76, v202, v132
	s_delay_alu instid0(VALU_DEP_3) | instskip(SKIP_2) | instid1(VALU_DEP_3)
	v_add3_u32 v23, v23, v72, v73
	v_mul_i32_i24_e32 v72, v195, v142
	v_mul_i32_i24_e32 v73, v196, v143
	v_add3_u32 v23, v23, v74, v76
	v_mul_i32_i24_e32 v74, v197, v253
	s_delay_alu instid0(VALU_DEP_2)
	v_add3_u32 v23, v23, v72, v73
	v_mul_i32_i24_e32 v72, v191, v254
	s_waitcnt vmcnt(0)
	v_mul_i32_i24_e32 v76, v198, v5
	scratch_load_b32 v5, off, off offset:96 ; 4-byte Folded Reload
	v_add3_u32 v23, v23, v74, v76
	s_waitcnt vmcnt(0)
	v_mul_i32_i24_e32 v73, v192, v5
	scratch_load_b32 v5, off, off offset:100 ; 4-byte Folded Reload
	v_add3_u32 v23, v23, v72, v73
	s_waitcnt vmcnt(0)
	v_mul_i32_i24_e32 v74, v193, v5
	scratch_load_b32 v5, off, off offset:348 ; 4-byte Folded Reload
	s_waitcnt vmcnt(0)
	v_mul_i32_i24_e32 v76, v194, v5
	scratch_load_b32 v5, off, off offset:352 ; 4-byte Folded Reload
	v_add3_u32 v23, v23, v74, v76
	s_waitcnt vmcnt(0)
	s_delay_alu instid0(VALU_DEP_1) | instskip(SKIP_2) | instid1(VALU_DEP_1)
	v_mul_lo_u32 v23, v23, v5
	scratch_load_b32 v5, off, off offset:104 ; 4-byte Folded Reload
	v_cvt_f32_i32_e32 v23, v23
	v_fma_mix_f32 v23, v2, v23, 0 op_sel_hi:[1,0,0]
	s_waitcnt vmcnt(0)
	v_fma_mix_f32 v72, v5, v2, 0 op_sel:[0,1,0] op_sel_hi:[0,1,0]
	scratch_load_b32 v5, off, off offset:108 ; 4-byte Folded Reload
	v_fma_mix_f32 v72, v244, v3, v72 op_sel:[0,1,0] op_sel_hi:[0,1,0]
	s_delay_alu instid0(VALU_DEP_1)
	v_mul_f32_e32 v72, v72, v6
	scratch_load_b32 v6, off, off offset:364 ; 4-byte Folded Reload
	s_waitcnt vmcnt(1)
	v_mul_i32_i24_e32 v73, v177, v5
	scratch_load_b32 v5, off, off offset:112 ; 4-byte Folded Reload
	v_mad_i32_i24 v73, v176, v133, v73
	s_waitcnt vmcnt(0)
	v_mul_i32_i24_e32 v74, v178, v5
	scratch_load_b32 v5, off, off offset:116 ; 4-byte Folded Reload
	s_waitcnt vmcnt(0)
	v_mul_i32_i24_e32 v76, v179, v5
	scratch_load_b32 v5, off, off offset:148 ; 4-byte Folded Reload
	v_add3_u32 v73, v73, v74, v76
	v_mul_i32_i24_e32 v74, v175, v243
	s_waitcnt vmcnt(0)
	v_mul_i32_i24_e32 v76, v172, v5
	scratch_load_b32 v5, off, off offset:152 ; 4-byte Folded Reload
	v_add3_u32 v73, v73, v74, v76
	s_waitcnt vmcnt(0)
	v_mul_i32_i24_e32 v77, v173, v5
	scratch_load_b32 v5, off, off offset:28 ; 4-byte Folded Reload
	v_add3_u32 v73, v73, v77, v78
	v_mul_i32_i24_e32 v78, v170, v134
	s_waitcnt vmcnt(0)
	v_mul_i32_i24_e32 v74, v171, v5
	scratch_load_b32 v5, off, off offset:32 ; 4-byte Folded Reload
	s_waitcnt vmcnt(0)
	v_mul_i32_i24_e32 v76, v168, v5
	scratch_load_b32 v5, off, off offset:36 ; 4-byte Folded Reload
	v_add3_u32 v73, v73, v74, v76
	s_waitcnt vmcnt(0)
	v_mul_i32_i24_e32 v77, v169, v5
	scratch_load_b32 v5, off, off offset:40 ; 4-byte Folded Reload
	v_add3_u32 v73, v73, v77, v78
	s_waitcnt vmcnt(0)
	v_mul_i32_i24_e32 v74, v166, v5
	scratch_load_b32 v5, off, off offset:44 ; 4-byte Folded Reload
	s_waitcnt vmcnt(0)
	v_mul_i32_i24_e32 v76, v163, v5
	scratch_load_b32 v5, off, off offset:48 ; 4-byte Folded Reload
	v_add3_u32 v73, v73, v74, v76
	s_waitcnt vmcnt(0)
	v_mul_i32_i24_e32 v77, v164, v5
	scratch_load_b32 v5, off, off offset:316 ; 4-byte Folded Reload
	;; [unrolled: 7-line block ×6, first 2 shown]
	s_waitcnt vmcnt(0)
	v_mul_i32_i24_e32 v78, v157, v5
	scratch_load_b32 v5, off, off offset:76 ; 4-byte Folded Reload
	v_add3_u32 v73, v73, v77, v78
	v_mul_i32_i24_e32 v78, v4, v252
	s_waitcnt vmcnt(0)
	v_mul_i32_i24_e32 v74, v153, v5
	scratch_load_b32 v5, off, off offset:80 ; 4-byte Folded Reload
	s_waitcnt vmcnt(0)
	v_mul_i32_i24_e32 v76, v75, v5
	scratch_load_b32 v5, off, off offset:84 ; 4-byte Folded Reload
	v_add3_u32 v73, v73, v74, v76
	v_mul_i32_i24_e32 v76, v1, v251
	s_waitcnt vmcnt(0)
	v_mul_i32_i24_e32 v77, v126, v5
	scratch_load_b32 v5, off, off offset:88 ; 4-byte Folded Reload
	v_add3_u32 v73, v73, v77, v78
	v_mul_i32_i24_e32 v77, v69, v249
	v_mul_i32_i24_e32 v78, v71, v15
	s_waitcnt vmcnt(0)
	v_mul_i32_i24_e32 v74, v0, v5
	scratch_load_b32 v5, off, off offset:4  ; 4-byte Folded Reload
	v_add3_u32 v73, v73, v74, v76
	v_mul_i32_i24_e32 v74, v188, v9
	v_mov_b32_e32 v188, v79
	scratch_store_b32 off, v222, off offset:504 ; 4-byte Folded Spill
	v_add3_u32 v73, v73, v77, v78
	scratch_store_b32 off, v188, off offset:508 ; 4-byte Folded Spill
	v_mul_lo_u32 v73, v73, v20
	s_delay_alu instid0(VALU_DEP_1) | instskip(NEXT) | instid1(VALU_DEP_1)
	v_cvt_f32_i32_e32 v73, v73
	v_fma_mix_f32 v23, v3, v73, v23 op_sel_hi:[1,0,0]
	s_delay_alu instid0(VALU_DEP_1)
	v_fma_f32 v23, v23, v16, -v72
	scratch_load_b32 v16, off, off offset:788 ; 4-byte Folded Reload
	v_add_f32_e32 v147, v147, v23
	v_mul_i32_i24_e32 v23, v208, v47
	scratch_load_b32 v208, off, off offset:1212 ; 4-byte Folded Reload
	s_waitcnt vmcnt(2)
	v_mul_i32_i24_e32 v72, v209, v5
	s_clause 0x1
	scratch_load_b32 v5, off, off offset:24
	scratch_load_b32 v209, off, off offset:1200
	s_waitcnt vmcnt(1)
	v_mul_i32_i24_e32 v73, v210, v5
	s_clause 0x1
	scratch_load_b32 v5, off, off offset:8
	scratch_load_b32 v210, off, off offset:1208
	s_waitcnt vmcnt(1)
	v_mad_i32_i24 v23, v207, v5, v23
	s_clause 0x1
	scratch_load_b32 v5, off, off offset:120
	scratch_load_b32 v207, off, off offset:1192
	v_add3_u32 v23, v23, v72, v73
	v_mul_i32_i24_e32 v73, v187, v213
	scratch_load_b32 v213, off, off offset:960 ; 4-byte Folded Reload
	s_waitcnt vmcnt(2)
	v_mul_i32_i24_e32 v72, v190, v5
	scratch_load_b32 v5, off, off offset:376 ; 4-byte Folded Reload
	v_mov_b32_e32 v190, v228
	v_add3_u32 v23, v23, v72, v73
	v_mul_i32_i24_e32 v72, v183, v221
	v_mul_i32_i24_e32 v73, v184, v219
	s_waitcnt vmcnt(0)
	v_mul_i32_i24_e32 v76, v189, v5
	scratch_load_b32 v5, off, off offset:780 ; 4-byte Folded Reload
	v_mov_b32_e32 v189, v81
	v_add3_u32 v23, v23, v74, v76
	v_mul_i32_i24_e32 v76, v186, v211
	scratch_load_b32 v211, off, off offset:784 ; 4-byte Folded Reload
	v_add3_u32 v23, v23, v72, v73
	v_mul_i32_i24_e32 v72, v167, v7
	v_mul_i32_i24_e32 v73, v180, v213
	s_waitcnt vmcnt(1)
	v_mul_i32_i24_e32 v74, v185, v5
	s_delay_alu instid0(VALU_DEP_1)
	v_add3_u32 v23, v23, v74, v76
	v_mul_i32_i24_e32 v76, v182, v6
	scratch_load_b32 v6, off, off offset:368 ; 4-byte Folded Reload
	s_waitcnt vmcnt(1)
	v_mul_i32_i24_e32 v74, v181, v211
	v_add3_u32 v23, v23, v72, v73
	v_mul_i32_i24_e32 v73, v204, v16
	scratch_load_b32 v204, off, off offset:1184 ; 4-byte Folded Reload
	v_add3_u32 v23, v23, v74, v76
	v_mul_i32_i24_e32 v74, v205, v8
	scratch_load_b32 v205, off, off offset:1188 ; 4-byte Folded Reload
	s_waitcnt vmcnt(2)
	v_mul_i32_i24_e32 v72, v203, v6
	s_clause 0x1
	scratch_load_b32 v6, off, off offset:380
	scratch_load_b32 v203, off, off offset:1180
	v_add3_u32 v23, v23, v72, v73
	s_waitcnt vmcnt(1)
	v_mul_i32_i24_e32 v76, v206, v6
	s_clause 0x1
	scratch_load_b32 v6, off, off offset:372
	scratch_load_b32 v206, off, off offset:1196
	v_add3_u32 v23, v23, v74, v76
	s_waitcnt vmcnt(1)
	v_mul_i32_i24_e32 v72, v199, v6
	s_clause 0x1
	scratch_load_b32 v6, off, off offset:384
	scratch_load_b32 v199, off, off offset:532
	s_waitcnt vmcnt(1)
	v_mul_i32_i24_e32 v73, v200, v6
	s_clause 0x1
	scratch_load_b32 v6, off, off offset:388
	scratch_load_b32 v200, off, off offset:948
	s_waitcnt vmcnt(2)
	v_mul_i32_i24_e32 v4, v4, v199
	v_add3_u32 v23, v23, v72, v73
	s_waitcnt vmcnt(1)
	v_mul_i32_i24_e32 v74, v201, v6
	s_clause 0x1
	scratch_load_b32 v6, off, off offset:392
	scratch_load_b32 v201, off, off offset:1172
	s_waitcnt vmcnt(1)
	v_mul_i32_i24_e32 v76, v202, v6
	s_clause 0x1
	scratch_load_b32 v6, off, off offset:396
	scratch_load_b32 v202, off, off offset:1176
	v_add3_u32 v23, v23, v74, v76
	s_waitcnt vmcnt(1)
	v_mul_i32_i24_e32 v72, v195, v6
	s_clause 0x1
	scratch_load_b32 v6, off, off offset:800
	scratch_load_b32 v195, off, off offset:220
	s_waitcnt vmcnt(1)
	v_mul_i32_i24_e32 v73, v196, v6
	s_clause 0x1
	scratch_load_b32 v6, off, off offset:400
	scratch_load_b32 v196, off, off offset:764
	v_add3_u32 v23, v23, v72, v73
	v_mul_i32_i24_e32 v73, v192, v46
	scratch_load_b32 v192, off, off offset:224 ; 4-byte Folded Reload
	s_waitcnt vmcnt(2)
	v_mul_i32_i24_e32 v74, v197, v6
	s_clause 0x1
	scratch_load_b32 v6, off, off offset:404
	scratch_load_b32 v197, off, off offset:760
	s_waitcnt vmcnt(2)
	v_mul_i32_i24_e32 v0, v0, v192
	s_waitcnt vmcnt(1)
	v_mul_i32_i24_e32 v76, v198, v6
	s_clause 0x1
	scratch_load_b32 v6, off, off offset:804
	scratch_load_b32 v198, off, off offset:516
	v_add3_u32 v23, v23, v74, v76
	v_mul_i32_i24_e32 v76, v194, v70
	scratch_load_b32 v194, off, off offset:216 ; 4-byte Folded Reload
	s_waitcnt vmcnt(2)
	v_mul_i32_i24_e32 v72, v191, v6
	scratch_load_b32 v6, off, off offset:964 ; 4-byte Folded Reload
	v_mov_b32_e32 v191, v80
	v_add3_u32 v23, v23, v72, v73
	v_mul_i32_i24_e32 v72, v178, v223
	v_mul_i32_i24_e32 v73, v179, v222
	scratch_store_b32 off, v191, off offset:512 ; 4-byte Folded Spill
	s_waitcnt vmcnt(0)
	v_mul_i32_i24_e32 v74, v193, v6
	scratch_load_b32 v193, off, off offset:228 ; 4-byte Folded Reload
	v_add3_u32 v23, v23, v74, v76
	v_mul_i32_i24_e32 v76, v174, v13
	scratch_load_b32 v13, off, off offset:1220 ; 4-byte Folded Reload
	v_mul_i32_i24_e32 v74, v173, v226
	v_mul_lo_u32 v23, v23, v63
	s_delay_alu instid0(VALU_DEP_1) | instskip(NEXT) | instid1(VALU_DEP_1)
	v_cvt_f32_i32_e32 v23, v23
	v_fma_mix_f32 v167, v2, v23, 0 op_sel_hi:[1,0,0]
	v_mul_i32_i24_e32 v23, v177, v224
	v_fma_mix_f32 v2, v51, v2, 0 op_sel:[0,1,0] op_sel_hi:[0,1,0]
	s_delay_alu instid0(VALU_DEP_2) | instskip(NEXT) | instid1(VALU_DEP_1)
	v_mad_i32_i24 v23, v176, v225, v23
	v_add3_u32 v23, v23, v72, v73
	v_mul_i32_i24_e32 v72, v175, v124
	v_mul_i32_i24_e32 v73, v172, v227
	s_delay_alu instid0(VALU_DEP_1) | instskip(SKIP_1) | instid1(VALU_DEP_2)
	v_add3_u32 v23, v23, v72, v73
	v_mul_i32_i24_e32 v73, v168, v130
	v_add3_u32 v23, v23, v74, v76
	v_mul_i32_i24_e32 v74, v169, v11
	v_mul_i32_i24_e32 v76, v170, v12
	s_waitcnt vmcnt(1)
	v_mul_i32_i24_e32 v1, v1, v193
	s_waitcnt vmcnt(0)
	v_mul_i32_i24_e32 v72, v171, v13
	s_delay_alu instid0(VALU_DEP_1) | instskip(SKIP_2) | instid1(VALU_DEP_3)
	v_add3_u32 v23, v23, v72, v73
	v_mul_i32_i24_e32 v72, v166, v10
	v_mul_i32_i24_e32 v73, v163, v209
	v_add3_u32 v23, v23, v74, v76
	v_mul_i32_i24_e32 v74, v164, v210
	v_mul_i32_i24_e32 v76, v165, v208
	s_delay_alu instid0(VALU_DEP_3) | instskip(SKIP_2) | instid1(VALU_DEP_3)
	v_add3_u32 v23, v23, v72, v73
	v_mul_i32_i24_e32 v72, v162, v207
	v_mul_i32_i24_e32 v73, v159, v204
	v_add3_u32 v23, v23, v74, v76
	v_mul_i32_i24_e32 v74, v160, v205
	v_mul_i32_i24_e32 v76, v161, v206
	s_delay_alu instid0(VALU_DEP_3) | instskip(SKIP_2) | instid1(VALU_DEP_3)
	;; [unrolled: 7-line block ×3, first 2 shown]
	v_add3_u32 v23, v23, v72, v73
	v_mul_i32_i24_e32 v72, v153, v196
	v_mul_i32_i24_e32 v73, v75, v197
	v_add3_u32 v23, v23, v74, v76
	v_mul_i32_i24_e32 v74, v126, v198
	s_delay_alu instid0(VALU_DEP_2) | instskip(NEXT) | instid1(VALU_DEP_1)
	v_add3_u32 v23, v23, v72, v73
	v_add3_u32 v4, v23, v74, v4
	v_mul_i32_i24_e32 v23, v69, v194
	v_mul_i32_i24_e32 v69, v71, v195
	s_delay_alu instid0(VALU_DEP_3) | instskip(SKIP_1) | instid1(VALU_DEP_2)
	v_add3_u32 v0, v4, v0, v1
	v_fma_mix_f32 v1, v188, v3, v2 op_sel:[0,1,0] op_sel_hi:[0,1,0]
	v_add3_u32 v0, v0, v23, v69
	s_delay_alu instid0(VALU_DEP_2) | instskip(SKIP_4) | instid1(VALU_DEP_1)
	v_mul_f32_e32 v1, v1, v189
	s_clause 0x1
	scratch_store_b32 off, v15, off offset:340
	scratch_store_b32 off, v20, off offset:344
	v_mul_lo_u32 v0, v0, v191
	v_cvt_f32_i32_e32 v0, v0
	s_delay_alu instid0(VALU_DEP_1) | instskip(NEXT) | instid1(VALU_DEP_1)
	v_fma_mix_f32 v0, v3, v0, v167 op_sel_hi:[1,0,0]
	v_fma_f32 v0, v0, v190, -v1
	s_delay_alu instid0(VALU_DEP_1)
	v_add_f32_e32 v146, v146, v0
	ds_load_b128 v[0:3], v216 offset:2048
	s_clause 0x1
	scratch_store_b32 off, v147, off offset:1056
	scratch_store_b32 off, v88, off offset:1064
	v_mov_b32_e32 v88, v245
	scratch_store_b32 off, v146, off offset:1060 ; 4-byte Folded Spill
	s_waitcnt lgkmcnt(0)
	v_bfe_i32 v161, v0, 0, 8
	v_bfe_i32 v156, v0, 8, 8
	v_bfe_i32 v162, v0, 16, 8
	v_ashrrev_i32_e32 v163, 24, v0
	v_bfe_i32 v157, v1, 0, 8
	v_bfe_i32 v158, v1, 8, 8
	v_bfe_i32 v159, v1, 16, 8
	v_ashrrev_i32_e32 v160, 24, v1
	;; [unrolled: 4-line block ×4, first 2 shown]
	ds_load_b128 v[0:3], v216 offset:2064
	s_waitcnt lgkmcnt(0)
	v_bfe_i32 v23, v0, 0, 8
	v_bfe_i32 v72, v0, 8, 8
	;; [unrolled: 1-line block ×3, first 2 shown]
	v_ashrrev_i32_e32 v74, 24, v0
	scratch_load_b32 v0, off, off offset:212 ; 4-byte Folded Reload
	v_bfe_i32 v76, v1, 0, 8
	v_bfe_i32 v77, v1, 8, 8
	v_bfe_i32 v78, v1, 16, 8
	v_ashrrev_i32_e32 v79, 24, v1
	v_bfe_i32 v80, v2, 0, 8
	v_bfe_i32 v81, v2, 8, 8
	v_bfe_i32 v105, v2, 16, 8
	v_ashrrev_i32_e32 v106, 24, v2
	;; [unrolled: 4-line block ×3, first 2 shown]
	s_waitcnt vmcnt(0)
	ds_load_2addr_b64 v[0:3], v0 offset0:32 offset1:48
	ds_load_b128 v[164:167], v216 offset:2080
	s_clause 0x1f
	scratch_load_b32 v31, off, off offset:548
	scratch_load_b32 v146, off, off offset:560
	;; [unrolled: 1-line block ×32, first 2 shown]
	s_clause 0x16
	scratch_load_b32 v22, off, off offset:624
	scratch_load_b32 v101, off, off offset:628
	;; [unrolled: 1-line block ×23, first 2 shown]
	s_waitcnt lgkmcnt(0)
	v_bfe_i32 v111, v164, 0, 8
	v_bfe_i32 v112, v164, 8, 8
	v_bfe_i32 v113, v164, 16, 8
	v_ashrrev_i32_e32 v114, 24, v164
	v_bfe_i32 v115, v165, 0, 8
	v_bfe_i32 v116, v165, 8, 8
	v_bfe_i32 v117, v165, 16, 8
	v_ashrrev_i32_e32 v118, 24, v165
	;; [unrolled: 4-line block ×4, first 2 shown]
	ds_load_b128 v[164:167], v216 offset:2096
	s_clause 0x6
	scratch_load_b32 v61, off, off offset:820
	scratch_load_b32 v129, off, off offset:844
	;; [unrolled: 1-line block ×7, first 2 shown]
	s_clause 0x2
	scratch_store_b32 off, v149, off offset:636
	scratch_store_b32 off, v150, off offset:640
	;; [unrolled: 1-line block ×3, first 2 shown]
	s_waitcnt lgkmcnt(0)
	v_bfe_i32 v169, v164, 0, 8
	v_bfe_i32 v170, v164, 8, 8
	v_bfe_i32 v171, v164, 16, 8
	v_ashrrev_i32_e32 v164, 24, v164
	v_bfe_i32 v172, v165, 0, 8
	v_bfe_i32 v173, v165, 8, 8
	v_bfe_i32 v174, v165, 16, 8
	v_ashrrev_i32_e32 v165, 24, v165
	;; [unrolled: 4-line block ×4, first 2 shown]
	s_waitcnt vmcnt(61)
	v_mul_i32_i24_e32 v181, v161, v31
	s_waitcnt vmcnt(57)
	v_mul_i32_i24_e32 v182, v162, v32
	s_delay_alu instid0(VALU_DEP_2)
	v_mad_i32_i24 v181, v156, v148, v181
	s_waitcnt vmcnt(53)
	v_mul_i32_i24_e32 v183, v163, v90
	s_waitcnt vmcnt(50)
	v_mul_i32_i24_e32 v184, v159, v34
	;; [unrolled: 2-line block ×3, first 2 shown]
	v_add3_u32 v181, v181, v182, v183
	v_mul_i32_i24_e32 v182, v157, v215
	v_mul_i32_i24_e32 v183, v158, v53
	s_waitcnt vmcnt(43)
	v_mul_i32_i24_e32 v186, v117, v63
	s_delay_alu instid0(VALU_DEP_2) | instskip(SKIP_2) | instid1(VALU_DEP_3)
	v_add3_u32 v181, v181, v182, v183
	v_mul_i32_i24_e32 v182, v126, v89
	v_mul_i32_i24_e32 v183, v153, v146
	v_add3_u32 v181, v181, v184, v185
	v_mul_i32_i24_e32 v184, v154, v147
	v_mul_i32_i24_e32 v185, v155, v68
	s_delay_alu instid0(VALU_DEP_3) | instskip(SKIP_2) | instid1(VALU_DEP_3)
	v_add3_u32 v181, v181, v182, v183
	v_mul_i32_i24_e32 v182, v4, v131
	v_mul_i32_i24_e32 v183, v69, v15
	v_add3_u32 v181, v181, v184, v185
	v_mul_i32_i24_e32 v184, v71, v14
	v_mul_i32_i24_e32 v185, v75, v228
	s_waitcnt vmcnt(24)
	v_mul_i32_i24_e32 v187, v118, v219
	v_add3_u32 v181, v181, v182, v183
	v_mul_i32_i24_e32 v182, v23, v83
	v_mul_i32_i24_e32 v183, v72, v82
	s_delay_alu instid0(VALU_DEP_3) | instskip(SKIP_2) | instid1(VALU_DEP_3)
	v_add3_u32 v181, v181, v184, v185
	v_mul_i32_i24_e32 v184, v73, v85
	v_mul_i32_i24_e32 v185, v74, v66
	v_add3_u32 v181, v181, v182, v183
	v_mul_i32_i24_e32 v182, v76, v86
	v_mul_i32_i24_e32 v183, v77, v95
	s_delay_alu instid0(VALU_DEP_3) | instskip(SKIP_2) | instid1(VALU_DEP_3)
	v_add3_u32 v181, v181, v184, v185
	v_mul_i32_i24_e32 v184, v78, v91
	v_mul_i32_i24_e32 v185, v79, v92
	v_add3_u32 v181, v181, v182, v183
	v_mul_i32_i24_e32 v182, v80, v93
	v_mul_i32_i24_e32 v183, v81, v94
	s_delay_alu instid0(VALU_DEP_3) | instskip(SKIP_2) | instid1(VALU_DEP_3)
	v_add3_u32 v181, v181, v184, v185
	v_mul_i32_i24_e32 v184, v105, v100
	v_mul_i32_i24_e32 v185, v106, v97
	v_add3_u32 v181, v181, v182, v183
	v_mul_i32_i24_e32 v182, v107, v96
	v_mul_i32_i24_e32 v183, v108, v98
	s_delay_alu instid0(VALU_DEP_3) | instskip(SKIP_2) | instid1(VALU_DEP_3)
	v_add3_u32 v181, v181, v184, v185
	v_mul_i32_i24_e32 v184, v109, v22
	v_mul_i32_i24_e32 v185, v110, v37
	v_add3_u32 v181, v181, v182, v183
	v_mul_i32_i24_e32 v183, v111, v149
	v_fma_mix_f32 v182, v102, v0, 0 op_sel:[0,1,0] op_sel_hi:[0,1,0]
	s_delay_alu instid0(VALU_DEP_3)
	v_add3_u32 v181, v181, v184, v185
	v_mul_i32_i24_e32 v184, v113, v150
	v_mul_i32_i24_e32 v185, v114, v151
	v_mad_i32_i24 v183, v112, v103, v183
	s_waitcnt vmcnt(14)
	v_fma_mix_f32 v182, v252, v1, v182 op_sel:[0,1,0] op_sel_hi:[0,1,0]
	v_mul_lo_u32 v181, v181, v101
	s_delay_alu instid0(VALU_DEP_3) | instskip(SKIP_4) | instid1(VALU_DEP_3)
	v_add3_u32 v183, v183, v184, v185
	v_mul_i32_i24_e32 v184, v115, v67
	v_mul_i32_i24_e32 v185, v116, v152
	v_mul_f32_e32 v182, v182, v44
	v_cvt_f32_i32_e32 v181, v181
	v_add3_u32 v183, v183, v184, v185
	v_mul_i32_i24_e32 v184, v119, v221
	v_mul_i32_i24_e32 v185, v120, v222
	s_delay_alu instid0(VALU_DEP_4) | instskip(NEXT) | instid1(VALU_DEP_4)
	v_fma_mix_f32 v181, v0, v181, 0 op_sel_hi:[1,0,0]
	v_add3_u32 v183, v183, v186, v187
	v_mul_i32_i24_e32 v186, v121, v223
	v_mul_i32_i24_e32 v187, v122, v224
	s_delay_alu instid0(VALU_DEP_3) | instskip(SKIP_2) | instid1(VALU_DEP_3)
	v_add3_u32 v183, v183, v184, v185
	v_mul_i32_i24_e32 v184, v123, v225
	v_mul_i32_i24_e32 v185, v124, v226
	v_add3_u32 v183, v183, v186, v187
	v_mul_i32_i24_e32 v186, v125, v227
	v_mul_i32_i24_e32 v187, v168, v229
	s_delay_alu instid0(VALU_DEP_3) | instskip(SKIP_2) | instid1(VALU_DEP_3)
	v_add3_u32 v183, v183, v184, v185
	v_mul_i32_i24_e32 v184, v169, v230
	v_mul_i32_i24_e32 v185, v170, v231
	v_add3_u32 v183, v183, v186, v187
	v_mul_i32_i24_e32 v186, v171, v232
	v_mul_i32_i24_e32 v187, v164, v233
	s_delay_alu instid0(VALU_DEP_3) | instskip(SKIP_2) | instid1(VALU_DEP_3)
	v_add3_u32 v183, v183, v184, v185
	v_mul_i32_i24_e32 v184, v172, v234
	v_mul_i32_i24_e32 v185, v173, v235
	v_add3_u32 v183, v183, v186, v187
	v_mul_i32_i24_e32 v186, v174, v236
	v_mul_i32_i24_e32 v187, v165, v237
	s_delay_alu instid0(VALU_DEP_3) | instskip(SKIP_2) | instid1(VALU_DEP_3)
	v_add3_u32 v183, v183, v184, v185
	v_mul_i32_i24_e32 v184, v175, v238
	v_mul_i32_i24_e32 v185, v176, v220
	v_add3_u32 v183, v183, v186, v187
	v_mul_i32_i24_e32 v186, v177, v239
	v_mul_i32_i24_e32 v187, v166, v240
	s_delay_alu instid0(VALU_DEP_3) | instskip(SKIP_2) | instid1(VALU_DEP_3)
	v_add3_u32 v183, v183, v184, v185
	v_mul_i32_i24_e32 v184, v178, v241
	v_mul_i32_i24_e32 v185, v179, v242
	v_add3_u32 v183, v183, v186, v187
	v_mul_i32_i24_e32 v186, v180, v248
	v_mul_i32_i24_e32 v187, v167, v249
	s_delay_alu instid0(VALU_DEP_3)
	v_add3_u32 v183, v183, v184, v185
	v_mul_i32_i24_e32 v184, v159, v30
	v_mul_i32_i24_e32 v185, v160, v42
	v_mov_b32_e32 v42, v104
	scratch_load_b32 v104, off, off offset:892 ; 4-byte Folded Reload
	v_add3_u32 v183, v183, v186, v187
	scratch_load_b32 v30, off, off offset:852 ; 4-byte Folded Reload
	v_mul_i32_i24_e32 v186, v117, v40
	v_mul_i32_i24_e32 v187, v118, v54
	scratch_store_b32 off, v42, off offset:1236 ; 4-byte Folded Spill
	v_mul_lo_u32 v183, v183, v251
	s_delay_alu instid0(VALU_DEP_1) | instskip(NEXT) | instid1(VALU_DEP_1)
	v_cvt_f32_i32_e32 v183, v183
	v_fma_mix_f32 v181, v1, v183, v181 op_sel_hi:[1,0,0]
	v_mul_i32_i24_e32 v183, v163, v43
	scratch_load_b32 v43, off, off offset:968 ; 4-byte Folded Reload
	v_fma_f32 v181, v181, v52, -v182
	v_mul_i32_i24_e32 v182, v162, v20
	s_delay_alu instid0(VALU_DEP_2)
	v_add_f32_e32 v145, v145, v181
	v_mul_i32_i24_e32 v181, v161, v19
	scratch_store_b32 off, v145, off offset:1068 ; 4-byte Folded Spill
	s_waitcnt vmcnt(16)
	v_mad_i32_i24 v181, v156, v84, v181
	v_mov_b32_e32 v145, v140
	scratch_load_b32 v140, off, off offset:244 ; 4-byte Folded Reload
	scratch_store_b32 off, v50, off offset:992 ; 4-byte Folded Spill
	v_add3_u32 v181, v181, v182, v183
	scratch_store_b32 off, v145, off offset:996 ; 4-byte Folded Spill
	v_mul_i32_i24_e32 v182, v157, v246
	v_mul_i32_i24_e32 v183, v158, v39
	scratch_load_b32 v39, off, off offset:920 ; 4-byte Folded Reload
	v_add3_u32 v181, v181, v182, v183
	v_mul_i32_i24_e32 v182, v126, v45
	s_waitcnt vmcnt(16)
	v_mul_i32_i24_e32 v183, v153, v51
	scratch_load_b32 v45, off, off offset:252 ; 4-byte Folded Reload
	v_add3_u32 v181, v181, v184, v185
	v_mul_i32_i24_e32 v184, v154, v49
	s_waitcnt vmcnt(15)
	v_mul_i32_i24_e32 v185, v155, v244
	scratch_load_b32 v49, off, off offset:896 ; 4-byte Folded Reload
	v_add3_u32 v181, v181, v182, v183
	v_mul_i32_i24_e32 v182, v4, v243
	v_mul_i32_i24_e32 v183, v69, v247
	scratch_load_b32 v247, off, off offset:544 ; 4-byte Folded Reload
	v_add3_u32 v181, v181, v184, v185
	v_mul_i32_i24_e32 v184, v71, v21
	v_mul_i32_i24_e32 v185, v75, v33
	s_clause 0x1
	scratch_load_b32 v21, off, off offset:520
	scratch_load_b32 v33, off, off offset:856
	v_add3_u32 v181, v181, v182, v183
	v_mul_i32_i24_e32 v182, v23, v35
	v_mul_i32_i24_e32 v183, v72, v24
	s_clause 0x1
	scratch_load_b32 v24, off, off offset:828
	scratch_load_b32 v35, off, off offset:888
	;; [unrolled: 6-line block ×4, first 2 shown]
	v_add3_u32 v181, v181, v184, v185
	v_mul_i32_i24_e32 v184, v78, v29
	v_mul_i32_i24_e32 v185, v79, v36
	scratch_load_b32 v36, off, off offset:236 ; 4-byte Folded Reload
	v_mov_b32_e32 v29, v65
	v_add3_u32 v181, v181, v182, v183
	v_mul_i32_i24_e32 v182, v80, v38
	scratch_load_b32 v38, off, off offset:240 ; 4-byte Folded Reload
	v_mul_i32_i24_e32 v183, v81, v62
	scratch_load_b32 v62, off, off offset:824 ; 4-byte Folded Reload
	v_add3_u32 v181, v181, v184, v185
	v_mul_i32_i24_e32 v184, v105, v41
	s_clause 0x1
	scratch_load_b32 v41, off, off offset:924
	scratch_load_b32 v65, off, off offset:860
	s_clause 0x1
	scratch_store_b32 off, v55, off offset:1000
	scratch_store_b32 off, v29, off offset:1004
	v_add3_u32 v181, v181, v182, v183
	s_waitcnt vmcnt(12)
	v_mul_i32_i24_e32 v185, v106, v21
	s_delay_alu instid0(VALU_DEP_1)
	v_add3_u32 v181, v181, v184, v185
	v_mul_i32_i24_e32 v184, v109, v39
	s_waitcnt vmcnt(4)
	v_mul_i32_i24_e32 v182, v107, v36
	s_waitcnt vmcnt(3)
	;; [unrolled: 2-line block ×3, first 2 shown]
	v_mul_i32_i24_e32 v185, v110, v41
	s_delay_alu instid0(VALU_DEP_2) | instskip(SKIP_2) | instid1(VALU_DEP_3)
	v_add3_u32 v181, v181, v182, v183
	v_mul_i32_i24_e32 v183, v111, v49
	v_fma_mix_f32 v182, v42, v0, 0 op_sel:[0,1,0] op_sel_hi:[0,1,0]
	v_add3_u32 v181, v181, v184, v185
	v_mul_i32_i24_e32 v184, v113, v50
	v_mul_i32_i24_e32 v185, v114, v104
	v_mad_i32_i24 v183, v112, v43, v183
	s_waitcnt vmcnt(0)
	v_fma_mix_f32 v182, v65, v1, v182 op_sel:[0,1,0] op_sel_hi:[0,1,0]
	v_mul_lo_u32 v181, v181, v35
	s_delay_alu instid0(VALU_DEP_3) | instskip(SKIP_4) | instid1(VALU_DEP_3)
	v_add3_u32 v183, v183, v184, v185
	v_mul_i32_i24_e32 v184, v115, v88
	v_mul_i32_i24_e32 v185, v116, v145
	v_mul_f32_e32 v182, v182, v87
	v_cvt_f32_i32_e32 v181, v181
	v_add3_u32 v183, v183, v184, v185
	v_mul_i32_i24_e32 v184, v119, v55
	v_mul_i32_i24_e32 v185, v120, v56
	s_delay_alu instid0(VALU_DEP_4) | instskip(NEXT) | instid1(VALU_DEP_4)
	v_fma_mix_f32 v181, v0, v181, 0 op_sel_hi:[1,0,0]
	v_add3_u32 v183, v183, v186, v187
	v_mul_i32_i24_e32 v186, v121, v58
	v_mul_i32_i24_e32 v187, v122, v59
	s_delay_alu instid0(VALU_DEP_3) | instskip(SKIP_2) | instid1(VALU_DEP_3)
	v_add3_u32 v183, v183, v184, v185
	v_mul_i32_i24_e32 v184, v123, v61
	v_mul_i32_i24_e32 v185, v124, v99
	v_add3_u32 v183, v183, v186, v187
	v_mul_i32_i24_e32 v186, v125, v27
	v_mul_i32_i24_e32 v187, v168, v28
	s_delay_alu instid0(VALU_DEP_3) | instskip(SKIP_2) | instid1(VALU_DEP_3)
	v_add3_u32 v183, v183, v184, v185
	v_mul_i32_i24_e32 v184, v169, v45
	v_mul_i32_i24_e32 v185, v170, v46
	;; [unrolled: 7-line block ×5, first 2 shown]
	v_add3_u32 v183, v183, v186, v187
	v_mul_i32_i24_e32 v186, v180, v29
	v_mul_i32_i24_e32 v187, v167, v30
	s_delay_alu instid0(VALU_DEP_3)
	v_add3_u32 v183, v183, v184, v185
	scratch_load_b32 v184, off, off offset:12 ; 4-byte Folded Reload
	v_mul_i32_i24_e32 v185, v160, v17
	scratch_load_b32 v17, off, off offset:128 ; 4-byte Folded Reload
	v_add3_u32 v183, v183, v186, v187
	v_mul_i32_i24_e32 v187, v118, v135
	s_delay_alu instid0(VALU_DEP_2) | instskip(NEXT) | instid1(VALU_DEP_1)
	v_mul_lo_u32 v183, v183, v33
	v_cvt_f32_i32_e32 v183, v183
	s_delay_alu instid0(VALU_DEP_1)
	v_fma_mix_f32 v181, v1, v183, v181 op_sel_hi:[1,0,0]
	scratch_load_b32 v183, off, off offset:20 ; 4-byte Folded Reload
	v_fma_f32 v181, v181, v18, -v182
	scratch_load_b32 v182, off, off offset:1072 ; 4-byte Folded Reload
	s_waitcnt vmcnt(1)
	v_mul_i32_i24_e32 v183, v163, v183
	s_waitcnt vmcnt(0)
	v_add_f32_e32 v182, v182, v181
	scratch_load_b32 v181, off, off offset:132 ; 4-byte Folded Reload
	scratch_store_b32 off, v182, off offset:1072 ; 4-byte Folded Spill
	scratch_load_b32 v182, off, off offset:16 ; 4-byte Folded Reload
	s_waitcnt vmcnt(1)
	v_mul_i32_i24_e32 v181, v161, v181
	v_mul_i32_i24_e32 v161, v161, v47
	scratch_load_b32 v47, off, off offset:4 ; 4-byte Folded Reload
	s_waitcnt vmcnt(1)
	v_mul_i32_i24_e32 v182, v162, v182
	v_mad_i32_i24 v181, v156, v184, v181
	v_mul_i32_i24_e32 v184, v159, v217
	v_mul_i32_i24_e32 v159, v159, v9
	scratch_load_b32 v9, off, off offset:376 ; 4-byte Folded Reload
	v_mov_b32_e32 v217, v7
	v_add3_u32 v181, v181, v182, v183
	scratch_load_b32 v182, off, off offset:208 ; 4-byte Folded Reload
	v_mul_i32_i24_e32 v183, v158, v250
	scratch_load_b32 v7, off, off offset:1016 ; 4-byte Folded Reload
	v_mov_b32_e32 v250, v44
	s_waitcnt vmcnt(3)
	v_mul_i32_i24_e32 v162, v162, v47
	scratch_load_b32 v47, off, off offset:24 ; 4-byte Folded Reload
	s_waitcnt vmcnt(3)
	v_mul_i32_i24_e32 v160, v160, v9
	scratch_load_b32 v9, off, off offset:500 ; 4-byte Folded Reload
	s_waitcnt vmcnt(3)
	v_mul_i32_i24_e32 v182, v157, v182
	s_delay_alu instid0(VALU_DEP_1)
	v_add3_u32 v181, v181, v182, v183
	v_mul_i32_i24_e32 v182, v126, v17
	scratch_load_b32 v17, off, off offset:136 ; 4-byte Folded Reload
	v_mul_i32_i24_e32 v183, v153, v141
	scratch_load_b32 v141, off, off offset:156 ; 4-byte Folded Reload
	v_add3_u32 v181, v181, v184, v185
	v_mul_i32_i24_e32 v184, v154, v144
	v_mul_i32_i24_e32 v185, v155, v137
	v_mul_i32_i24_e32 v154, v154, v5
	scratch_load_b32 v5, off, off offset:364 ; 4-byte Folded Reload
	v_add3_u32 v181, v181, v182, v183
	v_mul_i32_i24_e32 v182, v4, v212
	v_mul_i32_i24_e32 v183, v69, v218
	v_mov_b32_e32 v218, v213
	v_mul_i32_i24_e32 v4, v4, v217
	v_add3_u32 v181, v181, v184, v185
	v_mul_i32_i24_e32 v184, v71, v214
	v_mul_i32_i24_e32 v185, v75, v48
	scratch_load_b32 v48, off, off offset:528 ; 4-byte Folded Reload
	v_mul_i32_i24_e32 v69, v69, v218
	v_add3_u32 v181, v181, v182, v183
	v_mul_i32_i24_e32 v182, v23, v255
	v_mul_i32_i24_e32 v71, v71, v211
	s_clause 0x1
	scratch_load_b32 v212, off, off offset:496
	scratch_load_b32 v255, off, off offset:504
	v_add3_u32 v181, v181, v184, v185
	v_mul_i32_i24_e32 v185, v74, v60
	scratch_load_b32 v60, off, off offset:768 ; 4-byte Folded Reload
	v_mov_b32_e32 v144, v6
	s_clause 0x2
	scratch_load_b32 v6, off, off offset:1092
	scratch_load_b32 v211, off, off offset:24
	;; [unrolled: 1-line block ×3, first 2 shown]
	v_mov_b32_e32 v214, v53
	s_waitcnt vmcnt(11)
	v_mul_i32_i24_e32 v163, v163, v47
	scratch_load_b32 v47, off, off offset:8 ; 4-byte Folded Reload
	s_waitcnt vmcnt(10)
	v_mul_i32_i24_e32 v183, v72, v17
	scratch_load_b32 v17, off, off offset:140 ; 4-byte Folded Reload
	v_add3_u32 v181, v181, v182, v183
	v_mul_i32_i24_e32 v182, v76, v136
	v_mul_i32_i24_e32 v183, v77, v138
	scratch_load_b32 v136, off, off offset:904 ; 4-byte Folded Reload
	s_waitcnt vmcnt(10)
	v_mul_i32_i24_e32 v75, v75, v5
	scratch_load_b32 v5, off, off offset:368 ; 4-byte Folded Reload
	v_mov_b32_e32 v138, v18
	s_waitcnt vmcnt(10)
	v_mul_i32_i24_e32 v155, v155, v48
	scratch_load_b32 v48, off, off offset:372 ; 4-byte Folded Reload
	s_waitcnt vmcnt(8)
	v_mul_i32_i24_e32 v126, v126, v60
	scratch_load_b32 v60, off, off offset:524 ; 4-byte Folded Reload
	s_waitcnt vmcnt(5)
	v_mad_i32_i24 v156, v156, v47, v161
	scratch_load_b32 v47, off, off offset:120 ; 4-byte Folded Reload
	v_add3_u32 v156, v156, v162, v163
	s_waitcnt vmcnt(5)
	v_mul_i32_i24_e32 v184, v73, v17
	scratch_load_b32 v17, off, off offset:92 ; 4-byte Folded Reload
	v_add3_u32 v181, v181, v184, v185
	v_mul_i32_i24_e32 v184, v78, v139
	v_mul_i32_i24_e32 v185, v79, v132
	s_clause 0x1
	scratch_load_b32 v139, off, off offset:1040
	scratch_load_b32 v132, off, off offset:1076
	v_add3_u32 v181, v181, v182, v183
	v_mul_i32_i24_e32 v182, v80, v142
	v_mul_i32_i24_e32 v183, v81, v143
	s_waitcnt vmcnt(6)
	v_mul_i32_i24_e32 v23, v23, v5
	scratch_load_b32 v5, off, off offset:380 ; 4-byte Folded Reload
	v_add3_u32 v181, v181, v184, v185
	v_mul_i32_i24_e32 v184, v105, v253
	scratch_load_b32 v253, off, off offset:800 ; 4-byte Folded Reload
	v_add3_u32 v181, v181, v182, v183
	v_mul_i32_i24_e32 v182, v107, v254
	v_mov_b32_e32 v254, v215
	s_waitcnt vmcnt(6)
	v_mul_i32_i24_e32 v153, v153, v60
	scratch_load_b32 v60, off, off offset:308 ; 4-byte Folded Reload
	s_waitcnt vmcnt(6)
	v_mul_i32_i24_e32 v157, v157, v47
	scratch_load_b32 v47, off, off offset:404 ; 4-byte Folded Reload
	;; [unrolled: 3-line block ×3, first 2 shown]
	v_add3_u32 v181, v181, v184, v185
	s_waitcnt vmcnt(0)
	v_mul_i32_i24_e32 v183, v108, v17
	scratch_load_b32 v17, off, off offset:100 ; 4-byte Folded Reload
	v_add3_u32 v181, v181, v182, v183
	s_waitcnt vmcnt(0)
	v_mul_i32_i24_e32 v184, v109, v17
	scratch_load_b32 v17, off, off offset:348 ; 4-byte Folded Reload
	s_waitcnt vmcnt(0)
	v_mul_i32_i24_e32 v185, v110, v17
	scratch_load_b32 v17, off, off offset:352 ; 4-byte Folded Reload
	v_add3_u32 v181, v181, v184, v185
	s_waitcnt vmcnt(0)
	s_delay_alu instid0(VALU_DEP_1) | instskip(SKIP_2) | instid1(VALU_DEP_1)
	v_mul_lo_u32 v181, v181, v17
	scratch_load_b32 v17, off, off offset:104 ; 4-byte Folded Reload
	v_cvt_f32_i32_e32 v181, v181
	v_fma_mix_f32 v181, v0, v181, 0 op_sel_hi:[1,0,0]
	s_waitcnt vmcnt(0)
	v_fma_mix_f32 v182, v17, v0, 0 op_sel:[0,1,0] op_sel_hi:[0,1,0]
	scratch_load_b32 v17, off, off offset:108 ; 4-byte Folded Reload
	v_fma_mix_f32 v182, v136, v1, v182 op_sel:[0,1,0] op_sel_hi:[0,1,0]
	s_delay_alu instid0(VALU_DEP_1)
	v_mul_f32_e32 v182, v182, v139
	s_waitcnt vmcnt(0)
	v_mul_i32_i24_e32 v183, v111, v17
	scratch_load_b32 v17, off, off offset:112 ; 4-byte Folded Reload
	v_mad_i32_i24 v183, v112, v133, v183
	s_waitcnt vmcnt(0)
	v_mul_i32_i24_e32 v184, v113, v17
	scratch_load_b32 v17, off, off offset:116 ; 4-byte Folded Reload
	s_waitcnt vmcnt(0)
	v_mul_i32_i24_e32 v185, v114, v17
	scratch_load_b32 v17, off, off offset:900 ; 4-byte Folded Reload
	v_add3_u32 v183, v183, v184, v185
	s_waitcnt vmcnt(0)
	v_mul_i32_i24_e32 v184, v115, v17
	scratch_load_b32 v17, off, off offset:148 ; 4-byte Folded Reload
	s_waitcnt vmcnt(0)
	v_mul_i32_i24_e32 v185, v116, v17
	scratch_load_b32 v17, off, off offset:152 ; 4-byte Folded Reload
	v_add3_u32 v183, v183, v184, v185
	s_waitcnt vmcnt(0)
	v_mul_i32_i24_e32 v186, v117, v17
	scratch_load_b32 v17, off, off offset:28 ; 4-byte Folded Reload
	v_add3_u32 v183, v183, v186, v187
	v_mul_i32_i24_e32 v187, v122, v134
	v_mov_b32_e32 v134, v24
	s_waitcnt vmcnt(0)
	v_mul_i32_i24_e32 v184, v119, v17
	scratch_load_b32 v17, off, off offset:32 ; 4-byte Folded Reload
	s_waitcnt vmcnt(0)
	v_mul_i32_i24_e32 v185, v120, v17
	scratch_load_b32 v17, off, off offset:36 ; 4-byte Folded Reload
	v_add3_u32 v183, v183, v184, v185
	s_waitcnt vmcnt(0)
	v_mul_i32_i24_e32 v186, v121, v17
	scratch_load_b32 v17, off, off offset:40 ; 4-byte Folded Reload
	v_add3_u32 v183, v183, v186, v187
	s_waitcnt vmcnt(0)
	v_mul_i32_i24_e32 v184, v123, v17
	scratch_load_b32 v17, off, off offset:44 ; 4-byte Folded Reload
	s_waitcnt vmcnt(0)
	v_mul_i32_i24_e32 v185, v124, v17
	scratch_load_b32 v17, off, off offset:48 ; 4-byte Folded Reload
	v_add3_u32 v183, v183, v184, v185
	s_waitcnt vmcnt(0)
	v_mul_i32_i24_e32 v186, v125, v17
	scratch_load_b32 v17, off, off offset:316 ; 4-byte Folded Reload
	;; [unrolled: 7-line block ×10, first 2 shown]
	s_waitcnt vmcnt(0)
	v_mul_i32_i24_e32 v187, v167, v17
	scratch_load_b32 v17, off, off offset:344 ; 4-byte Folded Reload
	v_add3_u32 v183, v183, v186, v187
	s_waitcnt vmcnt(0)
	s_delay_alu instid0(VALU_DEP_1) | instskip(SKIP_2) | instid1(VALU_DEP_1)
	v_mul_lo_u32 v183, v183, v17
	scratch_load_b32 v17, off, off offset:1032 ; 4-byte Folded Reload
	v_cvt_f32_i32_e32 v183, v183
	v_fma_mix_f32 v181, v1, v183, v181 op_sel_hi:[1,0,0]
	s_waitcnt vmcnt(0)
	s_delay_alu instid0(VALU_DEP_1) | instskip(NEXT) | instid1(VALU_DEP_1)
	v_fma_f32 v181, v181, v17, -v182
	v_add_f32_e32 v132, v132, v181
	scratch_store_b32 off, v132, off offset:1076 ; 4-byte Folded Spill
	scratch_load_b32 v132, off, off offset:772 ; 4-byte Folded Reload
	s_waitcnt vmcnt(0)
	v_mul_i32_i24_e32 v158, v158, v132
	scratch_load_b32 v132, off, off offset:1012 ; 4-byte Folded Reload
	v_add3_u32 v156, v156, v157, v158
	s_delay_alu instid0(VALU_DEP_1) | instskip(NEXT) | instid1(VALU_DEP_1)
	v_add3_u32 v156, v156, v159, v160
	v_add3_u32 v126, v156, v126, v153
	s_delay_alu instid0(VALU_DEP_1)
	v_add3_u32 v126, v126, v154, v155
	ds_load_b128 v[153:156], v216 offset:3072
	v_add3_u32 v4, v126, v4, v69
	v_mul_i32_i24_e32 v69, v72, v16
	v_mul_i32_i24_e32 v72, v74, v5
	scratch_load_b32 v5, off, off offset:372 ; 4-byte Folded Reload
	v_mov_b32_e32 v16, v56
	v_add3_u32 v4, v4, v71, v75
	v_mul_i32_i24_e32 v71, v73, v8
	v_mov_b32_e32 v8, v13
	s_delay_alu instid0(VALU_DEP_3) | instskip(NEXT) | instid1(VALU_DEP_1)
	v_add3_u32 v4, v4, v23, v69
	v_add3_u32 v4, v4, v71, v72
	s_waitcnt lgkmcnt(0)
	v_bfe_i32 v187, v154, 0, 8
	v_bfe_i32 v183, v155, 0, 8
	;; [unrolled: 1-line block ×4, first 2 shown]
	v_ashrrev_i32_e32 v186, 24, v155
	v_bfe_i32 v163, v156, 0, 8
	v_bfe_i32 v181, v156, 16, 8
	v_ashrrev_i32_e32 v182, 24, v156
	s_waitcnt vmcnt(0)
	v_mul_i32_i24_e32 v23, v76, v5
	scratch_load_b32 v5, off, off offset:384 ; 4-byte Folded Reload
	s_waitcnt vmcnt(0)
	v_mul_i32_i24_e32 v69, v77, v5
	scratch_load_b32 v5, off, off offset:388 ; 4-byte Folded Reload
	v_add3_u32 v4, v4, v23, v69
	v_mul_i32_i24_e32 v69, v81, v253
	scratch_load_b32 v81, off, off offset:1008 ; 4-byte Folded Reload
	s_waitcnt vmcnt(1)
	v_mul_i32_i24_e32 v71, v78, v5
	scratch_load_b32 v5, off, off offset:392 ; 4-byte Folded Reload
	s_waitcnt vmcnt(0)
	v_mul_i32_i24_e32 v72, v79, v5
	s_clause 0x1
	scratch_load_b32 v5, off, off offset:396
	scratch_load_b32 v79, off, off offset:296
	v_add3_u32 v4, v4, v71, v72
	s_waitcnt vmcnt(1)
	v_mul_i32_i24_e32 v23, v80, v5
	s_clause 0x1
	scratch_load_b32 v5, off, off offset:400
	scratch_load_b32 v80, off, off offset:300
	v_add3_u32 v4, v4, v23, v69
	s_waitcnt vmcnt(1)
	v_mul_i32_i24_e32 v71, v105, v5
	s_clause 0x1
	scratch_load_b32 v5, off, off offset:404
	scratch_load_b32 v105, off, off offset:1020
	s_waitcnt vmcnt(1)
	v_mul_i32_i24_e32 v72, v106, v5
	s_clause 0x1
	scratch_load_b32 v5, off, off offset:804
	scratch_load_b32 v106, off, off offset:1024
	v_add3_u32 v4, v4, v71, v72
	v_mul_i32_i24_e32 v71, v109, v144
	v_mul_i32_i24_e32 v72, v110, v60
	v_mov_b32_e32 v110, v12
	v_mov_b32_e32 v137, v148
	s_waitcnt vmcnt(1)
	v_mul_i32_i24_e32 v23, v107, v5
	s_clause 0x1
	scratch_load_b32 v107, off, off offset:1232
	scratch_load_b32 v5, off, off offset:160
	s_waitcnt vmcnt(2)
	v_mul_i32_i24_e32 v73, v118, v106
	v_mov_b32_e32 v118, v199
	s_waitcnt vmcnt(1)
	v_mul_i32_i24_e32 v69, v108, v107
	v_mov_b32_e32 v108, v189
	s_delay_alu instid0(VALU_DEP_2)
	v_add3_u32 v4, v4, v23, v69
	v_mul_i32_i24_e32 v23, v111, v212
	v_mul_i32_i24_e32 v69, v113, v9
	v_mov_b32_e32 v113, v209
	v_mov_b32_e32 v111, v11
	v_add3_u32 v4, v4, v71, v72
	v_mul_i32_i24_e32 v71, v114, v255
	v_mad_i32_i24 v23, v112, v81, v23
	v_mul_i32_i24_e32 v72, v117, v105
	v_mov_b32_e32 v114, v210
	v_mul_lo_u32 v4, v4, v79
	v_mov_b32_e32 v112, v10
	v_add3_u32 v23, v23, v69, v71
	v_mul_i32_i24_e32 v69, v115, v132
	v_mul_i32_i24_e32 v71, v116, v7
	v_dual_mov_b32 v115, v208 :: v_dual_mov_b32 v116, v207
	v_mov_b32_e32 v109, v190
	v_cvt_f32_i32_e32 v4, v4
	s_delay_alu instid0(VALU_DEP_4)
	v_add3_u32 v23, v23, v69, v71
	v_mul_i32_i24_e32 v69, v119, v13
	v_mul_i32_i24_e32 v71, v120, v130
	v_mov_b32_e32 v119, v200
	v_fma_mix_f32 v4, v0, v4, 0 op_sel_hi:[1,0,0]
	v_add3_u32 v23, v23, v72, v73
	v_mul_i32_i24_e32 v72, v121, v11
	v_mul_i32_i24_e32 v73, v122, v12
	v_fma_mix_f32 v0, v80, v0, 0 op_sel:[0,1,0] op_sel_hi:[0,1,0]
	v_mov_b32_e32 v122, v203
	v_add3_u32 v23, v23, v69, v71
	v_mul_i32_i24_e32 v69, v123, v10
	v_mul_i32_i24_e32 v71, v124, v209
	v_fma_mix_f32 v0, v188, v1, v0 op_sel:[0,1,0] op_sel_hi:[0,1,0]
	v_bfe_i32 v209, v153, 16, 8
	v_add3_u32 v23, v23, v72, v73
	v_mul_i32_i24_e32 v72, v125, v210
	v_mul_i32_i24_e32 v73, v168, v208
	v_bfe_i32 v208, v153, 0, 8
	v_ashrrev_i32_e32 v210, 24, v153
	v_add3_u32 v23, v23, v69, v71
	v_mul_i32_i24_e32 v69, v169, v207
	v_mul_i32_i24_e32 v71, v170, v204
	v_bfe_i32 v207, v153, 8, 8
	v_mul_f32_e32 v0, v0, v189
	v_add3_u32 v23, v23, v72, v73
	v_mul_i32_i24_e32 v72, v171, v205
	v_mul_i32_i24_e32 v73, v164, v206
	v_bfe_i32 v188, v154, 8, 8
	v_bfe_i32 v189, v154, 16, 8
	v_add3_u32 v23, v23, v69, v71
	v_mul_i32_i24_e32 v69, v172, v200
	v_mul_i32_i24_e32 v71, v173, v201
	v_mov_b32_e32 v123, v204
	v_mul_i32_i24_e32 v74, v189, v34
	v_add3_u32 v23, v23, v72, v73
	v_mul_i32_i24_e32 v72, v174, v202
	v_mul_i32_i24_e32 v73, v165, v203
	v_dual_mov_b32 v124, v205 :: v_dual_mov_b32 v125, v206
	s_delay_alu instid0(VALU_DEP_4) | instskip(SKIP_3) | instid1(VALU_DEP_4)
	v_add3_u32 v23, v23, v69, v71
	v_mul_i32_i24_e32 v69, v175, v196
	v_mul_i32_i24_e32 v71, v176, v197
	v_dual_mov_b32 v13, v130 :: v_dual_mov_b32 v120, v201
	v_add3_u32 v23, v23, v72, v73
	v_mul_i32_i24_e32 v72, v177, v198
	v_mul_i32_i24_e32 v73, v166, v199
	v_mov_b32_e32 v121, v202
	v_mov_b32_e32 v117, v198
	v_add3_u32 v23, v23, v69, v71
	v_mul_i32_i24_e32 v69, v178, v192
	v_mul_i32_i24_e32 v71, v179, v193
	scratch_load_b32 v11, off, off offset:1088 ; 4-byte Folded Reload
	v_mov_b32_e32 v10, v31
	v_add3_u32 v23, v23, v72, v73
	v_mul_i32_i24_e32 v72, v180, v194
	v_mul_i32_i24_e32 v73, v167, v195
	v_bfe_i32 v180, v156, 8, 8
	scratch_load_b32 v34, off, off offset:480 ; 4-byte Folded Reload
	v_add3_u32 v23, v23, v69, v71
	scratch_load_b32 v130, off, off offset:772 ; 4-byte Folded Reload
	v_mov_b32_e32 v12, v52
	v_add3_u32 v23, v23, v72, v73
	v_mul_i32_i24_e32 v72, v209, v32
	v_mul_i32_i24_e32 v73, v210, v90
	v_mov_b32_e32 v32, v131
	s_delay_alu instid0(VALU_DEP_4) | instskip(NEXT) | instid1(VALU_DEP_1)
	v_mul_lo_u32 v23, v23, v191
	v_cvt_f32_i32_e32 v23, v23
	s_delay_alu instid0(VALU_DEP_1)
	v_fma_mix_f32 v4, v1, v23, v4 op_sel_hi:[1,0,0]
	scratch_load_b32 v1, off, off offset:1080 ; 4-byte Folded Reload
	v_mul_i32_i24_e32 v23, v208, v31
	v_mov_b32_e32 v31, v146
	v_fma_f32 v0, v4, v190, -v0
	v_ashrrev_i32_e32 v190, 24, v154
	s_delay_alu instid0(VALU_DEP_4)
	v_mad_i32_i24 v23, v207, v148, v23
	ds_load_b128 v[153:156], v216 offset:3088
	scratch_load_b32 v148, off, off offset:192 ; 4-byte Folded Reload
	v_mul_i32_i24_e32 v76, v190, v70
	v_add3_u32 v23, v23, v72, v73
	v_mul_i32_i24_e32 v72, v187, v215
	v_mul_i32_i24_e32 v73, v188, v53
	scratch_load_b32 v53, off, off offset:528 ; 4-byte Folded Reload
	v_mov_b32_e32 v70, v147
	v_add3_u32 v23, v23, v72, v73
	v_mul_i32_i24_e32 v72, v183, v89
	v_mul_i32_i24_e32 v73, v184, v146
	scratch_load_b32 v146, off, off offset:476 ; 4-byte Folded Reload
	v_add3_u32 v23, v23, v74, v76
	v_mul_i32_i24_e32 v74, v185, v147
	v_mul_i32_i24_e32 v76, v186, v68
	scratch_load_b32 v68, off, off offset:120 ; 4-byte Folded Reload
	s_waitcnt lgkmcnt(0)
	v_bfe_i32 v203, v153, 0, 8
	v_add3_u32 v23, v23, v72, v73
	v_mul_i32_i24_e32 v72, v163, v131
	v_mul_i32_i24_e32 v73, v180, v15
	v_bfe_i32 v204, v153, 8, 8
	v_bfe_i32 v205, v153, 16, 8
	v_add3_u32 v23, v23, v74, v76
	v_mul_i32_i24_e32 v74, v181, v14
	v_mul_i32_i24_e32 v76, v182, v228
	v_ashrrev_i32_e32 v206, 24, v153
	v_bfe_i32 v199, v154, 0, 8
	v_add3_u32 v23, v23, v72, v73
	v_mul_i32_i24_e32 v72, v203, v83
	v_mul_i32_i24_e32 v73, v204, v82
	v_bfe_i32 v200, v154, 8, 8
	v_bfe_i32 v201, v154, 16, 8
	v_add3_u32 v23, v23, v74, v76
	v_mul_i32_i24_e32 v74, v205, v85
	v_mul_i32_i24_e32 v76, v206, v66
	v_ashrrev_i32_e32 v202, 24, v154
	v_bfe_i32 v195, v155, 0, 8
	v_add3_u32 v23, v23, v72, v73
	v_bfe_i32 v196, v155, 8, 8
	v_bfe_i32 v197, v155, 16, 8
	v_ashrrev_i32_e32 v198, 24, v155
	v_bfe_i32 v191, v156, 0, 8
	v_bfe_i32 v192, v156, 8, 8
	;; [unrolled: 1-line block ×3, first 2 shown]
	v_ashrrev_i32_e32 v194, 24, v156
	ds_load_b128 v[153:156], v216 offset:3104
	v_add3_u32 v23, v23, v74, v76
	v_mul_i32_i24_e32 v72, v199, v86
	v_mul_i32_i24_e32 v73, v200, v95
	;; [unrolled: 1-line block ×4, first 2 shown]
	v_mov_b32_e32 v14, v22
	scratch_load_b32 v131, off, off offset:4 ; 4-byte Folded Reload
	v_add3_u32 v23, v23, v72, v73
	v_mul_i32_i24_e32 v72, v195, v93
	v_mul_i32_i24_e32 v73, v196, v94
	v_mov_b32_e32 v228, v87
	v_mov_b32_e32 v82, v36
	v_add3_u32 v23, v23, v74, v76
	v_mul_i32_i24_e32 v74, v197, v100
	v_mul_i32_i24_e32 v76, v198, v97
	s_delay_alu instid0(VALU_DEP_3)
	v_add3_u32 v23, v23, v72, v73
	v_mul_i32_i24_e32 v72, v191, v96
	s_waitcnt lgkmcnt(0)
	v_bfe_i32 v177, v153, 0, 8
	v_mul_i32_i24_e32 v73, v192, v98
	v_bfe_i32 v176, v153, 8, 8
	v_add3_u32 v23, v23, v74, v76
	v_bfe_i32 v178, v153, 16, 8
	v_ashrrev_i32_e32 v179, 24, v153
	v_mul_i32_i24_e32 v74, v193, v22
	v_mul_i32_i24_e32 v76, v194, v37
	v_add3_u32 v23, v23, v72, v73
	v_mul_i32_i24_e32 v73, v177, v149
	v_bfe_i32 v172, v154, 0, 8
	v_bfe_i32 v173, v154, 8, 8
	;; [unrolled: 1-line block ×3, first 2 shown]
	v_add3_u32 v23, v23, v74, v76
	v_mul_i32_i24_e32 v74, v178, v150
	v_mul_i32_i24_e32 v76, v179, v151
	v_mad_i32_i24 v73, v176, v103, v73
	v_ashrrev_i32_e32 v175, 24, v154
	v_bfe_i32 v168, v155, 0, 8
	v_bfe_i32 v169, v155, 8, 8
	;; [unrolled: 1-line block ×3, first 2 shown]
	v_add3_u32 v73, v73, v74, v76
	v_mul_i32_i24_e32 v74, v172, v67
	v_mul_i32_i24_e32 v76, v173, v152
	v_ashrrev_i32_e32 v171, 24, v155
	v_bfe_i32 v164, v156, 0, 8
	v_bfe_i32 v165, v156, 8, 8
	;; [unrolled: 1-line block ×3, first 2 shown]
	v_ashrrev_i32_e32 v167, 24, v156
	ds_load_b128 v[153:156], v216 offset:3120
	v_mul_i32_i24_e32 v77, v174, v63
	v_mul_i32_i24_e32 v78, v175, v219
	v_add3_u32 v73, v73, v74, v76
	v_mul_i32_i24_e32 v74, v168, v221
	v_mul_i32_i24_e32 v76, v169, v222
	v_mul_lo_u32 v23, v23, v101
	v_fma_mix_f32 v72, v102, v2, 0 op_sel:[0,1,0] op_sel_hi:[0,1,0]
	v_add3_u32 v73, v73, v77, v78
	v_mul_i32_i24_e32 v77, v170, v223
	v_mul_i32_i24_e32 v78, v171, v224
	scratch_load_b32 v151, off, off offset:484 ; 4-byte Folded Reload
	v_fma_mix_f32 v72, v252, v3, v72 op_sel:[0,1,0] op_sel_hi:[0,1,0]
	v_add3_u32 v73, v73, v74, v76
	v_mul_i32_i24_e32 v74, v164, v225
	v_mul_i32_i24_e32 v76, v165, v226
	v_cvt_f32_i32_e32 v23, v23
	v_mul_f32_e32 v72, v72, v44
	v_add3_u32 v73, v73, v77, v78
	v_mul_i32_i24_e32 v77, v166, v227
	s_waitcnt lgkmcnt(0)
	v_bfe_i32 v162, v153, 0, 8
	v_bfe_i32 v159, v153, 8, 8
	v_mul_i32_i24_e32 v78, v167, v229
	v_add3_u32 v73, v73, v74, v76
	v_bfe_i32 v160, v153, 16, 8
	v_ashrrev_i32_e32 v161, 24, v153
	v_mul_i32_i24_e32 v74, v162, v230
	v_mul_i32_i24_e32 v76, v159, v231
	v_add3_u32 v73, v73, v77, v78
	v_bfe_i32 v142, v154, 0, 8
	v_bfe_i32 v143, v154, 8, 8
	v_mul_i32_i24_e32 v77, v160, v232
	v_mul_i32_i24_e32 v78, v161, v233
	v_add3_u32 v73, v73, v74, v76
	v_bfe_i32 v157, v154, 16, 8
	v_ashrrev_i32_e32 v158, 24, v154
	v_mul_i32_i24_e32 v74, v142, v234
	v_mul_i32_i24_e32 v76, v143, v235
	v_add3_u32 v73, v73, v77, v78
	v_bfe_i32 v75, v155, 0, 8
	v_bfe_i32 v126, v155, 8, 8
	v_mul_i32_i24_e32 v77, v157, v236
	v_mul_i32_i24_e32 v78, v158, v237
	v_add3_u32 v73, v73, v74, v76
	v_bfe_i32 v4, v155, 16, 8
	v_ashrrev_i32_e32 v153, 24, v155
	v_mul_i32_i24_e32 v74, v75, v238
	v_mul_i32_i24_e32 v76, v126, v220
	v_add3_u32 v73, v73, v77, v78
	v_mul_i32_i24_e32 v77, v4, v239
	v_mul_i32_i24_e32 v78, v153, v240
	v_bfe_i32 v69, v156, 16, 8
	v_ashrrev_i32_e32 v71, 24, v156
	v_add3_u32 v73, v73, v74, v76
	v_fma_mix_f32 v23, v2, v23, 0 op_sel_hi:[1,0,0]
	s_clause 0x1
	scratch_load_b32 v37, off, off offset:864
	scratch_load_b32 v22, off, off offset:868
	v_mov_b32_e32 v150, v38
	v_add3_u32 v73, v73, v77, v78
	v_mul_i32_i24_e32 v77, v69, v248
	v_mul_i32_i24_e32 v78, v71, v249
	s_clause 0x1
	scratch_load_b32 v67, off, off offset:376
	scratch_load_b32 v63, off, off offset:368
	v_dual_mov_b32 v149, v21 :: v_dual_mov_b32 v44, v19
	s_waitcnt vmcnt(10)
	v_add_f32_e32 v1, v1, v0
	v_bfe_i32 v0, v156, 0, 8
	scratch_store_b32 off, v1, off offset:1080 ; 4-byte Folded Spill
	v_bfe_i32 v1, v156, 8, 8
	v_mul_i32_i24_e32 v74, v0, v241
	s_delay_alu instid0(VALU_DEP_2) | instskip(NEXT) | instid1(VALU_DEP_1)
	v_mul_i32_i24_e32 v76, v1, v242
	v_add3_u32 v73, v73, v74, v76
	v_mul_i32_i24_e32 v76, v190, v5
	scratch_load_b32 v5, off, off offset:164 ; 4-byte Folded Reload
	v_add3_u32 v73, v73, v77, v78
	s_waitcnt vmcnt(8)
	v_mul_i32_i24_e32 v74, v189, v146
	v_mul_i32_i24_e32 v77, v174, v40
	;; [unrolled: 1-line block ×3, first 2 shown]
	scratch_load_b32 v54, off, off offset:396 ; 4-byte Folded Reload
	v_mul_lo_u32 v73, v73, v251
	s_delay_alu instid0(VALU_DEP_1) | instskip(NEXT) | instid1(VALU_DEP_1)
	v_cvt_f32_i32_e32 v73, v73
	v_fma_mix_f32 v23, v3, v73, v23 op_sel_hi:[1,0,0]
	v_mul_i32_i24_e32 v73, v210, v148
	s_delay_alu instid0(VALU_DEP_2) | instskip(SKIP_2) | instid1(VALU_DEP_3)
	v_fma_f32 v23, v23, v52, -v72
	v_mul_i32_i24_e32 v72, v209, v20
	v_mov_b32_e32 v52, v39
	v_add_f32_e32 v11, v11, v23
	v_mul_i32_i24_e32 v23, v208, v19
	s_delay_alu instid0(VALU_DEP_1) | instskip(SKIP_1) | instid1(VALU_DEP_2)
	v_mad_i32_i24 v23, v207, v84, v23
	v_mov_b32_e32 v84, v88
	v_add3_u32 v23, v23, v72, v73
	v_mul_i32_i24_e32 v72, v187, v246
	v_mul_i32_i24_e32 v73, v188, v141
	s_delay_alu instid0(VALU_DEP_1) | instskip(SKIP_1) | instid1(VALU_DEP_2)
	v_add3_u32 v23, v23, v72, v73
	v_mul_i32_i24_e32 v73, v184, v51
	v_add3_u32 v23, v23, v74, v76
	v_mul_i32_i24_e32 v74, v185, v34
	v_mul_i32_i24_e32 v76, v186, v244
	s_waitcnt vmcnt(1)
	v_mul_i32_i24_e32 v72, v183, v5
	scratch_load_b32 v5, off, off offset:488 ; 4-byte Folded Reload
	v_add3_u32 v23, v23, v72, v73
	v_mul_i32_i24_e32 v72, v163, v243
	v_mul_i32_i24_e32 v73, v180, v151
	s_delay_alu instid0(VALU_DEP_3) | instskip(NEXT) | instid1(VALU_DEP_1)
	v_add3_u32 v23, v23, v74, v76
	v_add3_u32 v23, v23, v72, v73
	s_waitcnt vmcnt(0)
	v_mul_i32_i24_e32 v74, v181, v5
	scratch_load_b32 v5, off, off offset:492 ; 4-byte Folded Reload
	s_waitcnt vmcnt(0)
	v_mul_i32_i24_e32 v76, v182, v5
	scratch_load_b32 v5, off, off offset:168 ; 4-byte Folded Reload
	v_add3_u32 v23, v23, v74, v76
	s_waitcnt vmcnt(0)
	v_mul_i32_i24_e32 v72, v203, v5
	scratch_load_b32 v5, off, off offset:172 ; 4-byte Folded Reload
	s_waitcnt vmcnt(0)
	v_mul_i32_i24_e32 v73, v204, v5
	scratch_load_b32 v5, off, off offset:176 ; 4-byte Folded Reload
	;; [unrolled: 7-line block ×5, first 2 shown]
	v_add3_u32 v23, v23, v74, v76
	v_mul_i32_i24_e32 v76, v198, v21
	s_waitcnt vmcnt(0)
	v_mul_i32_i24_e32 v72, v195, v5
	scratch_load_b32 v5, off, off offset:200 ; 4-byte Folded Reload
	s_waitcnt vmcnt(0)
	v_mul_i32_i24_e32 v73, v196, v5
	scratch_load_b32 v5, off, off offset:204 ; 4-byte Folded Reload
	v_add3_u32 v23, v23, v72, v73
	v_mul_i32_i24_e32 v72, v191, v36
	v_mul_i32_i24_e32 v73, v192, v38
	scratch_load_b32 v38, off, off offset:900 ; 4-byte Folded Reload
	s_waitcnt vmcnt(1)
	v_mul_i32_i24_e32 v74, v197, v5
	scratch_load_b32 v5, off, off offset:132 ; 4-byte Folded Reload
	v_add3_u32 v23, v23, v74, v76
	v_mul_i32_i24_e32 v74, v193, v39
	v_mul_i32_i24_e32 v76, v194, v41
	s_delay_alu instid0(VALU_DEP_3)
	v_add3_u32 v23, v23, v72, v73
	v_mul_i32_i24_e32 v73, v177, v49
	v_fma_mix_f32 v72, v42, v2, 0 op_sel:[0,1,0] op_sel_hi:[0,1,0]
	scratch_load_b32 v49, off, off offset:364 ; 4-byte Folded Reload
	v_add3_u32 v23, v23, v74, v76
	v_mul_i32_i24_e32 v74, v178, v50
	v_mul_i32_i24_e32 v76, v179, v104
	v_mad_i32_i24 v73, v176, v43, v73
	v_fma_mix_f32 v72, v65, v3, v72 op_sel:[0,1,0] op_sel_hi:[0,1,0]
	v_mul_lo_u32 v23, v23, v35
	s_clause 0x1
	scratch_load_b32 v65, off, off offset:796
	scratch_load_b32 v50, off, off offset:384
	v_add3_u32 v73, v73, v74, v76
	v_mul_i32_i24_e32 v74, v172, v88
	v_mul_i32_i24_e32 v76, v173, v145
	v_mul_f32_e32 v72, v72, v87
	scratch_load_b32 v87, off, off offset:792 ; 4-byte Folded Reload
	v_cvt_f32_i32_e32 v23, v23
	scratch_load_b32 v104, off, off offset:512 ; 4-byte Folded Reload
	v_add3_u32 v73, v73, v74, v76
	v_mul_i32_i24_e32 v74, v168, v55
	v_mul_i32_i24_e32 v76, v169, v56
	v_fma_mix_f32 v23, v2, v23, 0 op_sel_hi:[1,0,0]
	scratch_load_b32 v56, off, off offset:400 ; 4-byte Folded Reload
	v_add3_u32 v73, v73, v77, v78
	v_mul_i32_i24_e32 v77, v170, v58
	v_mul_i32_i24_e32 v78, v171, v59
	scratch_load_b32 v58, off, off offset:784 ; 4-byte Folded Reload
	v_mov_b32_e32 v55, v253
	v_add3_u32 v73, v73, v74, v76
	v_mul_i32_i24_e32 v74, v164, v61
	v_mul_i32_i24_e32 v76, v165, v99
	s_clause 0x1
	scratch_load_b32 v61, off, off offset:524
	scratch_load_b32 v99, off, off offset:508
	v_add3_u32 v73, v73, v77, v78
	v_mul_i32_i24_e32 v77, v166, v27
	v_mul_i32_i24_e32 v78, v167, v28
	v_mov_b32_e32 v35, v10
	s_delay_alu instid0(VALU_DEP_4)
	v_add3_u32 v73, v73, v74, v76
	v_mul_i32_i24_e32 v74, v162, v45
	v_mul_i32_i24_e32 v76, v159, v46
	s_clause 0x1
	scratch_load_b32 v45, off, off offset:380
	scratch_load_b32 v46, off, off offset:392
	v_add3_u32 v73, v73, v77, v78
	v_mul_i32_i24_e32 v77, v160, v247
	v_mul_i32_i24_e32 v78, v161, v26
	s_delay_alu instid0(VALU_DEP_3) | instskip(SKIP_2) | instid1(VALU_DEP_3)
	v_add3_u32 v73, v73, v74, v76
	v_mul_i32_i24_e32 v74, v142, v24
	v_mul_i32_i24_e32 v76, v143, v25
	v_add3_u32 v73, v73, v77, v78
	v_mul_i32_i24_e32 v77, v157, v140
	v_mul_i32_i24_e32 v78, v158, v57
	scratch_load_b32 v57, off, off offset:804 ; 4-byte Folded Reload
	v_add3_u32 v73, v73, v74, v76
	v_mul_i32_i24_e32 v74, v75, v62
	v_mul_i32_i24_e32 v76, v126, v64
	s_clause 0x1
	scratch_load_b32 v62, off, off offset:780
	scratch_load_b32 v64, off, off offset:788
	v_add3_u32 v73, v73, v77, v78
	v_mul_i32_i24_e32 v77, v4, v245
	v_mul_i32_i24_e32 v78, v153, v127
	s_delay_alu instid0(VALU_DEP_3) | instskip(SKIP_2) | instid1(VALU_DEP_3)
	v_add3_u32 v73, v73, v74, v76
	v_mul_i32_i24_e32 v74, v0, v128
	v_mul_i32_i24_e32 v76, v1, v129
	v_add3_u32 v73, v73, v77, v78
	v_mul_i32_i24_e32 v77, v69, v29
	v_mul_i32_i24_e32 v78, v71, v30
	scratch_load_b32 v29, off, off offset:872 ; 4-byte Folded Reload
	v_mov_b32_e32 v30, v15
	v_add3_u32 v73, v73, v74, v76
	s_delay_alu instid0(VALU_DEP_1) | instskip(SKIP_1) | instid1(VALU_DEP_2)
	v_add3_u32 v73, v73, v77, v78
	v_mul_i32_i24_e32 v78, v175, v135
	v_mul_lo_u32 v73, v73, v33
	scratch_load_b32 v33, off, off offset:876 ; 4-byte Folded Reload
	v_cvt_f32_i32_e32 v73, v73
	s_delay_alu instid0(VALU_DEP_1) | instskip(NEXT) | instid1(VALU_DEP_1)
	v_fma_mix_f32 v23, v3, v73, v23 op_sel_hi:[1,0,0]
	v_fma_f32 v23, v23, v18, -v72
	v_mov_b32_e32 v18, v246
	s_delay_alu instid0(VALU_DEP_2)
	v_add_f32_e32 v6, v6, v23
	v_mov_b32_e32 v89, v66
	scratch_load_b32 v66, off, off offset:768 ; 4-byte Folded Reload
	scratch_store_b32 off, v6, off offset:1092 ; 4-byte Folded Spill
	scratch_load_b32 v6, off, off offset:92 ; 4-byte Folded Reload
	s_waitcnt vmcnt(18)
	v_mul_i32_i24_e32 v23, v208, v5
	scratch_load_b32 v5, off, off offset:16 ; 4-byte Folded Reload
	s_waitcnt vmcnt(0)
	v_mul_i32_i24_e32 v72, v209, v5
	;; [unrolled: 3-line block ×3, first 2 shown]
	scratch_load_b32 v5, off, off offset:12 ; 4-byte Folded Reload
	s_waitcnt vmcnt(0)
	v_mad_i32_i24 v23, v207, v5, v23
	scratch_load_b32 v5, off, off offset:208 ; 4-byte Folded Reload
	v_add3_u32 v23, v23, v72, v73
	s_waitcnt vmcnt(0)
	v_mul_i32_i24_e32 v72, v187, v5
	scratch_load_b32 v5, off, off offset:124 ; 4-byte Folded Reload
	s_waitcnt vmcnt(0)
	v_mul_i32_i24_e32 v73, v188, v5
	scratch_load_b32 v5, off, off offset:420 ; 4-byte Folded Reload
	v_add3_u32 v23, v23, v72, v73
	s_waitcnt vmcnt(0)
	v_mul_i32_i24_e32 v74, v189, v5
	scratch_load_b32 v5, off, off offset:424 ; 4-byte Folded Reload
	s_waitcnt vmcnt(0)
	v_mul_i32_i24_e32 v76, v190, v5
	;; [unrolled: 7-line block ×6, first 2 shown]
	scratch_load_b32 v5, off, off offset:456 ; 4-byte Folded Reload
	v_add3_u32 v23, v23, v74, v76
	v_mul_i32_i24_e32 v76, v206, v37
	s_waitcnt vmcnt(0)
	v_mul_i32_i24_e32 v72, v203, v5
	scratch_load_b32 v5, off, off offset:136 ; 4-byte Folded Reload
	s_waitcnt vmcnt(0)
	v_mul_i32_i24_e32 v73, v204, v5
	scratch_load_b32 v5, off, off offset:140 ; 4-byte Folded Reload
	v_add3_u32 v23, v23, v72, v73
	s_waitcnt vmcnt(0)
	v_mul_i32_i24_e32 v74, v205, v5
	scratch_load_b32 v5, off, off offset:460 ; 4-byte Folded Reload
	v_add3_u32 v23, v23, v74, v76
	v_mul_i32_i24_e32 v74, v201, v22
	s_waitcnt vmcnt(0)
	v_mul_i32_i24_e32 v72, v199, v5
	scratch_load_b32 v5, off, off offset:464 ; 4-byte Folded Reload
	s_waitcnt vmcnt(0)
	v_mul_i32_i24_e32 v73, v200, v5
	scratch_load_b32 v5, off, off offset:468 ; 4-byte Folded Reload
	v_add3_u32 v23, v23, v72, v73
	v_mul_i32_i24_e32 v73, v196, v29
	s_waitcnt vmcnt(0)
	v_mul_i32_i24_e32 v76, v202, v5
	scratch_load_b32 v5, off, off offset:144 ; 4-byte Folded Reload
	v_add3_u32 v23, v23, v74, v76
	v_mul_i32_i24_e32 v76, v198, v6
	scratch_load_b32 v6, off, off offset:96 ; 4-byte Folded Reload
	v_mul_i32_i24_e32 v74, v197, v33
	s_waitcnt vmcnt(1)
	v_mul_i32_i24_e32 v72, v195, v5
	scratch_load_b32 v5, off, off offset:472 ; 4-byte Folded Reload
	v_add3_u32 v23, v23, v72, v73
	s_waitcnt vmcnt(1)
	v_mul_i32_i24_e32 v73, v192, v6
	scratch_load_b32 v6, off, off offset:100 ; 4-byte Folded Reload
	v_add3_u32 v23, v23, v74, v76
	;; [unrolled: 4-line block ×3, first 2 shown]
	s_waitcnt vmcnt(1)
	v_mul_i32_i24_e32 v74, v193, v6
	scratch_load_b32 v6, off, off offset:348 ; 4-byte Folded Reload
	s_waitcnt vmcnt(0)
	v_mul_i32_i24_e32 v76, v194, v6
	scratch_load_b32 v6, off, off offset:352 ; 4-byte Folded Reload
	v_add3_u32 v23, v23, v74, v76
	s_waitcnt vmcnt(0)
	s_delay_alu instid0(VALU_DEP_1) | instskip(SKIP_2) | instid1(VALU_DEP_1)
	v_mul_lo_u32 v23, v23, v6
	scratch_load_b32 v6, off, off offset:104 ; 4-byte Folded Reload
	v_cvt_f32_i32_e32 v23, v23
	v_fma_mix_f32 v23, v2, v23, 0 op_sel_hi:[1,0,0]
	s_waitcnt vmcnt(0)
	v_fma_mix_f32 v72, v6, v2, 0 op_sel:[0,1,0] op_sel_hi:[0,1,0]
	scratch_load_b32 v6, off, off offset:108 ; 4-byte Folded Reload
	v_fma_mix_f32 v72, v136, v3, v72 op_sel:[0,1,0] op_sel_hi:[0,1,0]
	s_delay_alu instid0(VALU_DEP_1)
	v_mul_f32_e32 v72, v72, v139
	s_waitcnt vmcnt(0)
	v_mul_i32_i24_e32 v73, v177, v6
	scratch_load_b32 v6, off, off offset:112 ; 4-byte Folded Reload
	v_mad_i32_i24 v73, v176, v5, v73
	scratch_load_b32 v5, off, off offset:148 ; 4-byte Folded Reload
	s_waitcnt vmcnt(1)
	v_mul_i32_i24_e32 v74, v178, v6
	scratch_load_b32 v6, off, off offset:116 ; 4-byte Folded Reload
	s_waitcnt vmcnt(0)
	v_mul_i32_i24_e32 v76, v179, v6
	scratch_load_b32 v6, off, off offset:28 ; 4-byte Folded Reload
	v_add3_u32 v73, v73, v74, v76
	v_mul_i32_i24_e32 v74, v172, v38
	v_mul_i32_i24_e32 v76, v173, v5
	scratch_load_b32 v5, off, off offset:152 ; 4-byte Folded Reload
	v_add3_u32 v73, v73, v74, v76
	s_waitcnt vmcnt(1)
	v_mul_i32_i24_e32 v74, v168, v6
	scratch_load_b32 v6, off, off offset:32 ; 4-byte Folded Reload
	s_waitcnt vmcnt(1)
	v_mul_i32_i24_e32 v77, v174, v5
	scratch_load_b32 v5, off, off offset:360 ; 4-byte Folded Reload
	v_add3_u32 v73, v73, v77, v78
	s_waitcnt vmcnt(1)
	v_mul_i32_i24_e32 v76, v169, v6
	scratch_load_b32 v6, off, off offset:36 ; 4-byte Folded Reload
	v_add3_u32 v73, v73, v74, v76
	s_waitcnt vmcnt(1)
	v_mul_i32_i24_e32 v78, v171, v5
	scratch_load_b32 v5, off, off offset:408 ; 4-byte Folded Reload
	s_waitcnt vmcnt(1)
	v_mul_i32_i24_e32 v77, v170, v6
	scratch_load_b32 v6, off, off offset:40 ; 4-byte Folded Reload
	v_add3_u32 v73, v73, v77, v78
	s_waitcnt vmcnt(0)
	v_mul_i32_i24_e32 v74, v164, v6
	scratch_load_b32 v6, off, off offset:44 ; 4-byte Folded Reload
	s_waitcnt vmcnt(0)
	v_mul_i32_i24_e32 v76, v165, v6
	scratch_load_b32 v6, off, off offset:48 ; 4-byte Folded Reload
	v_add3_u32 v73, v73, v74, v76
	s_waitcnt vmcnt(0)
	v_mul_i32_i24_e32 v77, v166, v6
	scratch_load_b32 v6, off, off offset:316 ; 4-byte Folded Reload
	s_waitcnt vmcnt(0)
	v_mul_i32_i24_e32 v78, v167, v6
	scratch_load_b32 v6, off, off offset:52 ; 4-byte Folded Reload
	v_add3_u32 v73, v73, v77, v78
	s_waitcnt vmcnt(0)
	v_mul_i32_i24_e32 v74, v162, v6
	scratch_load_b32 v6, off, off offset:56 ; 4-byte Folded Reload
	s_waitcnt vmcnt(0)
	v_mul_i32_i24_e32 v76, v159, v6
	scratch_load_b32 v6, off, off offset:60 ; 4-byte Folded Reload
	v_add3_u32 v73, v73, v74, v76
	s_waitcnt vmcnt(0)
	v_mul_i32_i24_e32 v77, v160, v6
	scratch_load_b32 v6, off, off offset:320 ; 4-byte Folded Reload
	s_waitcnt vmcnt(0)
	v_mul_i32_i24_e32 v78, v161, v6
	scratch_load_b32 v6, off, off offset:64 ; 4-byte Folded Reload
	v_add3_u32 v73, v73, v77, v78
	s_waitcnt vmcnt(0)
	v_mul_i32_i24_e32 v74, v142, v6
	scratch_load_b32 v6, off, off offset:68 ; 4-byte Folded Reload
	s_waitcnt vmcnt(0)
	v_mul_i32_i24_e32 v76, v143, v6
	scratch_load_b32 v6, off, off offset:72 ; 4-byte Folded Reload
	v_add3_u32 v73, v73, v74, v76
	s_waitcnt vmcnt(0)
	v_mul_i32_i24_e32 v77, v157, v6
	scratch_load_b32 v6, off, off offset:324 ; 4-byte Folded Reload
	s_waitcnt vmcnt(0)
	v_mul_i32_i24_e32 v78, v158, v6
	scratch_load_b32 v6, off, off offset:76 ; 4-byte Folded Reload
	v_add3_u32 v73, v73, v77, v78
	s_waitcnt vmcnt(0)
	v_mul_i32_i24_e32 v74, v75, v6
	scratch_load_b32 v6, off, off offset:80 ; 4-byte Folded Reload
	s_waitcnt vmcnt(0)
	v_mul_i32_i24_e32 v76, v126, v6
	scratch_load_b32 v6, off, off offset:84 ; 4-byte Folded Reload
	v_add3_u32 v73, v73, v74, v76
	s_waitcnt vmcnt(0)
	v_mul_i32_i24_e32 v77, v4, v6
	scratch_load_b32 v6, off, off offset:328 ; 4-byte Folded Reload
	s_waitcnt vmcnt(0)
	v_mul_i32_i24_e32 v78, v153, v6
	scratch_load_b32 v6, off, off offset:88 ; 4-byte Folded Reload
	v_add3_u32 v73, v73, v77, v78
	s_waitcnt vmcnt(0)
	v_mul_i32_i24_e32 v74, v0, v6
	scratch_load_b32 v6, off, off offset:332 ; 4-byte Folded Reload
	s_waitcnt vmcnt(0)
	v_mul_i32_i24_e32 v76, v1, v6
	scratch_load_b32 v6, off, off offset:336 ; 4-byte Folded Reload
	v_add3_u32 v73, v73, v74, v76
	v_mul_i32_i24_e32 v74, v189, v87
	v_mul_i32_i24_e32 v76, v190, v67
	s_clause 0x1
	scratch_load_b32 v189, off, off offset:228
	scratch_load_b32 v190, off, off offset:216
	s_waitcnt vmcnt(2)
	v_mul_i32_i24_e32 v77, v69, v6
	scratch_load_b32 v6, off, off offset:340 ; 4-byte Folded Reload
	s_waitcnt vmcnt(2)
	v_mul_i32_i24_e32 v1, v1, v189
	s_waitcnt vmcnt(0)
	v_mul_i32_i24_e32 v78, v71, v6
	scratch_load_b32 v6, off, off offset:344 ; 4-byte Folded Reload
	v_add3_u32 v73, v73, v77, v78
	s_waitcnt vmcnt(0)
	s_delay_alu instid0(VALU_DEP_1) | instskip(SKIP_2) | instid1(VALU_DEP_1)
	v_mul_lo_u32 v73, v73, v6
	scratch_load_b32 v6, off, off offset:1096 ; 4-byte Folded Reload
	v_cvt_f32_i32_e32 v73, v73
	v_fma_mix_f32 v23, v3, v73, v23 op_sel_hi:[1,0,0]
	v_mul_i32_i24_e32 v73, v210, v211
	v_dual_mov_b32 v210, v110 :: v_dual_mov_b32 v133, v28
	v_mov_b32_e32 v24, v137
	s_delay_alu instid0(VALU_DEP_4) | instskip(SKIP_2) | instid1(VALU_DEP_2)
	v_fma_f32 v23, v23, v17, -v72
	v_mul_i32_i24_e32 v72, v209, v131
	s_waitcnt vmcnt(0)
	v_dual_mov_b32 v209, v111 :: v_dual_add_f32 v6, v6, v23
	v_mul_i32_i24_e32 v23, v208, v5
	v_dual_mov_b32 v208, v13 :: v_dual_mov_b32 v147, v51
	scratch_load_b32 v51, off, off offset:388 ; 4-byte Folded Reload
	v_mov_b32_e32 v127, v14
	v_mad_i32_i24 v23, v207, v213, v23
	v_mov_b32_e32 v14, v152
	v_mov_b32_e32 v5, v8
	;; [unrolled: 1-line block ×3, first 2 shown]
	scratch_store_b32 off, v6, off offset:1096 ; 4-byte Folded Spill
	v_add3_u32 v23, v23, v72, v73
	v_mul_i32_i24_e32 v72, v187, v68
	v_mul_i32_i24_e32 v73, v188, v130
	scratch_load_b32 v188, off, off offset:224 ; 4-byte Folded Reload
	v_add3_u32 v23, v23, v72, v73
	v_mul_i32_i24_e32 v72, v183, v66
	v_mul_i32_i24_e32 v73, v184, v61
	s_delay_alu instid0(VALU_DEP_3) | instskip(SKIP_2) | instid1(VALU_DEP_3)
	v_add3_u32 v23, v23, v74, v76
	v_mul_i32_i24_e32 v74, v185, v62
	v_mul_i32_i24_e32 v76, v186, v53
	v_add3_u32 v23, v23, v72, v73
	v_mul_i32_i24_e32 v72, v163, v217
	v_mul_i32_i24_e32 v73, v180, v218
	s_delay_alu instid0(VALU_DEP_3) | instskip(SKIP_2) | instid1(VALU_DEP_3)
	v_add3_u32 v23, v23, v74, v76
	v_mul_i32_i24_e32 v74, v181, v58
	v_mul_i32_i24_e32 v76, v182, v49
	v_add3_u32 v23, v23, v72, v73
	v_mul_i32_i24_e32 v72, v203, v63
	v_mul_i32_i24_e32 v73, v204, v64
	v_dual_mov_b32 v204, v112 :: v_dual_mov_b32 v21, v59
	s_delay_alu instid0(VALU_DEP_4)
	v_add3_u32 v23, v23, v74, v76
	v_mul_i32_i24_e32 v74, v205, v65
	v_mul_i32_i24_e32 v76, v206, v45
	v_mov_b32_e32 v59, v107
	v_mov_b32_e32 v205, v113
	v_add3_u32 v23, v23, v72, v73
	v_mul_i32_i24_e32 v72, v199, v48
	v_mul_i32_i24_e32 v73, v200, v50
	v_mov_b32_e32 v206, v114
	v_mov_b32_e32 v200, v116
	v_add3_u32 v23, v23, v74, v76
	v_mul_i32_i24_e32 v76, v202, v46
	v_dual_mov_b32 v202, v124 :: v_dual_mov_b32 v215, v41
	v_mov_b32_e32 v10, v31
	s_delay_alu instid0(VALU_DEP_4)
	v_add3_u32 v23, v23, v72, v73
	v_mul_i32_i24_e32 v72, v195, v54
	v_mul_i32_i24_e32 v73, v196, v55
	v_dual_mov_b32 v196, v119 :: v_dual_mov_b32 v199, v122
	v_dual_mov_b32 v152, v215 :: v_dual_mov_b32 v195, v118
	v_mov_b32_e32 v19, v109
	v_mov_b32_e32 v135, v146
	s_waitcnt vmcnt(1)
	v_mul_i32_i24_e32 v74, v201, v51
	v_mov_b32_e32 v201, v123
	v_mov_b32_e32 v39, v243
	s_delay_alu instid0(VALU_DEP_3)
	v_add3_u32 v23, v23, v74, v76
	v_mul_i32_i24_e32 v74, v197, v56
	v_mul_i32_i24_e32 v76, v198, v47
	v_mov_b32_e32 v198, v121
	v_mov_b32_e32 v203, v125
	v_add3_u32 v23, v23, v72, v73
	v_mul_i32_i24_e32 v73, v192, v59
	scratch_load_b32 v192, off, off offset:764 ; 4-byte Folded Reload
	v_mul_i32_i24_e32 v72, v191, v57
	scratch_load_b32 v191, off, off offset:220 ; 4-byte Folded Reload
	v_add3_u32 v23, v23, v74, v76
	v_mul_i32_i24_e32 v74, v193, v144
	scratch_load_b32 v193, off, off offset:760 ; 4-byte Folded Reload
	v_mul_i32_i24_e32 v76, v194, v60
	v_mov_b32_e32 v197, v120
	v_add3_u32 v23, v23, v72, v73
	v_mul_i32_i24_e32 v72, v178, v9
	v_mul_i32_i24_e32 v73, v179, v255
	v_mov_b32_e32 v194, v117
	s_waitcnt vmcnt(3)
	v_mul_i32_i24_e32 v0, v0, v188
	v_add3_u32 v23, v23, v74, v76
	v_mul_i32_i24_e32 v74, v174, v105
	v_mul_i32_i24_e32 v76, v175, v106
	;; [unrolled: 1-line block ×3, first 2 shown]
	v_mov_b32_e32 v60, v108
	v_mul_lo_u32 v23, v23, v79
	s_delay_alu instid0(VALU_DEP_1) | instskip(NEXT) | instid1(VALU_DEP_1)
	v_cvt_f32_i32_e32 v23, v23
	v_fma_mix_f32 v163, v2, v23, 0 op_sel_hi:[1,0,0]
	v_mul_i32_i24_e32 v23, v177, v212
	v_fma_mix_f32 v2, v80, v2, 0 op_sel:[0,1,0] op_sel_hi:[0,1,0]
	s_delay_alu instid0(VALU_DEP_2) | instskip(NEXT) | instid1(VALU_DEP_1)
	v_mad_i32_i24 v23, v176, v81, v23
	v_add3_u32 v23, v23, v72, v73
	v_mul_i32_i24_e32 v72, v172, v132
	v_mul_i32_i24_e32 v73, v173, v7
	v_mov_b32_e32 v132, v20
	v_dual_mov_b32 v20, v147 :: v_dual_mov_b32 v27, v32
	v_mov_b32_e32 v7, v214
	s_delay_alu instid0(VALU_DEP_4) | instskip(SKIP_2) | instid1(VALU_DEP_3)
	v_add3_u32 v23, v23, v72, v73
	v_mul_i32_i24_e32 v72, v168, v5
	v_mul_i32_i24_e32 v73, v169, v208
	v_add3_u32 v23, v23, v74, v76
	v_mul_i32_i24_e32 v74, v170, v209
	v_mul_i32_i24_e32 v76, v171, v210
	s_delay_alu instid0(VALU_DEP_3) | instskip(SKIP_2) | instid1(VALU_DEP_3)
	v_add3_u32 v23, v23, v72, v73
	v_mul_i32_i24_e32 v72, v164, v204
	v_mul_i32_i24_e32 v73, v165, v205
	v_add3_u32 v23, v23, v74, v76
	v_mul_i32_i24_e32 v74, v166, v206
	v_mul_i32_i24_e32 v76, v167, v207
	s_delay_alu instid0(VALU_DEP_3) | instskip(SKIP_2) | instid1(VALU_DEP_3)
	;; [unrolled: 7-line block ×3, first 2 shown]
	v_add3_u32 v23, v23, v72, v73
	v_mul_i32_i24_e32 v72, v142, v196
	v_mul_i32_i24_e32 v73, v143, v197
	v_add3_u32 v23, v23, v74, v76
	v_mul_i32_i24_e32 v74, v157, v198
	v_mul_i32_i24_e32 v76, v158, v199
	s_delay_alu instid0(VALU_DEP_3) | instskip(NEXT) | instid1(VALU_DEP_1)
	v_add3_u32 v23, v23, v72, v73
	v_add3_u32 v23, v23, v74, v76
	v_mul_i32_i24_e32 v74, v153, v195
	s_waitcnt vmcnt(2)
	v_mul_i32_i24_e32 v72, v75, v192
	s_waitcnt vmcnt(0)
	v_mul_i32_i24_e32 v73, v126, v193
	s_delay_alu instid0(VALU_DEP_1) | instskip(NEXT) | instid1(VALU_DEP_1)
	v_add3_u32 v23, v23, v72, v73
	v_add3_u32 v4, v23, v4, v74
	v_mul_i32_i24_e32 v23, v69, v190
	v_mul_i32_i24_e32 v69, v71, v191
	s_delay_alu instid0(VALU_DEP_3) | instskip(SKIP_1) | instid1(VALU_DEP_2)
	v_add3_u32 v0, v4, v0, v1
	v_fma_mix_f32 v1, v99, v3, v2 op_sel:[0,1,0] op_sel_hi:[0,1,0]
	v_add3_u32 v0, v0, v23, v69
	s_delay_alu instid0(VALU_DEP_2) | instskip(NEXT) | instid1(VALU_DEP_2)
	v_mul_f32_e32 v1, v1, v60
	v_mul_lo_u32 v0, v0, v104
	s_delay_alu instid0(VALU_DEP_1) | instskip(NEXT) | instid1(VALU_DEP_1)
	v_cvt_f32_i32_e32 v0, v0
	v_fma_mix_f32 v0, v3, v0, v163 op_sel_hi:[1,0,0]
	s_delay_alu instid0(VALU_DEP_1)
	v_fma_f32 v0, v0, v19, -v1
	scratch_load_b32 v1, off, off offset:1084 ; 4-byte Folded Reload
	s_waitcnt vmcnt(0)
	v_add_f32_e32 v1, v1, v0
	s_clause 0x1
	scratch_store_b32 off, v11, off offset:1088
	scratch_store_b32 off, v1, off offset:1084
	ds_load_b128 v[0:3], v216 offset:4096
	s_waitcnt lgkmcnt(0)
	v_bfe_i32 v161, v0, 0, 8
	v_bfe_i32 v156, v0, 8, 8
	v_bfe_i32 v162, v0, 16, 8
	v_ashrrev_i32_e32 v163, 24, v0
	v_bfe_i32 v157, v1, 0, 8
	v_bfe_i32 v158, v1, 8, 8
	v_bfe_i32 v159, v1, 16, 8
	v_ashrrev_i32_e32 v160, 24, v1
	;; [unrolled: 4-line block ×4, first 2 shown]
	ds_load_b128 v[0:3], v216 offset:4112
	v_mul_i32_i24_e32 v181, v161, v35
	v_mul_i32_i24_e32 v183, v163, v90
	s_delay_alu instid0(VALU_DEP_2)
	v_mad_i32_i24 v181, v156, v24, v181
	s_waitcnt lgkmcnt(0)
	v_bfe_i32 v23, v0, 0, 8
	v_bfe_i32 v72, v0, 8, 8
	;; [unrolled: 1-line block ×3, first 2 shown]
	v_ashrrev_i32_e32 v74, 24, v0
	scratch_load_b32 v0, off, off offset:212 ; 4-byte Folded Reload
	v_bfe_i32 v76, v1, 0, 8
	v_bfe_i32 v77, v1, 8, 8
	v_bfe_i32 v78, v1, 16, 8
	v_ashrrev_i32_e32 v79, 24, v1
	v_bfe_i32 v80, v2, 0, 8
	v_bfe_i32 v81, v2, 8, 8
	v_bfe_i32 v105, v2, 16, 8
	v_ashrrev_i32_e32 v106, 24, v2
	v_bfe_i32 v107, v3, 0, 8
	v_bfe_i32 v108, v3, 8, 8
	v_bfe_i32 v109, v3, 16, 8
	v_ashrrev_i32_e32 v110, 24, v3
	s_waitcnt vmcnt(0)
	ds_load_2addr_b64 v[0:3], v0 offset0:64 offset1:80
	ds_load_b128 v[164:167], v216 offset:4128
	s_clause 0x1b
	scratch_load_b32 v88, off, off offset:776
	scratch_load_b32 v140, off, off offset:880
	;; [unrolled: 1-line block ×28, first 2 shown]
	s_waitcnt lgkmcnt(0)
	v_bfe_i32 v111, v164, 0, 8
	v_bfe_i32 v112, v164, 8, 8
	v_bfe_i32 v113, v164, 16, 8
	v_ashrrev_i32_e32 v114, 24, v164
	v_bfe_i32 v115, v165, 0, 8
	v_bfe_i32 v116, v165, 8, 8
	v_bfe_i32 v117, v165, 16, 8
	v_ashrrev_i32_e32 v118, 24, v165
	;; [unrolled: 4-line block ×4, first 2 shown]
	ds_load_b128 v[164:167], v216 offset:4144
	v_mul_i32_i24_e32 v187, v118, v219
	s_clause 0x5
	scratch_load_b32 v146, off, off offset:492
	scratch_load_b32 v147, off, off offset:168
	;; [unrolled: 1-line block ×6, first 2 shown]
	s_clause 0x2
	scratch_store_b32 off, v24, off offset:932
	scratch_store_b32 off, v18, off offset:928
	;; [unrolled: 1-line block ×3, first 2 shown]
	s_waitcnt lgkmcnt(0)
	v_bfe_i32 v169, v164, 0, 8
	v_bfe_i32 v170, v164, 8, 8
	v_bfe_i32 v171, v164, 16, 8
	v_ashrrev_i32_e32 v164, 24, v164
	v_bfe_i32 v172, v165, 0, 8
	v_bfe_i32 v173, v165, 8, 8
	v_bfe_i32 v174, v165, 16, 8
	v_ashrrev_i32_e32 v165, 24, v165
	;; [unrolled: 4-line block ×4, first 2 shown]
	s_waitcnt vmcnt(33)
	v_mul_i32_i24_e32 v182, v162, v88
	s_waitcnt vmcnt(30)
	v_mul_i32_i24_e32 v184, v159, v25
	s_delay_alu instid0(VALU_DEP_2) | instskip(SKIP_4) | instid1(VALU_DEP_2)
	v_add3_u32 v181, v181, v182, v183
	v_mul_i32_i24_e32 v182, v157, v254
	v_mul_i32_i24_e32 v183, v158, v7
	s_waitcnt vmcnt(28)
	v_mul_i32_i24_e32 v185, v160, v26
	v_add3_u32 v181, v181, v182, v183
	s_waitcnt vmcnt(27)
	v_mul_i32_i24_e32 v182, v126, v9
	v_mul_i32_i24_e32 v183, v153, v10
	s_delay_alu instid0(VALU_DEP_3)
	v_add3_u32 v181, v181, v184, v185
	v_mul_i32_i24_e32 v184, v154, v70
	s_waitcnt vmcnt(26)
	v_mul_i32_i24_e32 v185, v155, v28
	s_waitcnt vmcnt(13)
	v_mul_i32_i24_e32 v186, v117, v214
	v_add3_u32 v181, v181, v182, v183
	v_mul_i32_i24_e32 v182, v4, v27
	v_mul_i32_i24_e32 v183, v69, v30
	s_delay_alu instid0(VALU_DEP_3) | instskip(SKIP_2) | instid1(VALU_DEP_3)
	v_add3_u32 v181, v181, v184, v185
	v_mul_i32_i24_e32 v184, v71, v31
	v_mul_i32_i24_e32 v185, v75, v32
	v_add3_u32 v181, v181, v182, v183
	v_mul_i32_i24_e32 v182, v23, v83
	v_mul_i32_i24_e32 v183, v72, v36
	s_delay_alu instid0(VALU_DEP_3) | instskip(SKIP_2) | instid1(VALU_DEP_3)
	v_add3_u32 v181, v181, v184, v185
	v_mul_i32_i24_e32 v184, v73, v85
	;; [unrolled: 7-line block ×5, first 2 shown]
	v_mul_i32_i24_e32 v185, v110, v128
	v_add3_u32 v181, v181, v182, v183
	v_mul_i32_i24_e32 v183, v111, v13
	v_fma_mix_f32 v182, v102, v0, 0 op_sel:[0,1,0] op_sel_hi:[0,1,0]
	s_delay_alu instid0(VALU_DEP_3)
	v_add3_u32 v181, v181, v184, v185
	v_mul_i32_i24_e32 v184, v113, v8
	v_mul_i32_i24_e32 v185, v114, v11
	v_mad_i32_i24 v183, v112, v103, v183
	v_fma_mix_f32 v182, v252, v1, v182 op_sel:[0,1,0] op_sel_hi:[0,1,0]
	v_mul_lo_u32 v181, v181, v101
	s_delay_alu instid0(VALU_DEP_3) | instskip(SKIP_4) | instid1(VALU_DEP_3)
	v_add3_u32 v183, v183, v184, v185
	v_mul_i32_i24_e32 v184, v115, v253
	v_mul_i32_i24_e32 v185, v116, v14
	v_mul_f32_e32 v182, v182, v250
	v_cvt_f32_i32_e32 v181, v181
	v_add3_u32 v183, v183, v184, v185
	v_mul_i32_i24_e32 v184, v119, v221
	v_mul_i32_i24_e32 v185, v120, v222
	s_delay_alu instid0(VALU_DEP_4) | instskip(NEXT) | instid1(VALU_DEP_4)
	v_fma_mix_f32 v181, v0, v181, 0 op_sel_hi:[1,0,0]
	v_add3_u32 v183, v183, v186, v187
	v_mul_i32_i24_e32 v186, v121, v223
	v_mul_i32_i24_e32 v187, v122, v224
	s_delay_alu instid0(VALU_DEP_3) | instskip(SKIP_2) | instid1(VALU_DEP_3)
	v_add3_u32 v183, v183, v184, v185
	v_mul_i32_i24_e32 v184, v123, v225
	v_mul_i32_i24_e32 v185, v124, v226
	v_add3_u32 v183, v183, v186, v187
	v_mul_i32_i24_e32 v186, v125, v227
	v_mul_i32_i24_e32 v187, v168, v229
	s_delay_alu instid0(VALU_DEP_3) | instskip(SKIP_2) | instid1(VALU_DEP_3)
	v_add3_u32 v183, v183, v184, v185
	v_mul_i32_i24_e32 v184, v169, v230
	v_mul_i32_i24_e32 v185, v170, v231
	;; [unrolled: 7-line block ×5, first 2 shown]
	v_add3_u32 v183, v183, v186, v187
	v_mul_i32_i24_e32 v186, v180, v248
	v_mul_i32_i24_e32 v187, v167, v249
	s_delay_alu instid0(VALU_DEP_3) | instskip(SKIP_3) | instid1(VALU_DEP_3)
	v_add3_u32 v183, v183, v184, v185
	v_mul_i32_i24_e32 v184, v159, v135
	s_waitcnt vmcnt(11)
	v_mul_i32_i24_e32 v185, v160, v40
	v_add3_u32 v183, v183, v186, v187
	s_delay_alu instid0(VALU_DEP_1) | instskip(NEXT) | instid1(VALU_DEP_1)
	v_mul_lo_u32 v183, v183, v251
	v_cvt_f32_i32_e32 v183, v183
	s_delay_alu instid0(VALU_DEP_1) | instskip(SKIP_4) | instid1(VALU_DEP_2)
	v_fma_mix_f32 v181, v1, v183, v181 op_sel_hi:[1,0,0]
	v_mul_i32_i24_e32 v183, v163, v148
	scratch_load_b32 v148, off, off offset:172 ; 4-byte Folded Reload
	v_fma_f32 v181, v181, v12, -v182
	v_mul_i32_i24_e32 v182, v162, v132
	v_add_f32_e32 v6, v6, v181
	scratch_store_b32 off, v6, off offset:1112 ; 4-byte Folded Spill
	v_mov_b32_e32 v6, v44
	scratch_load_b32 v44, off, off offset:184 ; 4-byte Folded Reload
	v_mul_i32_i24_e32 v181, v161, v6
	s_delay_alu instid0(VALU_DEP_1) | instskip(NEXT) | instid1(VALU_DEP_1)
	v_mad_i32_i24 v181, v156, v15, v181
	v_add3_u32 v181, v181, v182, v183
	v_mul_i32_i24_e32 v183, v158, v141
	scratch_load_b32 v141, off, off offset:196 ; 4-byte Folded Reload
	v_mul_i32_i24_e32 v182, v157, v18
	s_delay_alu instid0(VALU_DEP_1) | instskip(SKIP_3) | instid1(VALU_DEP_3)
	v_add3_u32 v181, v181, v182, v183
	s_waitcnt vmcnt(13)
	v_mul_i32_i24_e32 v182, v126, v145
	v_mul_i32_i24_e32 v183, v153, v20
	v_add3_u32 v181, v181, v184, v185
	v_mul_i32_i24_e32 v184, v154, v34
	v_mov_b32_e32 v34, v244
	scratch_load_b32 v244, off, off offset:248 ; 4-byte Folded Reload
	v_add3_u32 v181, v181, v182, v183
	v_mul_i32_i24_e32 v183, v69, v151
	v_mov_b32_e32 v151, v52
	scratch_load_b32 v52, off, off offset:896 ; 4-byte Folded Reload
	v_mul_i32_i24_e32 v185, v155, v34
	v_mul_i32_i24_e32 v182, v4, v39
	s_delay_alu instid0(VALU_DEP_2) | instskip(SKIP_3) | instid1(VALU_DEP_3)
	v_add3_u32 v181, v181, v184, v185
	v_mul_i32_i24_e32 v184, v71, v136
	s_waitcnt vmcnt(10)
	v_mul_i32_i24_e32 v185, v75, v146
	v_add3_u32 v181, v181, v182, v183
	s_waitcnt vmcnt(9)
	v_mul_i32_i24_e32 v182, v23, v147
	s_delay_alu instid0(VALU_DEP_2) | instskip(SKIP_3) | instid1(VALU_DEP_1)
	v_add3_u32 v181, v181, v184, v185
	v_mul_i32_i24_e32 v184, v73, v41
	s_waitcnt vmcnt(4)
	v_mul_i32_i24_e32 v183, v72, v148
	v_add3_u32 v181, v181, v182, v183
	v_mul_i32_i24_e32 v182, v76, v42
	v_mul_i32_i24_e32 v183, v77, v137
	s_waitcnt vmcnt(3)
	v_mul_i32_i24_e32 v185, v74, v44
	s_delay_alu instid0(VALU_DEP_1) | instskip(SKIP_1) | instid1(VALU_DEP_2)
	v_add3_u32 v181, v181, v184, v185
	v_mul_i32_i24_e32 v184, v78, v140
	v_add3_u32 v181, v181, v182, v183
	v_mul_i32_i24_e32 v182, v80, v142
	v_mul_i32_i24_e32 v183, v81, v43
	s_waitcnt vmcnt(2)
	v_mul_i32_i24_e32 v185, v79, v141
	s_delay_alu instid0(VALU_DEP_1) | instskip(SKIP_2) | instid1(VALU_DEP_3)
	v_add3_u32 v181, v181, v184, v185
	v_mul_i32_i24_e32 v184, v105, v143
	v_mul_i32_i24_e32 v185, v106, v149
	v_add3_u32 v181, v181, v182, v183
	v_mul_i32_i24_e32 v182, v107, v82
	v_mul_i32_i24_e32 v183, v108, v150
	s_delay_alu instid0(VALU_DEP_3) | instskip(SKIP_2) | instid1(VALU_DEP_3)
	v_add3_u32 v181, v181, v184, v185
	v_mul_i32_i24_e32 v184, v109, v151
	v_mul_i32_i24_e32 v185, v110, v152
	v_add3_u32 v181, v181, v182, v183
	s_waitcnt vmcnt(0)
	v_mul_i32_i24_e32 v183, v111, v52
	scratch_load_b32 v52, off, off offset:992 ; 4-byte Folded Reload
	v_fma_mix_f32 v182, v255, v0, 0 op_sel:[0,1,0] op_sel_hi:[0,1,0]
	v_add3_u32 v181, v181, v184, v185
	v_mad_i32_i24 v183, v112, v215, v183
	s_delay_alu instid0(VALU_DEP_2) | instskip(NEXT) | instid1(VALU_DEP_1)
	v_mul_lo_u32 v181, v181, v212
	v_cvt_f32_i32_e32 v181, v181
	s_delay_alu instid0(VALU_DEP_1)
	v_fma_mix_f32 v181, v0, v181, 0 op_sel_hi:[1,0,0]
	s_waitcnt vmcnt(0)
	v_mul_i32_i24_e32 v184, v113, v52
	scratch_load_b32 v52, off, off offset:892 ; 4-byte Folded Reload
	s_waitcnt vmcnt(0)
	v_mul_i32_i24_e32 v185, v114, v52
	scratch_load_b32 v52, off, off offset:996 ; 4-byte Folded Reload
	v_add3_u32 v183, v183, v184, v185
	v_mul_i32_i24_e32 v184, v115, v84
	s_waitcnt vmcnt(0)
	v_mul_i32_i24_e32 v185, v116, v52
	scratch_load_b32 v52, off, off offset:812 ; 4-byte Folded Reload
	v_add3_u32 v183, v183, v184, v185
	v_mul_i32_i24_e32 v185, v120, v16
	scratch_load_b32 v16, off, off offset:820 ; 4-byte Folded Reload
	s_waitcnt vmcnt(1)
	v_mul_i32_i24_e32 v186, v117, v52
	scratch_load_b32 v52, off, off offset:816 ; 4-byte Folded Reload
	s_waitcnt vmcnt(0)
	v_mul_i32_i24_e32 v187, v118, v52
	scratch_load_b32 v52, off, off offset:1000 ; 4-byte Folded Reload
	v_add3_u32 v183, v183, v186, v187
	v_mul_i32_i24_e32 v187, v122, v21
	scratch_load_b32 v21, off, off offset:260 ; 4-byte Folded Reload
	s_waitcnt vmcnt(1)
	v_mul_i32_i24_e32 v184, v119, v52
	scratch_load_b32 v52, off, off offset:976 ; 4-byte Folded Reload
	v_add3_u32 v183, v183, v184, v185
	v_mul_i32_i24_e32 v184, v123, v16
	scratch_load_b32 v16, off, off offset:416 ; 4-byte Folded Reload
	s_waitcnt vmcnt(2)
	v_mul_i32_i24_e32 v185, v124, v21
	s_waitcnt vmcnt(1)
	v_mul_i32_i24_e32 v186, v121, v52
	s_delay_alu instid0(VALU_DEP_1)
	v_add3_u32 v183, v183, v186, v187
	s_waitcnt vmcnt(0)
	v_mul_i32_i24_e32 v186, v125, v16
	scratch_load_b32 v16, off, off offset:412 ; 4-byte Folded Reload
	v_mul_i32_i24_e32 v187, v168, v133
	scratch_load_b32 v133, off, off offset:324 ; 4-byte Folded Reload
	v_add3_u32 v183, v183, v184, v185
	v_mul_i32_i24_e32 v184, v169, v129
	v_mul_i32_i24_e32 v185, v170, v246
	s_delay_alu instid0(VALU_DEP_3) | instskip(SKIP_1) | instid1(VALU_DEP_2)
	v_add3_u32 v183, v183, v186, v187
	v_mul_i32_i24_e32 v186, v171, v247
	v_add3_u32 v183, v183, v184, v185
	v_mul_i32_i24_e32 v184, v172, v134
	scratch_load_b32 v134, off, off offset:984 ; 4-byte Folded Reload
	s_waitcnt vmcnt(2)
	v_mul_i32_i24_e32 v187, v164, v16
	scratch_load_b32 v16, off, off offset:832 ; 4-byte Folded Reload
	v_add3_u32 v183, v183, v186, v187
	v_mul_i32_i24_e32 v186, v174, v243
	v_mul_i32_i24_e32 v187, v165, v244
	s_waitcnt vmcnt(0)
	v_mul_i32_i24_e32 v185, v173, v16
	scratch_load_b32 v16, off, off offset:824 ; 4-byte Folded Reload
	v_add3_u32 v183, v183, v184, v185
	v_mul_i32_i24_e32 v185, v176, v134
	s_delay_alu instid0(VALU_DEP_2)
	v_add3_u32 v183, v183, v186, v187
	v_mul_i32_i24_e32 v186, v177, v245
	s_waitcnt vmcnt(0)
	v_mul_i32_i24_e32 v184, v175, v16
	scratch_load_b32 v16, off, off offset:836 ; 4-byte Folded Reload
	v_add3_u32 v183, v183, v184, v185
	s_waitcnt vmcnt(0)
	v_mul_i32_i24_e32 v187, v166, v16
	scratch_load_b32 v16, off, off offset:840 ; 4-byte Folded Reload
	v_add3_u32 v183, v183, v186, v187
	s_waitcnt vmcnt(0)
	v_mul_i32_i24_e32 v184, v178, v16
	scratch_load_b32 v16, off, off offset:844 ; 4-byte Folded Reload
	s_waitcnt vmcnt(0)
	v_mul_i32_i24_e32 v185, v179, v16
	scratch_load_b32 v16, off, off offset:1004 ; 4-byte Folded Reload
	v_add3_u32 v183, v183, v184, v185
	s_waitcnt vmcnt(0)
	v_mul_i32_i24_e32 v186, v180, v16
	scratch_load_b32 v16, off, off offset:852 ; 4-byte Folded Reload
	s_waitcnt vmcnt(0)
	v_mul_i32_i24_e32 v187, v167, v16
	scratch_load_b32 v16, off, off offset:856 ; 4-byte Folded Reload
	v_add3_u32 v183, v183, v186, v187
	s_waitcnt vmcnt(0)
	s_delay_alu instid0(VALU_DEP_1) | instskip(SKIP_2) | instid1(VALU_DEP_1)
	v_mul_lo_u32 v183, v183, v16
	scratch_load_b32 v16, off, off offset:860 ; 4-byte Folded Reload
	v_cvt_f32_i32_e32 v183, v183
	v_fma_mix_f32 v181, v1, v183, v181 op_sel_hi:[1,0,0]
	s_waitcnt vmcnt(0)
	v_fma_mix_f32 v182, v16, v1, v182 op_sel:[0,1,0] op_sel_hi:[0,1,0]
	scratch_load_b32 v16, off, off offset:1108 ; 4-byte Folded Reload
	v_mul_f32_e32 v182, v182, v228
	s_delay_alu instid0(VALU_DEP_1) | instskip(SKIP_1) | instid1(VALU_DEP_1)
	v_fma_f32 v181, v181, v138, -v182
	s_waitcnt vmcnt(0)
	v_add_f32_e32 v16, v16, v181
	scratch_store_b32 off, v16, off offset:1108 ; 4-byte Folded Spill
	scratch_load_b32 v16, off, off offset:132 ; 4-byte Folded Reload
	s_waitcnt vmcnt(0)
	v_mul_i32_i24_e32 v181, v161, v16
	scratch_load_b32 v16, off, off offset:16 ; 4-byte Folded Reload
	s_waitcnt vmcnt(0)
	v_mul_i32_i24_e32 v182, v162, v16
	scratch_load_b32 v16, off, off offset:20 ; 4-byte Folded Reload
	v_mul_i32_i24_e32 v162, v162, v131
	scratch_load_b32 v131, off, off offset:140 ; 4-byte Folded Reload
	s_waitcnt vmcnt(1)
	v_mul_i32_i24_e32 v183, v163, v16
	scratch_load_b32 v16, off, off offset:12 ; 4-byte Folded Reload
	v_mul_i32_i24_e32 v163, v163, v211
	s_waitcnt vmcnt(0)
	v_mad_i32_i24 v181, v156, v16, v181
	scratch_load_b32 v16, off, off offset:208 ; 4-byte Folded Reload
	v_add3_u32 v181, v181, v182, v183
	s_waitcnt vmcnt(0)
	v_mul_i32_i24_e32 v182, v157, v16
	scratch_load_b32 v16, off, off offset:124 ; 4-byte Folded Reload
	v_mul_i32_i24_e32 v157, v157, v68
	s_waitcnt vmcnt(0)
	v_mul_i32_i24_e32 v183, v158, v16
	scratch_load_b32 v16, off, off offset:420 ; 4-byte Folded Reload
	v_mul_i32_i24_e32 v158, v158, v130
	scratch_load_b32 v130, off, off offset:416 ; 4-byte Folded Reload
	v_add3_u32 v181, v181, v182, v183
	s_waitcnt vmcnt(1)
	v_mul_i32_i24_e32 v184, v159, v16
	scratch_load_b32 v16, off, off offset:424 ; 4-byte Folded Reload
	v_mul_i32_i24_e32 v159, v159, v87
	scratch_load_b32 v87, off, off offset:780 ; 4-byte Folded Reload
	s_waitcnt vmcnt(1)
	v_mul_i32_i24_e32 v185, v160, v16
	scratch_load_b32 v16, off, off offset:128 ; 4-byte Folded Reload
	v_mul_i32_i24_e32 v160, v160, v67
	scratch_load_b32 v67, off, off offset:772 ; 4-byte Folded Reload
	v_add3_u32 v181, v181, v184, v185
	s_waitcnt vmcnt(1)
	v_mul_i32_i24_e32 v182, v126, v16
	scratch_load_b32 v16, off, off offset:428 ; 4-byte Folded Reload
	v_mul_i32_i24_e32 v126, v126, v66
	scratch_load_b32 v66, off, off offset:12 ; 4-byte Folded Reload
	;; [unrolled: 11-line block ×5, first 2 shown]
	s_waitcnt vmcnt(1)
	v_mul_i32_i24_e32 v185, v75, v16
	scratch_load_b32 v16, off, off offset:456 ; 4-byte Folded Reload
	v_mul_i32_i24_e32 v75, v75, v49
	scratch_load_b32 v49, off, off offset:496 ; 4-byte Folded Reload
	v_add3_u32 v181, v181, v184, v185
	v_mul_i32_i24_e32 v185, v74, v37
	scratch_load_b32 v37, off, off offset:316 ; 4-byte Folded Reload
	s_waitcnt vmcnt(2)
	v_mul_i32_i24_e32 v182, v23, v16
	scratch_load_b32 v16, off, off offset:136 ; 4-byte Folded Reload
	v_mul_i32_i24_e32 v23, v23, v63
	s_waitcnt vmcnt(0)
	v_mul_i32_i24_e32 v183, v72, v16
	scratch_load_b32 v16, off, off offset:140 ; 4-byte Folded Reload
	v_add3_u32 v181, v181, v182, v183
	s_waitcnt vmcnt(0)
	v_mul_i32_i24_e32 v184, v73, v16
	scratch_load_b32 v16, off, off offset:460 ; 4-byte Folded Reload
	v_add3_u32 v181, v181, v184, v185
	v_mul_i32_i24_e32 v184, v78, v22
	scratch_load_b32 v22, off, off offset:352 ; 4-byte Folded Reload
	s_waitcnt vmcnt(1)
	v_mul_i32_i24_e32 v182, v76, v16
	scratch_load_b32 v16, off, off offset:464 ; 4-byte Folded Reload
	s_waitcnt vmcnt(0)
	v_mul_i32_i24_e32 v183, v77, v16
	scratch_load_b32 v16, off, off offset:468 ; 4-byte Folded Reload
	v_add3_u32 v181, v181, v182, v183
	v_mul_i32_i24_e32 v183, v81, v29
	scratch_load_b32 v29, off, off offset:988 ; 4-byte Folded Reload
	s_waitcnt vmcnt(1)
	v_mul_i32_i24_e32 v185, v79, v16
	scratch_load_b32 v16, off, off offset:144 ; 4-byte Folded Reload
	v_add3_u32 v181, v181, v184, v185
	v_mul_i32_i24_e32 v184, v105, v33
	scratch_load_b32 v33, off, off offset:348 ; 4-byte Folded Reload
	s_waitcnt vmcnt(2)
	v_mul_i32_i24_e32 v187, v118, v29
	s_waitcnt vmcnt(1)
	v_mul_i32_i24_e32 v182, v80, v16
	scratch_load_b32 v16, off, off offset:92 ; 4-byte Folded Reload
	v_add3_u32 v181, v181, v182, v183
	s_waitcnt vmcnt(0)
	v_mul_i32_i24_e32 v185, v106, v16
	scratch_load_b32 v16, off, off offset:472 ; 4-byte Folded Reload
	v_add3_u32 v181, v181, v184, v185
	v_mul_i32_i24_e32 v185, v110, v33
	s_waitcnt vmcnt(0)
	v_mul_i32_i24_e32 v182, v107, v16
	scratch_load_b32 v16, off, off offset:96 ; 4-byte Folded Reload
	s_waitcnt vmcnt(0)
	v_mul_i32_i24_e32 v183, v108, v16
	scratch_load_b32 v16, off, off offset:100 ; 4-byte Folded Reload
	v_add3_u32 v181, v181, v182, v183
	s_waitcnt vmcnt(0)
	v_mul_i32_i24_e32 v184, v109, v16
	scratch_load_b32 v16, off, off offset:104 ; 4-byte Folded Reload
	v_add3_u32 v181, v181, v184, v185
	s_delay_alu instid0(VALU_DEP_1) | instskip(NEXT) | instid1(VALU_DEP_1)
	v_mul_lo_u32 v181, v181, v22
	v_cvt_f32_i32_e32 v181, v181
	s_delay_alu instid0(VALU_DEP_1)
	v_fma_mix_f32 v181, v0, v181, 0 op_sel_hi:[1,0,0]
	s_waitcnt vmcnt(0)
	v_fma_mix_f32 v182, v16, v0, 0 op_sel:[0,1,0] op_sel_hi:[0,1,0]
	scratch_load_b32 v16, off, off offset:108 ; 4-byte Folded Reload
	s_waitcnt vmcnt(0)
	v_mul_i32_i24_e32 v183, v111, v16
	scratch_load_b32 v16, off, off offset:112 ; 4-byte Folded Reload
	s_waitcnt vmcnt(0)
	v_mul_i32_i24_e32 v184, v113, v16
	;; [unrolled: 3-line block ×3, first 2 shown]
	scratch_load_b32 v16, off, off offset:356 ; 4-byte Folded Reload
	s_waitcnt vmcnt(0)
	v_mad_i32_i24 v183, v112, v16, v183
	scratch_load_b32 v16, off, off offset:148 ; 4-byte Folded Reload
	v_add3_u32 v183, v183, v184, v185
	v_mul_i32_i24_e32 v184, v115, v38
	scratch_load_b32 v38, off, off offset:320 ; 4-byte Folded Reload
	s_waitcnt vmcnt(1)
	v_mul_i32_i24_e32 v185, v116, v16
	scratch_load_b32 v16, off, off offset:152 ; 4-byte Folded Reload
	v_add3_u32 v183, v183, v184, v185
	s_waitcnt vmcnt(0)
	v_mul_i32_i24_e32 v186, v117, v16
	scratch_load_b32 v16, off, off offset:28 ; 4-byte Folded Reload
	v_add3_u32 v183, v183, v186, v187
	s_waitcnt vmcnt(0)
	v_mul_i32_i24_e32 v184, v119, v16
	scratch_load_b32 v16, off, off offset:32 ; 4-byte Folded Reload
	s_waitcnt vmcnt(0)
	v_mul_i32_i24_e32 v185, v120, v16
	scratch_load_b32 v16, off, off offset:36 ; 4-byte Folded Reload
	v_add3_u32 v183, v183, v184, v185
	s_waitcnt vmcnt(0)
	v_mul_i32_i24_e32 v186, v121, v16
	scratch_load_b32 v16, off, off offset:360 ; 4-byte Folded Reload
	s_waitcnt vmcnt(0)
	v_mul_i32_i24_e32 v187, v122, v16
	scratch_load_b32 v16, off, off offset:40 ; 4-byte Folded Reload
	v_add3_u32 v183, v183, v186, v187
	v_mul_i32_i24_e32 v187, v168, v37
	s_waitcnt vmcnt(0)
	v_mul_i32_i24_e32 v184, v123, v16
	scratch_load_b32 v16, off, off offset:44 ; 4-byte Folded Reload
	s_waitcnt vmcnt(0)
	v_mul_i32_i24_e32 v185, v124, v16
	scratch_load_b32 v16, off, off offset:48 ; 4-byte Folded Reload
	v_add3_u32 v183, v183, v184, v185
	s_waitcnt vmcnt(0)
	v_mul_i32_i24_e32 v186, v125, v16
	scratch_load_b32 v16, off, off offset:52 ; 4-byte Folded Reload
	v_add3_u32 v183, v183, v186, v187
	v_mul_i32_i24_e32 v187, v164, v38
	s_waitcnt vmcnt(0)
	v_mul_i32_i24_e32 v184, v169, v16
	scratch_load_b32 v16, off, off offset:56 ; 4-byte Folded Reload
	s_waitcnt vmcnt(0)
	v_mul_i32_i24_e32 v185, v170, v16
	scratch_load_b32 v16, off, off offset:60 ; 4-byte Folded Reload
	v_add3_u32 v183, v183, v184, v185
	;; [unrolled: 12-line block ×3, first 2 shown]
	s_waitcnt vmcnt(0)
	v_mul_i32_i24_e32 v186, v174, v16
	scratch_load_b32 v16, off, off offset:76 ; 4-byte Folded Reload
	v_add3_u32 v183, v183, v186, v187
	s_waitcnt vmcnt(0)
	v_mul_i32_i24_e32 v184, v175, v16
	scratch_load_b32 v16, off, off offset:80 ; 4-byte Folded Reload
	s_waitcnt vmcnt(0)
	v_mul_i32_i24_e32 v185, v176, v16
	scratch_load_b32 v16, off, off offset:84 ; 4-byte Folded Reload
	v_add3_u32 v183, v183, v184, v185
	s_waitcnt vmcnt(0)
	v_mul_i32_i24_e32 v186, v177, v16
	scratch_load_b32 v16, off, off offset:328 ; 4-byte Folded Reload
	;; [unrolled: 7-line block ×4, first 2 shown]
	s_waitcnt vmcnt(0)
	v_mul_i32_i24_e32 v187, v167, v16
	scratch_load_b32 v16, off, off offset:344 ; 4-byte Folded Reload
	v_add3_u32 v183, v183, v186, v187
	s_waitcnt vmcnt(0)
	s_delay_alu instid0(VALU_DEP_1) | instskip(SKIP_2) | instid1(VALU_DEP_1)
	v_mul_lo_u32 v183, v183, v16
	scratch_load_b32 v16, off, off offset:904 ; 4-byte Folded Reload
	v_cvt_f32_i32_e32 v183, v183
	v_fma_mix_f32 v181, v1, v183, v181 op_sel_hi:[1,0,0]
	s_waitcnt vmcnt(0)
	v_fma_mix_f32 v182, v16, v1, v182 op_sel:[0,1,0] op_sel_hi:[0,1,0]
	scratch_load_b32 v16, off, off offset:1104 ; 4-byte Folded Reload
	v_mul_f32_e32 v182, v182, v139
	s_delay_alu instid0(VALU_DEP_1) | instskip(SKIP_1) | instid1(VALU_DEP_1)
	v_fma_f32 v181, v181, v17, -v182
	s_waitcnt vmcnt(0)
	v_add_f32_e32 v16, v16, v181
	scratch_store_b32 off, v16, off offset:1104 ; 4-byte Folded Spill
	scratch_load_b32 v16, off, off offset:408 ; 4-byte Folded Reload
	s_waitcnt vmcnt(0)
	v_mul_i32_i24_e32 v161, v161, v16
	v_mov_b32_e32 v16, v211
	s_delay_alu instid0(VALU_DEP_2) | instskip(NEXT) | instid1(VALU_DEP_1)
	v_mad_i32_i24 v156, v156, v213, v161
	v_add3_u32 v156, v156, v162, v163
	s_delay_alu instid0(VALU_DEP_1) | instskip(NEXT) | instid1(VALU_DEP_1)
	v_add3_u32 v156, v156, v157, v158
	v_add3_u32 v156, v156, v159, v160
	s_delay_alu instid0(VALU_DEP_1) | instskip(NEXT) | instid1(VALU_DEP_1)
	v_add3_u32 v126, v156, v126, v153
	v_add3_u32 v126, v126, v154, v155
	ds_load_b128 v[153:156], v216 offset:5120
	v_add3_u32 v4, v126, v4, v69
	v_mul_i32_i24_e32 v69, v72, v64
	v_mul_i32_i24_e32 v72, v74, v45
	scratch_load_b32 v45, off, off offset:832 ; 4-byte Folded Reload
	v_add3_u32 v4, v4, v71, v75
	v_mul_i32_i24_e32 v71, v73, v65
	s_delay_alu instid0(VALU_DEP_2)
	v_add3_u32 v4, v4, v23, v69
	v_mul_i32_i24_e32 v23, v76, v48
	v_mul_i32_i24_e32 v69, v77, v50
	s_clause 0x1
	scratch_load_b32 v50, off, off offset:500
	scratch_load_b32 v48, off, off offset:300
	v_add3_u32 v4, v4, v71, v72
	v_mul_i32_i24_e32 v71, v78, v51
	v_mul_i32_i24_e32 v72, v79, v46
	s_clause 0x2
	scratch_load_b32 v51, off, off offset:504
	scratch_load_b32 v79, off, off offset:1016
	;; [unrolled: 1-line block ×3, first 2 shown]
	v_add3_u32 v4, v4, v23, v69
	v_mul_i32_i24_e32 v23, v80, v54
	v_mul_i32_i24_e32 v69, v81, v55
	s_clause 0x1
	scratch_load_b32 v80, off, off offset:1020
	scratch_load_b32 v54, off, off offset:40
	v_add3_u32 v4, v4, v71, v72
	v_mul_i32_i24_e32 v72, v106, v47
	s_clause 0x1
	scratch_load_b32 v47, off, off offset:308
	scratch_load_b32 v106, off, off offset:1008
	v_mul_i32_i24_e32 v71, v105, v56
	s_clause 0x3
	scratch_load_b32 v105, off, off offset:1012
	scratch_load_b32 v56, off, off offset:48
	;; [unrolled: 1-line block ×4, first 2 shown]
	v_add3_u32 v4, v4, v23, v69
	v_mul_i32_i24_e32 v23, v107, v57
	v_mul_i32_i24_e32 v69, v108, v59
	s_waitcnt lgkmcnt(0)
	v_bfe_i32 v187, v154, 0, 8
	v_mov_b32_e32 v108, v59
	v_add3_u32 v4, v4, v71, v72
	v_mul_i32_i24_e32 v71, v109, v144
	v_bfe_i32 v183, v155, 0, 8
	v_bfe_i32 v184, v155, 8, 8
	;; [unrolled: 1-line block ×3, first 2 shown]
	v_add3_u32 v4, v4, v23, v69
	v_mul_i32_i24_e32 v23, v111, v49
	v_mov_b32_e32 v111, v209
	v_ashrrev_i32_e32 v186, 24, v155
	v_bfe_i32 v181, v156, 16, 8
	v_ashrrev_i32_e32 v182, 24, v156
	v_mov_b32_e32 v107, v57
	v_mov_b32_e32 v109, v19
	s_clause 0x1
	scratch_load_b32 v144, off, off offset:432
	scratch_load_b32 v59, off, off offset:56
	v_mov_b32_e32 v57, v37
	s_waitcnt vmcnt(14)
	v_mul_i32_i24_e32 v69, v113, v50
	v_mov_b32_e32 v113, v210
	s_waitcnt vmcnt(7)
	v_mul_i32_i24_e32 v72, v110, v47
	scratch_load_b32 v110, off, off offset:296 ; 4-byte Folded Reload
	s_waitcnt vmcnt(7)
	v_mad_i32_i24 v23, v112, v106, v23
	v_mov_b32_e32 v112, v208
	v_add3_u32 v4, v4, v71, v72
	v_mul_i32_i24_e32 v71, v114, v51
	v_mul_i32_i24_e32 v72, v117, v80
	s_waitcnt vmcnt(4)
	v_mul_i32_i24_e32 v73, v118, v81
	v_mov_b32_e32 v114, v207
	v_mov_b32_e32 v118, v203
	v_add3_u32 v23, v23, v69, v71
	v_mul_i32_i24_e32 v69, v115, v105
	v_mul_i32_i24_e32 v71, v116, v79
	v_dual_mov_b32 v116, v204 :: v_dual_mov_b32 v115, v205
	v_dual_mov_b32 v117, v206 :: v_dual_mov_b32 v64, v151
	s_delay_alu instid0(VALU_DEP_3)
	v_add3_u32 v23, v23, v69, v71
	v_mul_i32_i24_e32 v69, v119, v5
	v_mul_i32_i24_e32 v71, v120, v208
	v_bfe_i32 v208, v153, 0, 8
	v_mov_b32_e32 v120, v197
	v_add3_u32 v23, v23, v72, v73
	v_mul_i32_i24_e32 v72, v121, v209
	v_mul_i32_i24_e32 v73, v122, v210
	v_bfe_i32 v209, v153, 16, 8
	v_ashrrev_i32_e32 v210, 24, v153
	v_add3_u32 v23, v23, v69, v71
	v_mul_i32_i24_e32 v69, v123, v204
	v_mul_i32_i24_e32 v71, v124, v205
	v_dual_mov_b32 v123, v200 :: v_dual_mov_b32 v122, v199
	s_delay_alu instid0(VALU_DEP_4)
	v_add3_u32 v23, v23, v72, v73
	v_mul_i32_i24_e32 v72, v125, v206
	v_mul_i32_i24_e32 v73, v168, v207
	v_bfe_i32 v207, v153, 8, 8
	v_mov_b32_e32 v124, v201
	v_add3_u32 v23, v23, v69, v71
	v_mul_i32_i24_e32 v69, v169, v200
	v_mul_i32_i24_e32 v71, v170, v201
	v_mov_b32_e32 v125, v202
	v_mov_b32_e32 v121, v198
	v_add3_u32 v23, v23, v72, v73
	v_mul_i32_i24_e32 v72, v171, v202
	v_mul_i32_i24_e32 v73, v164, v203
	v_bfe_i32 v171, v156, 0, 8
	s_clause 0x1
	scratch_store_b32 off, v7, off offset:936
	scratch_store_b32 off, v27, off offset:940
	v_add3_u32 v23, v23, v69, v71
	v_mul_i32_i24_e32 v69, v172, v196
	v_mul_i32_i24_e32 v71, v173, v197
	v_mov_b32_e32 v63, v139
	v_mov_b32_e32 v151, v212
	v_add3_u32 v23, v23, v72, v73
	v_mul_i32_i24_e32 v72, v174, v198
	v_mul_i32_i24_e32 v73, v165, v199
	scratch_load_b32 v212, off, off offset:336 ; 4-byte Folded Reload
	v_add3_u32 v23, v23, v69, v71
	v_mul_i32_i24_e32 v69, v175, v192
	v_mul_i32_i24_e32 v71, v176, v193
	s_delay_alu instid0(VALU_DEP_3) | instskip(SKIP_2) | instid1(VALU_DEP_3)
	v_add3_u32 v23, v23, v72, v73
	v_mul_i32_i24_e32 v72, v177, v194
	v_mul_i32_i24_e32 v73, v166, v195
	v_add3_u32 v23, v23, v69, v71
	v_mul_i32_i24_e32 v69, v178, v188
	v_mul_i32_i24_e32 v71, v179, v189
	v_bfe_i32 v188, v154, 8, 8
	v_bfe_i32 v189, v154, 16, 8
	v_add3_u32 v23, v23, v72, v73
	v_mul_i32_i24_e32 v72, v180, v190
	v_mul_i32_i24_e32 v73, v167, v191
	v_ashrrev_i32_e32 v190, 24, v154
	v_bfe_i32 v180, v156, 8, 8
	v_add3_u32 v23, v23, v69, v71
	ds_load_b128 v[153:156], v216 offset:5136
	v_mul_i32_i24_e32 v74, v189, v25
	v_mul_i32_i24_e32 v76, v190, v26
	scratch_load_b32 v26, off, off offset:792 ; 4-byte Folded Reload
	v_add3_u32 v23, v23, v72, v73
	v_mul_i32_i24_e32 v72, v209, v88
	v_mul_i32_i24_e32 v73, v210, v90
	v_mov_b32_e32 v88, v133
	scratch_load_b32 v90, off, off offset:472 ; 4-byte Folded Reload
	v_mul_lo_u32 v23, v23, v104
	s_clause 0x1
	scratch_load_b32 v104, off, off offset:868
	scratch_load_b32 v25, off, off offset:528
	v_mov_b32_e32 v133, v105
	v_cvt_f32_i32_e32 v23, v23
	s_waitcnt lgkmcnt(0)
	v_bfe_i32 v203, v153, 0, 8
	v_bfe_i32 v204, v153, 8, 8
	v_bfe_i32 v205, v153, 16, 8
	v_ashrrev_i32_e32 v206, 24, v153
	v_bfe_i32 v199, v154, 0, 8
	v_bfe_i32 v200, v154, 8, 8
	v_bfe_i32 v201, v154, 16, 8
	v_ashrrev_i32_e32 v202, 24, v154
	;; [unrolled: 4-line block ×4, first 2 shown]
	ds_load_b128 v[153:156], v216 offset:5152
	s_waitcnt lgkmcnt(0)
	v_bfe_i32 v177, v153, 0, 8
	v_bfe_i32 v176, v153, 8, 8
	v_bfe_i32 v178, v153, 16, 8
	v_ashrrev_i32_e32 v179, 24, v153
	v_bfe_i32 v172, v154, 0, 8
	v_bfe_i32 v173, v154, 8, 8
	v_bfe_i32 v174, v154, 16, 8
	v_ashrrev_i32_e32 v175, 24, v154
	;; [unrolled: 4-line block ×4, first 2 shown]
	ds_load_b128 v[153:156], v216 offset:5168
	v_mul_i32_i24_e32 v77, v174, v214
	v_mul_i32_i24_e32 v78, v175, v219
	v_mov_b32_e32 v214, v136
	s_clause 0x1
	scratch_load_b32 v136, off, off offset:124
	scratch_load_b32 v219, off, off offset:136
	s_waitcnt lgkmcnt(0)
	v_bfe_i32 v159, v153, 0, 8
	v_bfe_i32 v160, v153, 8, 8
	v_bfe_i32 v161, v153, 16, 8
	v_ashrrev_i32_e32 v162, 24, v153
	v_bfe_i32 v211, v154, 0, 8
	v_bfe_i32 v213, v154, 8, 8
	;; [unrolled: 1-line block ×3, first 2 shown]
	v_ashrrev_i32_e32 v158, 24, v154
	v_bfe_i32 v75, v155, 0, 8
	v_bfe_i32 v126, v155, 8, 8
	v_ashrrev_i32_e32 v153, 24, v155
	v_bfe_i32 v69, v156, 16, 8
	v_ashrrev_i32_e32 v71, 24, v156
	s_waitcnt vmcnt(7)
	v_mul_lo_u32 v4, v4, v110
	s_delay_alu instid0(VALU_DEP_1) | instskip(NEXT) | instid1(VALU_DEP_1)
	v_cvt_f32_i32_e32 v4, v4
	v_fma_mix_f32 v4, v0, v4, 0 op_sel_hi:[1,0,0]
	v_fma_mix_f32 v0, v48, v0, 0 op_sel:[0,1,0] op_sel_hi:[0,1,0]
	s_delay_alu instid0(VALU_DEP_2) | instskip(NEXT) | instid1(VALU_DEP_2)
	v_fma_mix_f32 v4, v1, v23, v4 op_sel_hi:[1,0,0]
	v_fma_mix_f32 v0, v99, v1, v0 op_sel:[0,1,0] op_sel_hi:[0,1,0]
	s_clause 0x1
	scratch_load_b32 v1, off, off offset:1100
	scratch_load_b32 v99, off, off offset:464
	v_mov_b32_e32 v119, v5
	scratch_load_b32 v5, off, off offset:192 ; 4-byte Folded Reload
	v_mul_f32_e32 v0, v0, v60
	v_mul_i32_i24_e32 v23, v208, v35
	scratch_load_b32 v35, off, off offset:468 ; 4-byte Folded Reload
	v_mov_b32_e32 v65, v38
	scratch_load_b32 v38, off, off offset:344 ; 4-byte Folded Reload
	v_fma_f32 v0, v4, v19, -v0
	v_mad_i32_i24 v23, v207, v24, v23
	v_bfe_i32 v4, v155, 16, 8
	s_clause 0x1
	scratch_load_b32 v24, off, off offset:364
	scratch_load_b32 v19, off, off offset:388
	v_add3_u32 v23, v23, v72, v73
	v_mul_i32_i24_e32 v72, v187, v254
	v_mul_i32_i24_e32 v73, v188, v7
	scratch_load_b32 v7, off, off offset:1124 ; 4-byte Folded Reload
	v_mov_b32_e32 v254, v146
	scratch_load_b32 v146, off, off offset:440 ; 4-byte Folded Reload
	v_add3_u32 v23, v23, v72, v73
	v_mul_i32_i24_e32 v72, v183, v9
	v_mul_i32_i24_e32 v73, v184, v10
	s_clause 0x1
	scratch_load_b32 v9, off, off offset:380
	scratch_load_b32 v10, off, off offset:384
	v_add3_u32 v23, v23, v74, v76
	v_mul_i32_i24_e32 v74, v185, v70
	v_mul_i32_i24_e32 v76, v186, v28
	s_clause 0x1
	scratch_load_b32 v70, off, off offset:1120
	scratch_load_b32 v28, off, off offset:904
	;; [unrolled: 6-line block ×6, first 2 shown]
	v_add3_u32 v23, v23, v72, v73
	v_mul_i32_i24_e32 v72, v199, v86
	v_mul_i32_i24_e32 v73, v200, v95
	scratch_load_b32 v86, off, off offset:72 ; 4-byte Folded Reload
	v_mov_b32_e32 v95, v22
	v_add3_u32 v23, v23, v74, v76
	v_mul_i32_i24_e32 v74, v201, v91
	v_mul_i32_i24_e32 v76, v202, v92
	s_clause 0x1
	scratch_load_b32 v91, off, off offset:92
	scratch_load_b32 v92, off, off offset:96
	v_add3_u32 v23, v23, v72, v73
	v_mul_i32_i24_e32 v72, v195, v93
	v_mul_i32_i24_e32 v73, v196, v94
	scratch_load_b32 v93, off, off offset:100 ; 4-byte Folded Reload
	v_mov_b32_e32 v94, v33
	v_add3_u32 v23, v23, v74, v76
	v_mul_i32_i24_e32 v74, v197, v100
	v_mul_i32_i24_e32 v76, v198, v97
	s_clause 0x1
	scratch_load_b32 v100, off, off offset:112
	scratch_load_b32 v97, off, off offset:356
	v_add3_u32 v23, v23, v72, v73
	v_mul_i32_i24_e32 v72, v191, v96
	v_mul_i32_i24_e32 v73, v192, v98
	s_clause 0x1
	scratch_load_b32 v98, off, off offset:108
	scratch_load_b32 v33, off, off offset:28
	v_add3_u32 v23, v23, v74, v76
	v_mul_i32_i24_e32 v74, v193, v127
	v_mul_i32_i24_e32 v76, v194, v128
	v_mov_b32_e32 v128, v142
	scratch_load_b32 v127, off, off offset:412 ; 4-byte Folded Reload
	v_add3_u32 v23, v23, v72, v73
	v_mul_i32_i24_e32 v73, v177, v13
	v_fma_mix_f32 v72, v102, v2, 0 op_sel:[0,1,0] op_sel_hi:[0,1,0]
	s_clause 0x1
	scratch_load_b32 v142, off, off offset:128
	scratch_load_b32 v102, off, off offset:148
	v_add3_u32 v23, v23, v74, v76
	v_mul_i32_i24_e32 v74, v178, v8
	v_mul_i32_i24_e32 v76, v179, v11
	v_mad_i32_i24 v73, v176, v103, v73
	v_fma_mix_f32 v72, v252, v3, v72 op_sel:[0,1,0] op_sel_hi:[0,1,0]
	v_mul_lo_u32 v23, v23, v101
	s_clause 0x1
	scratch_load_b32 v101, off, off offset:116
	scratch_load_b32 v103, off, off offset:328
	v_add3_u32 v73, v73, v74, v76
	v_mul_i32_i24_e32 v74, v172, v253
	v_mul_i32_i24_e32 v76, v173, v14
	v_dual_mul_f32 v72, v72, v250 :: v_dual_mov_b32 v253, v39
	v_cvt_f32_i32_e32 v23, v23
	scratch_load_b32 v96, off, off offset:104 ; 4-byte Folded Reload
	v_add3_u32 v73, v73, v74, v76
	v_mul_i32_i24_e32 v74, v167, v221
	v_mul_i32_i24_e32 v76, v168, v222
	v_fma_mix_f32 v23, v2, v23, 0 op_sel_hi:[1,0,0]
	scratch_load_b32 v221, off, off offset:864 ; 4-byte Folded Reload
	v_add3_u32 v73, v73, v77, v78
	v_mul_i32_i24_e32 v77, v169, v223
	v_mul_i32_i24_e32 v78, v170, v224
	s_clause 0x1
	scratch_load_b32 v224, off, off offset:900
	scratch_load_b32 v222, off, off offset:80
	v_add3_u32 v73, v73, v74, v76
	v_mul_i32_i24_e32 v74, v163, v225
	v_mul_i32_i24_e32 v76, v164, v226
	s_clause 0x1
	scratch_load_b32 v223, off, off offset:84
	scratch_load_b32 v225, off, off offset:376
	v_add3_u32 v73, v73, v77, v78
	v_mul_i32_i24_e32 v77, v165, v227
	v_mul_i32_i24_e32 v78, v166, v229
	v_mov_b32_e32 v227, v140
	scratch_load_b32 v140, off, off offset:144 ; 4-byte Folded Reload
	v_add3_u32 v73, v73, v74, v76
	v_mul_i32_i24_e32 v74, v159, v230
	v_mul_i32_i24_e32 v76, v160, v231
	s_clause 0x1
	scratch_load_b32 v230, off, off offset:896
	scratch_load_b32 v231, off, off offset:996
	v_add3_u32 v73, v73, v77, v78
	v_mul_i32_i24_e32 v77, v161, v232
	v_mul_i32_i24_e32 v78, v162, v233
	s_clause 0x1
	scratch_load_b32 v232, off, off offset:992
	scratch_load_b32 v233, off, off offset:892
	;; [unrolled: 6-line block ×4, first 2 shown]
	v_add3_u32 v73, v73, v74, v76
	v_mul_i32_i24_e32 v74, v75, v238
	v_mul_i32_i24_e32 v76, v126, v220
	v_mov_b32_e32 v238, v52
	scratch_load_b32 v220, off, off offset:460 ; 4-byte Folded Reload
	v_add3_u32 v73, v73, v77, v78
	v_mul_i32_i24_e32 v77, v4, v239
	v_mul_i32_i24_e32 v78, v153, v240
	s_clause 0x1
	scratch_load_b32 v239, off, off offset:980
	scratch_load_b32 v240, off, off offset:820
	v_add3_u32 v73, v73, v74, v76
	s_clause 0x3
	scratch_load_b32 v52, off, off offset:360
	scratch_load_b32 v226, off, off offset:768
	;; [unrolled: 1-line block ×4, first 2 shown]
	v_add3_u32 v73, v73, v77, v78
	v_mul_i32_i24_e32 v77, v69, v248
	v_mul_i32_i24_e32 v78, v71, v249
	s_clause 0x5
	scratch_load_b32 v248, off, off offset:860
	scratch_load_b32 v249, off, off offset:208
	;; [unrolled: 1-line block ×6, first 2 shown]
	v_mov_b32_e32 v139, v106
	s_waitcnt vmcnt(61)
	v_add_f32_e32 v1, v1, v0
	v_bfe_i32 v0, v156, 0, 8
	scratch_store_b32 off, v1, off offset:1100 ; 4-byte Folded Spill
	v_bfe_i32 v1, v156, 8, 8
	v_mul_i32_i24_e32 v74, v0, v241
	scratch_load_b32 v241, off, off offset:824 ; 4-byte Folded Reload
	v_mul_i32_i24_e32 v76, v1, v242
	v_mov_b32_e32 v242, v134
	scratch_load_b32 v134, off, off offset:132 ; 4-byte Folded Reload
	v_add3_u32 v73, v73, v74, v76
	v_mul_i32_i24_e32 v74, v189, v135
	v_mul_i32_i24_e32 v76, v190, v40
	s_clause 0x1
	scratch_load_b32 v135, off, off offset:16
	scratch_load_b32 v40, off, off offset:32
	v_add3_u32 v73, v73, v77, v78
	s_delay_alu instid0(VALU_DEP_1) | instskip(SKIP_2) | instid1(VALU_DEP_1)
	v_mul_lo_u32 v73, v73, v251
	scratch_load_b32 v251, off, off offset:484 ; 4-byte Folded Reload
	v_cvt_f32_i32_e32 v73, v73
	v_fma_mix_f32 v23, v3, v73, v23 op_sel_hi:[1,0,0]
	s_waitcnt vmcnt(62)
	v_mul_i32_i24_e32 v73, v210, v5
	scratch_load_b32 v5, off, off offset:156 ; 4-byte Folded Reload
	v_fma_f32 v23, v23, v12, -v72
	v_mul_i32_i24_e32 v72, v209, v132
	v_mov_b32_e32 v12, v107
	scratch_load_b32 v132, off, off offset:408 ; 4-byte Folded Reload
	s_waitcnt vmcnt(61)
	v_add_f32_e32 v7, v7, v23
	v_mul_i32_i24_e32 v23, v208, v6
	scratch_load_b32 v6, off, off offset:4  ; 4-byte Folded Reload
	v_mad_i32_i24 v23, v207, v15, v23
	scratch_load_b32 v15, off, off offset:372 ; 4-byte Folded Reload
	v_add3_u32 v23, v23, v72, v73
	v_mul_i32_i24_e32 v72, v187, v18
	v_mov_b32_e32 v18, v108
	s_waitcnt vmcnt(25)
	v_mul_i32_i24_e32 v77, v174, v234
	s_waitcnt vmcnt(24)
	v_mul_i32_i24_e32 v78, v175, v235
	;; [unrolled: 2-line block ×3, first 2 shown]
	v_dual_mov_b32 v5, v152 :: v_dual_mov_b32 v152, v255
	scratch_load_b32 v255, off, off offset:524 ; 4-byte Folded Reload
	v_add3_u32 v23, v23, v72, v73
	v_mul_i32_i24_e32 v72, v183, v145
	v_mul_i32_i24_e32 v73, v184, v20
	scratch_load_b32 v145, off, off offset:436 ; 4-byte Folded Reload
	v_add3_u32 v23, v23, v74, v76
	v_mul_i32_i24_e32 v74, v185, v32
	v_mul_i32_i24_e32 v76, v186, v34
	s_delay_alu instid0(VALU_DEP_3)
	v_add3_u32 v23, v23, v72, v73
	v_mul_i32_i24_e32 v72, v171, v39
	v_mul_i32_i24_e32 v73, v180, v251
	scratch_load_b32 v39, off, off offset:420 ; 4-byte Folded Reload
	v_add3_u32 v23, v23, v74, v76
	v_mul_i32_i24_e32 v74, v181, v214
	v_mul_i32_i24_e32 v76, v182, v254
	s_delay_alu instid0(VALU_DEP_3)
	v_add3_u32 v23, v23, v72, v73
	v_mul_i32_i24_e32 v72, v203, v147
	v_mul_i32_i24_e32 v73, v204, v148
	s_clause 0x1
	scratch_load_b32 v147, off, off offset:444
	scratch_load_b32 v148, off, off offset:340
	v_add3_u32 v23, v23, v74, v76
	v_mul_i32_i24_e32 v74, v205, v41
	v_mul_i32_i24_e32 v76, v206, v44
	v_dual_mov_b32 v44, v113 :: v_dual_mov_b32 v229, v215
	s_delay_alu instid0(VALU_DEP_4)
	v_add3_u32 v23, v23, v72, v73
	v_mul_i32_i24_e32 v72, v199, v42
	v_mul_i32_i24_e32 v73, v200, v137
	s_clause 0x1
	scratch_load_b32 v215, off, off offset:828
	scratch_load_b32 v137, off, off offset:20
	v_add3_u32 v23, v23, v74, v76
	v_mul_i32_i24_e32 v74, v201, v227
	v_mul_i32_i24_e32 v76, v202, v141
	s_clause 0x1
	scratch_load_b32 v141, off, off offset:424
	scratch_load_b32 v41, off, off offset:800
	v_add3_u32 v23, v23, v72, v73
	v_mul_i32_i24_e32 v72, v195, v128
	v_mul_i32_i24_e32 v73, v196, v43
	v_dual_mov_b32 v43, v112 :: v_dual_mov_b32 v42, v111
	s_delay_alu instid0(VALU_DEP_4)
	v_add3_u32 v23, v23, v74, v76
	v_mul_i32_i24_e32 v74, v197, v143
	v_mul_i32_i24_e32 v76, v198, v149
	scratch_load_b32 v143, off, off offset:428 ; 4-byte Folded Reload
	v_add3_u32 v23, v23, v72, v73
	v_mul_i32_i24_e32 v73, v192, v150
	scratch_load_b32 v150, off, off offset:848 ; 4-byte Folded Reload
	v_mul_i32_i24_e32 v72, v191, v82
	scratch_load_b32 v82, off, off offset:872 ; 4-byte Folded Reload
	v_add3_u32 v23, v23, v74, v76
	v_mul_i32_i24_e32 v74, v193, v64
	v_mul_i32_i24_e32 v76, v194, v5
	s_delay_alu instid0(VALU_DEP_3) | instskip(SKIP_2) | instid1(VALU_DEP_3)
	v_add3_u32 v23, v23, v72, v73
	v_mul_i32_i24_e32 v73, v177, v230
	v_fma_mix_f32 v72, v152, v2, 0 op_sel:[0,1,0] op_sel_hi:[0,1,0]
	v_add3_u32 v23, v23, v74, v76
	v_mul_i32_i24_e32 v74, v178, v232
	v_mul_i32_i24_e32 v76, v179, v233
	v_mad_i32_i24 v73, v176, v229, v73
	v_fma_mix_f32 v72, v248, v3, v72 op_sel:[0,1,0] op_sel_hi:[0,1,0]
	v_mul_lo_u32 v23, v23, v151
	s_delay_alu instid0(VALU_DEP_3)
	v_add3_u32 v73, v73, v74, v76
	v_mul_i32_i24_e32 v74, v172, v84
	v_mul_i32_i24_e32 v76, v173, v231
	scratch_load_b32 v84, off, off offset:876 ; 4-byte Folded Reload
	v_mul_f32_e32 v72, v72, v228
	v_cvt_f32_i32_e32 v23, v23
	v_add3_u32 v73, v73, v74, v76
	v_mul_i32_i24_e32 v74, v167, v236
	v_mul_i32_i24_e32 v76, v168, v237
	s_delay_alu instid0(VALU_DEP_4) | instskip(NEXT) | instid1(VALU_DEP_4)
	v_fma_mix_f32 v23, v2, v23, 0 op_sel_hi:[1,0,0]
	v_add3_u32 v73, v73, v77, v78
	v_mul_i32_i24_e32 v77, v169, v238
	v_mul_i32_i24_e32 v78, v170, v239
	s_delay_alu instid0(VALU_DEP_3)
	v_add3_u32 v73, v73, v74, v76
	v_mul_i32_i24_e32 v74, v163, v240
	v_mul_i32_i24_e32 v76, v164, v21
	scratch_load_b32 v21, off, off offset:400 ; 4-byte Folded Reload
	v_add3_u32 v73, v73, v77, v78
	v_mul_i32_i24_e32 v77, v165, v130
	s_delay_alu instid0(VALU_DEP_2)
	v_add3_u32 v73, v73, v74, v76
	v_mul_i32_i24_e32 v74, v159, v129
	v_mul_i32_i24_e32 v76, v160, v246
	s_clause 0x1
	scratch_load_b32 v129, off, off offset:840
	scratch_load_b32 v246, off, off offset:1004
	s_waitcnt vmcnt(5)
	v_mul_i32_i24_e32 v78, v166, v150
	s_delay_alu instid0(VALU_DEP_1)
	v_add3_u32 v73, v73, v77, v78
	v_mul_i32_i24_e32 v77, v161, v247
	v_mul_i32_i24_e32 v78, v162, v127
	scratch_load_b32 v247, off, off offset:856 ; 4-byte Folded Reload
	v_add3_u32 v73, v73, v74, v76
	v_mul_i32_i24_e32 v74, v211, v215
	v_mul_i32_i24_e32 v76, v213, v45
	s_delay_alu instid0(VALU_DEP_3)
	v_add3_u32 v73, v73, v77, v78
	v_mul_i32_i24_e32 v77, v157, v243
	scratch_load_b32 v243, off, off offset:836 ; 4-byte Folded Reload
	v_mul_i32_i24_e32 v78, v158, v244
	scratch_load_b32 v244, off, off offset:844 ; 4-byte Folded Reload
	v_add3_u32 v73, v73, v74, v76
	v_mul_i32_i24_e32 v74, v75, v241
	v_mul_i32_i24_e32 v76, v126, v242
	s_delay_alu instid0(VALU_DEP_3)
	v_add3_u32 v73, v73, v77, v78
	v_mul_i32_i24_e32 v77, v4, v245
	scratch_load_b32 v245, off, off offset:852 ; 4-byte Folded Reload
	v_add3_u32 v73, v73, v74, v76
	s_waitcnt vmcnt(5)
	v_mul_i32_i24_e32 v74, v0, v129
	s_waitcnt vmcnt(2)
	v_mul_i32_i24_e32 v78, v153, v243
	;; [unrolled: 2-line block ×3, first 2 shown]
	s_delay_alu instid0(VALU_DEP_2) | instskip(SKIP_3) | instid1(VALU_DEP_3)
	v_add3_u32 v73, v73, v77, v78
	v_mul_i32_i24_e32 v77, v69, v246
	s_waitcnt vmcnt(0)
	v_mul_i32_i24_e32 v78, v71, v245
	v_add3_u32 v73, v73, v74, v76
	v_mul_i32_i24_e32 v74, v189, v39
	v_mul_i32_i24_e32 v76, v190, v141
	s_delay_alu instid0(VALU_DEP_3) | instskip(SKIP_1) | instid1(VALU_DEP_2)
	v_add3_u32 v73, v73, v77, v78
	v_mul_i32_i24_e32 v78, v175, v29
	v_mul_lo_u32 v73, v73, v247
	s_delay_alu instid0(VALU_DEP_1) | instskip(NEXT) | instid1(VALU_DEP_1)
	v_cvt_f32_i32_e32 v73, v73
	v_fma_mix_f32 v23, v3, v73, v23 op_sel_hi:[1,0,0]
	v_mul_i32_i24_e32 v73, v210, v137
	s_delay_alu instid0(VALU_DEP_2)
	v_fma_f32 v23, v23, v138, -v72
	v_mov_b32_e32 v11, v20
	v_mul_i32_i24_e32 v72, v209, v135
	scratch_load_b32 v20, off, off offset:964 ; 4-byte Folded Reload
	v_add_f32_e32 v46, v46, v23
	scratch_store_b32 off, v7, off offset:1124 ; 4-byte Folded Spill
	v_mul_i32_i24_e32 v23, v208, v134
	scratch_store_b32 off, v46, off offset:1128 ; 4-byte Folded Spill
	scratch_load_b32 v46, off, off offset:152 ; 4-byte Folded Reload
	v_mad_i32_i24 v23, v207, v66, v23
	s_delay_alu instid0(VALU_DEP_1) | instskip(SKIP_2) | instid1(VALU_DEP_1)
	v_add3_u32 v23, v23, v72, v73
	v_mul_i32_i24_e32 v72, v187, v249
	v_mul_i32_i24_e32 v73, v188, v136
	v_add3_u32 v23, v23, v72, v73
	v_mul_i32_i24_e32 v72, v183, v142
	v_mul_i32_i24_e32 v73, v184, v143
	s_delay_alu instid0(VALU_DEP_3) | instskip(SKIP_2) | instid1(VALU_DEP_3)
	v_add3_u32 v23, v23, v74, v76
	v_mul_i32_i24_e32 v74, v185, v144
	v_mul_i32_i24_e32 v76, v186, v146
	v_add3_u32 v23, v23, v72, v73
	v_mul_i32_i24_e32 v72, v171, v145
	v_mul_i32_i24_e32 v73, v180, v147
	s_delay_alu instid0(VALU_DEP_3) | instskip(SKIP_2) | instid1(VALU_DEP_3)
	v_add3_u32 v23, v23, v74, v76
	v_mul_i32_i24_e32 v74, v181, v217
	v_mul_i32_i24_e32 v76, v182, v218
	v_add3_u32 v23, v23, v72, v73
	v_mul_i32_i24_e32 v72, v203, v30
	v_mul_i32_i24_e32 v73, v204, v219
	s_delay_alu instid0(VALU_DEP_3) | instskip(SKIP_2) | instid1(VALU_DEP_3)
	v_add3_u32 v23, v23, v74, v76
	v_mul_i32_i24_e32 v74, v205, v131
	v_mul_i32_i24_e32 v76, v206, v221
	v_add3_u32 v23, v23, v72, v73
	v_mul_i32_i24_e32 v72, v199, v220
	v_mul_i32_i24_e32 v73, v200, v99
	s_delay_alu instid0(VALU_DEP_3) | instskip(SKIP_2) | instid1(VALU_DEP_3)
	v_add3_u32 v23, v23, v74, v76
	v_mul_i32_i24_e32 v74, v201, v104
	v_mul_i32_i24_e32 v76, v202, v35
	v_add3_u32 v23, v23, v72, v73
	v_mul_i32_i24_e32 v72, v195, v140
	v_mul_i32_i24_e32 v73, v196, v82
	s_delay_alu instid0(VALU_DEP_3) | instskip(SKIP_2) | instid1(VALU_DEP_3)
	v_add3_u32 v23, v23, v74, v76
	v_mul_i32_i24_e32 v74, v197, v84
	v_mul_i32_i24_e32 v76, v198, v91
	v_add3_u32 v23, v23, v72, v73
	v_mul_i32_i24_e32 v72, v191, v90
	v_mul_i32_i24_e32 v73, v192, v92
	s_delay_alu instid0(VALU_DEP_3) | instskip(SKIP_2) | instid1(VALU_DEP_3)
	v_add3_u32 v23, v23, v74, v76
	v_mul_i32_i24_e32 v74, v193, v93
	v_mul_i32_i24_e32 v76, v194, v94
	v_add3_u32 v23, v23, v72, v73
	v_mul_i32_i24_e32 v73, v177, v98
	v_fma_mix_f32 v72, v96, v2, 0 op_sel:[0,1,0] op_sel_hi:[0,1,0]
	s_delay_alu instid0(VALU_DEP_3)
	v_add3_u32 v23, v23, v74, v76
	v_mul_i32_i24_e32 v74, v178, v100
	v_mul_i32_i24_e32 v76, v179, v101
	v_mad_i32_i24 v73, v176, v97, v73
	v_fma_mix_f32 v72, v28, v3, v72 op_sel:[0,1,0] op_sel_hi:[0,1,0]
	v_mul_lo_u32 v23, v23, v95
	s_delay_alu instid0(VALU_DEP_3) | instskip(SKIP_4) | instid1(VALU_DEP_3)
	v_add3_u32 v73, v73, v74, v76
	v_mul_i32_i24_e32 v74, v172, v224
	v_mul_i32_i24_e32 v76, v173, v102
	v_mul_f32_e32 v72, v72, v63
	v_cvt_f32_i32_e32 v23, v23
	v_add3_u32 v73, v73, v74, v76
	v_mul_i32_i24_e32 v74, v167, v33
	v_mul_i32_i24_e32 v76, v168, v40
	s_delay_alu instid0(VALU_DEP_4) | instskip(SKIP_2) | instid1(VALU_DEP_1)
	v_fma_mix_f32 v23, v2, v23, 0 op_sel_hi:[1,0,0]
	s_waitcnt vmcnt(0)
	v_mul_i32_i24_e32 v77, v174, v46
	v_add3_u32 v73, v73, v77, v78
	v_mul_i32_i24_e32 v77, v169, v62
	v_mul_i32_i24_e32 v78, v170, v52
	s_delay_alu instid0(VALU_DEP_3) | instskip(SKIP_2) | instid1(VALU_DEP_3)
	v_add3_u32 v73, v73, v74, v76
	v_mul_i32_i24_e32 v74, v163, v54
	v_mul_i32_i24_e32 v76, v164, v55
	v_add3_u32 v73, v73, v77, v78
	v_mul_i32_i24_e32 v77, v165, v56
	v_mul_i32_i24_e32 v78, v166, v57
	s_delay_alu instid0(VALU_DEP_3) | instskip(SKIP_2) | instid1(VALU_DEP_3)
	v_add3_u32 v73, v73, v74, v76
	v_mul_i32_i24_e32 v74, v159, v58
	;; [unrolled: 7-line block ×5, first 2 shown]
	v_mul_i32_i24_e32 v76, v1, v36
	v_add3_u32 v73, v73, v77, v78
	v_mul_i32_i24_e32 v77, v69, v212
	v_mul_i32_i24_e32 v78, v71, v148
	s_delay_alu instid0(VALU_DEP_3)
	v_add3_u32 v73, v73, v74, v76
	v_mul_i32_i24_e32 v74, v189, v26
	v_mul_i32_i24_e32 v76, v190, v225
	s_clause 0x1
	scratch_load_b32 v190, off, off offset:224
	scratch_load_b32 v189, off, off offset:512
	v_add3_u32 v73, v73, v77, v78
	s_delay_alu instid0(VALU_DEP_1) | instskip(NEXT) | instid1(VALU_DEP_1)
	v_mul_lo_u32 v73, v73, v38
	v_cvt_f32_i32_e32 v73, v73
	s_delay_alu instid0(VALU_DEP_1)
	v_fma_mix_f32 v23, v3, v73, v23 op_sel_hi:[1,0,0]
	v_mul_i32_i24_e32 v73, v210, v16
	scratch_load_b32 v16, off, off offset:404 ; 4-byte Folded Reload
	v_mov_b32_e32 v210, v119
	v_fma_f32 v23, v23, v17, -v72
	v_mul_i32_i24_e32 v72, v209, v6
	scratch_load_b32 v6, off, off offset:8  ; 4-byte Folded Reload
	v_mov_b32_e32 v209, v114
	v_add_f32_e32 v70, v70, v23
	v_mul_i32_i24_e32 v23, v208, v132
	v_mov_b32_e32 v208, v117
	scratch_store_b32 off, v70, off offset:1120 ; 4-byte Folded Spill
	scratch_load_b32 v70, off, off offset:956 ; 4-byte Folded Reload
	s_waitcnt vmcnt(4)
	v_mul_i32_i24_e32 v0, v0, v190
	s_waitcnt vmcnt(1)
	v_mad_i32_i24 v23, v207, v6, v23
	v_mov_b32_e32 v207, v115
	s_delay_alu instid0(VALU_DEP_2)
	v_add3_u32 v23, v23, v72, v73
	v_mul_i32_i24_e32 v72, v187, v27
	v_mul_i32_i24_e32 v73, v188, v67
	scratch_load_b32 v188, off, off offset:508 ; 4-byte Folded Reload
	v_add3_u32 v23, v23, v72, v73
	v_mul_i32_i24_e32 v72, v183, v226
	v_mul_i32_i24_e32 v73, v184, v255
	s_delay_alu instid0(VALU_DEP_3) | instskip(SKIP_2) | instid1(VALU_DEP_3)
	v_add3_u32 v23, v23, v74, v76
	v_mul_i32_i24_e32 v74, v185, v87
	v_mul_i32_i24_e32 v76, v186, v25
	v_add3_u32 v23, v23, v72, v73
	s_waitcnt vmcnt(1)
	v_mul_i32_i24_e32 v72, v171, v70
	v_mul_i32_i24_e32 v73, v180, v22
	s_delay_alu instid0(VALU_DEP_3) | instskip(SKIP_2) | instid1(VALU_DEP_3)
	v_add3_u32 v23, v23, v74, v76
	v_mul_i32_i24_e32 v74, v181, v53
	v_mul_i32_i24_e32 v76, v182, v24
	v_add3_u32 v23, v23, v72, v73
	v_mul_i32_i24_e32 v72, v203, v8
	v_mul_i32_i24_e32 v73, v204, v13
	v_dual_mov_b32 v204, v125 :: v_dual_mov_b32 v203, v124
	s_delay_alu instid0(VALU_DEP_4) | instskip(SKIP_3) | instid1(VALU_DEP_4)
	v_add3_u32 v23, v23, v74, v76
	v_mul_i32_i24_e32 v74, v205, v14
	v_mul_i32_i24_e32 v76, v206, v9
	v_dual_mov_b32 v206, v116 :: v_dual_mov_b32 v205, v118
	v_add3_u32 v23, v23, v72, v73
	v_mul_i32_i24_e32 v72, v199, v15
	v_mul_i32_i24_e32 v73, v200, v10
	v_dual_mov_b32 v200, v121 :: v_dual_mov_b32 v199, v120
	s_delay_alu instid0(VALU_DEP_4) | instskip(SKIP_3) | instid1(VALU_DEP_4)
	v_add3_u32 v23, v23, v74, v76
	v_mul_i32_i24_e32 v74, v201, v19
	v_mul_i32_i24_e32 v76, v202, v250
	v_dual_mov_b32 v202, v123 :: v_dual_mov_b32 v201, v122
	v_add3_u32 v23, v23, v72, v73
	v_mul_i32_i24_e32 v72, v195, v252
	v_mul_i32_i24_e32 v73, v196, v41
	s_clause 0x1
	scratch_load_b32 v195, off, off offset:760
	scratch_load_b32 v196, off, off offset:516
	v_add3_u32 v23, v23, v74, v76
	v_mul_i32_i24_e32 v76, v198, v16
	scratch_load_b32 v198, off, off offset:948 ; 4-byte Folded Reload
	v_mul_i32_i24_e32 v74, v197, v21
	scratch_load_b32 v197, off, off offset:532 ; 4-byte Folded Reload
	v_add3_u32 v23, v23, v72, v73
	v_mul_i32_i24_e32 v72, v191, v12
	scratch_load_b32 v191, off, off offset:228 ; 4-byte Folded Reload
	v_mul_i32_i24_e32 v73, v192, v18
	scratch_load_b32 v192, off, off offset:216 ; 4-byte Folded Reload
	;; [unrolled: 5-line block ×3, first 2 shown]
	v_add3_u32 v23, v23, v72, v73
	v_mul_i32_i24_e32 v72, v178, v50
	v_mul_i32_i24_e32 v73, v179, v51
	v_mov_b32_e32 v47, v80
	v_mov_b32_e32 v51, v52
	v_add3_u32 v23, v23, v74, v76
	v_mul_i32_i24_e32 v74, v174, v80
	v_mul_i32_i24_e32 v76, v175, v81
	s_delay_alu instid0(VALU_DEP_3) | instskip(NEXT) | instid1(VALU_DEP_1)
	v_mul_lo_u32 v23, v23, v110
	v_cvt_f32_i32_e32 v23, v23
	s_delay_alu instid0(VALU_DEP_1) | instskip(SKIP_4) | instid1(VALU_DEP_4)
	v_fma_mix_f32 v171, v2, v23, 0 op_sel_hi:[1,0,0]
	v_mul_i32_i24_e32 v23, v177, v49
	v_mov_b32_e32 v49, v81
	v_fma_mix_f32 v2, v48, v2, 0 op_sel:[0,1,0] op_sel_hi:[0,1,0]
	v_mov_b32_e32 v48, v79
	v_mad_i32_i24 v23, v176, v106, v23
	s_delay_alu instid0(VALU_DEP_1) | instskip(SKIP_2) | instid1(VALU_DEP_1)
	v_add3_u32 v23, v23, v72, v73
	v_mul_i32_i24_e32 v72, v172, v105
	v_mul_i32_i24_e32 v73, v173, v79
	v_add3_u32 v23, v23, v72, v73
	v_mul_i32_i24_e32 v72, v167, v210
	v_mul_i32_i24_e32 v73, v168, v43
	s_delay_alu instid0(VALU_DEP_3) | instskip(SKIP_2) | instid1(VALU_DEP_3)
	v_add3_u32 v23, v23, v74, v76
	v_mul_i32_i24_e32 v74, v169, v42
	v_mul_i32_i24_e32 v76, v170, v44
	v_add3_u32 v23, v23, v72, v73
	v_mul_i32_i24_e32 v72, v163, v206
	v_mul_i32_i24_e32 v73, v164, v207
	s_delay_alu instid0(VALU_DEP_3) | instskip(SKIP_2) | instid1(VALU_DEP_3)
	;; [unrolled: 7-line block ×3, first 2 shown]
	v_add3_u32 v23, v23, v74, v76
	v_mul_i32_i24_e32 v74, v161, v204
	v_mul_i32_i24_e32 v76, v162, v205
	v_add3_u32 v23, v23, v72, v73
	v_mul_i32_i24_e32 v73, v213, v199
	s_delay_alu instid0(VALU_DEP_2)
	v_add3_u32 v23, v23, v74, v76
	v_mul_i32_i24_e32 v74, v157, v200
	v_mul_i32_i24_e32 v76, v158, v201
	s_waitcnt vmcnt(6)
	v_mul_i32_i24_e32 v4, v4, v196
	s_waitcnt vmcnt(5)
	v_mul_i32_i24_e32 v72, v211, v198
	v_mov_b32_e32 v211, v109
	s_delay_alu instid0(VALU_DEP_2) | instskip(SKIP_3) | instid1(VALU_DEP_3)
	v_add3_u32 v23, v23, v72, v73
	v_mul_i32_i24_e32 v73, v126, v195
	s_waitcnt vmcnt(3)
	v_mul_i32_i24_e32 v1, v1, v191
	v_add3_u32 v23, v23, v74, v76
	s_waitcnt vmcnt(1)
	v_mul_i32_i24_e32 v72, v75, v194
	v_mul_i32_i24_e32 v74, v153, v197
	s_delay_alu instid0(VALU_DEP_2) | instskip(NEXT) | instid1(VALU_DEP_1)
	v_add3_u32 v23, v23, v72, v73
	v_add3_u32 v4, v23, v4, v74
	v_mul_i32_i24_e32 v23, v69, v192
	s_waitcnt vmcnt(0)
	v_mul_i32_i24_e32 v69, v71, v193
	s_delay_alu instid0(VALU_DEP_3) | instskip(SKIP_1) | instid1(VALU_DEP_2)
	v_add3_u32 v0, v4, v0, v1
	v_fma_mix_f32 v1, v188, v3, v2 op_sel:[0,1,0] op_sel_hi:[0,1,0]
	v_add3_u32 v0, v0, v23, v69
	s_delay_alu instid0(VALU_DEP_2) | instskip(NEXT) | instid1(VALU_DEP_2)
	v_mul_f32_e32 v1, v1, v60
	v_mul_lo_u32 v0, v0, v189
	s_delay_alu instid0(VALU_DEP_1) | instskip(NEXT) | instid1(VALU_DEP_1)
	v_cvt_f32_i32_e32 v0, v0
	v_fma_mix_f32 v0, v3, v0, v171 op_sel_hi:[1,0,0]
	s_delay_alu instid0(VALU_DEP_1)
	v_fma_f32 v0, v0, v211, -v1
	scratch_load_b32 v1, off, off offset:1116 ; 4-byte Folded Reload
	s_waitcnt vmcnt(0)
	v_add_f32_e32 v1, v1, v0
	scratch_store_b32 off, v1, off offset:1116 ; 4-byte Folded Spill
	ds_load_b128 v[0:3], v216 offset:6144
	s_waitcnt lgkmcnt(0)
	v_bfe_i32 v4, v0, 0, 8
	v_bfe_i32 v23, v0, 8, 8
	v_bfe_i32 v69, v0, 16, 8
	v_ashrrev_i32_e32 v71, 24, v0
	v_bfe_i32 v72, v1, 0, 8
	v_bfe_i32 v73, v1, 8, 8
	v_bfe_i32 v74, v1, 16, 8
	v_ashrrev_i32_e32 v75, 24, v1
	;; [unrolled: 4-line block ×4, first 2 shown]
	ds_load_b128 v[0:3], v216 offset:6160
	s_waitcnt lgkmcnt(0)
	v_bfe_i32 v107, v0, 0, 8
	v_bfe_i32 v108, v0, 8, 8
	;; [unrolled: 1-line block ×3, first 2 shown]
	v_ashrrev_i32_e32 v110, 24, v0
	scratch_load_b32 v0, off, off offset:212 ; 4-byte Folded Reload
	v_bfe_i32 v111, v1, 0, 8
	v_bfe_i32 v112, v1, 8, 8
	v_bfe_i32 v113, v1, 16, 8
	v_ashrrev_i32_e32 v114, 24, v1
	v_bfe_i32 v115, v2, 0, 8
	v_bfe_i32 v116, v2, 8, 8
	v_bfe_i32 v117, v2, 16, 8
	v_ashrrev_i32_e32 v118, 24, v2
	;; [unrolled: 4-line block ×3, first 2 shown]
	s_waitcnt vmcnt(0)
	ds_load_2addr_b64 v[0:3], v0 offset0:96 offset1:112
	ds_load_b128 v[153:156], v216 offset:6176
	s_clause 0x4
	scratch_load_b32 v37, off, off offset:548
	scratch_load_b32 v213, off, off offset:952
	scratch_load_b32 v7, off, off offset:1028
	scratch_load_b32 v68, off, off offset:932
	scratch_load_b32 v6, off, off offset:312
	s_waitcnt lgkmcnt(0)
	v_bfe_i32 v123, v153, 0, 8
	v_bfe_i32 v125, v153, 16, 8
	v_ashrrev_i32_e32 v126, 24, v153
	v_bfe_i32 v124, v153, 8, 8
	v_bfe_i32 v158, v154, 8, 8
	;; [unrolled: 1-line block ×3, first 2 shown]
	v_ashrrev_i32_e32 v160, 24, v154
	v_bfe_i32 v157, v154, 0, 8
	v_bfe_i32 v161, v155, 0, 8
	;; [unrolled: 1-line block ×4, first 2 shown]
	v_ashrrev_i32_e32 v164, 24, v155
	v_bfe_i32 v165, v156, 0, 8
	v_bfe_i32 v166, v156, 8, 8
	;; [unrolled: 1-line block ×3, first 2 shown]
	v_ashrrev_i32_e32 v168, 24, v156
	ds_load_b128 v[153:156], v216 offset:6192
	s_waitcnt lgkmcnt(0)
	v_bfe_i32 v169, v153, 0, 8
	v_bfe_i32 v170, v153, 8, 8
	v_bfe_i32 v171, v153, 16, 8
	v_ashrrev_i32_e32 v153, 24, v153
	v_bfe_i32 v172, v154, 0, 8
	v_bfe_i32 v173, v154, 8, 8
	v_bfe_i32 v174, v154, 16, 8
	v_ashrrev_i32_e32 v154, 24, v154
	;; [unrolled: 4-line block ×4, first 2 shown]
	s_waitcnt vmcnt(4)
	v_mul_i32_i24_e32 v181, v4, v37
	scratch_load_b32 v37, off, off offset:776 ; 4-byte Folded Reload
	s_waitcnt vmcnt(4)
	v_mul_i32_i24_e32 v183, v71, v213
	s_waitcnt vmcnt(2)
	v_mad_i32_i24 v181, v23, v68, v181
	scratch_load_b32 v68, off, off offset:552 ; 4-byte Folded Reload
	s_waitcnt vmcnt(1)
	v_mul_i32_i24_e32 v182, v69, v37
	s_delay_alu instid0(VALU_DEP_1)
	v_add3_u32 v181, v181, v182, v183
	s_waitcnt vmcnt(0)
	v_mul_i32_i24_e32 v182, v72, v68
	scratch_load_b32 v68, off, off offset:936 ; 4-byte Folded Reload
	s_waitcnt vmcnt(0)
	v_mul_i32_i24_e32 v183, v73, v68
	scratch_load_b32 v68, off, off offset:264 ; 4-byte Folded Reload
	v_add3_u32 v181, v181, v182, v183
	s_waitcnt vmcnt(0)
	v_mul_i32_i24_e32 v184, v74, v68
	scratch_load_b32 v68, off, off offset:268 ; 4-byte Folded Reload
	s_waitcnt vmcnt(0)
	v_mul_i32_i24_e32 v185, v75, v68
	scratch_load_b32 v68, off, off offset:272 ; 4-byte Folded Reload
	;; [unrolled: 7-line block ×14, first 2 shown]
	v_add3_u32 v181, v181, v184, v185
	s_waitcnt vmcnt(0)
	s_delay_alu instid0(VALU_DEP_1) | instskip(SKIP_2) | instid1(VALU_DEP_1)
	v_mul_lo_u32 v181, v181, v68
	scratch_load_b32 v68, off, off offset:632 ; 4-byte Folded Reload
	v_cvt_f32_i32_e32 v181, v181
	v_fma_mix_f32 v181, v0, v181, 0 op_sel_hi:[1,0,0]
	s_waitcnt vmcnt(0)
	v_fma_mix_f32 v182, v68, v0, 0 op_sel:[0,1,0] op_sel_hi:[0,1,0]
	scratch_load_b32 v68, off, off offset:636 ; 4-byte Folded Reload
	s_waitcnt vmcnt(0)
	v_mul_i32_i24_e32 v183, v123, v68
	scratch_load_b32 v68, off, off offset:640 ; 4-byte Folded Reload
	s_waitcnt vmcnt(0)
	v_mul_i32_i24_e32 v184, v125, v68
	;; [unrolled: 3-line block ×3, first 2 shown]
	scratch_load_b32 v68, off, off offset:648 ; 4-byte Folded Reload
	s_waitcnt vmcnt(0)
	v_mad_i32_i24 v183, v124, v68, v183
	scratch_load_b32 v68, off, off offset:944 ; 4-byte Folded Reload
	v_add3_u32 v183, v183, v184, v185
	v_mul_i32_i24_e32 v184, v157, v6
	scratch_load_b32 v6, off, off offset:1036 ; 4-byte Folded Reload
	s_waitcnt vmcnt(1)
	v_mul_i32_i24_e32 v185, v158, v68
	scratch_load_b32 v68, off, off offset:304 ; 4-byte Folded Reload
	v_add3_u32 v183, v183, v184, v185
	s_waitcnt vmcnt(0)
	v_mul_i32_i24_e32 v186, v159, v68
	scratch_load_b32 v68, off, off offset:652 ; 4-byte Folded Reload
	s_waitcnt vmcnt(0)
	v_mul_i32_i24_e32 v187, v160, v68
	scratch_load_b32 v68, off, off offset:656 ; 4-byte Folded Reload
	v_add3_u32 v183, v183, v186, v187
	s_waitcnt vmcnt(0)
	v_mul_i32_i24_e32 v184, v161, v68
	scratch_load_b32 v68, off, off offset:660 ; 4-byte Folded Reload
	s_waitcnt vmcnt(0)
	v_mul_i32_i24_e32 v185, v162, v68
	scratch_load_b32 v68, off, off offset:664 ; 4-byte Folded Reload
	v_add3_u32 v183, v183, v184, v185
	s_waitcnt vmcnt(0)
	v_mul_i32_i24_e32 v186, v163, v68
	scratch_load_b32 v68, off, off offset:668 ; 4-byte Folded Reload
	s_waitcnt vmcnt(0)
	v_mul_i32_i24_e32 v187, v164, v68
	scratch_load_b32 v68, off, off offset:672 ; 4-byte Folded Reload
	v_add3_u32 v183, v183, v186, v187
	s_waitcnt vmcnt(0)
	v_mul_i32_i24_e32 v184, v165, v68
	scratch_load_b32 v68, off, off offset:676 ; 4-byte Folded Reload
	s_waitcnt vmcnt(0)
	v_mul_i32_i24_e32 v185, v166, v68
	scratch_load_b32 v68, off, off offset:680 ; 4-byte Folded Reload
	v_add3_u32 v183, v183, v184, v185
	s_waitcnt vmcnt(0)
	v_mul_i32_i24_e32 v186, v167, v68
	scratch_load_b32 v68, off, off offset:684 ; 4-byte Folded Reload
	s_waitcnt vmcnt(0)
	v_mul_i32_i24_e32 v187, v168, v68
	scratch_load_b32 v68, off, off offset:688 ; 4-byte Folded Reload
	v_add3_u32 v183, v183, v186, v187
	s_waitcnt vmcnt(0)
	v_mul_i32_i24_e32 v184, v169, v68
	scratch_load_b32 v68, off, off offset:692 ; 4-byte Folded Reload
	s_waitcnt vmcnt(0)
	v_mul_i32_i24_e32 v185, v170, v68
	scratch_load_b32 v68, off, off offset:696 ; 4-byte Folded Reload
	v_add3_u32 v183, v183, v184, v185
	s_waitcnt vmcnt(0)
	v_mul_i32_i24_e32 v186, v171, v68
	scratch_load_b32 v68, off, off offset:700 ; 4-byte Folded Reload
	s_waitcnt vmcnt(0)
	v_mul_i32_i24_e32 v187, v153, v68
	scratch_load_b32 v68, off, off offset:704 ; 4-byte Folded Reload
	v_add3_u32 v183, v183, v186, v187
	s_waitcnt vmcnt(0)
	v_mul_i32_i24_e32 v184, v172, v68
	scratch_load_b32 v68, off, off offset:708 ; 4-byte Folded Reload
	s_waitcnt vmcnt(0)
	v_mul_i32_i24_e32 v185, v173, v68
	scratch_load_b32 v68, off, off offset:712 ; 4-byte Folded Reload
	v_add3_u32 v183, v183, v184, v185
	s_waitcnt vmcnt(0)
	v_mul_i32_i24_e32 v186, v174, v68
	scratch_load_b32 v68, off, off offset:716 ; 4-byte Folded Reload
	s_waitcnt vmcnt(0)
	v_mul_i32_i24_e32 v187, v154, v68
	scratch_load_b32 v68, off, off offset:720 ; 4-byte Folded Reload
	v_add3_u32 v183, v183, v186, v187
	s_waitcnt vmcnt(0)
	v_mul_i32_i24_e32 v184, v175, v68
	scratch_load_b32 v68, off, off offset:724 ; 4-byte Folded Reload
	s_waitcnt vmcnt(0)
	v_mul_i32_i24_e32 v185, v176, v68
	scratch_load_b32 v68, off, off offset:728 ; 4-byte Folded Reload
	v_add3_u32 v183, v183, v184, v185
	s_waitcnt vmcnt(0)
	v_mul_i32_i24_e32 v186, v177, v68
	scratch_load_b32 v68, off, off offset:732 ; 4-byte Folded Reload
	s_waitcnt vmcnt(0)
	v_mul_i32_i24_e32 v187, v155, v68
	scratch_load_b32 v68, off, off offset:736 ; 4-byte Folded Reload
	v_add3_u32 v183, v183, v186, v187
	s_waitcnt vmcnt(0)
	v_mul_i32_i24_e32 v184, v178, v68
	scratch_load_b32 v68, off, off offset:740 ; 4-byte Folded Reload
	s_waitcnt vmcnt(0)
	v_mul_i32_i24_e32 v185, v179, v68
	scratch_load_b32 v68, off, off offset:744 ; 4-byte Folded Reload
	v_add3_u32 v183, v183, v184, v185
	s_clause 0x1
	scratch_load_b32 v184, off, off offset:476
	scratch_load_b32 v185, off, off offset:160
	s_waitcnt vmcnt(2)
	v_mul_i32_i24_e32 v186, v180, v68
	scratch_load_b32 v68, off, off offset:748 ; 4-byte Folded Reload
	s_waitcnt vmcnt(2)
	v_mul_i32_i24_e32 v184, v74, v184
	s_waitcnt vmcnt(1)
	v_mul_i32_i24_e32 v185, v75, v185
	;; [unrolled: 2-line block ×3, first 2 shown]
	scratch_load_b32 v68, off, off offset:752 ; 4-byte Folded Reload
	v_add3_u32 v183, v183, v186, v187
	v_mul_i32_i24_e32 v186, v159, v234
	v_mul_i32_i24_e32 v187, v160, v235
	s_waitcnt vmcnt(0)
	s_delay_alu instid0(VALU_DEP_3) | instskip(SKIP_2) | instid1(VALU_DEP_1)
	v_mul_lo_u32 v183, v183, v68
	scratch_load_b32 v68, off, off offset:756 ; 4-byte Folded Reload
	v_cvt_f32_i32_e32 v183, v183
	v_fma_mix_f32 v181, v1, v183, v181 op_sel_hi:[1,0,0]
	s_waitcnt vmcnt(0)
	v_fma_mix_f32 v182, v68, v1, v182 op_sel:[0,1,0] op_sel_hi:[0,1,0]
	scratch_load_b32 v68, off, off offset:1132 ; 4-byte Folded Reload
	v_mul_f32_e32 v182, v182, v6
	s_delay_alu instid0(VALU_DEP_1) | instskip(SKIP_1) | instid1(VALU_DEP_1)
	v_fma_f32 v181, v181, v7, -v182
	s_waitcnt vmcnt(0)
	v_add_f32_e32 v68, v68, v181
	scratch_store_b32 off, v68, off offset:1132 ; 4-byte Folded Spill
	scratch_load_b32 v68, off, off offset:536 ; 4-byte Folded Reload
	s_waitcnt vmcnt(0)
	v_mul_i32_i24_e32 v181, v4, v68
	scratch_load_b32 v68, off, off offset:808 ; 4-byte Folded Reload
	s_waitcnt vmcnt(0)
	v_mul_i32_i24_e32 v182, v69, v68
	;; [unrolled: 3-line block ×3, first 2 shown]
	scratch_load_b32 v68, off, off offset:232 ; 4-byte Folded Reload
	s_waitcnt vmcnt(0)
	v_mad_i32_i24 v181, v23, v68, v181
	s_delay_alu instid0(VALU_DEP_1)
	v_add3_u32 v181, v181, v182, v183
	s_clause 0x1
	scratch_load_b32 v182, off, off offset:928
	scratch_load_b32 v183, off, off offset:156
	s_waitcnt vmcnt(1)
	v_mul_i32_i24_e32 v182, v72, v182
	s_waitcnt vmcnt(0)
	v_mul_i32_i24_e32 v183, v73, v183
	s_delay_alu instid0(VALU_DEP_1)
	v_add3_u32 v181, v181, v182, v183
	scratch_load_b32 v182, off, off offset:164 ; 4-byte Folded Reload
	v_mul_i32_i24_e32 v183, v77, v11
	v_add3_u32 v181, v181, v184, v185
	v_mul_i32_i24_e32 v184, v78, v32
	scratch_load_b32 v32, off, off offset:168 ; 4-byte Folded Reload
	v_mul_i32_i24_e32 v185, v79, v34
	s_waitcnt vmcnt(1)
	v_mul_i32_i24_e32 v182, v76, v182
	s_delay_alu instid0(VALU_DEP_1)
	v_add3_u32 v181, v181, v182, v183
	v_mul_i32_i24_e32 v182, v80, v253
	v_mul_i32_i24_e32 v183, v81, v251
	scratch_load_b32 v251, off, off offset:1168 ; 4-byte Folded Reload
	v_add3_u32 v181, v181, v184, v185
	v_mul_i32_i24_e32 v184, v105, v214
	v_mul_i32_i24_e32 v185, v106, v254
	v_mov_b32_e32 v254, v134
	scratch_load_b32 v214, off, off offset:1164 ; 4-byte Folded Reload
	v_add3_u32 v181, v181, v182, v183
	s_waitcnt vmcnt(2)
	v_mul_i32_i24_e32 v182, v107, v32
	scratch_load_b32 v32, off, off offset:172 ; 4-byte Folded Reload
	v_add3_u32 v181, v181, v184, v185
	s_waitcnt vmcnt(0)
	v_mul_i32_i24_e32 v183, v108, v32
	;; [unrolled: 4-line block ×3, first 2 shown]
	scratch_load_b32 v32, off, off offset:184 ; 4-byte Folded Reload
	s_waitcnt vmcnt(0)
	v_mul_i32_i24_e32 v185, v110, v32
	scratch_load_b32 v32, off, off offset:180 ; 4-byte Folded Reload
	v_add3_u32 v181, v181, v184, v185
	v_mul_i32_i24_e32 v184, v113, v227
	s_waitcnt vmcnt(0)
	v_mul_i32_i24_e32 v182, v111, v32
	scratch_load_b32 v32, off, off offset:188 ; 4-byte Folded Reload
	s_waitcnt vmcnt(0)
	v_mul_i32_i24_e32 v183, v112, v32
	scratch_load_b32 v32, off, off offset:196 ; 4-byte Folded Reload
	v_add3_u32 v181, v181, v182, v183
	v_mul_i32_i24_e32 v182, v115, v128
	s_waitcnt vmcnt(0)
	v_mul_i32_i24_e32 v185, v114, v32
	scratch_load_b32 v32, off, off offset:200 ; 4-byte Folded Reload
	v_add3_u32 v181, v181, v184, v185
	v_mul_i32_i24_e32 v185, v118, v149
	v_mov_b32_e32 v149, v5
	s_waitcnt vmcnt(0)
	v_mul_i32_i24_e32 v183, v116, v32
	scratch_load_b32 v32, off, off offset:204 ; 4-byte Folded Reload
	v_add3_u32 v181, v181, v182, v183
	s_waitcnt vmcnt(0)
	v_mul_i32_i24_e32 v184, v117, v32
	scratch_load_b32 v32, off, off offset:236 ; 4-byte Folded Reload
	v_add3_u32 v181, v181, v184, v185
	v_mul_i32_i24_e32 v184, v121, v64
	v_mul_i32_i24_e32 v185, v122, v5
	scratch_load_b32 v5, off, off offset:308 ; 4-byte Folded Reload
	s_waitcnt vmcnt(1)
	v_mul_i32_i24_e32 v182, v119, v32
	scratch_load_b32 v32, off, off offset:240 ; 4-byte Folded Reload
	s_waitcnt vmcnt(0)
	v_mul_i32_i24_e32 v183, v120, v32
	scratch_load_b32 v32, off, off offset:540 ; 4-byte Folded Reload
	v_add3_u32 v181, v181, v182, v183
	v_mul_i32_i24_e32 v183, v123, v230
	v_fma_mix_f32 v182, v152, v0, 0 op_sel:[0,1,0] op_sel_hi:[0,1,0]
	s_delay_alu instid0(VALU_DEP_3)
	v_add3_u32 v181, v181, v184, v185
	v_mul_i32_i24_e32 v184, v125, v232
	v_mul_i32_i24_e32 v185, v126, v233
	v_mad_i32_i24 v183, v124, v229, v183
	v_fma_mix_f32 v182, v248, v1, v182 op_sel:[0,1,0] op_sel_hi:[0,1,0]
	v_mul_lo_u32 v181, v181, v151
	s_delay_alu instid0(VALU_DEP_3) | instskip(SKIP_1) | instid1(VALU_DEP_4)
	v_add3_u32 v183, v183, v184, v185
	v_mul_i32_i24_e32 v185, v158, v231
	v_mul_f32_e32 v182, v182, v228
	s_delay_alu instid0(VALU_DEP_4) | instskip(NEXT) | instid1(VALU_DEP_1)
	v_cvt_f32_i32_e32 v181, v181
	v_fma_mix_f32 v181, v0, v181, 0 op_sel_hi:[1,0,0]
	s_waitcnt vmcnt(0)
	v_mul_i32_i24_e32 v184, v157, v32
	scratch_load_b32 v32, off, off offset:260 ; 4-byte Folded Reload
	v_add3_u32 v183, v183, v184, v185
	v_mul_i32_i24_e32 v184, v161, v236
	v_mul_i32_i24_e32 v185, v162, v237
	s_delay_alu instid0(VALU_DEP_3) | instskip(SKIP_2) | instid1(VALU_DEP_3)
	v_add3_u32 v183, v183, v186, v187
	v_mul_i32_i24_e32 v186, v163, v238
	v_mul_i32_i24_e32 v187, v164, v239
	v_add3_u32 v183, v183, v184, v185
	v_mul_i32_i24_e32 v184, v165, v240
	s_delay_alu instid0(VALU_DEP_2)
	v_add3_u32 v183, v183, v186, v187
	v_mul_i32_i24_e32 v186, v167, v130
	v_mul_i32_i24_e32 v187, v168, v150
	v_mov_b32_e32 v150, v245
	v_mov_b32_e32 v130, v17
	s_waitcnt vmcnt(0)
	v_mul_i32_i24_e32 v185, v166, v32
	scratch_load_b32 v32, off, off offset:252 ; 4-byte Folded Reload
	v_add3_u32 v183, v183, v184, v185
	s_delay_alu instid0(VALU_DEP_1)
	v_add3_u32 v183, v183, v186, v187
	v_mul_i32_i24_e32 v187, v153, v127
	s_waitcnt vmcnt(0)
	v_mul_i32_i24_e32 v184, v169, v32
	scratch_load_b32 v32, off, off offset:256 ; 4-byte Folded Reload
	s_waitcnt vmcnt(0)
	v_mul_i32_i24_e32 v185, v170, v32
	scratch_load_b32 v32, off, off offset:544 ; 4-byte Folded Reload
	v_add3_u32 v183, v183, v184, v185
	v_mul_i32_i24_e32 v184, v172, v215
	v_mul_i32_i24_e32 v185, v173, v45
	v_mov_b32_e32 v215, v145
	s_waitcnt vmcnt(0)
	v_mul_i32_i24_e32 v186, v171, v32
	scratch_load_b32 v32, off, off offset:244 ; 4-byte Folded Reload
	v_add3_u32 v183, v183, v186, v187
	s_delay_alu instid0(VALU_DEP_1)
	v_add3_u32 v183, v183, v184, v185
	v_mul_i32_i24_e32 v184, v175, v241
	v_mul_i32_i24_e32 v185, v176, v242
	s_waitcnt vmcnt(0)
	v_mul_i32_i24_e32 v186, v174, v32
	scratch_load_b32 v32, off, off offset:248 ; 4-byte Folded Reload
	s_waitcnt vmcnt(0)
	v_mul_i32_i24_e32 v187, v154, v32
	scratch_load_b32 v32, off, off offset:556 ; 4-byte Folded Reload
	v_add3_u32 v183, v183, v186, v187
	v_mul_i32_i24_e32 v187, v155, v243
	s_delay_alu instid0(VALU_DEP_2) | instskip(SKIP_4) | instid1(VALU_DEP_1)
	v_add3_u32 v183, v183, v184, v185
	v_mul_i32_i24_e32 v184, v178, v129
	v_mul_i32_i24_e32 v185, v179, v244
	s_waitcnt vmcnt(0)
	v_mul_i32_i24_e32 v186, v177, v32
	v_add3_u32 v183, v183, v186, v187
	v_mul_i32_i24_e32 v186, v180, v246
	v_mul_i32_i24_e32 v187, v156, v245
	v_mov_b32_e32 v245, v39
	s_delay_alu instid0(VALU_DEP_4) | instskip(SKIP_3) | instid1(VALU_DEP_4)
	v_add3_u32 v183, v183, v184, v185
	v_mul_i32_i24_e32 v184, v74, v39
	v_mul_i32_i24_e32 v185, v75, v141
	v_mov_b32_e32 v39, v33
	v_add3_u32 v183, v183, v186, v187
	v_mul_i32_i24_e32 v186, v159, v46
	v_mul_i32_i24_e32 v187, v160, v29
	s_delay_alu instid0(VALU_DEP_3) | instskip(NEXT) | instid1(VALU_DEP_1)
	v_mul_lo_u32 v183, v183, v247
	v_cvt_f32_i32_e32 v183, v183
	s_delay_alu instid0(VALU_DEP_1) | instskip(SKIP_2) | instid1(VALU_DEP_3)
	v_fma_mix_f32 v181, v1, v183, v181 op_sel_hi:[1,0,0]
	v_mul_i32_i24_e32 v183, v71, v137
	v_mov_b32_e32 v137, v144
	v_fma_f32 v181, v181, v138, -v182
	v_mul_i32_i24_e32 v182, v69, v135
	v_mov_b32_e32 v135, v142
	s_delay_alu instid0(VALU_DEP_3) | instskip(SKIP_3) | instid1(VALU_DEP_3)
	v_add_f32_e32 v251, v251, v181
	v_mul_i32_i24_e32 v181, v4, v134
	v_dual_mov_b32 v134, v141 :: v_dual_mov_b32 v141, v146
	v_mul_i32_i24_e32 v4, v4, v132
	v_mad_i32_i24 v181, v23, v66, v181
	s_delay_alu instid0(VALU_DEP_1) | instskip(SKIP_3) | instid1(VALU_DEP_2)
	v_add3_u32 v181, v181, v182, v183
	v_mul_i32_i24_e32 v182, v72, v249
	v_mul_i32_i24_e32 v183, v73, v136
	v_mov_b32_e32 v136, v143
	v_add3_u32 v181, v181, v182, v183
	v_mul_i32_i24_e32 v182, v76, v142
	v_mul_i32_i24_e32 v183, v77, v143
	v_dual_mov_b32 v142, v147 :: v_dual_mov_b32 v143, v217
	s_delay_alu instid0(VALU_DEP_4)
	v_add3_u32 v181, v181, v184, v185
	v_mul_i32_i24_e32 v184, v78, v144
	v_mul_i32_i24_e32 v185, v79, v146
	v_mov_b32_e32 v144, v218
	v_mov_b32_e32 v146, v219
	v_add3_u32 v181, v181, v182, v183
	v_mul_i32_i24_e32 v182, v80, v145
	v_mul_i32_i24_e32 v183, v81, v147
	v_mov_b32_e32 v145, v30
	v_mov_b32_e32 v147, v131
	v_add3_u32 v181, v181, v184, v185
	v_mul_i32_i24_e32 v184, v105, v217
	v_mul_i32_i24_e32 v185, v106, v218
	v_dual_mov_b32 v218, v99 :: v_dual_mov_b32 v217, v221
	s_delay_alu instid0(VALU_DEP_4) | instskip(SKIP_3) | instid1(VALU_DEP_4)
	v_add3_u32 v181, v181, v182, v183
	v_mul_i32_i24_e32 v182, v107, v30
	v_mul_i32_i24_e32 v183, v108, v219
	v_mov_b32_e32 v219, v91
	v_add3_u32 v181, v181, v184, v185
	v_mul_i32_i24_e32 v184, v109, v131
	v_mul_i32_i24_e32 v185, v110, v221
	v_mov_b32_e32 v131, v220
	v_mov_b32_e32 v221, v36
	v_add3_u32 v181, v181, v182, v183
	v_mul_i32_i24_e32 v182, v111, v220
	v_mul_i32_i24_e32 v183, v112, v99
	v_dual_mov_b32 v99, v104 :: v_dual_mov_b32 v220, v31
	s_delay_alu instid0(VALU_DEP_4) | instskip(SKIP_3) | instid1(VALU_DEP_4)
	v_add3_u32 v181, v181, v184, v185
	v_mul_i32_i24_e32 v184, v113, v104
	v_mul_i32_i24_e32 v185, v114, v35
	v_mov_b32_e32 v104, v35
	v_add3_u32 v181, v181, v182, v183
	v_mul_i32_i24_e32 v182, v115, v140
	v_mul_i32_i24_e32 v183, v116, v82
	v_mov_b32_e32 v140, v82
	v_mov_b32_e32 v82, v84
	v_add3_u32 v181, v181, v184, v185
	v_mul_i32_i24_e32 v184, v117, v84
	v_mul_i32_i24_e32 v185, v118, v91
	v_dual_mov_b32 v91, v93 :: v_dual_mov_b32 v84, v90
	s_delay_alu instid0(VALU_DEP_4)
	v_add3_u32 v181, v181, v182, v183
	v_mul_i32_i24_e32 v182, v119, v90
	v_mul_i32_i24_e32 v183, v120, v92
	v_mov_b32_e32 v90, v92
	v_mov_b32_e32 v92, v94
	v_add3_u32 v181, v181, v184, v185
	v_mul_i32_i24_e32 v184, v121, v93
	v_mul_i32_i24_e32 v185, v122, v94
	v_dual_mov_b32 v93, v95 :: v_dual_mov_b32 v94, v96
	s_delay_alu instid0(VALU_DEP_4)
	v_add3_u32 v181, v181, v182, v183
	v_mul_i32_i24_e32 v183, v123, v98
	v_fma_mix_f32 v182, v96, v0, 0 op_sel:[0,1,0] op_sel_hi:[0,1,0]
	v_mov_b32_e32 v96, v98
	v_mov_b32_e32 v98, v100
	v_add3_u32 v181, v181, v184, v185
	v_mul_i32_i24_e32 v184, v125, v100
	v_mul_i32_i24_e32 v185, v126, v101
	v_mad_i32_i24 v183, v124, v97, v183
	v_fma_mix_f32 v182, v28, v1, v182 op_sel:[0,1,0] op_sel_hi:[0,1,0]
	v_mul_lo_u32 v181, v181, v95
	v_mov_b32_e32 v95, v97
	v_mov_b32_e32 v97, v102
	v_add3_u32 v183, v183, v184, v185
	v_mul_i32_i24_e32 v184, v157, v224
	v_mul_i32_i24_e32 v185, v158, v102
	v_mul_f32_e32 v182, v182, v63
	v_mov_b32_e32 v102, v223
	v_cvt_f32_i32_e32 v181, v181
	v_mov_b32_e32 v100, v101
	v_add3_u32 v183, v183, v184, v185
	v_mul_i32_i24_e32 v184, v161, v33
	v_mul_i32_i24_e32 v185, v162, v40
	v_fma_mix_f32 v181, v0, v181, 0 op_sel_hi:[1,0,0]
	v_mov_b32_e32 v101, v46
	v_add3_u32 v183, v183, v186, v187
	v_mul_i32_i24_e32 v186, v163, v62
	v_mul_i32_i24_e32 v187, v164, v52
	v_mov_b32_e32 v52, v54
	s_delay_alu instid0(VALU_DEP_4) | instskip(SKIP_3) | instid1(VALU_DEP_4)
	v_add3_u32 v183, v183, v184, v185
	v_mul_i32_i24_e32 v184, v165, v54
	v_mul_i32_i24_e32 v185, v166, v55
	v_dual_mov_b32 v54, v55 :: v_dual_mov_b32 v55, v56
	v_add3_u32 v183, v183, v186, v187
	v_mul_i32_i24_e32 v186, v167, v56
	v_mul_i32_i24_e32 v187, v168, v57
	v_dual_mov_b32 v56, v57 :: v_dual_mov_b32 v57, v58
	s_delay_alu instid0(VALU_DEP_4) | instskip(SKIP_3) | instid1(VALU_DEP_4)
	v_add3_u32 v183, v183, v184, v185
	v_mul_i32_i24_e32 v184, v169, v58
	v_mul_i32_i24_e32 v185, v170, v59
	v_dual_mov_b32 v58, v59 :: v_dual_mov_b32 v59, v61
	v_add3_u32 v183, v183, v186, v187
	v_mul_i32_i24_e32 v186, v171, v61
	v_mul_i32_i24_e32 v187, v153, v65
	v_mov_b32_e32 v61, v65
	v_mov_b32_e32 v65, v83
	v_add3_u32 v183, v183, v184, v185
	v_mul_i32_i24_e32 v184, v172, v83
	v_mul_i32_i24_e32 v185, v173, v85
	s_delay_alu instid0(VALU_DEP_3) | instskip(SKIP_2) | instid1(VALU_DEP_3)
	v_add3_u32 v183, v183, v186, v187
	v_mul_i32_i24_e32 v186, v174, v86
	v_mul_i32_i24_e32 v187, v154, v88
	v_add3_u32 v183, v183, v184, v185
	v_mul_i32_i24_e32 v184, v175, v89
	v_mul_i32_i24_e32 v185, v176, v222
	s_delay_alu instid0(VALU_DEP_3) | instskip(SKIP_3) | instid1(VALU_DEP_4)
	v_add3_u32 v183, v183, v186, v187
	v_mul_i32_i24_e32 v186, v177, v223
	v_mul_i32_i24_e32 v187, v155, v103
	v_mov_b32_e32 v223, v67
	v_add3_u32 v183, v183, v184, v185
	v_mul_i32_i24_e32 v184, v178, v31
	v_mul_i32_i24_e32 v185, v179, v36
	s_delay_alu instid0(VALU_DEP_3) | instskip(SKIP_2) | instid1(VALU_DEP_3)
	v_add3_u32 v183, v183, v186, v187
	v_mul_i32_i24_e32 v186, v180, v212
	v_mul_i32_i24_e32 v187, v156, v148
	v_add3_u32 v183, v183, v184, v185
	s_delay_alu instid0(VALU_DEP_1) | instskip(NEXT) | instid1(VALU_DEP_1)
	v_add3_u32 v183, v183, v186, v187
	v_mul_lo_u32 v183, v183, v38
	s_delay_alu instid0(VALU_DEP_1) | instskip(NEXT) | instid1(VALU_DEP_1)
	v_cvt_f32_i32_e32 v183, v183
	v_fma_mix_f32 v181, v1, v183, v181 op_sel_hi:[1,0,0]
	s_delay_alu instid0(VALU_DEP_1)
	v_fma_f32 v181, v181, v17, -v182
	v_mov_b32_e32 v83, v85
	v_mov_b32_e32 v85, v86
	scratch_load_b32 v17, off, off offset:4 ; 4-byte Folded Reload
	v_mov_b32_e32 v86, v88
	v_add_f32_e32 v214, v214, v181
	v_dual_mov_b32 v88, v89 :: v_dual_mov_b32 v89, v222
	v_mov_b32_e32 v222, v212
	v_mov_b32_e32 v212, v148
	v_mov_b32_e32 v148, v38
	v_mov_b32_e32 v38, v28
	s_waitcnt vmcnt(0)
	v_mul_i32_i24_e32 v69, v69, v17
	scratch_load_b32 v17, off, off offset:24 ; 4-byte Folded Reload
	s_waitcnt vmcnt(0)
	v_mul_i32_i24_e32 v71, v71, v17
	scratch_load_b32 v17, off, off offset:8 ; 4-byte Folded Reload
	s_waitcnt vmcnt(0)
	v_mad_i32_i24 v4, v23, v17, v4
	v_mul_i32_i24_e32 v23, v72, v27
	v_mul_i32_i24_e32 v72, v75, v225
	s_delay_alu instid0(VALU_DEP_3) | instskip(SKIP_4) | instid1(VALU_DEP_4)
	v_add3_u32 v4, v4, v69, v71
	v_mul_i32_i24_e32 v69, v73, v67
	v_mul_i32_i24_e32 v71, v74, v26
	v_mul_i32_i24_e32 v73, v160, v49
	v_mov_b32_e32 v67, v26
	v_add3_u32 v4, v4, v23, v69
	v_mul_i32_i24_e32 v23, v76, v226
	v_mul_i32_i24_e32 v69, v77, v255
	v_mov_b32_e32 v77, v70
	scratch_load_b32 v76, off, off offset:1152 ; 4-byte Folded Reload
	v_add3_u32 v4, v4, v71, v72
	v_mul_i32_i24_e32 v71, v78, v87
	v_mul_i32_i24_e32 v72, v79, v25
	v_dual_mov_b32 v79, v22 :: v_dual_mov_b32 v78, v25
	s_delay_alu instid0(VALU_DEP_4)
	v_add3_u32 v4, v4, v23, v69
	v_mul_i32_i24_e32 v23, v80, v70
	v_mul_i32_i24_e32 v69, v81, v22
	v_mov_b32_e32 v81, v8
	v_mov_b32_e32 v80, v24
	v_add3_u32 v4, v4, v71, v72
	v_mul_i32_i24_e32 v71, v105, v53
	v_mul_i32_i24_e32 v72, v106, v24
	v_dual_mov_b32 v105, v9 :: v_dual_mov_b32 v106, v10
	s_delay_alu instid0(VALU_DEP_4) | instskip(SKIP_3) | instid1(VALU_DEP_4)
	v_add3_u32 v4, v4, v23, v69
	v_mul_i32_i24_e32 v23, v107, v8
	v_mul_i32_i24_e32 v69, v108, v13
	v_dual_mov_b32 v107, v21 :: v_dual_mov_b32 v108, v12
	v_add3_u32 v4, v4, v71, v72
	v_mul_i32_i24_e32 v71, v109, v14
	v_mul_i32_i24_e32 v72, v110, v9
	v_mov_b32_e32 v109, v18
	v_mov_b32_e32 v22, v194
	v_add3_u32 v4, v4, v23, v69
	v_mul_i32_i24_e32 v23, v111, v15
	v_mul_i32_i24_e32 v69, v112, v10
	v_dual_mov_b32 v112, v200 :: v_dual_mov_b32 v111, v199
	s_delay_alu instid0(VALU_DEP_4) | instskip(SKIP_3) | instid1(VALU_DEP_4)
	v_add3_u32 v4, v4, v71, v72
	v_mul_i32_i24_e32 v71, v113, v19
	v_mul_i32_i24_e32 v72, v114, v250
	v_dual_mov_b32 v113, v201 :: v_dual_mov_b32 v114, v202
	v_add3_u32 v4, v4, v23, v69
	v_mul_i32_i24_e32 v23, v115, v252
	v_mul_i32_i24_e32 v69, v116, v41
	v_mov_b32_e32 v116, v204
	s_delay_alu instid0(VALU_DEP_4) | instskip(SKIP_3) | instid1(VALU_DEP_4)
	v_add3_u32 v4, v4, v71, v72
	v_mul_i32_i24_e32 v71, v117, v21
	v_mul_i32_i24_e32 v72, v118, v16
	v_dual_mov_b32 v117, v205 :: v_dual_mov_b32 v118, v206
	v_add3_u32 v4, v4, v23, v69
	v_mul_i32_i24_e32 v23, v119, v12
	v_mul_i32_i24_e32 v69, v120, v18
	v_mov_b32_e32 v120, v208
	s_delay_alu instid0(VALU_DEP_4)
	v_add3_u32 v4, v4, v71, v72
	v_mul_i32_i24_e32 v72, v122, v5
	scratch_load_b32 v5, off, off offset:296 ; 4-byte Folded Reload
	v_mul_i32_i24_e32 v71, v121, v20
	v_mov_b32_e32 v122, v210
	v_add3_u32 v4, v4, v23, v69
	v_mov_b32_e32 v121, v209
	s_delay_alu instid0(VALU_DEP_2) | instskip(SKIP_2) | instid1(VALU_DEP_2)
	v_add3_u32 v4, v4, v71, v72
	v_mul_i32_i24_e32 v72, v159, v47
	s_waitcnt vmcnt(0)
	v_mul_lo_u32 v4, v4, v5
	scratch_load_b32 v5, off, off offset:300 ; 4-byte Folded Reload
	v_cvt_f32_i32_e32 v4, v4
	s_delay_alu instid0(VALU_DEP_1) | instskip(SKIP_4) | instid1(VALU_DEP_1)
	v_fma_mix_f32 v4, v0, v4, 0 op_sel_hi:[1,0,0]
	s_waitcnt vmcnt(0)
	v_fma_mix_f32 v0, v5, v0, 0 op_sel:[0,1,0] op_sel_hi:[0,1,0]
	scratch_load_b32 v5, off, off offset:496 ; 4-byte Folded Reload
	v_fma_mix_f32 v0, v188, v1, v0 op_sel:[0,1,0] op_sel_hi:[0,1,0]
	v_dual_mov_b32 v119, v207 :: v_dual_mul_f32 v0, v0, v60
	s_waitcnt vmcnt(0)
	v_mul_i32_i24_e32 v23, v123, v5
	scratch_load_b32 v5, off, off offset:500 ; 4-byte Folded Reload
	v_mov_b32_e32 v123, v43
	v_mad_i32_i24 v23, v124, v139, v23
	v_mov_b32_e32 v124, v198
	s_waitcnt vmcnt(0)
	v_mul_i32_i24_e32 v69, v125, v5
	scratch_load_b32 v5, off, off offset:504 ; 4-byte Folded Reload
	v_mov_b32_e32 v125, v195
	s_waitcnt vmcnt(0)
	v_mul_i32_i24_e32 v71, v126, v5
	scratch_load_b32 v5, off, off offset:932 ; 4-byte Folded Reload
	v_add3_u32 v23, v23, v69, v71
	v_mul_i32_i24_e32 v69, v157, v133
	v_mul_i32_i24_e32 v71, v158, v48
	s_delay_alu instid0(VALU_DEP_1) | instskip(SKIP_3) | instid1(VALU_DEP_4)
	v_add3_u32 v23, v23, v69, v71
	v_mul_i32_i24_e32 v69, v161, v210
	v_mul_i32_i24_e32 v71, v162, v43
	v_mov_b32_e32 v43, v44
	v_add3_u32 v23, v23, v72, v73
	v_mul_i32_i24_e32 v72, v163, v42
	v_mul_i32_i24_e32 v73, v164, v44
	v_mov_b32_e32 v44, v60
	v_mov_b32_e32 v60, v211
	v_add3_u32 v23, v23, v69, v71
	v_mul_i32_i24_e32 v69, v165, v206
	v_mul_i32_i24_e32 v71, v166, v207
	s_delay_alu instid0(VALU_DEP_3) | instskip(SKIP_2) | instid1(VALU_DEP_3)
	v_add3_u32 v23, v23, v72, v73
	v_mul_i32_i24_e32 v72, v167, v208
	v_mul_i32_i24_e32 v73, v168, v209
	v_add3_u32 v23, v23, v69, v71
	v_mul_i32_i24_e32 v69, v169, v202
	v_mul_i32_i24_e32 v71, v170, v203
	s_delay_alu instid0(VALU_DEP_3) | instskip(SKIP_2) | instid1(VALU_DEP_3)
	v_add3_u32 v23, v23, v72, v73
	v_mul_i32_i24_e32 v72, v171, v204
	v_mul_i32_i24_e32 v73, v153, v205
	;; [unrolled: 7-line block ×4, first 2 shown]
	v_add3_u32 v23, v23, v69, v71
	v_mul_i32_i24_e32 v69, v178, v190
	v_mul_i32_i24_e32 v71, v179, v191
	s_delay_alu instid0(VALU_DEP_3) | instskip(SKIP_4) | instid1(VALU_DEP_1)
	v_add3_u32 v23, v23, v72, v73
	v_mul_i32_i24_e32 v72, v180, v192
	v_mul_i32_i24_e32 v73, v156, v193
	ds_load_b128 v[153:156], v216 offset:7168
	v_add3_u32 v23, v23, v69, v71
	v_add3_u32 v23, v23, v72, v73
	s_delay_alu instid0(VALU_DEP_1) | instskip(NEXT) | instid1(VALU_DEP_1)
	v_mul_lo_u32 v23, v23, v189
	v_cvt_f32_i32_e32 v23, v23
	s_waitcnt lgkmcnt(0)
	v_bfe_i32 v208, v153, 0, 8
	v_bfe_i32 v207, v153, 8, 8
	;; [unrolled: 1-line block ×3, first 2 shown]
	v_ashrrev_i32_e32 v210, 24, v153
	v_fma_mix_f32 v4, v1, v23, v4 op_sel_hi:[1,0,0]
	v_bfe_i32 v187, v154, 0, 8
	v_bfe_i32 v188, v154, 8, 8
	v_mul_i32_i24_e32 v23, v209, v37
	v_mul_i32_i24_e32 v72, v210, v213
	v_fma_f32 v0, v4, v211, -v0
	scratch_load_b32 v4, off, off offset:548 ; 4-byte Folded Reload
	v_bfe_i32 v189, v154, 16, 8
	v_ashrrev_i32_e32 v190, 24, v154
	v_bfe_i32 v183, v155, 0, 8
	v_bfe_i32 v184, v155, 8, 8
	;; [unrolled: 1-line block ×3, first 2 shown]
	v_ashrrev_i32_e32 v186, 24, v155
	v_bfe_i32 v179, v156, 0, 8
	v_bfe_i32 v180, v156, 8, 8
	;; [unrolled: 1-line block ×3, first 2 shown]
	v_ashrrev_i32_e32 v182, 24, v156
	ds_load_b128 v[153:156], v216 offset:7184
	v_dual_mov_b32 v115, v203 :: v_dual_add_f32 v76, v76, v0
	s_waitcnt lgkmcnt(0)
	v_bfe_i32 v203, v153, 0, 8
	v_bfe_i32 v204, v153, 8, 8
	v_bfe_i32 v205, v153, 16, 8
	v_ashrrev_i32_e32 v206, 24, v153
	v_bfe_i32 v199, v154, 0, 8
	v_bfe_i32 v200, v154, 8, 8
	v_bfe_i32 v201, v154, 16, 8
	v_ashrrev_i32_e32 v202, 24, v154
	;; [unrolled: 4-line block ×4, first 2 shown]
	ds_load_b128 v[153:156], v216 offset:7200
	v_mul_i32_i24_e32 v10, v194, v149
	s_waitcnt lgkmcnt(0)
	v_bfe_i32 v176, v153, 0, 8
	v_bfe_i32 v175, v153, 8, 8
	v_bfe_i32 v177, v153, 16, 8
	v_ashrrev_i32_e32 v178, 24, v153
	v_bfe_i32 v171, v154, 0, 8
	v_bfe_i32 v172, v154, 8, 8
	v_bfe_i32 v173, v154, 16, 8
	v_ashrrev_i32_e32 v174, 24, v154
	;; [unrolled: 4-line block ×4, first 2 shown]
	ds_load_b128 v[153:156], v216 offset:7216
	v_mul_i32_i24_e32 v12, v174, v235
	v_add_nc_u32_e32 v216, 64, v216
	s_waitcnt lgkmcnt(0)
	v_bfe_i32 v159, v153, 0, 8
	v_bfe_i32 v160, v153, 8, 8
	v_bfe_i32 v161, v153, 16, 8
	v_ashrrev_i32_e32 v162, 24, v153
	v_bfe_i32 v211, v154, 0, 8
	v_bfe_i32 v127, v154, 8, 8
	v_bfe_i32 v157, v154, 16, 8
	v_ashrrev_i32_e32 v158, 24, v154
	;; [unrolled: 4-line block ×4, first 2 shown]
	s_waitcnt vmcnt(0)
	v_mul_i32_i24_e32 v4, v208, v4
	s_delay_alu instid0(VALU_DEP_1)
	v_mad_i32_i24 v4, v207, v5, v4
	scratch_load_b32 v5, off, off offset:552 ; 4-byte Folded Reload
	v_add3_u32 v4, v4, v23, v72
	s_waitcnt vmcnt(0)
	v_mul_i32_i24_e32 v23, v187, v5
	scratch_load_b32 v5, off, off offset:936 ; 4-byte Folded Reload
	s_waitcnt vmcnt(0)
	v_mul_i32_i24_e32 v72, v188, v5
	scratch_load_b32 v5, off, off offset:264 ; 4-byte Folded Reload
	v_add3_u32 v4, v4, v23, v72
	s_waitcnt vmcnt(0)
	v_mul_i32_i24_e32 v73, v189, v5
	scratch_load_b32 v5, off, off offset:268 ; 4-byte Folded Reload
	s_waitcnt vmcnt(0)
	v_mul_i32_i24_e32 v74, v190, v5
	;; [unrolled: 7-line block ×13, first 2 shown]
	scratch_load_b32 v5, off, off offset:624 ; 4-byte Folded Reload
	v_add3_u32 v4, v4, v23, v72
	scratch_load_b32 v72, off, off offset:1160 ; 4-byte Folded Reload
	s_waitcnt vmcnt(1)
	v_mul_i32_i24_e32 v73, v193, v5
	scratch_load_b32 v5, off, off offset:292 ; 4-byte Folded Reload
	s_waitcnt vmcnt(0)
	v_mul_i32_i24_e32 v74, v194, v5
	s_delay_alu instid0(VALU_DEP_1)
	v_add3_u32 v4, v4, v73, v74
	s_clause 0x1
	scratch_load_b32 v73, off, off offset:1260
	scratch_load_b32 v5, off, off offset:628
	s_waitcnt vmcnt(0)
	v_mul_lo_u32 v4, v4, v5
	scratch_load_b32 v5, off, off offset:632 ; 4-byte Folded Reload
	v_cvt_f32_i32_e32 v4, v4
	s_delay_alu instid0(VALU_DEP_1)
	v_fma_mix_f32 v4, v2, v4, 0 op_sel_hi:[1,0,0]
	s_waitcnt vmcnt(0)
	v_fma_mix_f32 v23, v5, v2, 0 op_sel:[0,1,0] op_sel_hi:[0,1,0]
	scratch_load_b32 v5, off, off offset:636 ; 4-byte Folded Reload
	s_waitcnt vmcnt(0)
	v_mul_i32_i24_e32 v24, v176, v5
	scratch_load_b32 v5, off, off offset:640 ; 4-byte Folded Reload
	s_waitcnt vmcnt(0)
	v_mul_i32_i24_e32 v25, v177, v5
	;; [unrolled: 3-line block ×3, first 2 shown]
	scratch_load_b32 v5, off, off offset:648 ; 4-byte Folded Reload
	s_waitcnt vmcnt(0)
	v_mad_i32_i24 v24, v175, v5, v24
	scratch_load_b32 v5, off, off offset:312 ; 4-byte Folded Reload
	v_add3_u32 v24, v24, v25, v27
	s_waitcnt vmcnt(0)
	v_mul_i32_i24_e32 v25, v171, v5
	s_clause 0x1
	scratch_load_b32 v30, off, off offset:1136
	scratch_load_b32 v5, off, off offset:944
	s_waitcnt vmcnt(0)
	v_mul_i32_i24_e32 v26, v172, v5
	s_clause 0x1
	scratch_load_b32 v31, off, off offset:1140
	scratch_load_b32 v5, off, off offset:304
	v_add3_u32 v24, v24, v25, v26
	s_waitcnt vmcnt(0)
	v_mul_i32_i24_e32 v27, v173, v5
	s_clause 0x2
	scratch_load_b32 v32, off, off offset:1144
	scratch_load_b32 v5, off, off offset:652
	;; [unrolled: 1-line block ×3, first 2 shown]
	s_waitcnt vmcnt(1)
	v_mul_i32_i24_e32 v28, v174, v5
	scratch_load_b32 v5, off, off offset:656 ; 4-byte Folded Reload
	v_add3_u32 v24, v24, v27, v28
	s_waitcnt vmcnt(0)
	v_mul_i32_i24_e32 v25, v167, v5
	scratch_load_b32 v5, off, off offset:660 ; 4-byte Folded Reload
	s_waitcnt vmcnt(0)
	v_mul_i32_i24_e32 v26, v168, v5
	scratch_load_b32 v5, off, off offset:664 ; 4-byte Folded Reload
	v_add3_u32 v24, v24, v25, v26
	s_waitcnt vmcnt(0)
	v_mul_i32_i24_e32 v27, v169, v5
	scratch_load_b32 v5, off, off offset:668 ; 4-byte Folded Reload
	;; [unrolled: 7-line block ×8, first 2 shown]
	s_waitcnt vmcnt(0)
	v_mul_i32_i24_e32 v28, v158, v5
	scratch_load_b32 v5, off, off offset:720 ; 4-byte Folded Reload
	v_add3_u32 v24, v24, v27, v28
	s_waitcnt vmcnt(0)
	v_mul_i32_i24_e32 v25, v75, v5
	s_clause 0x1
	scratch_load_b32 v36, off, off offset:1264
	scratch_load_b32 v5, off, off offset:724
	s_waitcnt vmcnt(0)
	v_mul_i32_i24_e32 v26, v126, v5
	scratch_load_b32 v5, off, off offset:728 ; 4-byte Folded Reload
	v_add3_u32 v24, v24, v25, v26
	s_waitcnt vmcnt(0)
	v_mul_i32_i24_e32 v27, v153, v5
	scratch_load_b32 v5, off, off offset:732 ; 4-byte Folded Reload
	s_waitcnt vmcnt(0)
	v_mul_i32_i24_e32 v28, v154, v5
	scratch_load_b32 v5, off, off offset:736 ; 4-byte Folded Reload
	v_add3_u32 v24, v24, v27, v28
	s_waitcnt vmcnt(0)
	v_mul_i32_i24_e32 v25, v0, v5
	scratch_load_b32 v5, off, off offset:740 ; 4-byte Folded Reload
	;; [unrolled: 7-line block ×3, first 2 shown]
	s_waitcnt vmcnt(0)
	v_mul_i32_i24_e32 v28, v71, v5
	scratch_load_b32 v5, off, off offset:752 ; 4-byte Folded Reload
	v_add3_u32 v24, v24, v27, v28
	s_waitcnt vmcnt(0)
	s_delay_alu instid0(VALU_DEP_1) | instskip(SKIP_2) | instid1(VALU_DEP_1)
	v_mul_lo_u32 v24, v24, v5
	scratch_load_b32 v5, off, off offset:756 ; 4-byte Folded Reload
	v_cvt_f32_i32_e32 v24, v24
	v_fma_mix_f32 v4, v3, v24, v4 op_sel_hi:[1,0,0]
	s_waitcnt vmcnt(0)
	v_fma_mix_f32 v23, v5, v3, v23 op_sel:[0,1,0] op_sel_hi:[0,1,0]
	scratch_load_b32 v5, off, off offset:808 ; 4-byte Folded Reload
	v_mul_f32_e32 v23, v23, v6
	v_mul_i32_i24_e32 v6, v69, v246
	s_delay_alu instid0(VALU_DEP_2) | instskip(NEXT) | instid1(VALU_DEP_1)
	v_fma_f32 v4, v4, v7, -v23
	v_add_f32_e32 v35, v35, v4
	scratch_load_b32 v4, off, off offset:536 ; 4-byte Folded Reload
	s_waitcnt vmcnt(1)
	v_mul_i32_i24_e32 v23, v209, v5
	scratch_load_b32 v5, off, off offset:192 ; 4-byte Folded Reload
	s_waitcnt vmcnt(1)
	v_mul_i32_i24_e32 v4, v208, v4
	s_delay_alu instid0(VALU_DEP_1)
	v_mad_i32_i24 v4, v207, v68, v4
	s_waitcnt vmcnt(0)
	v_mul_i32_i24_e32 v24, v210, v5
	scratch_load_b32 v5, off, off offset:928 ; 4-byte Folded Reload
	v_add3_u32 v4, v4, v23, v24
	s_waitcnt vmcnt(0)
	v_mul_i32_i24_e32 v23, v187, v5
	scratch_load_b32 v5, off, off offset:156 ; 4-byte Folded Reload
	s_waitcnt vmcnt(0)
	v_mul_i32_i24_e32 v24, v188, v5
	scratch_load_b32 v5, off, off offset:476 ; 4-byte Folded Reload
	v_add3_u32 v4, v4, v23, v24
	v_mul_i32_i24_e32 v24, v184, v11
	v_mul_i32_i24_e32 v11, v173, v234
	s_waitcnt vmcnt(0)
	v_mul_i32_i24_e32 v25, v189, v5
	scratch_load_b32 v5, off, off offset:160 ; 4-byte Folded Reload
	s_waitcnt vmcnt(0)
	v_mul_i32_i24_e32 v26, v190, v5
	scratch_load_b32 v5, off, off offset:164 ; 4-byte Folded Reload
	v_add3_u32 v4, v4, v25, v26
	v_mul_i32_i24_e32 v26, v186, v34
	s_waitcnt vmcnt(0)
	v_mul_i32_i24_e32 v23, v183, v5
	scratch_load_b32 v5, off, off offset:480 ; 4-byte Folded Reload
	v_add3_u32 v4, v4, v23, v24
	v_mul_i32_i24_e32 v23, v179, v253
	s_waitcnt vmcnt(0)
	v_mul_i32_i24_e32 v25, v185, v5
	scratch_load_b32 v5, off, off offset:484 ; 4-byte Folded Reload
	v_add3_u32 v4, v4, v25, v26
	s_waitcnt vmcnt(0)
	v_mul_i32_i24_e32 v24, v180, v5
	scratch_load_b32 v5, off, off offset:488 ; 4-byte Folded Reload
	v_add3_u32 v4, v4, v23, v24
	s_waitcnt vmcnt(0)
	v_mul_i32_i24_e32 v25, v181, v5
	scratch_load_b32 v5, off, off offset:492 ; 4-byte Folded Reload
	s_waitcnt vmcnt(0)
	v_mul_i32_i24_e32 v26, v182, v5
	scratch_load_b32 v5, off, off offset:168 ; 4-byte Folded Reload
	v_add3_u32 v4, v4, v25, v26
	s_waitcnt vmcnt(0)
	v_mul_i32_i24_e32 v23, v203, v5
	scratch_load_b32 v5, off, off offset:172 ; 4-byte Folded Reload
	s_waitcnt vmcnt(0)
	v_mul_i32_i24_e32 v24, v204, v5
	s_clause 0x4
	scratch_load_b32 v18, off, off
	scratch_load_b32 v5, off, off offset:176
	scratch_load_b32 v34, off, off offset:1256
	;; [unrolled: 1-line block ×4, first 2 shown]
	v_add3_u32 v4, v4, v23, v24
	s_waitcnt vmcnt(4)
	v_add_nc_u32_e32 v18, 32, v18
	s_waitcnt vmcnt(3)
	v_mul_i32_i24_e32 v25, v205, v5
	scratch_load_b32 v5, off, off offset:184 ; 4-byte Folded Reload
	s_waitcnt vmcnt(1)
	v_add_nc_u32_e32 v17, 8, v17
	s_waitcnt vmcnt(0)
	v_mul_i32_i24_e32 v26, v206, v5
	scratch_load_b32 v5, off, off offset:180 ; 4-byte Folded Reload
	v_add3_u32 v4, v4, v25, v26
	v_mul_i32_i24_e32 v25, v201, v227
	s_waitcnt vmcnt(0)
	v_mul_i32_i24_e32 v23, v199, v5
	scratch_load_b32 v5, off, off offset:188 ; 4-byte Folded Reload
	s_waitcnt vmcnt(0)
	v_mul_i32_i24_e32 v24, v200, v5
	scratch_load_b32 v5, off, off offset:196 ; 4-byte Folded Reload
	v_add3_u32 v4, v4, v23, v24
	v_mul_i32_i24_e32 v23, v195, v128
	s_waitcnt vmcnt(0)
	v_mul_i32_i24_e32 v26, v202, v5
	scratch_load_b32 v5, off, off offset:200 ; 4-byte Folded Reload
	v_add3_u32 v4, v4, v25, v26
	s_waitcnt vmcnt(0)
	v_mul_i32_i24_e32 v24, v196, v5
	scratch_load_b32 v5, off, off offset:204 ; 4-byte Folded Reload
	v_add3_u32 v4, v4, v23, v24
	s_waitcnt vmcnt(0)
	v_mul_i32_i24_e32 v7, v197, v5
	scratch_load_b32 v5, off, off offset:520 ; 4-byte Folded Reload
	s_waitcnt vmcnt(0)
	v_mul_i32_i24_e32 v9, v198, v5
	scratch_load_b32 v5, off, off offset:236 ; 4-byte Folded Reload
	v_add3_u32 v4, v4, v7, v9
	v_mul_i32_i24_e32 v9, v193, v64
	s_waitcnt vmcnt(0)
	v_mul_i32_i24_e32 v7, v191, v5
	scratch_load_b32 v5, off, off offset:240 ; 4-byte Folded Reload
	s_waitcnt vmcnt(0)
	v_mul_i32_i24_e32 v8, v192, v5
	scratch_load_b32 v5, off, off offset:540 ; 4-byte Folded Reload
	v_add3_u32 v4, v4, v7, v8
	v_mul_i32_i24_e32 v8, v176, v230
	v_fma_mix_f32 v7, v152, v2, 0 op_sel:[0,1,0] op_sel_hi:[0,1,0]
	s_delay_alu instid0(VALU_DEP_3) | instskip(SKIP_3) | instid1(VALU_DEP_4)
	v_add3_u32 v4, v4, v9, v10
	v_mul_i32_i24_e32 v9, v177, v232
	v_mul_i32_i24_e32 v10, v178, v233
	v_mad_i32_i24 v8, v175, v229, v8
	v_mul_lo_u32 v4, v4, v151
	s_delay_alu instid0(VALU_DEP_2) | instskip(SKIP_1) | instid1(VALU_DEP_3)
	v_add3_u32 v8, v8, v9, v10
	v_mul_i32_i24_e32 v10, v172, v231
	v_cvt_f32_i32_e32 v4, v4
	s_delay_alu instid0(VALU_DEP_1)
	v_fma_mix_f32 v4, v2, v4, 0 op_sel_hi:[1,0,0]
	s_waitcnt vmcnt(0)
	v_mul_i32_i24_e32 v9, v171, v5
	scratch_load_b32 v5, off, off offset:260 ; 4-byte Folded Reload
	v_add3_u32 v8, v8, v9, v10
	v_mul_i32_i24_e32 v9, v167, v236
	v_mul_i32_i24_e32 v10, v168, v237
	s_delay_alu instid0(VALU_DEP_3) | instskip(SKIP_2) | instid1(VALU_DEP_3)
	v_add3_u32 v8, v8, v11, v12
	v_mul_i32_i24_e32 v11, v169, v238
	v_mul_i32_i24_e32 v12, v170, v239
	v_add3_u32 v8, v8, v9, v10
	v_mul_i32_i24_e32 v9, v163, v240
	s_delay_alu instid0(VALU_DEP_2)
	v_add3_u32 v8, v8, v11, v12
	s_waitcnt vmcnt(0)
	v_mul_i32_i24_e32 v10, v164, v5
	scratch_load_b32 v5, off, off offset:416 ; 4-byte Folded Reload
	v_add3_u32 v8, v8, v9, v10
	s_waitcnt vmcnt(0)
	v_mul_i32_i24_e32 v11, v165, v5
	scratch_load_b32 v5, off, off offset:848 ; 4-byte Folded Reload
	s_waitcnt vmcnt(0)
	v_mul_i32_i24_e32 v12, v166, v5
	scratch_load_b32 v5, off, off offset:252 ; 4-byte Folded Reload
	v_add3_u32 v8, v8, v11, v12
	s_waitcnt vmcnt(0)
	v_mul_i32_i24_e32 v9, v159, v5
	scratch_load_b32 v5, off, off offset:256 ; 4-byte Folded Reload
	s_waitcnt vmcnt(0)
	v_mul_i32_i24_e32 v10, v160, v5
	scratch_load_b32 v5, off, off offset:544 ; 4-byte Folded Reload
	v_add3_u32 v8, v8, v9, v10
	v_mul_i32_i24_e32 v10, v127, v45
	s_waitcnt vmcnt(0)
	v_mul_i32_i24_e32 v11, v161, v5
	scratch_load_b32 v5, off, off offset:412 ; 4-byte Folded Reload
	s_waitcnt vmcnt(0)
	v_mul_i32_i24_e32 v12, v162, v5
	scratch_load_b32 v5, off, off offset:828 ; 4-byte Folded Reload
	v_add3_u32 v8, v8, v11, v12
	s_waitcnt vmcnt(0)
	v_mul_i32_i24_e32 v9, v211, v5
	scratch_load_b32 v5, off, off offset:244 ; 4-byte Folded Reload
	v_add3_u32 v8, v8, v9, v10
	v_mul_i32_i24_e32 v9, v75, v241
	v_mul_i32_i24_e32 v10, v126, v242
	s_waitcnt vmcnt(0)
	v_mul_i32_i24_e32 v11, v157, v5
	scratch_load_b32 v5, off, off offset:248 ; 4-byte Folded Reload
	s_waitcnt vmcnt(0)
	v_mul_i32_i24_e32 v12, v158, v5
	scratch_load_b32 v5, off, off offset:556 ; 4-byte Folded Reload
	v_add3_u32 v8, v8, v11, v12
	v_mul_i32_i24_e32 v12, v154, v243
	s_delay_alu instid0(VALU_DEP_2)
	v_add3_u32 v8, v8, v9, v10
	v_mul_i32_i24_e32 v9, v0, v129
	v_mul_i32_i24_e32 v10, v1, v244
	s_waitcnt vmcnt(0)
	v_mul_i32_i24_e32 v11, v153, v5
	v_mul_i32_i24_e32 v5, v71, v150
	s_delay_alu instid0(VALU_DEP_2) | instskip(NEXT) | instid1(VALU_DEP_1)
	v_add3_u32 v8, v8, v11, v12
	v_add3_u32 v8, v8, v9, v10
	v_mul_i32_i24_e32 v9, v173, v101
	v_mul_i32_i24_e32 v10, v174, v29
	s_delay_alu instid0(VALU_DEP_3) | instskip(SKIP_3) | instid1(VALU_DEP_1)
	v_add3_u32 v5, v8, v6, v5
	scratch_load_b32 v6, off, off offset:20 ; 4-byte Folded Reload
	v_mul_i32_i24_e32 v8, v190, v134
	v_mul_lo_u32 v5, v5, v247
	v_cvt_f32_i32_e32 v5, v5
	s_delay_alu instid0(VALU_DEP_1) | instskip(SKIP_3) | instid1(VALU_DEP_1)
	v_fma_mix_f32 v4, v3, v5, v4 op_sel_hi:[1,0,0]
	v_fma_mix_f32 v5, v248, v3, v7 op_sel:[0,1,0] op_sel_hi:[0,1,0]
	scratch_load_b32 v7, off, off offset:12 ; 4-byte Folded Reload
	v_mul_f32_e32 v5, v5, v228
	v_fma_f32 v4, v4, v138, -v5
	scratch_load_b32 v5, off, off offset:16 ; 4-byte Folded Reload
	v_add_f32_e32 v32, v32, v4
	v_mul_i32_i24_e32 v4, v208, v254
	s_waitcnt vmcnt(2)
	v_mul_i32_i24_e32 v6, v210, v6
	s_waitcnt vmcnt(1)
	s_delay_alu instid0(VALU_DEP_2) | instskip(SKIP_3) | instid1(VALU_DEP_1)
	v_mad_i32_i24 v4, v207, v7, v4
	v_mul_i32_i24_e32 v7, v189, v245
	s_waitcnt vmcnt(0)
	v_mul_i32_i24_e32 v5, v209, v5
	v_add3_u32 v4, v4, v5, v6
	scratch_load_b32 v6, off, off offset:124 ; 4-byte Folded Reload
	v_mul_i32_i24_e32 v5, v187, v249
	s_waitcnt vmcnt(0)
	v_mul_i32_i24_e32 v6, v188, v6
	s_delay_alu instid0(VALU_DEP_1) | instskip(SKIP_2) | instid1(VALU_DEP_3)
	v_add3_u32 v4, v4, v5, v6
	v_mul_i32_i24_e32 v5, v183, v135
	v_mul_i32_i24_e32 v6, v184, v136
	v_add3_u32 v4, v4, v7, v8
	v_mul_i32_i24_e32 v7, v185, v137
	v_mul_i32_i24_e32 v8, v186, v141
	s_delay_alu instid0(VALU_DEP_3) | instskip(SKIP_2) | instid1(VALU_DEP_3)
	v_add3_u32 v4, v4, v5, v6
	v_mul_i32_i24_e32 v5, v179, v215
	v_mul_i32_i24_e32 v6, v180, v142
	v_add3_u32 v4, v4, v7, v8
	v_mul_i32_i24_e32 v7, v181, v143
	v_mul_i32_i24_e32 v8, v182, v144
	s_delay_alu instid0(VALU_DEP_3) | instskip(SKIP_2) | instid1(VALU_DEP_3)
	;; [unrolled: 7-line block ×3, first 2 shown]
	v_add3_u32 v4, v4, v5, v6
	v_mul_i32_i24_e32 v5, v199, v131
	v_mul_i32_i24_e32 v6, v200, v218
	v_add3_u32 v4, v4, v7, v8
	v_mul_i32_i24_e32 v7, v201, v99
	v_mul_i32_i24_e32 v8, v202, v104
	s_delay_alu instid0(VALU_DEP_3)
	v_add3_u32 v4, v4, v5, v6
	scratch_load_b32 v5, off, off offset:144 ; 4-byte Folded Reload
	v_mul_i32_i24_e32 v6, v196, v140
	v_add3_u32 v4, v4, v7, v8
	v_mul_i32_i24_e32 v7, v197, v82
	v_mul_i32_i24_e32 v8, v198, v219
	s_waitcnt vmcnt(0)
	v_mul_i32_i24_e32 v5, v195, v5
	s_delay_alu instid0(VALU_DEP_1) | instskip(SKIP_2) | instid1(VALU_DEP_3)
	v_add3_u32 v4, v4, v5, v6
	v_mul_i32_i24_e32 v5, v191, v84
	v_mul_i32_i24_e32 v6, v192, v90
	v_add3_u32 v4, v4, v7, v8
	v_mul_i32_i24_e32 v7, v193, v91
	v_mul_i32_i24_e32 v8, v194, v92
	s_delay_alu instid0(VALU_DEP_3) | instskip(SKIP_2) | instid1(VALU_DEP_3)
	v_add3_u32 v4, v4, v5, v6
	v_mul_i32_i24_e32 v6, v176, v96
	v_fma_mix_f32 v5, v94, v2, 0 op_sel:[0,1,0] op_sel_hi:[0,1,0]
	v_add3_u32 v4, v4, v7, v8
	v_mul_i32_i24_e32 v7, v177, v98
	v_mul_i32_i24_e32 v8, v178, v100
	v_mad_i32_i24 v6, v175, v95, v6
	v_fma_mix_f32 v5, v38, v3, v5 op_sel:[0,1,0] op_sel_hi:[0,1,0]
	v_mul_lo_u32 v4, v4, v93
	s_delay_alu instid0(VALU_DEP_3) | instskip(SKIP_4) | instid1(VALU_DEP_3)
	v_add3_u32 v6, v6, v7, v8
	v_mul_i32_i24_e32 v7, v171, v224
	v_mul_i32_i24_e32 v8, v172, v97
	v_mul_f32_e32 v5, v5, v63
	v_cvt_f32_i32_e32 v4, v4
	v_add3_u32 v6, v6, v7, v8
	v_mul_i32_i24_e32 v7, v167, v39
	v_mul_i32_i24_e32 v8, v168, v40
	s_delay_alu instid0(VALU_DEP_4) | instskip(NEXT) | instid1(VALU_DEP_4)
	v_fma_mix_f32 v4, v2, v4, 0 op_sel_hi:[1,0,0]
	v_add3_u32 v6, v6, v9, v10
	v_mul_i32_i24_e32 v9, v169, v62
	v_mul_i32_i24_e32 v10, v170, v51
	s_delay_alu instid0(VALU_DEP_3) | instskip(SKIP_2) | instid1(VALU_DEP_3)
	v_add3_u32 v6, v6, v7, v8
	v_mul_i32_i24_e32 v7, v163, v52
	v_mul_i32_i24_e32 v8, v164, v54
	v_add3_u32 v6, v6, v9, v10
	v_mul_i32_i24_e32 v9, v165, v55
	v_mul_i32_i24_e32 v10, v166, v56
	s_delay_alu instid0(VALU_DEP_3) | instskip(SKIP_2) | instid1(VALU_DEP_3)
	v_add3_u32 v6, v6, v7, v8
	v_mul_i32_i24_e32 v7, v159, v57
	v_mul_i32_i24_e32 v8, v160, v58
	;; [unrolled: 7-line block ×5, first 2 shown]
	v_add3_u32 v6, v6, v9, v10
	v_mul_i32_i24_e32 v9, v69, v222
	v_mul_i32_i24_e32 v10, v71, v212
	s_delay_alu instid0(VALU_DEP_3) | instskip(SKIP_4) | instid1(VALU_DEP_2)
	v_add3_u32 v6, v6, v7, v8
	scratch_load_b32 v7, off, off offset:8  ; 4-byte Folded Reload
	v_mul_i32_i24_e32 v8, v190, v225
	v_add3_u32 v6, v6, v9, v10
	v_mul_i32_i24_e32 v9, v174, v49
	v_mul_lo_u32 v6, v6, v148
	s_delay_alu instid0(VALU_DEP_1) | instskip(NEXT) | instid1(VALU_DEP_1)
	v_cvt_f32_i32_e32 v6, v6
	v_fma_mix_f32 v4, v3, v6, v4 op_sel_hi:[1,0,0]
	scratch_load_b32 v6, off, off offset:24 ; 4-byte Folded Reload
	v_fma_f32 v4, v4, v130, -v5
	scratch_load_b32 v5, off, off offset:4  ; 4-byte Folded Reload
	v_add_f32_e32 v31, v31, v4
	v_mul_i32_i24_e32 v4, v208, v132
	s_waitcnt vmcnt(2)
	s_delay_alu instid0(VALU_DEP_1)
	v_mad_i32_i24 v4, v207, v7, v4
	v_mul_i32_i24_e32 v7, v189, v67
	s_waitcnt vmcnt(1)
	v_mul_i32_i24_e32 v6, v210, v6
	s_waitcnt vmcnt(0)
	v_mul_i32_i24_e32 v5, v209, v5
	s_delay_alu instid0(VALU_DEP_1) | instskip(SKIP_4) | instid1(VALU_DEP_1)
	v_add3_u32 v4, v4, v5, v6
	scratch_load_b32 v5, off, off offset:120 ; 4-byte Folded Reload
	v_mul_i32_i24_e32 v6, v188, v223
	s_waitcnt vmcnt(0)
	v_mul_i32_i24_e32 v5, v187, v5
	v_add3_u32 v4, v4, v5, v6
	v_mul_i32_i24_e32 v5, v183, v226
	v_mul_i32_i24_e32 v6, v184, v255
	s_delay_alu instid0(VALU_DEP_3) | instskip(SKIP_2) | instid1(VALU_DEP_3)
	v_add3_u32 v4, v4, v7, v8
	v_mul_i32_i24_e32 v7, v185, v87
	v_mul_i32_i24_e32 v8, v186, v78
	v_add3_u32 v4, v4, v5, v6
	v_mul_i32_i24_e32 v5, v179, v77
	v_mul_i32_i24_e32 v6, v180, v79
	s_delay_alu instid0(VALU_DEP_3) | instskip(SKIP_2) | instid1(VALU_DEP_3)
	v_add3_u32 v4, v4, v7, v8
	v_mul_i32_i24_e32 v7, v181, v53
	;; [unrolled: 7-line block ×5, first 2 shown]
	v_mul_i32_i24_e32 v8, v198, v16
	v_add3_u32 v4, v4, v5, v6
	v_mul_i32_i24_e32 v5, v191, v108
	v_mul_i32_i24_e32 v6, v192, v109
	s_delay_alu instid0(VALU_DEP_3)
	v_add3_u32 v4, v4, v7, v8
	scratch_load_b32 v8, off, off offset:308 ; 4-byte Folded Reload
	v_mul_i32_i24_e32 v7, v193, v20
	v_add3_u32 v4, v4, v5, v6
	s_clause 0x1
	scratch_load_b32 v5, off, off offset:296
	scratch_load_b32 v6, off, off offset:500
	s_waitcnt vmcnt(2)
	v_mul_i32_i24_e32 v8, v194, v8
	s_delay_alu instid0(VALU_DEP_1)
	v_add3_u32 v4, v4, v7, v8
	scratch_load_b32 v7, off, off offset:504 ; 4-byte Folded Reload
	s_waitcnt vmcnt(1)
	v_mul_i32_i24_e32 v6, v177, v6
	v_mul_i32_i24_e32 v8, v173, v47
	v_mul_lo_u32 v4, v4, v5
	scratch_load_b32 v5, off, off offset:300 ; 4-byte Folded Reload
	v_cvt_f32_i32_e32 v4, v4
	s_delay_alu instid0(VALU_DEP_1)
	v_fma_mix_f32 v4, v2, v4, 0 op_sel_hi:[1,0,0]
	s_waitcnt vmcnt(1)
	v_mul_i32_i24_e32 v7, v178, v7
	s_waitcnt vmcnt(0)
	v_fma_mix_f32 v2, v5, v2, 0 op_sel:[0,1,0] op_sel_hi:[0,1,0]
	scratch_load_b32 v5, off, off offset:496 ; 4-byte Folded Reload
	s_waitcnt vmcnt(0)
	v_mul_i32_i24_e32 v5, v176, v5
	s_delay_alu instid0(VALU_DEP_1) | instskip(NEXT) | instid1(VALU_DEP_1)
	v_mad_i32_i24 v5, v175, v139, v5
	v_add3_u32 v5, v5, v6, v7
	v_mul_i32_i24_e32 v6, v171, v133
	v_mul_i32_i24_e32 v7, v172, v48
	s_delay_alu instid0(VALU_DEP_1) | instskip(SKIP_2) | instid1(VALU_DEP_3)
	v_add3_u32 v5, v5, v6, v7
	v_mul_i32_i24_e32 v6, v167, v122
	v_mul_i32_i24_e32 v7, v168, v123
	v_add3_u32 v5, v5, v8, v9
	v_mul_i32_i24_e32 v8, v169, v42
	v_mul_i32_i24_e32 v9, v170, v43
	s_delay_alu instid0(VALU_DEP_3) | instskip(SKIP_1) | instid1(VALU_DEP_2)
	v_add3_u32 v5, v5, v6, v7
	v_mul_i32_i24_e32 v6, v166, v121
	v_add3_u32 v7, v5, v8, v9
	v_mul_i32_i24_e32 v8, v163, v118
	v_mul_i32_i24_e32 v9, v164, v119
	;; [unrolled: 1-line block ×3, first 2 shown]
	s_delay_alu instid0(VALU_DEP_2) | instskip(SKIP_2) | instid1(VALU_DEP_3)
	v_add3_u32 v7, v7, v8, v9
	v_mul_i32_i24_e32 v8, v161, v116
	v_mul_i32_i24_e32 v9, v162, v117
	v_add3_u32 v5, v7, v5, v6
	v_mul_i32_i24_e32 v6, v159, v114
	v_mul_i32_i24_e32 v7, v160, v115
	s_delay_alu instid0(VALU_DEP_1) | instskip(SKIP_2) | instid1(VALU_DEP_3)
	v_add3_u32 v5, v5, v6, v7
	v_mul_i32_i24_e32 v6, v211, v124
	v_mul_i32_i24_e32 v7, v127, v111
	v_add3_u32 v5, v5, v8, v9
	v_mul_i32_i24_e32 v8, v157, v112
	v_mul_i32_i24_e32 v9, v158, v113
	s_delay_alu instid0(VALU_DEP_3) | instskip(SKIP_2) | instid1(VALU_DEP_3)
	v_add3_u32 v5, v5, v6, v7
	v_mul_i32_i24_e32 v6, v75, v22
	v_mul_i32_i24_e32 v7, v126, v125
	v_add3_u32 v5, v5, v8, v9
	s_clause 0x1
	scratch_load_b32 v8, off, off offset:516
	scratch_load_b32 v9, off, off offset:532
	v_add3_u32 v5, v5, v6, v7
	s_clause 0x1
	scratch_load_b32 v6, off, off offset:224
	scratch_load_b32 v7, off, off offset:220
	s_waitcnt vmcnt(3)
	v_mul_i32_i24_e32 v8, v153, v8
	s_waitcnt vmcnt(2)
	v_mul_i32_i24_e32 v9, v154, v9
	;; [unrolled: 2-line block ×3, first 2 shown]
	scratch_load_b32 v6, off, off offset:228 ; 4-byte Folded Reload
	v_add3_u32 v5, v5, v8, v9
	s_waitcnt vmcnt(1)
	v_mul_i32_i24_e32 v7, v71, v7
	s_waitcnt vmcnt(0)
	v_mul_i32_i24_e32 v1, v1, v6
	scratch_load_b32 v6, off, off offset:216 ; 4-byte Folded Reload
	v_add3_u32 v0, v5, v0, v1
	scratch_load_b32 v1, off, off offset:512 ; 4-byte Folded Reload
	s_waitcnt vmcnt(1)
	v_mul_i32_i24_e32 v6, v69, v6
	s_delay_alu instid0(VALU_DEP_1) | instskip(SKIP_1) | instid1(VALU_DEP_1)
	v_add3_u32 v0, v0, v6, v7
	s_waitcnt vmcnt(0)
	v_mul_lo_u32 v0, v0, v1
	scratch_load_b32 v1, off, off offset:508 ; 4-byte Folded Reload
	v_cvt_f32_i32_e32 v0, v0
	s_delay_alu instid0(VALU_DEP_1) | instskip(SKIP_2) | instid1(VALU_DEP_1)
	v_fma_mix_f32 v0, v3, v0, v4 op_sel_hi:[1,0,0]
	s_waitcnt vmcnt(0)
	v_fma_mix_f32 v1, v1, v3, v2 op_sel:[0,1,0] op_sel_hi:[0,1,0]
	v_mul_f32_e32 v1, v1, v44
	s_delay_alu instid0(VALU_DEP_1) | instskip(NEXT) | instid1(VALU_DEP_1)
	v_fma_f32 v0, v0, v60, -v1
	v_add_f32_e32 v30, v30, v0
	s_cbranch_scc1 .LBB132_7
; %bb.8:                                ;   in Loop: Header=BB132_6 Depth=2
	s_mov_b32 s15, 1
	s_and_b32 vcc_lo, exec_lo, s14
	s_mov_b32 s14, 0
	s_waitcnt_vscnt null, 0x0
	s_barrier
	buffer_gl0_inv
	s_cbranch_vccz .LBB132_6
; %bb.9:                                ;   in Loop: Header=BB132_5 Depth=1
	s_add_i32 s5, s5, 1
	s_delay_alu instid0(SALU_CYCLE_1)
	s_cmp_eq_u32 s5, s4
	s_cbranch_scc0 .LBB132_5
; %bb.10:
	s_clause 0x2
	scratch_load_b32 v1, off, off offset:1636
	scratch_load_b32 v0, off, off offset:1280
	;; [unrolled: 1-line block ×3, first 2 shown]
.LBB132_11:
	s_mov_b32 s0, exec_lo
	s_waitcnt vmcnt(0)
	v_cmpx_gt_u32_e64 s6, v2
	s_cbranch_execz .LBB132_62
; %bb.12:
	v_add_nc_u32_e32 v0, s12, v0
	v_mul_lo_u32 v5, v2, s10
	s_delay_alu instid0(VALU_DEP_2)
	v_cmp_gt_u32_e32 vcc_lo, s10, v0
	s_and_saveexec_b32 s1, vcc_lo
	s_cbranch_execz .LBB132_14
; %bb.13:
	s_delay_alu instid0(VALU_DEP_2) | instskip(NEXT) | instid1(VALU_DEP_1)
	v_dual_mov_b32 v3, 0 :: v_dual_add_nc_u32 v2, v0, v5
	v_lshlrev_b64 v[2:3], 2, v[2:3]
	s_waitcnt lgkmcnt(0)
	s_delay_alu instid0(VALU_DEP_1) | instskip(NEXT) | instid1(VALU_DEP_1)
	v_add_co_u32 v2, s0, s8, v2
	v_add_co_ci_u32_e64 v3, s0, s9, v3, s0
	global_store_b32 v[2:3], v70, off
.LBB132_14:
	s_or_b32 exec_lo, exec_lo, s1
	v_add_nc_u32_e32 v2, 32, v0
	s_delay_alu instid0(VALU_DEP_1) | instskip(NEXT) | instid1(VALU_DEP_1)
	v_cmp_gt_u32_e64 s0, s10, v2
	s_and_saveexec_b32 s2, s0
	s_cbranch_execz .LBB132_16
; %bb.15:
	v_dual_mov_b32 v4, 0 :: v_dual_add_nc_u32 v3, v2, v5
	s_delay_alu instid0(VALU_DEP_1) | instskip(SKIP_1) | instid1(VALU_DEP_1)
	v_lshlrev_b64 v[3:4], 2, v[3:4]
	s_waitcnt lgkmcnt(0)
	v_add_co_u32 v3, s1, s8, v3
	s_delay_alu instid0(VALU_DEP_1)
	v_add_co_ci_u32_e64 v4, s1, s9, v4, s1
	global_store_b32 v[3:4], v72, off
.LBB132_16:
	s_or_b32 exec_lo, exec_lo, s2
	v_add_nc_u32_e32 v3, 64, v0
	s_delay_alu instid0(VALU_DEP_1) | instskip(NEXT) | instid1(VALU_DEP_1)
	v_cmp_gt_u32_e64 s1, s10, v3
	s_and_saveexec_b32 s3, s1
	s_cbranch_execz .LBB132_18
; %bb.17:
	scratch_load_b32 v4, off, off offset:1048 ; 4-byte Folded Reload
	v_dual_mov_b32 v7, 0 :: v_dual_add_nc_u32 v6, v3, v5
	s_delay_alu instid0(VALU_DEP_1) | instskip(SKIP_1) | instid1(VALU_DEP_1)
	v_lshlrev_b64 v[6:7], 2, v[6:7]
	s_waitcnt lgkmcnt(0)
	v_add_co_u32 v6, s2, s8, v6
	s_delay_alu instid0(VALU_DEP_1)
	v_add_co_ci_u32_e64 v7, s2, s9, v7, s2
	s_waitcnt vmcnt(0)
	global_store_b32 v[6:7], v4, off
.LBB132_18:
	s_or_b32 exec_lo, exec_lo, s3
	v_add_nc_u32_e32 v4, 0x60, v0
	s_delay_alu instid0(VALU_DEP_1) | instskip(NEXT) | instid1(VALU_DEP_1)
	v_cmp_gt_u32_e64 s2, s10, v4
	s_and_saveexec_b32 s4, s2
	s_cbranch_execz .LBB132_20
; %bb.19:
	scratch_load_b32 v7, off, off offset:1044 ; 4-byte Folded Reload
	v_dual_mov_b32 v6, 0 :: v_dual_add_nc_u32 v5, v4, v5
	s_delay_alu instid0(VALU_DEP_1) | instskip(SKIP_1) | instid1(VALU_DEP_1)
	v_lshlrev_b64 v[5:6], 2, v[5:6]
	s_waitcnt lgkmcnt(0)
	v_add_co_u32 v5, s3, s8, v5
	s_delay_alu instid0(VALU_DEP_1)
	v_add_co_ci_u32_e64 v6, s3, s9, v6, s3
	s_waitcnt vmcnt(0)
	global_store_b32 v[5:6], v7, off
.LBB132_20:
	s_or_b32 exec_lo, exec_lo, s4
	v_add3_u32 v5, v1, s11, 8
	s_delay_alu instid0(VALU_DEP_1) | instskip(NEXT) | instid1(VALU_DEP_1)
	v_cmp_gt_u32_e64 s3, s6, v5
	s_and_b32 exec_lo, exec_lo, s3
	s_cbranch_execz .LBB132_62
; %bb.21:
	v_mul_lo_u32 v5, v5, s10
	s_and_saveexec_b32 s4, vcc_lo
	s_cbranch_execnz .LBB132_63
; %bb.22:
	s_or_b32 exec_lo, exec_lo, s4
	s_and_saveexec_b32 s4, s0
	s_cbranch_execnz .LBB132_64
.LBB132_23:
	s_or_b32 exec_lo, exec_lo, s4
	s_and_saveexec_b32 s4, s1
	s_cbranch_execnz .LBB132_65
.LBB132_24:
	s_or_b32 exec_lo, exec_lo, s4
	s_and_saveexec_b32 s4, s2
	s_cbranch_execz .LBB132_26
.LBB132_25:
	scratch_load_b32 v7, off, off offset:1060 ; 4-byte Folded Reload
	v_dual_mov_b32 v6, 0 :: v_dual_add_nc_u32 v5, v5, v4
	s_delay_alu instid0(VALU_DEP_1) | instskip(SKIP_1) | instid1(VALU_DEP_1)
	v_lshlrev_b64 v[5:6], 2, v[5:6]
	s_waitcnt lgkmcnt(0)
	v_add_co_u32 v5, s3, s8, v5
	s_delay_alu instid0(VALU_DEP_1)
	v_add_co_ci_u32_e64 v6, s3, s9, v6, s3
	s_waitcnt vmcnt(0)
	global_store_b32 v[5:6], v7, off
.LBB132_26:
	s_or_b32 exec_lo, exec_lo, s4
	v_add3_u32 v5, v1, s11, 16
	s_delay_alu instid0(VALU_DEP_1) | instskip(NEXT) | instid1(VALU_DEP_1)
	v_cmp_gt_u32_e64 s3, s6, v5
	s_and_b32 exec_lo, exec_lo, s3
	s_cbranch_execz .LBB132_62
; %bb.27:
	v_mul_lo_u32 v5, v5, s10
	s_and_saveexec_b32 s4, vcc_lo
	s_cbranch_execnz .LBB132_66
; %bb.28:
	s_or_b32 exec_lo, exec_lo, s4
	s_and_saveexec_b32 s4, s0
	s_cbranch_execnz .LBB132_67
.LBB132_29:
	s_or_b32 exec_lo, exec_lo, s4
	s_and_saveexec_b32 s4, s1
	s_cbranch_execnz .LBB132_68
.LBB132_30:
	s_or_b32 exec_lo, exec_lo, s4
	s_and_saveexec_b32 s4, s2
	s_cbranch_execz .LBB132_32
.LBB132_31:
	scratch_load_b32 v7, off, off offset:1080 ; 4-byte Folded Reload
	v_dual_mov_b32 v6, 0 :: v_dual_add_nc_u32 v5, v5, v4
	s_delay_alu instid0(VALU_DEP_1) | instskip(SKIP_1) | instid1(VALU_DEP_1)
	v_lshlrev_b64 v[5:6], 2, v[5:6]
	s_waitcnt lgkmcnt(0)
	v_add_co_u32 v5, s3, s8, v5
	s_delay_alu instid0(VALU_DEP_1)
	v_add_co_ci_u32_e64 v6, s3, s9, v6, s3
	s_waitcnt vmcnt(0)
	global_store_b32 v[5:6], v7, off
.LBB132_32:
	s_or_b32 exec_lo, exec_lo, s4
	v_add3_u32 v5, v1, s11, 24
	s_delay_alu instid0(VALU_DEP_1) | instskip(NEXT) | instid1(VALU_DEP_1)
	v_cmp_gt_u32_e64 s3, s6, v5
	s_and_b32 exec_lo, exec_lo, s3
	s_cbranch_execz .LBB132_62
; %bb.33:
	v_mul_lo_u32 v5, v5, s10
	s_and_saveexec_b32 s4, vcc_lo
	s_cbranch_execnz .LBB132_69
; %bb.34:
	s_or_b32 exec_lo, exec_lo, s4
	s_and_saveexec_b32 s4, s0
	s_cbranch_execnz .LBB132_70
.LBB132_35:
	s_or_b32 exec_lo, exec_lo, s4
	s_and_saveexec_b32 s4, s1
	s_cbranch_execnz .LBB132_71
.LBB132_36:
	s_or_b32 exec_lo, exec_lo, s4
	s_and_saveexec_b32 s4, s2
	s_cbranch_execz .LBB132_38
.LBB132_37:
	scratch_load_b32 v7, off, off offset:1084 ; 4-byte Folded Reload
	v_dual_mov_b32 v6, 0 :: v_dual_add_nc_u32 v5, v5, v4
	s_delay_alu instid0(VALU_DEP_1) | instskip(SKIP_1) | instid1(VALU_DEP_1)
	v_lshlrev_b64 v[5:6], 2, v[5:6]
	s_waitcnt lgkmcnt(0)
	v_add_co_u32 v5, s3, s8, v5
	s_delay_alu instid0(VALU_DEP_1)
	v_add_co_ci_u32_e64 v6, s3, s9, v6, s3
	s_waitcnt vmcnt(0)
	global_store_b32 v[5:6], v7, off
.LBB132_38:
	s_or_b32 exec_lo, exec_lo, s4
	v_add3_u32 v5, v1, s11, 32
	s_delay_alu instid0(VALU_DEP_1) | instskip(NEXT) | instid1(VALU_DEP_1)
	v_cmp_gt_u32_e64 s3, s6, v5
	s_and_b32 exec_lo, exec_lo, s3
	s_cbranch_execz .LBB132_62
; %bb.39:
	v_mul_lo_u32 v5, v5, s10
	s_and_saveexec_b32 s4, vcc_lo
	s_cbranch_execnz .LBB132_72
; %bb.40:
	s_or_b32 exec_lo, exec_lo, s4
	s_and_saveexec_b32 s4, s0
	s_cbranch_execnz .LBB132_73
.LBB132_41:
	s_or_b32 exec_lo, exec_lo, s4
	s_and_saveexec_b32 s4, s1
	s_cbranch_execnz .LBB132_74
.LBB132_42:
	s_or_b32 exec_lo, exec_lo, s4
	s_and_saveexec_b32 s4, s2
	s_cbranch_execz .LBB132_44
.LBB132_43:
	scratch_load_b32 v7, off, off offset:1100 ; 4-byte Folded Reload
	v_dual_mov_b32 v6, 0 :: v_dual_add_nc_u32 v5, v5, v4
	s_delay_alu instid0(VALU_DEP_1) | instskip(SKIP_1) | instid1(VALU_DEP_1)
	v_lshlrev_b64 v[5:6], 2, v[5:6]
	s_waitcnt lgkmcnt(0)
	v_add_co_u32 v5, s3, s8, v5
	s_delay_alu instid0(VALU_DEP_1)
	v_add_co_ci_u32_e64 v6, s3, s9, v6, s3
	s_waitcnt vmcnt(0)
	global_store_b32 v[5:6], v7, off
.LBB132_44:
	s_or_b32 exec_lo, exec_lo, s4
	v_add3_u32 v5, v1, s11, 40
	s_delay_alu instid0(VALU_DEP_1) | instskip(NEXT) | instid1(VALU_DEP_1)
	v_cmp_gt_u32_e64 s3, s6, v5
	s_and_b32 exec_lo, exec_lo, s3
	s_cbranch_execz .LBB132_62
; %bb.45:
	v_mul_lo_u32 v5, v5, s10
	s_and_saveexec_b32 s4, vcc_lo
	s_cbranch_execnz .LBB132_75
; %bb.46:
	s_or_b32 exec_lo, exec_lo, s4
	s_and_saveexec_b32 s4, s0
	s_cbranch_execnz .LBB132_76
.LBB132_47:
	s_or_b32 exec_lo, exec_lo, s4
	s_and_saveexec_b32 s4, s1
	s_cbranch_execnz .LBB132_77
.LBB132_48:
	s_or_b32 exec_lo, exec_lo, s4
	s_and_saveexec_b32 s4, s2
	s_cbranch_execz .LBB132_50
.LBB132_49:
	scratch_load_b32 v7, off, off offset:1116 ; 4-byte Folded Reload
	v_dual_mov_b32 v6, 0 :: v_dual_add_nc_u32 v5, v5, v4
	s_delay_alu instid0(VALU_DEP_1) | instskip(SKIP_1) | instid1(VALU_DEP_1)
	v_lshlrev_b64 v[5:6], 2, v[5:6]
	s_waitcnt lgkmcnt(0)
	v_add_co_u32 v5, s3, s8, v5
	s_delay_alu instid0(VALU_DEP_1)
	v_add_co_ci_u32_e64 v6, s3, s9, v6, s3
	s_waitcnt vmcnt(0)
	global_store_b32 v[5:6], v7, off
.LBB132_50:
	s_or_b32 exec_lo, exec_lo, s4
	v_add3_u32 v5, v1, s11, 48
	s_delay_alu instid0(VALU_DEP_1) | instskip(NEXT) | instid1(VALU_DEP_1)
	v_cmp_gt_u32_e64 s3, s6, v5
	s_and_b32 exec_lo, exec_lo, s3
	s_cbranch_execz .LBB132_62
; %bb.51:
	v_mul_lo_u32 v5, v5, s10
	s_and_saveexec_b32 s4, vcc_lo
	s_cbranch_execnz .LBB132_78
; %bb.52:
	s_or_b32 exec_lo, exec_lo, s4
	s_and_saveexec_b32 s4, s0
	s_cbranch_execnz .LBB132_79
.LBB132_53:
	s_or_b32 exec_lo, exec_lo, s4
	s_and_saveexec_b32 s4, s1
	s_cbranch_execnz .LBB132_80
.LBB132_54:
	s_or_b32 exec_lo, exec_lo, s4
	s_and_saveexec_b32 s4, s2
	s_cbranch_execz .LBB132_56
.LBB132_55:
	v_dual_mov_b32 v6, 0 :: v_dual_add_nc_u32 v5, v5, v4
	s_delay_alu instid0(VALU_DEP_1) | instskip(SKIP_1) | instid1(VALU_DEP_1)
	v_lshlrev_b64 v[5:6], 2, v[5:6]
	s_waitcnt lgkmcnt(0)
	v_add_co_u32 v5, s3, s8, v5
	s_delay_alu instid0(VALU_DEP_1)
	v_add_co_ci_u32_e64 v6, s3, s9, v6, s3
	global_store_b32 v[5:6], v76, off
.LBB132_56:
	s_or_b32 exec_lo, exec_lo, s4
	v_add3_u32 v1, v1, s11, 56
	s_delay_alu instid0(VALU_DEP_1) | instskip(NEXT) | instid1(VALU_DEP_1)
	v_cmp_gt_u32_e64 s3, s6, v1
	s_and_b32 exec_lo, exec_lo, s3
	s_cbranch_execz .LBB132_62
; %bb.57:
	v_mul_lo_u32 v1, v1, s10
	s_and_saveexec_b32 s3, vcc_lo
	s_cbranch_execnz .LBB132_81
; %bb.58:
	s_or_b32 exec_lo, exec_lo, s3
	s_and_saveexec_b32 s3, s0
	s_cbranch_execnz .LBB132_82
.LBB132_59:
	s_or_b32 exec_lo, exec_lo, s3
	s_and_saveexec_b32 s0, s1
	s_cbranch_execnz .LBB132_83
.LBB132_60:
	s_or_b32 exec_lo, exec_lo, s0
	s_delay_alu instid0(SALU_CYCLE_1)
	s_and_b32 exec_lo, exec_lo, s2
	s_cbranch_execz .LBB132_62
.LBB132_61:
	v_dual_mov_b32 v1, 0 :: v_dual_add_nc_u32 v0, v1, v4
	s_delay_alu instid0(VALU_DEP_1) | instskip(SKIP_1) | instid1(VALU_DEP_1)
	v_lshlrev_b64 v[0:1], 2, v[0:1]
	s_waitcnt lgkmcnt(0)
	v_add_co_u32 v0, vcc_lo, s8, v0
	s_delay_alu instid0(VALU_DEP_2)
	v_add_co_ci_u32_e32 v1, vcc_lo, s9, v1, vcc_lo
	global_store_b32 v[0:1], v30, off
.LBB132_62:
	s_endpgm
.LBB132_63:
	scratch_load_b32 v8, off, off offset:1064 ; 4-byte Folded Reload
	v_dual_mov_b32 v7, 0 :: v_dual_add_nc_u32 v6, v5, v0
	s_delay_alu instid0(VALU_DEP_1) | instskip(SKIP_1) | instid1(VALU_DEP_1)
	v_lshlrev_b64 v[6:7], 2, v[6:7]
	s_waitcnt lgkmcnt(0)
	v_add_co_u32 v6, s3, s8, v6
	s_delay_alu instid0(VALU_DEP_1)
	v_add_co_ci_u32_e64 v7, s3, s9, v7, s3
	s_waitcnt vmcnt(0)
	global_store_b32 v[6:7], v8, off
	s_or_b32 exec_lo, exec_lo, s4
	s_and_saveexec_b32 s4, s0
	s_cbranch_execz .LBB132_23
.LBB132_64:
	scratch_load_b32 v8, off, off offset:1052 ; 4-byte Folded Reload
	v_dual_mov_b32 v7, 0 :: v_dual_add_nc_u32 v6, v5, v2
	s_delay_alu instid0(VALU_DEP_1) | instskip(SKIP_1) | instid1(VALU_DEP_1)
	v_lshlrev_b64 v[6:7], 2, v[6:7]
	s_waitcnt lgkmcnt(0)
	v_add_co_u32 v6, s3, s8, v6
	s_delay_alu instid0(VALU_DEP_1)
	v_add_co_ci_u32_e64 v7, s3, s9, v7, s3
	s_waitcnt vmcnt(0)
	global_store_b32 v[6:7], v8, off
	s_or_b32 exec_lo, exec_lo, s4
	s_and_saveexec_b32 s4, s1
	s_cbranch_execz .LBB132_24
.LBB132_65:
	scratch_load_b32 v8, off, off offset:1056 ; 4-byte Folded Reload
	v_dual_mov_b32 v7, 0 :: v_dual_add_nc_u32 v6, v5, v3
	s_delay_alu instid0(VALU_DEP_1) | instskip(SKIP_1) | instid1(VALU_DEP_1)
	v_lshlrev_b64 v[6:7], 2, v[6:7]
	s_waitcnt lgkmcnt(0)
	v_add_co_u32 v6, s3, s8, v6
	s_delay_alu instid0(VALU_DEP_1)
	v_add_co_ci_u32_e64 v7, s3, s9, v7, s3
	s_waitcnt vmcnt(0)
	global_store_b32 v[6:7], v8, off
	s_or_b32 exec_lo, exec_lo, s4
	s_and_saveexec_b32 s4, s2
	s_cbranch_execnz .LBB132_25
	s_branch .LBB132_26
.LBB132_66:
	scratch_load_b32 v8, off, off offset:1068 ; 4-byte Folded Reload
	v_dual_mov_b32 v7, 0 :: v_dual_add_nc_u32 v6, v5, v0
	s_delay_alu instid0(VALU_DEP_1) | instskip(SKIP_1) | instid1(VALU_DEP_1)
	v_lshlrev_b64 v[6:7], 2, v[6:7]
	s_waitcnt lgkmcnt(0)
	v_add_co_u32 v6, s3, s8, v6
	s_delay_alu instid0(VALU_DEP_1)
	v_add_co_ci_u32_e64 v7, s3, s9, v7, s3
	s_waitcnt vmcnt(0)
	global_store_b32 v[6:7], v8, off
	s_or_b32 exec_lo, exec_lo, s4
	s_and_saveexec_b32 s4, s0
	s_cbranch_execz .LBB132_29
.LBB132_67:
	scratch_load_b32 v8, off, off offset:1072 ; 4-byte Folded Reload
	v_dual_mov_b32 v7, 0 :: v_dual_add_nc_u32 v6, v5, v2
	s_delay_alu instid0(VALU_DEP_1) | instskip(SKIP_1) | instid1(VALU_DEP_1)
	v_lshlrev_b64 v[6:7], 2, v[6:7]
	s_waitcnt lgkmcnt(0)
	v_add_co_u32 v6, s3, s8, v6
	s_delay_alu instid0(VALU_DEP_1)
	v_add_co_ci_u32_e64 v7, s3, s9, v7, s3
	s_waitcnt vmcnt(0)
	global_store_b32 v[6:7], v8, off
	s_or_b32 exec_lo, exec_lo, s4
	s_and_saveexec_b32 s4, s1
	s_cbranch_execz .LBB132_30
.LBB132_68:
	scratch_load_b32 v8, off, off offset:1076 ; 4-byte Folded Reload
	v_dual_mov_b32 v7, 0 :: v_dual_add_nc_u32 v6, v5, v3
	s_delay_alu instid0(VALU_DEP_1) | instskip(SKIP_1) | instid1(VALU_DEP_1)
	v_lshlrev_b64 v[6:7], 2, v[6:7]
	s_waitcnt lgkmcnt(0)
	v_add_co_u32 v6, s3, s8, v6
	s_delay_alu instid0(VALU_DEP_1)
	v_add_co_ci_u32_e64 v7, s3, s9, v7, s3
	s_waitcnt vmcnt(0)
	global_store_b32 v[6:7], v8, off
	s_or_b32 exec_lo, exec_lo, s4
	s_and_saveexec_b32 s4, s2
	s_cbranch_execnz .LBB132_31
	s_branch .LBB132_32
.LBB132_69:
	scratch_load_b32 v8, off, off offset:1088 ; 4-byte Folded Reload
	v_dual_mov_b32 v7, 0 :: v_dual_add_nc_u32 v6, v5, v0
	s_delay_alu instid0(VALU_DEP_1) | instskip(SKIP_1) | instid1(VALU_DEP_1)
	v_lshlrev_b64 v[6:7], 2, v[6:7]
	s_waitcnt lgkmcnt(0)
	v_add_co_u32 v6, s3, s8, v6
	s_delay_alu instid0(VALU_DEP_1)
	v_add_co_ci_u32_e64 v7, s3, s9, v7, s3
	s_waitcnt vmcnt(0)
	global_store_b32 v[6:7], v8, off
	s_or_b32 exec_lo, exec_lo, s4
	s_and_saveexec_b32 s4, s0
	s_cbranch_execz .LBB132_35
.LBB132_70:
	scratch_load_b32 v8, off, off offset:1092 ; 4-byte Folded Reload
	v_dual_mov_b32 v7, 0 :: v_dual_add_nc_u32 v6, v5, v2
	s_delay_alu instid0(VALU_DEP_1) | instskip(SKIP_1) | instid1(VALU_DEP_1)
	v_lshlrev_b64 v[6:7], 2, v[6:7]
	s_waitcnt lgkmcnt(0)
	v_add_co_u32 v6, s3, s8, v6
	s_delay_alu instid0(VALU_DEP_1)
	v_add_co_ci_u32_e64 v7, s3, s9, v7, s3
	s_waitcnt vmcnt(0)
	global_store_b32 v[6:7], v8, off
	s_or_b32 exec_lo, exec_lo, s4
	s_and_saveexec_b32 s4, s1
	s_cbranch_execz .LBB132_36
.LBB132_71:
	scratch_load_b32 v8, off, off offset:1096 ; 4-byte Folded Reload
	v_dual_mov_b32 v7, 0 :: v_dual_add_nc_u32 v6, v5, v3
	s_delay_alu instid0(VALU_DEP_1) | instskip(SKIP_1) | instid1(VALU_DEP_1)
	v_lshlrev_b64 v[6:7], 2, v[6:7]
	s_waitcnt lgkmcnt(0)
	v_add_co_u32 v6, s3, s8, v6
	s_delay_alu instid0(VALU_DEP_1)
	v_add_co_ci_u32_e64 v7, s3, s9, v7, s3
	s_waitcnt vmcnt(0)
	global_store_b32 v[6:7], v8, off
	s_or_b32 exec_lo, exec_lo, s4
	s_and_saveexec_b32 s4, s2
	s_cbranch_execnz .LBB132_37
	s_branch .LBB132_38
.LBB132_72:
	scratch_load_b32 v8, off, off offset:1112 ; 4-byte Folded Reload
	v_dual_mov_b32 v7, 0 :: v_dual_add_nc_u32 v6, v5, v0
	s_delay_alu instid0(VALU_DEP_1) | instskip(SKIP_1) | instid1(VALU_DEP_1)
	v_lshlrev_b64 v[6:7], 2, v[6:7]
	s_waitcnt lgkmcnt(0)
	v_add_co_u32 v6, s3, s8, v6
	s_delay_alu instid0(VALU_DEP_1)
	v_add_co_ci_u32_e64 v7, s3, s9, v7, s3
	s_waitcnt vmcnt(0)
	global_store_b32 v[6:7], v8, off
	s_or_b32 exec_lo, exec_lo, s4
	s_and_saveexec_b32 s4, s0
	s_cbranch_execz .LBB132_41
.LBB132_73:
	scratch_load_b32 v8, off, off offset:1108 ; 4-byte Folded Reload
	v_dual_mov_b32 v7, 0 :: v_dual_add_nc_u32 v6, v5, v2
	s_delay_alu instid0(VALU_DEP_1) | instskip(SKIP_1) | instid1(VALU_DEP_1)
	v_lshlrev_b64 v[6:7], 2, v[6:7]
	s_waitcnt lgkmcnt(0)
	v_add_co_u32 v6, s3, s8, v6
	s_delay_alu instid0(VALU_DEP_1)
	v_add_co_ci_u32_e64 v7, s3, s9, v7, s3
	s_waitcnt vmcnt(0)
	global_store_b32 v[6:7], v8, off
	s_or_b32 exec_lo, exec_lo, s4
	s_and_saveexec_b32 s4, s1
	s_cbranch_execz .LBB132_42
.LBB132_74:
	scratch_load_b32 v8, off, off offset:1104 ; 4-byte Folded Reload
	v_dual_mov_b32 v7, 0 :: v_dual_add_nc_u32 v6, v5, v3
	s_delay_alu instid0(VALU_DEP_1) | instskip(SKIP_1) | instid1(VALU_DEP_1)
	v_lshlrev_b64 v[6:7], 2, v[6:7]
	s_waitcnt lgkmcnt(0)
	v_add_co_u32 v6, s3, s8, v6
	s_delay_alu instid0(VALU_DEP_1)
	v_add_co_ci_u32_e64 v7, s3, s9, v7, s3
	s_waitcnt vmcnt(0)
	global_store_b32 v[6:7], v8, off
	s_or_b32 exec_lo, exec_lo, s4
	s_and_saveexec_b32 s4, s2
	s_cbranch_execnz .LBB132_43
	s_branch .LBB132_44
.LBB132_75:
	scratch_load_b32 v8, off, off offset:1124 ; 4-byte Folded Reload
	v_dual_mov_b32 v7, 0 :: v_dual_add_nc_u32 v6, v5, v0
	s_delay_alu instid0(VALU_DEP_1) | instskip(SKIP_1) | instid1(VALU_DEP_1)
	v_lshlrev_b64 v[6:7], 2, v[6:7]
	s_waitcnt lgkmcnt(0)
	v_add_co_u32 v6, s3, s8, v6
	s_delay_alu instid0(VALU_DEP_1)
	v_add_co_ci_u32_e64 v7, s3, s9, v7, s3
	s_waitcnt vmcnt(0)
	global_store_b32 v[6:7], v8, off
	s_or_b32 exec_lo, exec_lo, s4
	s_and_saveexec_b32 s4, s0
	s_cbranch_execz .LBB132_47
.LBB132_76:
	scratch_load_b32 v8, off, off offset:1128 ; 4-byte Folded Reload
	v_dual_mov_b32 v7, 0 :: v_dual_add_nc_u32 v6, v5, v2
	s_delay_alu instid0(VALU_DEP_1) | instskip(SKIP_1) | instid1(VALU_DEP_1)
	v_lshlrev_b64 v[6:7], 2, v[6:7]
	s_waitcnt lgkmcnt(0)
	v_add_co_u32 v6, s3, s8, v6
	s_delay_alu instid0(VALU_DEP_1)
	v_add_co_ci_u32_e64 v7, s3, s9, v7, s3
	s_waitcnt vmcnt(0)
	global_store_b32 v[6:7], v8, off
	s_or_b32 exec_lo, exec_lo, s4
	s_and_saveexec_b32 s4, s1
	s_cbranch_execz .LBB132_48
.LBB132_77:
	scratch_load_b32 v8, off, off offset:1120 ; 4-byte Folded Reload
	v_dual_mov_b32 v7, 0 :: v_dual_add_nc_u32 v6, v5, v3
	s_delay_alu instid0(VALU_DEP_1) | instskip(SKIP_1) | instid1(VALU_DEP_1)
	v_lshlrev_b64 v[6:7], 2, v[6:7]
	s_waitcnt lgkmcnt(0)
	v_add_co_u32 v6, s3, s8, v6
	s_delay_alu instid0(VALU_DEP_1)
	v_add_co_ci_u32_e64 v7, s3, s9, v7, s3
	s_waitcnt vmcnt(0)
	global_store_b32 v[6:7], v8, off
	s_or_b32 exec_lo, exec_lo, s4
	s_and_saveexec_b32 s4, s2
	s_cbranch_execnz .LBB132_49
	s_branch .LBB132_50
.LBB132_78:
	scratch_load_b32 v8, off, off offset:1132 ; 4-byte Folded Reload
	v_dual_mov_b32 v7, 0 :: v_dual_add_nc_u32 v6, v5, v0
	s_delay_alu instid0(VALU_DEP_1) | instskip(SKIP_1) | instid1(VALU_DEP_1)
	v_lshlrev_b64 v[6:7], 2, v[6:7]
	s_waitcnt lgkmcnt(0)
	v_add_co_u32 v6, s3, s8, v6
	s_delay_alu instid0(VALU_DEP_1)
	v_add_co_ci_u32_e64 v7, s3, s9, v7, s3
	s_waitcnt vmcnt(0)
	global_store_b32 v[6:7], v8, off
	s_or_b32 exec_lo, exec_lo, s4
	s_and_saveexec_b32 s4, s0
	s_cbranch_execz .LBB132_53
.LBB132_79:
	s_delay_alu instid0(VALU_DEP_1) | instskip(NEXT) | instid1(VALU_DEP_1)
	v_dual_mov_b32 v7, 0 :: v_dual_add_nc_u32 v6, v5, v2
	v_lshlrev_b64 v[6:7], 2, v[6:7]
	s_waitcnt lgkmcnt(0)
	s_delay_alu instid0(VALU_DEP_1) | instskip(NEXT) | instid1(VALU_DEP_1)
	v_add_co_u32 v6, s3, s8, v6
	v_add_co_ci_u32_e64 v7, s3, s9, v7, s3
	global_store_b32 v[6:7], v251, off
	s_or_b32 exec_lo, exec_lo, s4
	s_and_saveexec_b32 s4, s1
	s_cbranch_execz .LBB132_54
.LBB132_80:
	v_dual_mov_b32 v7, 0 :: v_dual_add_nc_u32 v6, v5, v3
	s_delay_alu instid0(VALU_DEP_1) | instskip(SKIP_1) | instid1(VALU_DEP_1)
	v_lshlrev_b64 v[6:7], 2, v[6:7]
	s_waitcnt lgkmcnt(0)
	v_add_co_u32 v6, s3, s8, v6
	s_delay_alu instid0(VALU_DEP_1)
	v_add_co_ci_u32_e64 v7, s3, s9, v7, s3
	global_store_b32 v[6:7], v214, off
	s_or_b32 exec_lo, exec_lo, s4
	s_and_saveexec_b32 s4, s2
	s_cbranch_execnz .LBB132_55
	s_branch .LBB132_56
.LBB132_81:
	s_delay_alu instid0(VALU_DEP_1) | instskip(NEXT) | instid1(VALU_DEP_1)
	v_dual_mov_b32 v6, 0 :: v_dual_add_nc_u32 v5, v1, v0
	v_lshlrev_b64 v[5:6], 2, v[5:6]
	s_waitcnt lgkmcnt(0)
	s_delay_alu instid0(VALU_DEP_1) | instskip(NEXT) | instid1(VALU_DEP_2)
	v_add_co_u32 v5, vcc_lo, s8, v5
	v_add_co_ci_u32_e32 v6, vcc_lo, s9, v6, vcc_lo
	global_store_b32 v[5:6], v35, off
	s_or_b32 exec_lo, exec_lo, s3
	s_and_saveexec_b32 s3, s0
	s_cbranch_execz .LBB132_59
.LBB132_82:
	s_delay_alu instid0(VALU_DEP_1) | instskip(NEXT) | instid1(VALU_DEP_1)
	v_dual_mov_b32 v6, 0 :: v_dual_add_nc_u32 v5, v1, v2
	v_lshlrev_b64 v[5:6], 2, v[5:6]
	s_waitcnt lgkmcnt(0)
	s_delay_alu instid0(VALU_DEP_1) | instskip(NEXT) | instid1(VALU_DEP_2)
	v_add_co_u32 v5, vcc_lo, s8, v5
	v_add_co_ci_u32_e32 v6, vcc_lo, s9, v6, vcc_lo
	global_store_b32 v[5:6], v32, off
	s_or_b32 exec_lo, exec_lo, s3
	s_and_saveexec_b32 s0, s1
	s_cbranch_execz .LBB132_60
.LBB132_83:
	v_dual_mov_b32 v3, 0 :: v_dual_add_nc_u32 v2, v1, v3
	s_delay_alu instid0(VALU_DEP_1) | instskip(SKIP_1) | instid1(VALU_DEP_1)
	v_lshlrev_b64 v[2:3], 2, v[2:3]
	s_waitcnt lgkmcnt(0)
	v_add_co_u32 v2, vcc_lo, s8, v2
	s_delay_alu instid0(VALU_DEP_2) | instskip(SKIP_2) | instid1(SALU_CYCLE_1)
	v_add_co_ci_u32_e32 v3, vcc_lo, s9, v3, vcc_lo
	global_store_b32 v[2:3], v31, off
	s_or_b32 exec_lo, exec_lo, s0
	s_and_b32 exec_lo, exec_lo, s2
	s_cbranch_execnz .LBB132_61
	s_branch .LBB132_62
	.section	.rodata,"a",@progbits
	.p2align	6, 0x0
	.amdhsa_kernel _ZL12mul_mat_q4_KIfLb1EEvPKvS1_PT_iiiii
		.amdhsa_group_segment_fixed_size 28752
		.amdhsa_private_segment_fixed_size 1648
		.amdhsa_kernarg_size 44
		.amdhsa_user_sgpr_count 14
		.amdhsa_user_sgpr_dispatch_ptr 0
		.amdhsa_user_sgpr_queue_ptr 0
		.amdhsa_user_sgpr_kernarg_segment_ptr 1
		.amdhsa_user_sgpr_dispatch_id 0
		.amdhsa_user_sgpr_private_segment_size 0
		.amdhsa_wavefront_size32 1
		.amdhsa_uses_dynamic_stack 0
		.amdhsa_enable_private_segment 1
		.amdhsa_system_sgpr_workgroup_id_x 1
		.amdhsa_system_sgpr_workgroup_id_y 1
		.amdhsa_system_sgpr_workgroup_id_z 0
		.amdhsa_system_sgpr_workgroup_info 0
		.amdhsa_system_vgpr_workitem_id 1
		.amdhsa_next_free_vgpr 256
		.amdhsa_next_free_sgpr 18
		.amdhsa_reserve_vcc 1
		.amdhsa_float_round_mode_32 0
		.amdhsa_float_round_mode_16_64 0
		.amdhsa_float_denorm_mode_32 3
		.amdhsa_float_denorm_mode_16_64 3
		.amdhsa_dx10_clamp 1
		.amdhsa_ieee_mode 1
		.amdhsa_fp16_overflow 0
		.amdhsa_workgroup_processor_mode 1
		.amdhsa_memory_ordered 1
		.amdhsa_forward_progress 0
		.amdhsa_shared_vgpr_count 0
		.amdhsa_exception_fp_ieee_invalid_op 0
		.amdhsa_exception_fp_denorm_src 0
		.amdhsa_exception_fp_ieee_div_zero 0
		.amdhsa_exception_fp_ieee_overflow 0
		.amdhsa_exception_fp_ieee_underflow 0
		.amdhsa_exception_fp_ieee_inexact 0
		.amdhsa_exception_int_div_zero 0
	.end_amdhsa_kernel
	.section	.text._ZL12mul_mat_q4_KIfLb1EEvPKvS1_PT_iiiii,"axG",@progbits,_ZL12mul_mat_q4_KIfLb1EEvPKvS1_PT_iiiii,comdat
.Lfunc_end132:
	.size	_ZL12mul_mat_q4_KIfLb1EEvPKvS1_PT_iiiii, .Lfunc_end132-_ZL12mul_mat_q4_KIfLb1EEvPKvS1_PT_iiiii
                                        ; -- End function
	.section	.AMDGPU.csdata,"",@progbits
; Kernel info:
; codeLenInByte = 48940
; NumSgprs: 20
; NumVgprs: 256
; ScratchSize: 1648
; MemoryBound: 0
; FloatMode: 240
; IeeeMode: 1
; LDSByteSize: 28752 bytes/workgroup (compile time only)
; SGPRBlocks: 2
; VGPRBlocks: 31
; NumSGPRsForWavesPerEU: 20
; NumVGPRsForWavesPerEU: 256
; Occupancy: 5
; WaveLimiterHint : 0
; COMPUTE_PGM_RSRC2:SCRATCH_EN: 1
; COMPUTE_PGM_RSRC2:USER_SGPR: 14
; COMPUTE_PGM_RSRC2:TRAP_HANDLER: 0
; COMPUTE_PGM_RSRC2:TGID_X_EN: 1
; COMPUTE_PGM_RSRC2:TGID_Y_EN: 1
; COMPUTE_PGM_RSRC2:TGID_Z_EN: 0
; COMPUTE_PGM_RSRC2:TIDIG_COMP_CNT: 1
	.section	.text._ZL12mul_mat_q5_KIfLb0EEvPKvS1_PT_iiiii,"axG",@progbits,_ZL12mul_mat_q5_KIfLb0EEvPKvS1_PT_iiiii,comdat
	.globl	_ZL12mul_mat_q5_KIfLb0EEvPKvS1_PT_iiiii ; -- Begin function _ZL12mul_mat_q5_KIfLb0EEvPKvS1_PT_iiiii
	.p2align	8
	.type	_ZL12mul_mat_q5_KIfLb0EEvPKvS1_PT_iiiii,@function
_ZL12mul_mat_q5_KIfLb0EEvPKvS1_PT_iiiii: ; @_ZL12mul_mat_q5_KIfLb0EEvPKvS1_PT_iiiii
; %bb.0:
	s_clause 0x1
	s_load_b32 s11, s[0:1], 0x18
	s_load_b128 s[4:7], s[0:1], 0x20
	v_bfe_u32 v16, v0, 10, 10
	v_and_b32_e32 v17, 0x3ff, v0
	s_waitcnt lgkmcnt(0)
	s_lshl_b32 s7, s15, 6
	s_cmpk_gt_i32 s11, 0xff
	s_cbranch_scc1 .LBB133_2
; %bb.1:
	v_bfe_u32 v1, v0, 10, 10
	v_and_b32_e32 v0, 0x3ff, v0
	s_mov_b32 s2, 0
	s_mov_b32 s3, 0
	s_delay_alu instid0(VALU_DEP_2)
	v_add_nc_u32_e32 v24, s7, v1
	s_branch .LBB133_3
.LBB133_2:
	s_mov_b32 s2, -1
                                        ; implicit-def: $sgpr3
                                        ; implicit-def: $vgpr1
                                        ; implicit-def: $vgpr0
                                        ; implicit-def: $vgpr24
.LBB133_3:
	s_load_b64 s[8:9], s[0:1], 0x10
	v_dual_mov_b32 v3, s3 :: v_dual_mov_b32 v22, s3
	v_dual_mov_b32 v7, s3 :: v_dual_mov_b32 v30, s3
	;; [unrolled: 1-line block ×14, first 2 shown]
	v_mov_b32_e32 v67, s3
	v_mov_b32_e32 v21, s3
	;; [unrolled: 1-line block ×4, first 2 shown]
	s_and_not1_b32 vcc_lo, exec_lo, s2
	s_lshl_b32 s10, s14, 7
	s_cbranch_vccnz .LBB133_11
; %bb.4:
	s_load_b128 s[0:3], s[0:1], 0x0
	s_ashr_i32 s12, s11, 31
	s_ashr_i32 s13, s5, 31
	s_lshr_b32 s12, s12, 24
	v_add_nc_u32_e32 v24, s7, v16
	s_add_i32 s11, s11, s12
	s_lshr_b32 s12, s13, 27
	s_ashr_i32 s11, s11, 8
	s_add_i32 s5, s5, s12
	s_mul_i32 s12, s11, s10
	s_ashr_i32 s13, s5, 5
	s_mul_i32 s5, s12, 0xb0
	v_add_nc_u32_e32 v5, 8, v24
	s_mul_hi_i32 s12, s12, 0xb0
	v_dual_mov_b32 v33, 0 :: v_dual_and_b32 v4, 3, v17
	v_cvt_f64_u32_e32 v[0:1], v24
	v_add_nc_u32_e32 v7, 16, v24
	v_cvt_f64_u32_e32 v[5:6], v5
	v_dual_mov_b32 v19, 0 :: v_dual_and_b32 v10, 7, v17
	s_waitcnt lgkmcnt(0)
	s_add_u32 s5, s0, s5
	s_addc_u32 s12, s1, s12
	s_add_i32 s1, s4, -1
	v_add_nc_u32_e32 v11, 24, v24
	v_cvt_f64_i32_e32 v[2:3], s1
	v_cvt_f64_u32_e32 v[7:8], v7
	v_add_nc_u32_e32 v12, 32, v24
	v_add_nc_u32_e32 v20, 48, v24
	v_dual_mov_b32 v53, 0 :: v_dual_add_nc_u32 v28, 0xfe, v4
	v_cmp_gt_u32_e32 vcc_lo, 2, v4
	v_lshlrev_b32_e32 v9, 1, v17
	s_delay_alu instid0(VALU_DEP_4)
	v_cvt_f64_u32_e32 v[20:21], v20
	v_lshlrev_b32_e32 v35, 5, v16
	v_mul_u32_u24_e32 v18, 0x41, v16
	v_cndmask_b32_e32 v28, v28, v4, vcc_lo
	v_and_or_b32 v22, v9, 48, v10
	v_cvt_f64_u32_e32 v[9:10], v11
	v_cvt_f64_u32_e32 v[11:12], v12
	v_add_nc_u32_e32 v23, v35, v17
	v_add_nc_u32_e32 v13, 40, v24
	;; [unrolled: 1-line block ×3, first 2 shown]
	v_add_lshl_u32 v52, v22, v18, 2
	v_and_b32_e32 v28, 0xff, v28
	v_and_b32_e32 v18, 0x7f, v23
	v_cvt_f64_u32_e32 v[13:14], v13
	v_lshrrev_b32_e32 v31, 3, v23
	v_cvt_f64_u32_e32 v[22:23], v30
	v_cmp_ne_u32_e32 vcc_lo, 0, v4
	v_dual_mov_b32 v44, 0 :: v_dual_lshlrev_b32 v27, 2, v17
	v_lshrrev_b32_e32 v15, 2, v17
	v_lshlrev_b32_e32 v25, 3, v16
	v_and_b32_e32 v30, 12, v31
	s_lshl_b32 s0, s11, 3
	v_lshlrev_b32_e32 v80, 1, v28
	v_and_b32_e32 v43, 6, v15
	v_mad_i32_i24 v29, s11, v16, s0
	v_lshrrev_b32_e32 v26, 5, v17
	v_dual_mov_b32 v32, 0 :: v_dual_and_b32 v41, 28, v27
	v_dual_mov_b32 v39, 0 :: v_dual_and_b32 v40, 0x7c, v27
	v_min_f64 v[0:1], v[0:1], v[2:3]
	v_min_f64 v[5:6], v[5:6], v[2:3]
	;; [unrolled: 1-line block ×3, first 2 shown]
	v_add_nc_u32_e32 v36, s0, v29
	v_mul_i32_i24_e32 v49, s11, v16
	v_add_nc_u32_e32 v55, 0x820, v52
	v_add_nc_u32_e32 v56, 0x1040, v52
	v_min_f64 v[20:21], v[20:21], v[2:3]
	v_add_nc_u32_e32 v57, 0x1860, v52
	v_add_nc_u32_e32 v59, 0x2080, v52
	v_add_nc_u32_e32 v60, 0x28a0, v52
	v_add_nc_u32_e32 v62, 0x30c0, v52
	v_min_f64 v[9:10], v[9:10], v[2:3]
	v_min_f64 v[11:12], v[11:12], v[2:3]
	v_add_nc_u32_e32 v63, 0x38e0, v52
	v_add_nc_u32_e32 v64, 0x4100, v52
	;; [unrolled: 1-line block ×6, first 2 shown]
	v_min_f64 v[13:14], v[13:14], v[2:3]
	v_add_nc_u32_e32 v72, 0x69a0, v52
	v_min_f64 v[2:3], v[22:23], v[2:3]
	v_add_co_ci_u32_e32 v23, vcc_lo, 0, v28, vcc_lo
	v_and_b32_e32 v22, 4, v27
	v_cmp_lt_u32_e32 vcc_lo, 1, v4
	s_delay_alu instid0(VALU_DEP_3)
	v_dual_mov_b32 v28, 0 :: v_dual_lshlrev_b32 v123, 2, v23
	v_mov_b32_e32 v23, 0
	v_lshlrev_b32_e32 v31, 2, v18
	v_mul_i32_i24_e32 v77, s11, v18
	v_add_nc_u32_e32 v18, v15, v25
	v_add_nc_u16 v15, v15, v25
	v_cndmask_b32_e32 v79, 0, v22, vcc_lo
	v_add3_u32 v78, v31, v30, 0xae40
	v_lshlrev_b32_e32 v31, 2, v4
	v_and_b32_e32 v22, 0x7f, v18
	v_cvt_i32_f64_e32 v25, v[0:1]
	v_cvt_i32_f64_e32 v5, v[5:6]
	v_lshrrev_b16 v1, 1, v15
	v_cvt_i32_f64_e32 v6, v[7:8]
	v_lshl_or_b32 v7, v22, 4, v31
	v_xor_b32_e32 v0, 64, v22
	v_add_nc_u32_e32 v85, 0x100, v35
	v_and_b32_e32 v1, 60, v1
	v_mov_b32_e32 v67, 0
	v_add_nc_u32_e32 v87, 0x200, v35
	v_lshrrev_b32_e32 v8, 1, v0
	v_add_nc_u32_e32 v91, 0x300, v35
	v_cvt_i32_f64_e32 v9, v[9:10]
	v_add3_u32 v82, v7, v1, 0xa200
	v_cvt_i32_f64_e32 v7, v[11:12]
	v_cvt_i32_f64_e32 v12, v[20:21]
	v_lshl_or_b32 v10, v0, 4, v31
	v_and_b32_e32 v8, 60, v8
	v_and_b32_e32 v11, 63, v18
	v_dual_mov_b32 v21, 0 :: v_dual_add_nc_u32 v38, s0, v36
	v_add_nc_u32_e32 v94, 0x400, v35
	s_delay_alu instid0(VALU_DEP_4)
	v_add3_u32 v84, v10, v8, 0xa200
	v_cvt_i32_f64_e32 v8, v[13:14]
	v_or_b32_e32 v13, s7, v11
	v_add_nc_u32_e32 v42, s0, v38
	v_cvt_i32_f64_e32 v14, v[2:3]
	v_and_b32_e32 v10, 31, v17
	v_lshl_or_b32 v11, v11, 4, v31
	v_min_i32_e32 v13, s1, v13
	v_add_nc_u32_e32 v96, 0x500, v35
	v_add_nc_u32_e32 v98, 0x600, v35
	;; [unrolled: 1-line block ×4, first 2 shown]
	v_cndmask_b32_e64 v30, 0, 1, vcc_lo
	v_mul_i32_i24_e32 v83, s11, v0
	v_add_nc_u32_e32 v73, 0x71c0, v52
	v_add_nc_u32_e32 v76, 0x79e0, v52
	v_mul_lo_u32 v88, s13, v25
	v_mov_b32_e32 v25, 0
	v_mad_u64_u32 v[2:3], null, v13, s13, v[4:5]
	v_mul_lo_u32 v90, s13, v5
	v_add_nc_u32_e32 v5, 0x60, v17
	v_add_nc_u32_e32 v45, s0, v42
	v_or_b32_e32 v3, v35, v10
	v_or_b32_e32 v4, v85, v10
	v_mul_lo_u32 v93, s13, v6
	v_lshrrev_b32_e32 v110, 3, v5
	v_or_b32_e32 v6, v105, v10
	v_mul_lo_u32 v97, s13, v9
	v_mov_b32_e32 v37, 0
	v_lshl_add_u32 v89, v3, 2, 0x8200
	v_mul_lo_u32 v104, s13, v12
	v_mov_b32_e32 v12, 0
	v_add_nc_u32_e32 v46, s0, v45
	v_dual_mov_b32 v34, 0 :: v_dual_and_b32 v9, 60, v110
	v_or_b32_e32 v3, v87, v10
	v_lshl_add_u32 v92, v4, 2, 0x8200
	v_mov_b32_e32 v47, 0
	s_delay_alu instid0(VALU_DEP_4)
	v_add3_u32 v115, v27, v9, 0xae40
	v_dual_mov_b32 v9, 0 :: v_dual_add_nc_u32 v48, s0, v46
	v_lshl_add_u32 v95, v3, 2, 0x8200
	v_or_b32_e32 v3, v91, v10
	v_or_b32_e32 v4, v94, v10
	v_mov_b32_e32 v11, 0
	v_add_nc_u32_e32 v51, s0, v48
	v_mul_lo_u32 v100, s13, v7
	v_lshl_add_u32 v99, v3, 2, 0x8200
	v_or_b32_e32 v3, v96, v10
	v_lshl_add_u32 v101, v4, 2, 0x8200
	v_add_nc_u32_e32 v54, s0, v51
	v_or_b32_e32 v4, v98, v10
	v_mul_lo_u32 v102, s13, v8
	v_lshl_add_u32 v103, v3, 2, 0x8200
	v_add_nc_u32_e32 v3, 32, v17
	v_add_nc_u32_e32 v58, s0, v54
	v_lshl_add_u32 v106, v4, 2, 0x8200
	v_add_nc_u32_e32 v4, 64, v17
	v_lshl_add_u32 v111, v6, 2, 0x8200
	v_lshrrev_b32_e32 v108, 3, v3
	v_add_nc_u32_e32 v61, s0, v58
	v_lshlrev_b32_e32 v6, 2, v26
	v_lshrrev_b32_e32 v109, 3, v4
	v_lshrrev_b32_e32 v10, 3, v17
	v_and_b32_e32 v7, 60, v108
	v_add_nc_u32_e32 v65, s0, v61
	v_mul_lo_u32 v107, s13, v14
	v_and_b32_e32 v8, 60, v109
	v_mul_i32_i24_e32 v81, s11, v22
	v_add3_u32 v112, v6, v27, 0xae40
	v_add_nc_u32_e32 v70, s0, v65
	v_add3_u32 v113, v27, v7, 0xae40
	v_add3_u32 v114, v27, v8, 0xae40
	v_mul_u32_u24_e32 v116, 0x104, v17
	v_lshlrev_b32_e32 v117, 4, v3
	v_add_nc_u32_e32 v74, s0, v70
	v_lshlrev_b32_e32 v119, 4, v4
	v_lshlrev_b32_e32 v121, 4, v5
	;; [unrolled: 1-line block ×4, first 2 shown]
	v_add_nc_u32_e32 v75, s0, v74
	v_add_co_u32 v0, s0, s2, v41
	s_delay_alu instid0(VALU_DEP_1)
	v_add_co_ci_u32_e64 v1, null, s3, 0, s0
	s_movk_i32 s0, 0x104
	v_mov_b32_e32 v14, 0
	v_mad_u32_u24 v118, v17, s0, 0x2080
	v_mad_u32_u24 v120, v17, s0, 0x4100
	;; [unrolled: 1-line block ×3, first 2 shown]
	v_mov_b32_e32 v10, 0
	v_mov_b32_e32 v6, 0
	v_dual_mov_b32 v20, 0 :: v_dual_mov_b32 v13, 0
	v_mov_b32_e32 v5, 0
	v_dual_mov_b32 v31, 0 :: v_dual_mov_b32 v18, 0
	v_or_b32_e32 v50, 1, v43
	v_mov_b32_e32 v8, 0
	v_mov_b32_e32 v4, 0
	;; [unrolled: 1-line block ×3, first 2 shown]
	v_dual_mov_b32 v22, 0 :: v_dual_mov_b32 v15, 0
	v_mov_b32_e32 v7, 0
	v_mov_b32_e32 v3, 0
	s_mov_b32 s13, 0
.LBB133_5:                              ; =>This Loop Header: Depth=1
                                        ;     Child Loop BB133_6 Depth 2
                                        ;       Child Loop BB133_7 Depth 3
	s_delay_alu instid0(SALU_CYCLE_1)
	s_mul_i32 s0, s13, 0xb0
	s_mul_hi_u32 s1, s13, 0xb0
	s_add_u32 s0, s5, s0
	s_addc_u32 s1, s12, s1
	s_mov_b32 s14, 0
	v_mad_u64_u32 v[126:127], null, 0xb0, v26, s[0:1]
	s_delay_alu instid0(VALU_DEP_1) | instskip(SKIP_3) | instid1(VALU_DEP_4)
	v_mad_u64_u32 v[128:129], null, 0xb0, v49, v[126:127]
	v_mad_u64_u32 v[130:131], null, 0xb0, v29, v[126:127]
	;; [unrolled: 1-line block ×4, first 2 shown]
	v_add_co_u32 v132, vcc_lo, v128, v40
	v_add_co_ci_u32_e32 v133, vcc_lo, 0, v129, vcc_lo
	v_add_co_u32 v128, vcc_lo, v128, v41
	v_add_co_ci_u32_e32 v129, vcc_lo, 0, v129, vcc_lo
	;; [unrolled: 2-line block ×6, first 2 shown]
	v_mad_u64_u32 v[144:145], null, 0xb0, v42, v[126:127]
	v_add_co_u32 v142, vcc_lo, v138, v40
	v_add_co_ci_u32_e32 v143, vcc_lo, 0, v139, vcc_lo
	v_add_co_u32 v138, vcc_lo, v138, v41
	v_add_co_ci_u32_e32 v139, vcc_lo, 0, v139, vcc_lo
	s_clause 0x7
	global_load_b32 v146, v[132:133], off offset:48
	global_load_b32 v147, v[128:129], off offset:16
	;; [unrolled: 1-line block ×8, first 2 shown]
	v_mad_u64_u32 v[128:129], null, 0xb0, v45, v[126:127]
	v_add_co_u32 v130, vcc_lo, v144, v40
	v_add_co_ci_u32_e32 v131, vcc_lo, 0, v145, vcc_lo
	v_add_co_u32 v132, vcc_lo, v144, v41
	v_mad_u64_u32 v[136:137], null, 0xb0, v46, v[126:127]
	v_add_co_ci_u32_e32 v133, vcc_lo, 0, v145, vcc_lo
	v_add_co_u32 v134, vcc_lo, v128, v40
	v_add_co_ci_u32_e32 v135, vcc_lo, 0, v129, vcc_lo
	v_add_co_u32 v128, vcc_lo, v128, v41
	v_mad_u64_u32 v[138:139], null, 0xb0, v48, v[126:127]
	v_add_co_ci_u32_e32 v129, vcc_lo, 0, v129, vcc_lo
	v_add_co_u32 v140, vcc_lo, v136, v40
	v_add_co_ci_u32_e32 v141, vcc_lo, 0, v137, vcc_lo
	v_add_co_u32 v136, vcc_lo, v136, v41
	v_add_co_ci_u32_e32 v137, vcc_lo, 0, v137, vcc_lo
	v_mad_u64_u32 v[144:145], null, 0xb0, v51, v[126:127]
	v_add_co_u32 v142, vcc_lo, v138, v40
	v_add_co_ci_u32_e32 v143, vcc_lo, 0, v139, vcc_lo
	v_add_co_u32 v138, vcc_lo, v138, v41
	v_add_co_ci_u32_e32 v139, vcc_lo, 0, v139, vcc_lo
	s_clause 0x7
	global_load_b32 v154, v[130:131], off offset:48
	global_load_b32 v155, v[132:133], off offset:16
	global_load_b32 v156, v[134:135], off offset:48
	global_load_b32 v157, v[128:129], off offset:16
	global_load_b32 v158, v[140:141], off offset:48
	global_load_b32 v159, v[136:137], off offset:16
	global_load_b32 v160, v[142:143], off offset:48
	global_load_b32 v161, v[138:139], off offset:16
	v_mad_u64_u32 v[128:129], null, 0xb0, v54, v[126:127]
	v_add_co_u32 v130, vcc_lo, v144, v40
	v_add_co_ci_u32_e32 v131, vcc_lo, 0, v145, vcc_lo
	v_add_co_u32 v132, vcc_lo, v144, v41
	v_mad_u64_u32 v[136:137], null, 0xb0, v58, v[126:127]
	v_add_co_ci_u32_e32 v133, vcc_lo, 0, v145, vcc_lo
	v_add_co_u32 v134, vcc_lo, v128, v40
	v_add_co_ci_u32_e32 v135, vcc_lo, 0, v129, vcc_lo
	v_add_co_u32 v128, vcc_lo, v128, v41
	v_mad_u64_u32 v[138:139], null, 0xb0, v61, v[126:127]
	v_add_co_ci_u32_e32 v129, vcc_lo, 0, v129, vcc_lo
	v_add_co_u32 v140, vcc_lo, v136, v40
	v_add_co_ci_u32_e32 v141, vcc_lo, 0, v137, vcc_lo
	v_add_co_u32 v136, vcc_lo, v136, v41
	v_add_co_ci_u32_e32 v137, vcc_lo, 0, v137, vcc_lo
	v_mad_u64_u32 v[144:145], null, 0xb0, v65, v[126:127]
	v_add_co_u32 v142, vcc_lo, v138, v40
	v_add_co_ci_u32_e32 v143, vcc_lo, 0, v139, vcc_lo
	v_add_co_u32 v138, vcc_lo, v138, v41
	v_add_co_ci_u32_e32 v139, vcc_lo, 0, v139, vcc_lo
	s_clause 0x7
	global_load_b32 v162, v[130:131], off offset:48
	global_load_b32 v163, v[132:133], off offset:16
	;; [unrolled: 1-line block ×8, first 2 shown]
	v_mad_u64_u32 v[128:129], null, 0xb0, v70, v[126:127]
	v_add_co_u32 v130, vcc_lo, v144, v40
	v_add_co_ci_u32_e32 v131, vcc_lo, 0, v145, vcc_lo
	v_add_co_u32 v132, vcc_lo, v144, v41
	v_add_co_ci_u32_e32 v133, vcc_lo, 0, v145, vcc_lo
	;; [unrolled: 2-line block ×4, first 2 shown]
	s_clause 0x3
	global_load_b32 v139, v[130:131], off offset:48
	global_load_b32 v141, v[132:133], off offset:16
	;; [unrolled: 1-line block ×4, first 2 shown]
	v_mad_u64_u32 v[128:129], null, 0xb0, v74, v[126:127]
	v_mad_u64_u32 v[132:133], null, 0xb0, v75, v[126:127]
	s_delay_alu instid0(VALU_DEP_2) | instskip(NEXT) | instid1(VALU_DEP_3)
	v_add_co_u32 v130, vcc_lo, v128, v40
	v_add_co_ci_u32_e32 v131, vcc_lo, 0, v129, vcc_lo
	v_add_co_u32 v126, vcc_lo, v128, v41
	v_add_co_ci_u32_e32 v127, vcc_lo, 0, v129, vcc_lo
	v_mad_u64_u32 v[128:129], null, 0xb0, v81, s[0:1]
	v_add_co_u32 v134, vcc_lo, v132, v40
	v_add_co_ci_u32_e32 v135, vcc_lo, 0, v133, vcc_lo
	v_add_co_u32 v132, vcc_lo, v132, v41
	v_add_co_ci_u32_e32 v133, vcc_lo, 0, v133, vcc_lo
	;; [unrolled: 2-line block ×3, first 2 shown]
	v_mad_u64_u32 v[128:129], null, 0xb0, v83, s[0:1]
	s_clause 0x3
	global_load_b32 v130, v[130:131], off offset:48
	global_load_b32 v131, v[126:127], off offset:16
	;; [unrolled: 1-line block ×4, first 2 shown]
	v_add_co_u32 v126, vcc_lo, v144, v123
	v_add_co_ci_u32_e32 v127, vcc_lo, 0, v145, vcc_lo
	v_add_co_u32 v133, vcc_lo, v128, 4
	v_add_co_ci_u32_e32 v135, vcc_lo, 0, v129, vcc_lo
	global_load_b32 v166, v[126:127], off
	v_add_co_u32 v126, vcc_lo, v133, v123
	v_add_co_ci_u32_e32 v127, vcc_lo, 0, v135, vcc_lo
	v_add_co_u32 v128, vcc_lo, v144, v124
	v_add_co_ci_u32_e32 v129, vcc_lo, 0, v145, vcc_lo
	global_load_b32 v144, v[126:127], off
	v_add_co_u32 v126, vcc_lo, v133, v124
	global_load_b32 v133, v[128:129], off
	v_mad_u64_u32 v[128:129], null, 0xb0, v77, s[0:1]
	v_add_co_ci_u32_e32 v127, vcc_lo, 0, v135, vcc_lo
	s_clause 0x1
	global_load_b32 v126, v[126:127], off
	global_load_b32 v127, v[128:129], off
	s_lshl_b32 s0, s13, 3
	s_mov_b32 s1, -1
	s_waitcnt vmcnt(36)
	v_lshrrev_b32_e32 v129, 4, v146
	s_waitcnt vmcnt(35)
	v_ashrrev_i32_e32 v135, v43, v147
	v_ashrrev_i32_e32 v145, v50, v147
	v_and_b32_e32 v128, 0xf0f0f0f, v146
	s_waitcnt vmcnt(34)
	v_and_b32_e32 v146, 0xf0f0f0f, v148
	v_lshrrev_b32_e32 v147, 4, v148
	s_waitcnt vmcnt(33)
	v_ashrrev_i32_e32 v148, v43, v149
	v_ashrrev_i32_e32 v149, v50, v149
	s_waitcnt vmcnt(32)
	v_and_b32_e32 v167, 0xf0f0f0f, v150
	v_lshrrev_b32_e32 v150, 4, v150
	s_waitcnt vmcnt(31)
	v_ashrrev_i32_e32 v168, v43, v151
	v_ashrrev_i32_e32 v151, v50, v151
	;; [unrolled: 6-line block ×3, first 2 shown]
	v_and_b32_e32 v129, 0xf0f0f0f, v129
	v_lshlrev_b32_e32 v135, 4, v135
	v_lshlrev_b32_e32 v145, 4, v145
	v_and_b32_e32 v147, 0xf0f0f0f, v147
	v_lshlrev_b32_e32 v148, 4, v148
	v_lshlrev_b32_e32 v149, 4, v149
	;; [unrolled: 3-line block ×4, first 2 shown]
	v_and_or_b32 v128, 0x10101010, v135, v128
	v_and_or_b32 v129, 0x10101010, v145, v129
	;; [unrolled: 1-line block ×8, first 2 shown]
	s_waitcnt vmcnt(28)
	v_and_b32_e32 v171, 0xf0f0f0f, v154
	v_lshrrev_b32_e32 v154, 4, v154
	s_waitcnt vmcnt(27)
	v_ashrrev_i32_e32 v172, v43, v155
	v_ashrrev_i32_e32 v155, v50, v155
	s_waitcnt vmcnt(26)
	v_and_b32_e32 v173, 0xf0f0f0f, v156
	v_lshrrev_b32_e32 v156, 4, v156
	s_waitcnt vmcnt(25)
	v_ashrrev_i32_e32 v174, v43, v157
	v_ashrrev_i32_e32 v157, v50, v157
	;; [unrolled: 6-line block ×4, first 2 shown]
	v_and_b32_e32 v154, 0xf0f0f0f, v154
	v_lshlrev_b32_e32 v172, 4, v172
	v_lshlrev_b32_e32 v155, 4, v155
	v_and_b32_e32 v156, 0xf0f0f0f, v156
	v_lshlrev_b32_e32 v174, 4, v174
	v_lshlrev_b32_e32 v157, 4, v157
	;; [unrolled: 3-line block ×4, first 2 shown]
	v_and_or_b32 v150, 0x10101010, v172, v171
	v_and_or_b32 v151, 0x10101010, v155, v154
	v_and_or_b32 v152, 0x10101010, v174, v173
	v_and_or_b32 v153, 0x10101010, v157, v156
	v_and_or_b32 v154, 0x10101010, v176, v175
	v_and_or_b32 v155, 0x10101010, v159, v158
	v_and_or_b32 v156, 0x10101010, v178, v177
	v_and_or_b32 v157, 0x10101010, v161, v160
	s_waitcnt vmcnt(20)
	v_and_b32_e32 v179, 0xf0f0f0f, v162
	v_lshrrev_b32_e32 v162, 4, v162
	s_waitcnt vmcnt(19)
	v_ashrrev_i32_e32 v180, v43, v163
	v_ashrrev_i32_e32 v163, v50, v163
	s_waitcnt vmcnt(18)
	v_and_b32_e32 v181, 0xf0f0f0f, v164
	v_lshrrev_b32_e32 v164, 4, v164
	s_waitcnt vmcnt(17)
	v_ashrrev_i32_e32 v182, v43, v165
	v_ashrrev_i32_e32 v165, v50, v165
	;; [unrolled: 6-line block ×4, first 2 shown]
	v_and_b32_e32 v162, 0xf0f0f0f, v162
	v_lshlrev_b32_e32 v180, 4, v180
	v_lshlrev_b32_e32 v163, 4, v163
	v_and_b32_e32 v164, 0xf0f0f0f, v164
	v_lshlrev_b32_e32 v182, 4, v182
	v_lshlrev_b32_e32 v165, 4, v165
	v_and_b32_e32 v140, 0xf0f0f0f, v140
	s_waitcnt vmcnt(12)
	v_and_b32_e32 v187, 0xf0f0f0f, v139
	v_lshrrev_b32_e32 v139, 4, v139
	s_waitcnt vmcnt(11)
	v_ashrrev_i32_e32 v188, v43, v141
	v_ashrrev_i32_e32 v141, v50, v141
	s_waitcnt vmcnt(10)
	v_lshrrev_b32_e32 v189, 4, v142
	s_waitcnt vmcnt(9)
	v_ashrrev_i32_e32 v190, v43, v143
	v_ashrrev_i32_e32 v143, v50, v143
	v_lshlrev_b32_e32 v184, 4, v184
	v_lshlrev_b32_e32 v136, 4, v136
	v_and_b32_e32 v137, 0xf0f0f0f, v137
	v_lshlrev_b32_e32 v186, 4, v186
	v_lshlrev_b32_e32 v138, 4, v138
	v_and_b32_e32 v139, 0xf0f0f0f, v139
	v_lshlrev_b32_e32 v188, 4, v188
	v_lshlrev_b32_e32 v141, 4, v141
	v_and_or_b32 v158, 0x10101010, v180, v179
	v_and_or_b32 v159, 0x10101010, v163, v162
	;; [unrolled: 1-line block ×6, first 2 shown]
	ds_store_2addr_b32 v52, v128, v129 offset1:8
	ds_store_2addr_b32 v55, v135, v145 offset1:8
	ds_store_2addr_b32 v56, v146, v147 offset1:8
	ds_store_2addr_b32 v57, v148, v149 offset1:8
	ds_store_2addr_b32 v59, v150, v151 offset1:8
	ds_store_2addr_b32 v60, v152, v153 offset1:8
	ds_store_2addr_b32 v62, v154, v155 offset1:8
	ds_store_2addr_b32 v63, v156, v157 offset1:8
	ds_store_2addr_b32 v64, v158, v159 offset1:8
	ds_store_2addr_b32 v66, v160, v161 offset1:8
	v_and_b32_e32 v128, 0xf0f0f0f, v142
	v_and_b32_e32 v129, 0xf0f0f0f, v189
	v_lshlrev_b32_e32 v135, 4, v190
	v_lshlrev_b32_e32 v142, 4, v143
	v_and_or_b32 v140, 0x10101010, v186, v185
	v_and_or_b32 v137, 0x10101010, v138, v137
	;; [unrolled: 1-line block ×4, first 2 shown]
	ds_store_2addr_b32 v68, v162, v136 offset1:8
	ds_store_2addr_b32 v69, v140, v137 offset1:8
	v_and_or_b32 v128, 0x10101010, v135, v128
	v_and_or_b32 v129, 0x10101010, v142, v129
	s_waitcnt vmcnt(8)
	v_lshrrev_b32_e32 v135, 4, v130
	s_waitcnt vmcnt(7)
	v_ashrrev_i32_e32 v136, v43, v131
	v_ashrrev_i32_e32 v131, v50, v131
	ds_store_2addr_b32 v71, v138, v139 offset1:8
	ds_store_2addr_b32 v72, v128, v129 offset1:8
	v_and_b32_e32 v129, 0xf0f0f0f, v135
	v_and_b32_e32 v128, 0xf0f0f0f, v130
	v_lshlrev_b32_e32 v131, 4, v131
	v_lshlrev_b32_e32 v130, 4, v136
	s_waitcnt vmcnt(6)
	v_lshrrev_b32_e32 v135, 4, v134
	s_waitcnt vmcnt(5)
	v_ashrrev_i32_e32 v136, v43, v132
	v_ashrrev_i32_e32 v132, v50, v132
	v_and_or_b32 v129, 0x10101010, v131, v129
	v_and_or_b32 v128, 0x10101010, v130, v128
	v_and_b32_e32 v130, 0xf0f0f0f, v134
	v_and_b32_e32 v134, 0xf0f0f0f, v135
	v_lshlrev_b32_e32 v135, 4, v136
	v_lshlrev_b32_e32 v132, 4, v132
	s_waitcnt vmcnt(4)
	v_ashrrev_i32_e32 v136, v79, v166
	s_waitcnt vmcnt(3)
	v_ashrrev_i32_e32 v131, v79, v144
	v_and_or_b32 v130, 0x10101010, v135, v130
	v_and_or_b32 v132, 0x10101010, v132, v134
	v_and_b32_e32 v134, 0xf0f0f0f, v136
	s_waitcnt vmcnt(2)
	v_ashrrev_i32_e32 v133, v80, v133
	v_and_b32_e32 v131, 0xf0f0f0f, v131
	ds_store_2addr_b32 v73, v128, v129 offset1:8
	ds_store_2addr_b32 v76, v130, v132 offset1:8
	v_and_or_b32 v128, 0x30303030, v133, v134
	s_waitcnt vmcnt(1)
	v_ashrrev_i32_e32 v126, v80, v126
	s_waitcnt vmcnt(0)
	ds_store_b32 v78, v127
	ds_store_b32 v82, v128
	v_and_or_b32 v129, 0x30303030, v126, v131
	v_add_nc_u32_e32 v126, s0, v2
	ds_store_b32 v84, v129
.LBB133_6:                              ;   Parent Loop BB133_5 Depth=1
                                        ; =>  This Loop Header: Depth=2
                                        ;       Child Loop BB133_7 Depth 3
	v_lshl_add_u32 v127, s14, 5, v17
	v_lshl_add_u32 v145, s14, 2, v126
	s_lshl_b32 s14, s14, 4
	s_xor_b32 s1, s1, -1
	s_add_i32 s15, s14, 16
	v_lshrrev_b32_e32 v127, 3, v127
	s_delay_alu instid0(VALU_DEP_1) | instskip(NEXT) | instid1(VALU_DEP_1)
	v_add_nc_u32_e32 v139, s0, v127
	v_add_nc_u32_e32 v129, v139, v88
	;; [unrolled: 1-line block ×7, first 2 shown]
	v_mad_i64_i32 v[127:128], null, v129, 36, v[0:1]
	v_add_nc_u32_e32 v141, v139, v104
	v_mad_i64_i32 v[129:130], null, v131, 36, v[0:1]
	v_mad_i64_i32 v[131:132], null, v133, 36, v[0:1]
	v_add_nc_u32_e32 v143, v139, v107
	v_mad_i64_i32 v[133:134], null, v135, 36, v[0:1]
	v_mad_i64_i32 v[135:136], null, v137, 36, v[0:1]
	;; [unrolled: 1-line block ×5, first 2 shown]
	v_mad_u64_u32 v[143:144], null, v145, 36, s[2:3]
	s_clause 0x8
	global_load_b32 v127, v[127:128], off offset:4
	global_load_b32 v128, v[129:130], off offset:4
	global_load_b32 v129, v[131:132], off offset:4
	global_load_b32 v130, v[133:134], off offset:4
	global_load_b32 v131, v[135:136], off offset:4
	global_load_b32 v132, v[137:138], off offset:4
	global_load_b32 v133, v[139:140], off offset:4
	global_load_b32 v134, v[141:142], off offset:4
	global_load_b32 v135, v[143:144], off
	s_waitcnt vmcnt(8)
	ds_store_b32 v89, v127
	s_waitcnt vmcnt(7)
	ds_store_b32 v92, v128
	;; [unrolled: 2-line block ×9, first 2 shown]
	s_waitcnt lgkmcnt(0)
	s_barrier
	buffer_gl0_inv
	ds_load_b32 v128, v112
	ds_load_b32 v129, v113 offset:128
	ds_load_b32 v130, v114 offset:256
	;; [unrolled: 1-line block ×3, first 2 shown]
	s_waitcnt lgkmcnt(3)
	v_lshrrev_b32_e32 v132, 16, v128
	s_waitcnt lgkmcnt(2)
	v_lshrrev_b32_e32 v133, 16, v129
	;; [unrolled: 2-line block ×4, first 2 shown]
	v_cvt_f32_f16_e64 v127, v128
	v_cvt_f32_f16_e64 v128, v129
	;; [unrolled: 1-line block ×8, first 2 shown]
.LBB133_7:                              ;   Parent Loop BB133_5 Depth=1
                                        ;     Parent Loop BB133_6 Depth=2
                                        ; =>    This Inner Loop Header: Depth=3
	s_lshl_b32 s17, s14, 1
	s_lshl_b32 s16, s14, 3
	s_and_b32 s17, s17, 16
	v_add_nc_u32_e32 v143, s16, v116
	v_or_b32_e32 v142, s17, v35
	v_add_nc_u32_e32 v145, s16, v118
	v_add_nc_u32_e32 v146, s16, v120
	;; [unrolled: 1-line block ×3, first 2 shown]
	s_lshr_b32 s16, s14, 2
	v_lshlrev_b32_e32 v144, 2, v142
	s_and_b32 s16, s16, 0x3ffffffe
	v_lshrrev_b32_e32 v142, 1, v142
	s_add_i32 s16, s16, 0xa200
	ds_load_2addr_b32 v[183:184], v143 offset1:1
	ds_load_b128 v[135:138], v144 offset:33280
	ds_load_2addr_b32 v[185:186], v145 offset1:1
	ds_load_2addr_b32 v[193:194], v145 offset0:2 offset1:3
	ds_load_2addr_b32 v[187:188], v146 offset1:1
	ds_load_2addr_b32 v[189:190], v147 offset1:1
	ds_load_2addr_b32 v[197:198], v147 offset0:2 offset1:3
	ds_load_2addr_b32 v[191:192], v143 offset0:2 offset1:3
	;; [unrolled: 1-line block ×3, first 2 shown]
	s_add_i32 s14, s14, 8
	s_delay_alu instid0(SALU_CYCLE_1)
	s_cmp_lt_u32 s14, s15
	s_waitcnt lgkmcnt(7)
	v_dot4_i32_iu8 v139, v183, v135, 0 neg_lo:[1,1,0]
	s_waitcnt lgkmcnt(6)
	v_dot4_i32_iu8 v140, v185, v135, 0 neg_lo:[1,1,0]
	;; [unrolled: 2-line block ×4, first 2 shown]
	v_dot4_i32_iu8 v139, v184, v136, v139 neg_lo:[1,1,0]
	v_dot4_i32_iu8 v140, v186, v136, v140 neg_lo:[1,1,0]
	;; [unrolled: 1-line block ×3, first 2 shown]
	s_delay_alu instid0(VALU_DEP_4)
	v_dot4_i32_iu8 v135, v190, v136, v135 neg_lo:[1,1,0]
	s_waitcnt lgkmcnt(1)
	v_dot4_i32_iu8 v136, v191, v137, v139 neg_lo:[1,1,0]
	v_dot4_i32_iu8 v139, v193, v137, v140 neg_lo:[1,1,0]
	s_waitcnt lgkmcnt(0)
	v_dot4_i32_iu8 v140, v195, v137, v141 neg_lo:[1,1,0]
	v_or_b32_e32 v141, s17, v85
	v_dot4_i32_iu8 v135, v197, v137, v135 neg_lo:[1,1,0]
	v_dot4_i32_iu8 v230, v192, v138, v136 neg_lo:[1,1,0]
	;; [unrolled: 1-line block ×4, first 2 shown]
	v_lshlrev_b32_e32 v148, 2, v141
	v_dot4_i32_iu8 v236, v198, v138, v135 neg_lo:[1,1,0]
	v_lshrrev_b32_e32 v141, 1, v141
	ds_load_b128 v[135:138], v148 offset:33280
	s_waitcnt lgkmcnt(0)
	v_dot4_i32_iu8 v139, v135, v183, 0 neg_lo:[1,1,0]
	v_dot4_i32_iu8 v140, v135, v185, 0 neg_lo:[1,1,0]
	;; [unrolled: 1-line block ×4, first 2 shown]
	s_delay_alu instid0(VALU_DEP_4) | instskip(NEXT) | instid1(VALU_DEP_4)
	v_dot4_i32_iu8 v139, v136, v184, v139 neg_lo:[1,1,0]
	v_dot4_i32_iu8 v140, v136, v186, v140 neg_lo:[1,1,0]
	s_delay_alu instid0(VALU_DEP_4) | instskip(NEXT) | instid1(VALU_DEP_4)
	v_dot4_i32_iu8 v149, v136, v188, v149 neg_lo:[1,1,0]
	v_dot4_i32_iu8 v135, v136, v190, v135 neg_lo:[1,1,0]
	;; [unrolled: 3-line block ×5, first 2 shown]
	s_delay_alu instid0(VALU_DEP_4) | instskip(SKIP_2) | instid1(VALU_DEP_2)
	v_dot4_i32_iu8 v246, v138, v196, v140 neg_lo:[1,1,0]
	v_or_b32_e32 v140, s17, v87
	v_dot4_i32_iu8 v247, v138, v198, v135 neg_lo:[1,1,0]
	v_lshlrev_b32_e32 v149, 2, v140
	v_lshrrev_b32_e32 v140, 1, v140
	ds_load_b128 v[135:138], v149 offset:33280
	s_waitcnt lgkmcnt(0)
	v_dot4_i32_iu8 v139, v135, v183, 0 neg_lo:[1,1,0]
	v_dot4_i32_iu8 v150, v135, v185, 0 neg_lo:[1,1,0]
	;; [unrolled: 1-line block ×4, first 2 shown]
	s_delay_alu instid0(VALU_DEP_4) | instskip(NEXT) | instid1(VALU_DEP_4)
	v_dot4_i32_iu8 v139, v136, v184, v139 neg_lo:[1,1,0]
	v_dot4_i32_iu8 v150, v136, v186, v150 neg_lo:[1,1,0]
	s_delay_alu instid0(VALU_DEP_4) | instskip(NEXT) | instid1(VALU_DEP_4)
	v_dot4_i32_iu8 v151, v136, v188, v151 neg_lo:[1,1,0]
	v_dot4_i32_iu8 v135, v136, v190, v135 neg_lo:[1,1,0]
	;; [unrolled: 3-line block ×5, first 2 shown]
	v_or_b32_e32 v139, s17, v91
	v_dot4_i32_iu8 v160, v138, v196, v150 neg_lo:[1,1,0]
	v_dot4_i32_iu8 v161, v138, v198, v135 neg_lo:[1,1,0]
	s_delay_alu instid0(VALU_DEP_3)
	v_lshlrev_b32_e32 v150, 2, v139
	v_lshrrev_b32_e32 v139, 1, v139
	ds_load_b128 v[135:138], v150 offset:33280
	s_waitcnt lgkmcnt(0)
	v_dot4_i32_iu8 v151, v135, v183, 0 neg_lo:[1,1,0]
	v_dot4_i32_iu8 v152, v135, v185, 0 neg_lo:[1,1,0]
	;; [unrolled: 1-line block ×4, first 2 shown]
	s_delay_alu instid0(VALU_DEP_4) | instskip(NEXT) | instid1(VALU_DEP_4)
	v_dot4_i32_iu8 v151, v136, v184, v151 neg_lo:[1,1,0]
	v_dot4_i32_iu8 v152, v136, v186, v152 neg_lo:[1,1,0]
	s_delay_alu instid0(VALU_DEP_4) | instskip(NEXT) | instid1(VALU_DEP_4)
	v_dot4_i32_iu8 v153, v136, v188, v153 neg_lo:[1,1,0]
	v_dot4_i32_iu8 v135, v136, v190, v135 neg_lo:[1,1,0]
	s_delay_alu instid0(VALU_DEP_4) | instskip(NEXT) | instid1(VALU_DEP_4)
	v_dot4_i32_iu8 v136, v137, v191, v151 neg_lo:[1,1,0]
	v_dot4_i32_iu8 v151, v137, v193, v152 neg_lo:[1,1,0]
	s_delay_alu instid0(VALU_DEP_4) | instskip(NEXT) | instid1(VALU_DEP_4)
	v_dot4_i32_iu8 v152, v137, v195, v153 neg_lo:[1,1,0]
	v_dot4_i32_iu8 v135, v137, v197, v135 neg_lo:[1,1,0]
	s_delay_alu instid0(VALU_DEP_4) | instskip(NEXT) | instid1(VALU_DEP_4)
	v_dot4_i32_iu8 v162, v138, v192, v136 neg_lo:[1,1,0]
	v_dot4_i32_iu8 v163, v138, v194, v151 neg_lo:[1,1,0]
	s_delay_alu instid0(VALU_DEP_4) | instskip(NEXT) | instid1(VALU_DEP_4)
	v_dot4_i32_iu8 v164, v138, v196, v152 neg_lo:[1,1,0]
	v_dot4_i32_iu8 v165, v138, v198, v135 neg_lo:[1,1,0]
	v_or_b32_e32 v138, s17, v94
	s_delay_alu instid0(VALU_DEP_1)
	v_lshlrev_b32_e32 v151, 2, v138
	v_lshrrev_b32_e32 v138, 1, v138
	ds_load_b128 v[152:155], v151 offset:33280
	s_waitcnt lgkmcnt(0)
	v_dot4_i32_iu8 v137, v152, v187, 0 neg_lo:[1,1,0]
	v_dot4_i32_iu8 v135, v152, v183, 0 neg_lo:[1,1,0]
	v_dot4_i32_iu8 v136, v152, v185, 0 neg_lo:[1,1,0]
	v_dot4_i32_iu8 v152, v152, v189, 0 neg_lo:[1,1,0]
	s_delay_alu instid0(VALU_DEP_4) | instskip(NEXT) | instid1(VALU_DEP_4)
	v_dot4_i32_iu8 v137, v153, v188, v137 neg_lo:[1,1,0]
	v_dot4_i32_iu8 v135, v153, v184, v135 neg_lo:[1,1,0]
	s_delay_alu instid0(VALU_DEP_4) | instskip(NEXT) | instid1(VALU_DEP_4)
	v_dot4_i32_iu8 v136, v153, v186, v136 neg_lo:[1,1,0]
	v_dot4_i32_iu8 v152, v153, v190, v152 neg_lo:[1,1,0]
	s_delay_alu instid0(VALU_DEP_4) | instskip(NEXT) | instid1(VALU_DEP_4)
	v_dot4_i32_iu8 v137, v154, v195, v137 neg_lo:[1,1,0]
	v_dot4_i32_iu8 v135, v154, v191, v135 neg_lo:[1,1,0]
	s_delay_alu instid0(VALU_DEP_4) | instskip(NEXT) | instid1(VALU_DEP_4)
	v_dot4_i32_iu8 v136, v154, v193, v136 neg_lo:[1,1,0]
	v_dot4_i32_iu8 v152, v154, v197, v152 neg_lo:[1,1,0]
	s_delay_alu instid0(VALU_DEP_4) | instskip(SKIP_2) | instid1(VALU_DEP_4)
	v_dot4_i32_iu8 v168, v155, v196, v137 neg_lo:[1,1,0]
	v_or_b32_e32 v137, s17, v96
	v_dot4_i32_iu8 v166, v155, v192, v135 neg_lo:[1,1,0]
	v_dot4_i32_iu8 v169, v155, v198, v152 neg_lo:[1,1,0]
	v_dot4_i32_iu8 v167, v155, v194, v136 neg_lo:[1,1,0]
	s_delay_alu instid0(VALU_DEP_4)
	v_lshlrev_b32_e32 v152, 2, v137
	v_lshrrev_b32_e32 v137, 1, v137
	ds_load_b128 v[153:156], v152 offset:33280
	s_waitcnt lgkmcnt(0)
	v_dot4_i32_iu8 v136, v153, v185, 0 neg_lo:[1,1,0]
	v_dot4_i32_iu8 v135, v153, v183, 0 neg_lo:[1,1,0]
	v_dot4_i32_iu8 v157, v153, v187, 0 neg_lo:[1,1,0]
	v_dot4_i32_iu8 v153, v153, v189, 0 neg_lo:[1,1,0]
	s_delay_alu instid0(VALU_DEP_4) | instskip(NEXT) | instid1(VALU_DEP_4)
	v_dot4_i32_iu8 v136, v154, v186, v136 neg_lo:[1,1,0]
	v_dot4_i32_iu8 v135, v154, v184, v135 neg_lo:[1,1,0]
	s_delay_alu instid0(VALU_DEP_4) | instskip(NEXT) | instid1(VALU_DEP_4)
	v_dot4_i32_iu8 v157, v154, v188, v157 neg_lo:[1,1,0]
	v_dot4_i32_iu8 v153, v154, v190, v153 neg_lo:[1,1,0]
	s_delay_alu instid0(VALU_DEP_4) | instskip(NEXT) | instid1(VALU_DEP_4)
	v_dot4_i32_iu8 v136, v155, v193, v136 neg_lo:[1,1,0]
	v_dot4_i32_iu8 v135, v155, v191, v135 neg_lo:[1,1,0]
	s_delay_alu instid0(VALU_DEP_4) | instskip(NEXT) | instid1(VALU_DEP_4)
	v_dot4_i32_iu8 v154, v155, v195, v157 neg_lo:[1,1,0]
	v_dot4_i32_iu8 v153, v155, v197, v153 neg_lo:[1,1,0]
	s_delay_alu instid0(VALU_DEP_4) | instskip(SKIP_2) | instid1(VALU_DEP_4)
	v_dot4_i32_iu8 v171, v156, v194, v136 neg_lo:[1,1,0]
	v_or_b32_e32 v136, s17, v98
	v_dot4_i32_iu8 v170, v156, v192, v135 neg_lo:[1,1,0]
	v_dot4_i32_iu8 v173, v156, v198, v153 neg_lo:[1,1,0]
	v_dot4_i32_iu8 v172, v156, v196, v154 neg_lo:[1,1,0]
	s_delay_alu instid0(VALU_DEP_4)
	;; [unrolled: 27-line block ×3, first 2 shown]
	v_lshlrev_b32_e32 v154, 2, v135
	v_lshrrev_b32_e32 v135, 1, v135
	ds_load_b128 v[179:182], v154 offset:33280
	s_waitcnt lgkmcnt(0)
	v_dot4_i32_iu8 v155, v179, v183, 0 neg_lo:[1,1,0]
	v_dot4_i32_iu8 v156, v179, v185, 0 neg_lo:[1,1,0]
	;; [unrolled: 1-line block ×4, first 2 shown]
	s_delay_alu instid0(VALU_DEP_4) | instskip(NEXT) | instid1(VALU_DEP_4)
	v_dot4_i32_iu8 v155, v180, v184, v155 neg_lo:[1,1,0]
	v_dot4_i32_iu8 v156, v180, v186, v156 neg_lo:[1,1,0]
	s_delay_alu instid0(VALU_DEP_4) | instskip(NEXT) | instid1(VALU_DEP_4)
	v_dot4_i32_iu8 v157, v180, v188, v157 neg_lo:[1,1,0]
	v_dot4_i32_iu8 v183, v180, v190, v178 neg_lo:[1,1,0]
	s_delay_alu instid0(VALU_DEP_4) | instskip(NEXT) | instid1(VALU_DEP_1)
	v_dot4_i32_iu8 v155, v181, v191, v155 neg_lo:[1,1,0]
	v_dot4_i32_iu8 v178, v182, v192, v155 neg_lo:[1,1,0]
	;; [unrolled: 1-line block ×3, first 2 shown]
	s_delay_alu instid0(VALU_DEP_1) | instskip(SKIP_1) | instid1(VALU_DEP_1)
	v_dot4_i32_iu8 v179, v182, v194, v155 neg_lo:[1,1,0]
	v_dot4_i32_iu8 v155, v181, v195, v157 neg_lo:[1,1,0]
	;; [unrolled: 1-line block ×4, first 2 shown]
	s_delay_alu instid0(VALU_DEP_1)
	v_dot4_i32_iu8 v181, v182, v198, v155 neg_lo:[1,1,0]
	ds_load_2addr_b32 v[155:156], v143 offset0:8 offset1:9
	ds_load_b128 v[182:185], v144 offset:33312
	ds_load_2addr_b32 v[215:216], v145 offset0:8 offset1:9
	ds_load_2addr_b32 v[223:224], v145 offset0:10 offset1:11
	;; [unrolled: 1-line block ×7, first 2 shown]
	s_waitcnt lgkmcnt(7)
	v_dot4_i32_iu8 v157, v155, v182, 0 neg_lo:[1,1,0]
	s_waitcnt lgkmcnt(6)
	v_dot4_i32_iu8 v186, v215, v182, 0 neg_lo:[1,1,0]
	;; [unrolled: 2-line block ×4, first 2 shown]
	v_dot4_i32_iu8 v157, v156, v183, v157 neg_lo:[1,1,0]
	v_dot4_i32_iu8 v186, v216, v183, v186 neg_lo:[1,1,0]
	;; [unrolled: 1-line block ×3, first 2 shown]
	s_delay_alu instid0(VALU_DEP_4)
	v_dot4_i32_iu8 v182, v220, v183, v182 neg_lo:[1,1,0]
	s_waitcnt lgkmcnt(1)
	v_dot4_i32_iu8 v157, v221, v184, v157 neg_lo:[1,1,0]
	v_dot4_i32_iu8 v183, v223, v184, v186 neg_lo:[1,1,0]
	s_waitcnt lgkmcnt(0)
	v_dot4_i32_iu8 v186, v225, v184, v187 neg_lo:[1,1,0]
	v_dot4_i32_iu8 v182, v227, v184, v182 neg_lo:[1,1,0]
	v_dot4_i32_iu8 v189, v222, v185, v157 neg_lo:[1,1,0]
	v_dot4_i32_iu8 v188, v224, v185, v183 neg_lo:[1,1,0]
	s_delay_alu instid0(VALU_DEP_4) | instskip(NEXT) | instid1(VALU_DEP_4)
	v_dot4_i32_iu8 v187, v226, v185, v186 neg_lo:[1,1,0]
	v_dot4_i32_iu8 v182, v228, v185, v182 neg_lo:[1,1,0]
	ds_load_b128 v[183:186], v148 offset:33312
	s_waitcnt lgkmcnt(0)
	v_dot4_i32_iu8 v157, v183, v155, 0 neg_lo:[1,1,0]
	v_dot4_i32_iu8 v190, v183, v215, 0 neg_lo:[1,1,0]
	v_dot4_i32_iu8 v191, v183, v217, 0 neg_lo:[1,1,0]
	v_dot4_i32_iu8 v183, v183, v219, 0 neg_lo:[1,1,0]
	s_delay_alu instid0(VALU_DEP_4) | instskip(NEXT) | instid1(VALU_DEP_4)
	v_dot4_i32_iu8 v157, v184, v156, v157 neg_lo:[1,1,0]
	v_dot4_i32_iu8 v190, v184, v216, v190 neg_lo:[1,1,0]
	s_delay_alu instid0(VALU_DEP_4) | instskip(NEXT) | instid1(VALU_DEP_4)
	v_dot4_i32_iu8 v191, v184, v218, v191 neg_lo:[1,1,0]
	v_dot4_i32_iu8 v183, v184, v220, v183 neg_lo:[1,1,0]
	s_delay_alu instid0(VALU_DEP_4) | instskip(NEXT) | instid1(VALU_DEP_4)
	v_dot4_i32_iu8 v157, v185, v221, v157 neg_lo:[1,1,0]
	v_dot4_i32_iu8 v184, v185, v223, v190 neg_lo:[1,1,0]
	s_delay_alu instid0(VALU_DEP_4) | instskip(NEXT) | instid1(VALU_DEP_4)
	v_dot4_i32_iu8 v190, v185, v225, v191 neg_lo:[1,1,0]
	v_dot4_i32_iu8 v191, v185, v227, v183 neg_lo:[1,1,0]
	s_delay_alu instid0(VALU_DEP_4) | instskip(NEXT) | instid1(VALU_DEP_4)
	v_dot4_i32_iu8 v183, v186, v222, v157 neg_lo:[1,1,0]
	v_dot4_i32_iu8 v184, v186, v224, v184 neg_lo:[1,1,0]
	s_delay_alu instid0(VALU_DEP_4) | instskip(NEXT) | instid1(VALU_DEP_4)
	v_dot4_i32_iu8 v185, v186, v226, v190 neg_lo:[1,1,0]
	v_dot4_i32_iu8 v186, v186, v228, v191 neg_lo:[1,1,0]
	ds_load_b128 v[190:193], v149 offset:33312
	s_waitcnt lgkmcnt(0)
	v_dot4_i32_iu8 v157, v190, v155, 0 neg_lo:[1,1,0]
	v_dot4_i32_iu8 v194, v190, v215, 0 neg_lo:[1,1,0]
	v_dot4_i32_iu8 v195, v190, v217, 0 neg_lo:[1,1,0]
	v_dot4_i32_iu8 v190, v190, v219, 0 neg_lo:[1,1,0]
	s_delay_alu instid0(VALU_DEP_4) | instskip(NEXT) | instid1(VALU_DEP_4)
	v_dot4_i32_iu8 v157, v191, v156, v157 neg_lo:[1,1,0]
	v_dot4_i32_iu8 v194, v191, v216, v194 neg_lo:[1,1,0]
	s_delay_alu instid0(VALU_DEP_4) | instskip(NEXT) | instid1(VALU_DEP_4)
	v_dot4_i32_iu8 v195, v191, v218, v195 neg_lo:[1,1,0]
	v_dot4_i32_iu8 v190, v191, v220, v190 neg_lo:[1,1,0]
	s_delay_alu instid0(VALU_DEP_4) | instskip(NEXT) | instid1(VALU_DEP_4)
	v_dot4_i32_iu8 v157, v192, v221, v157 neg_lo:[1,1,0]
	v_dot4_i32_iu8 v191, v192, v223, v194 neg_lo:[1,1,0]
	s_delay_alu instid0(VALU_DEP_4) | instskip(NEXT) | instid1(VALU_DEP_4)
	v_dot4_i32_iu8 v194, v192, v225, v195 neg_lo:[1,1,0]
	v_dot4_i32_iu8 v195, v192, v227, v190 neg_lo:[1,1,0]
	s_delay_alu instid0(VALU_DEP_4) | instskip(NEXT) | instid1(VALU_DEP_4)
	v_dot4_i32_iu8 v190, v193, v222, v157 neg_lo:[1,1,0]
	v_dot4_i32_iu8 v191, v193, v224, v191 neg_lo:[1,1,0]
	;; [unrolled: 24-line block ×6, first 2 shown]
	s_delay_alu instid0(VALU_DEP_4) | instskip(NEXT) | instid1(VALU_DEP_4)
	v_dot4_i32_iu8 v208, v209, v226, v210 neg_lo:[1,1,0]
	v_dot4_i32_iu8 v209, v209, v228, v211 neg_lo:[1,1,0]
	ds_load_b128 v[211:214], v154 offset:33312
	s_waitcnt lgkmcnt(0)
	v_dot4_i32_iu8 v155, v211, v155, 0 neg_lo:[1,1,0]
	v_dot4_i32_iu8 v157, v211, v217, 0 neg_lo:[1,1,0]
	;; [unrolled: 1-line block ×3, first 2 shown]
	s_delay_alu instid0(VALU_DEP_3) | instskip(SKIP_1) | instid1(VALU_DEP_4)
	v_dot4_i32_iu8 v155, v212, v156, v155 neg_lo:[1,1,0]
	v_dot4_i32_iu8 v156, v211, v215, 0 neg_lo:[1,1,0]
	;; [unrolled: 1-line block ×3, first 2 shown]
	s_delay_alu instid0(VALU_DEP_4) | instskip(NEXT) | instid1(VALU_DEP_4)
	v_dot4_i32_iu8 v215, v212, v220, v210 neg_lo:[1,1,0]
	v_dot4_i32_iu8 v155, v213, v221, v155 neg_lo:[1,1,0]
	s_delay_alu instid0(VALU_DEP_4) | instskip(NEXT) | instid1(VALU_DEP_2)
	v_dot4_i32_iu8 v156, v212, v216, v156 neg_lo:[1,1,0]
	v_dot4_i32_iu8 v210, v214, v222, v155 neg_lo:[1,1,0]
	s_delay_alu instid0(VALU_DEP_2) | instskip(NEXT) | instid1(VALU_DEP_1)
	v_dot4_i32_iu8 v155, v213, v223, v156 neg_lo:[1,1,0]
	v_dot4_i32_iu8 v211, v214, v224, v155 neg_lo:[1,1,0]
	;; [unrolled: 1-line block ×3, first 2 shown]
	s_delay_alu instid0(VALU_DEP_1) | instskip(SKIP_1) | instid1(VALU_DEP_1)
	v_dot4_i32_iu8 v212, v214, v226, v155 neg_lo:[1,1,0]
	v_dot4_i32_iu8 v155, v213, v227, v215 neg_lo:[1,1,0]
	;; [unrolled: 1-line block ×3, first 2 shown]
	ds_load_2addr_b32 v[228:229], v143 offset0:4 offset1:5
	ds_load_b128 v[214:217], v144 offset:33296
	ds_load_2addr_b32 v[240:241], v146 offset0:6 offset1:7
	ds_load_2addr_b32 v[238:239], v145 offset0:6 offset1:7
	;; [unrolled: 1-line block ×3, first 2 shown]
	s_waitcnt lgkmcnt(3)
	v_dot4_i32_iu8 v155, v228, v214, v230 neg_lo:[1,1,0]
	ds_load_2addr_b32 v[230:231], v145 offset0:4 offset1:5
	v_dot4_i32_iu8 v155, v229, v215, v155 neg_lo:[1,1,0]
	s_waitcnt lgkmcnt(0)
	v_dot4_i32_iu8 v156, v230, v214, v232 neg_lo:[1,1,0]
	ds_load_2addr_b32 v[232:233], v146 offset0:4 offset1:5
	v_dot4_i32_iu8 v156, v231, v215, v156 neg_lo:[1,1,0]
	s_delay_alu instid0(VALU_DEP_1)
	v_dot4_i32_iu8 v156, v238, v216, v156 neg_lo:[1,1,0]
	s_waitcnt lgkmcnt(0)
	v_dot4_i32_iu8 v157, v232, v214, v234 neg_lo:[1,1,0]
	ds_load_2addr_b32 v[234:235], v147 offset0:4 offset1:5
	v_dot4_i32_iu8 v157, v233, v215, v157 neg_lo:[1,1,0]
	s_waitcnt lgkmcnt(0)
	v_dot4_i32_iu8 v214, v234, v214, v236 neg_lo:[1,1,0]
	ds_load_2addr_b32 v[236:237], v143 offset0:6 offset1:7
	v_dot4_i32_iu8 v214, v235, v215, v214 neg_lo:[1,1,0]
	v_dot4_i32_iu8 v215, v240, v216, v157 neg_lo:[1,1,0]
	;; [unrolled: 1-line block ×3, first 2 shown]
	s_delay_alu instid0(VALU_DEP_2) | instskip(SKIP_3) | instid1(VALU_DEP_2)
	v_dot4_i32_iu8 v156, v241, v217, v215 neg_lo:[1,1,0]
	s_waitcnt lgkmcnt(0)
	v_dot4_i32_iu8 v155, v236, v216, v155 neg_lo:[1,1,0]
	v_dot4_i32_iu8 v216, v242, v216, v214 neg_lo:[1,1,0]
	v_dot4_i32_iu8 v214, v237, v217, v155 neg_lo:[1,1,0]
	s_delay_alu instid0(VALU_DEP_2)
	v_dot4_i32_iu8 v155, v243, v217, v216 neg_lo:[1,1,0]
	ds_load_b128 v[215:218], v148 offset:33296
	s_waitcnt lgkmcnt(0)
	v_dot4_i32_iu8 v219, v215, v228, v244 neg_lo:[1,1,0]
	v_dot4_i32_iu8 v220, v215, v230, v245 neg_lo:[1,1,0]
	v_dot4_i32_iu8 v221, v215, v232, v246 neg_lo:[1,1,0]
	v_dot4_i32_iu8 v215, v215, v234, v247 neg_lo:[1,1,0]
	s_delay_alu instid0(VALU_DEP_4) | instskip(NEXT) | instid1(VALU_DEP_4)
	v_dot4_i32_iu8 v219, v216, v229, v219 neg_lo:[1,1,0]
	v_dot4_i32_iu8 v220, v216, v231, v220 neg_lo:[1,1,0]
	s_delay_alu instid0(VALU_DEP_4) | instskip(NEXT) | instid1(VALU_DEP_4)
	v_dot4_i32_iu8 v221, v216, v233, v221 neg_lo:[1,1,0]
	v_dot4_i32_iu8 v215, v216, v235, v215 neg_lo:[1,1,0]
	s_delay_alu instid0(VALU_DEP_4) | instskip(NEXT) | instid1(VALU_DEP_4)
	v_dot4_i32_iu8 v216, v217, v236, v219 neg_lo:[1,1,0]
	v_dot4_i32_iu8 v219, v217, v238, v220 neg_lo:[1,1,0]
	s_delay_alu instid0(VALU_DEP_4) | instskip(NEXT) | instid1(VALU_DEP_4)
	v_dot4_i32_iu8 v220, v217, v240, v221 neg_lo:[1,1,0]
	v_dot4_i32_iu8 v215, v217, v242, v215 neg_lo:[1,1,0]
	s_delay_alu instid0(VALU_DEP_4) | instskip(NEXT) | instid1(VALU_DEP_4)
	v_dot4_i32_iu8 v244, v218, v237, v216 neg_lo:[1,1,0]
	v_dot4_i32_iu8 v245, v218, v239, v219 neg_lo:[1,1,0]
	s_delay_alu instid0(VALU_DEP_4) | instskip(NEXT) | instid1(VALU_DEP_4)
	v_dot4_i32_iu8 v227, v218, v241, v220 neg_lo:[1,1,0]
	v_dot4_i32_iu8 v225, v218, v243, v215 neg_lo:[1,1,0]
	ds_load_b128 v[215:218], v149 offset:33296
	s_waitcnt lgkmcnt(0)
	v_dot4_i32_iu8 v158, v215, v228, v158 neg_lo:[1,1,0]
	v_dot4_i32_iu8 v159, v215, v230, v159 neg_lo:[1,1,0]
	v_dot4_i32_iu8 v160, v215, v232, v160 neg_lo:[1,1,0]
	v_dot4_i32_iu8 v161, v215, v234, v161 neg_lo:[1,1,0]
	s_delay_alu instid0(VALU_DEP_4) | instskip(NEXT) | instid1(VALU_DEP_4)
	v_dot4_i32_iu8 v158, v216, v229, v158 neg_lo:[1,1,0]
	v_dot4_i32_iu8 v159, v216, v231, v159 neg_lo:[1,1,0]
	s_delay_alu instid0(VALU_DEP_4) | instskip(NEXT) | instid1(VALU_DEP_4)
	v_dot4_i32_iu8 v160, v216, v233, v160 neg_lo:[1,1,0]
	v_dot4_i32_iu8 v161, v216, v235, v161 neg_lo:[1,1,0]
	s_delay_alu instid0(VALU_DEP_4) | instskip(NEXT) | instid1(VALU_DEP_4)
	v_dot4_i32_iu8 v158, v217, v236, v158 neg_lo:[1,1,0]
	v_dot4_i32_iu8 v159, v217, v238, v159 neg_lo:[1,1,0]
	s_delay_alu instid0(VALU_DEP_4) | instskip(NEXT) | instid1(VALU_DEP_4)
	v_dot4_i32_iu8 v160, v217, v240, v160 neg_lo:[1,1,0]
	v_dot4_i32_iu8 v161, v217, v242, v161 neg_lo:[1,1,0]
	s_delay_alu instid0(VALU_DEP_4) | instskip(NEXT) | instid1(VALU_DEP_4)
	v_dot4_i32_iu8 v226, v218, v237, v158 neg_lo:[1,1,0]
	v_dot4_i32_iu8 v224, v218, v239, v159 neg_lo:[1,1,0]
	s_delay_alu instid0(VALU_DEP_4) | instskip(NEXT) | instid1(VALU_DEP_4)
	v_dot4_i32_iu8 v223, v218, v241, v160 neg_lo:[1,1,0]
	;; [unrolled: 24-line block ×5, first 2 shown]
	v_dot4_i32_iu8 v165, v161, v243, v158 neg_lo:[1,1,0]
	ds_load_b128 v[158:161], v153 offset:33296
	s_waitcnt lgkmcnt(0)
	v_dot4_i32_iu8 v162, v158, v228, v174 neg_lo:[1,1,0]
	ds_load_b128 v[171:174], v154 offset:33296
	v_dot4_i32_iu8 v163, v158, v230, v175 neg_lo:[1,1,0]
	v_dot4_i32_iu8 v164, v158, v232, v176 neg_lo:[1,1,0]
	;; [unrolled: 1-line block ×4, first 2 shown]
	s_delay_alu instid0(VALU_DEP_4) | instskip(NEXT) | instid1(VALU_DEP_4)
	v_dot4_i32_iu8 v163, v159, v231, v163 neg_lo:[1,1,0]
	v_dot4_i32_iu8 v164, v159, v233, v164 neg_lo:[1,1,0]
	s_delay_alu instid0(VALU_DEP_4) | instskip(NEXT) | instid1(VALU_DEP_4)
	v_dot4_i32_iu8 v158, v159, v235, v158 neg_lo:[1,1,0]
	v_dot4_i32_iu8 v159, v160, v236, v162 neg_lo:[1,1,0]
	;; [unrolled: 3-line block ×5, first 2 shown]
	s_delay_alu instid0(VALU_DEP_4)
	v_dot4_i32_iu8 v162, v161, v243, v158 neg_lo:[1,1,0]
	s_waitcnt lgkmcnt(0)
	v_dot4_i32_iu8 v158, v171, v228, v178 neg_lo:[1,1,0]
	v_dot4_i32_iu8 v159, v171, v230, v179 neg_lo:[1,1,0]
	;; [unrolled: 1-line block ×4, first 2 shown]
	s_delay_alu instid0(VALU_DEP_4) | instskip(NEXT) | instid1(VALU_DEP_4)
	v_dot4_i32_iu8 v158, v172, v229, v158 neg_lo:[1,1,0]
	v_dot4_i32_iu8 v159, v172, v231, v159 neg_lo:[1,1,0]
	s_delay_alu instid0(VALU_DEP_4) | instskip(NEXT) | instid1(VALU_DEP_4)
	v_dot4_i32_iu8 v160, v172, v233, v160 neg_lo:[1,1,0]
	v_dot4_i32_iu8 v161, v172, v235, v161 neg_lo:[1,1,0]
	;; [unrolled: 3-line block ×6, first 2 shown]
	ds_load_2addr_b32 v[175:176], v143 offset0:12 offset1:13
	ds_load_b128 v[171:174], v144 offset:33328
	ds_load_2addr_b32 v[177:178], v145 offset0:12 offset1:13
	ds_load_2addr_b32 v[179:180], v146 offset0:12 offset1:13
	;; [unrolled: 1-line block ×3, first 2 shown]
	s_waitcnt lgkmcnt(3)
	v_dot4_i32_iu8 v144, v175, v171, v189 neg_lo:[1,1,0]
	s_waitcnt lgkmcnt(2)
	v_dot4_i32_iu8 v181, v177, v171, v188 neg_lo:[1,1,0]
	;; [unrolled: 2-line block ×3, first 2 shown]
	ds_load_2addr_b32 v[187:188], v147 offset0:12 offset1:13
	v_dot4_i32_iu8 v144, v176, v172, v144 neg_lo:[1,1,0]
	v_dot4_i32_iu8 v228, v178, v172, v181 neg_lo:[1,1,0]
	;; [unrolled: 1-line block ×3, first 2 shown]
	s_waitcnt lgkmcnt(0)
	v_dot4_i32_iu8 v171, v187, v171, v182 neg_lo:[1,1,0]
	ds_load_2addr_b32 v[181:182], v145 offset0:14 offset1:15
	v_dot4_i32_iu8 v232, v188, v172, v171 neg_lo:[1,1,0]
	ds_load_2addr_b32 v[171:172], v143 offset0:14 offset1:15
	s_waitcnt lgkmcnt(0)
	v_dot4_i32_iu8 v143, v171, v173, v144 neg_lo:[1,1,0]
	v_dot4_i32_iu8 v144, v181, v173, v228 neg_lo:[1,1,0]
	ds_load_2addr_b32 v[228:229], v146 offset0:14 offset1:15
	v_dot4_i32_iu8 v146, v230, v173, v232 neg_lo:[1,1,0]
	v_dot4_i32_iu8 v147, v172, v174, v143 neg_lo:[1,1,0]
	s_waitcnt lgkmcnt(0)
	v_dot4_i32_iu8 v145, v228, v173, v189 neg_lo:[1,1,0]
	v_dot4_i32_iu8 v173, v182, v174, v144 neg_lo:[1,1,0]
	s_delay_alu instid0(VALU_DEP_2)
	v_dot4_i32_iu8 v189, v229, v174, v145 neg_lo:[1,1,0]
	v_dot4_i32_iu8 v174, v231, v174, v146 neg_lo:[1,1,0]
	ds_load_b128 v[143:146], v148 offset:33328
	s_waitcnt lgkmcnt(0)
	v_dot4_i32_iu8 v148, v143, v175, v183 neg_lo:[1,1,0]
	v_dot4_i32_iu8 v183, v143, v177, v184 neg_lo:[1,1,0]
	v_dot4_i32_iu8 v184, v143, v179, v185 neg_lo:[1,1,0]
	v_dot4_i32_iu8 v143, v143, v187, v186 neg_lo:[1,1,0]
	s_delay_alu instid0(VALU_DEP_4) | instskip(NEXT) | instid1(VALU_DEP_4)
	v_dot4_i32_iu8 v148, v144, v176, v148 neg_lo:[1,1,0]
	v_dot4_i32_iu8 v183, v144, v178, v183 neg_lo:[1,1,0]
	s_delay_alu instid0(VALU_DEP_4) | instskip(NEXT) | instid1(VALU_DEP_4)
	v_dot4_i32_iu8 v184, v144, v180, v184 neg_lo:[1,1,0]
	v_dot4_i32_iu8 v143, v144, v188, v143 neg_lo:[1,1,0]
	s_delay_alu instid0(VALU_DEP_4) | instskip(NEXT) | instid1(VALU_DEP_4)
	v_dot4_i32_iu8 v144, v145, v171, v148 neg_lo:[1,1,0]
	v_dot4_i32_iu8 v148, v145, v181, v183 neg_lo:[1,1,0]
	s_delay_alu instid0(VALU_DEP_4) | instskip(NEXT) | instid1(VALU_DEP_4)
	v_dot4_i32_iu8 v183, v145, v228, v184 neg_lo:[1,1,0]
	v_dot4_i32_iu8 v143, v145, v230, v143 neg_lo:[1,1,0]
	s_delay_alu instid0(VALU_DEP_4) | instskip(NEXT) | instid1(VALU_DEP_4)
	v_dot4_i32_iu8 v184, v146, v172, v144 neg_lo:[1,1,0]
	v_dot4_i32_iu8 v148, v146, v182, v148 neg_lo:[1,1,0]
	s_delay_alu instid0(VALU_DEP_4) | instskip(NEXT) | instid1(VALU_DEP_4)
	v_dot4_i32_iu8 v183, v146, v229, v183 neg_lo:[1,1,0]
	v_dot4_i32_iu8 v185, v146, v231, v143 neg_lo:[1,1,0]
	ds_load_b128 v[143:146], v149 offset:33328
	s_waitcnt lgkmcnt(0)
	v_dot4_i32_iu8 v149, v143, v175, v190 neg_lo:[1,1,0]
	v_dot4_i32_iu8 v186, v143, v177, v191 neg_lo:[1,1,0]
	v_dot4_i32_iu8 v190, v143, v179, v192 neg_lo:[1,1,0]
	v_dot4_i32_iu8 v143, v143, v187, v193 neg_lo:[1,1,0]
	s_delay_alu instid0(VALU_DEP_4) | instskip(NEXT) | instid1(VALU_DEP_4)
	v_dot4_i32_iu8 v149, v144, v176, v149 neg_lo:[1,1,0]
	v_dot4_i32_iu8 v186, v144, v178, v186 neg_lo:[1,1,0]
	s_delay_alu instid0(VALU_DEP_4) | instskip(NEXT) | instid1(VALU_DEP_4)
	v_dot4_i32_iu8 v190, v144, v180, v190 neg_lo:[1,1,0]
	v_dot4_i32_iu8 v143, v144, v188, v143 neg_lo:[1,1,0]
	s_delay_alu instid0(VALU_DEP_4) | instskip(NEXT) | instid1(VALU_DEP_4)
	v_dot4_i32_iu8 v144, v145, v171, v149 neg_lo:[1,1,0]
	v_dot4_i32_iu8 v149, v145, v181, v186 neg_lo:[1,1,0]
	s_delay_alu instid0(VALU_DEP_4) | instskip(NEXT) | instid1(VALU_DEP_4)
	v_dot4_i32_iu8 v186, v145, v228, v190 neg_lo:[1,1,0]
	v_dot4_i32_iu8 v143, v145, v230, v143 neg_lo:[1,1,0]
	s_delay_alu instid0(VALU_DEP_4) | instskip(NEXT) | instid1(VALU_DEP_4)
	v_dot4_i32_iu8 v190, v146, v172, v144 neg_lo:[1,1,0]
	v_dot4_i32_iu8 v149, v146, v182, v149 neg_lo:[1,1,0]
	s_delay_alu instid0(VALU_DEP_4) | instskip(NEXT) | instid1(VALU_DEP_4)
	v_dot4_i32_iu8 v186, v146, v229, v186 neg_lo:[1,1,0]
	v_dot4_i32_iu8 v191, v146, v231, v143 neg_lo:[1,1,0]
	ds_load_b128 v[143:146], v150 offset:33328
	s_waitcnt lgkmcnt(0)
	v_dot4_i32_iu8 v150, v143, v175, v194 neg_lo:[1,1,0]
	v_dot4_i32_iu8 v192, v143, v177, v195 neg_lo:[1,1,0]
	v_dot4_i32_iu8 v193, v143, v179, v196 neg_lo:[1,1,0]
	v_dot4_i32_iu8 v143, v143, v187, v197 neg_lo:[1,1,0]
	s_delay_alu instid0(VALU_DEP_4) | instskip(NEXT) | instid1(VALU_DEP_4)
	v_dot4_i32_iu8 v150, v144, v176, v150 neg_lo:[1,1,0]
	v_dot4_i32_iu8 v192, v144, v178, v192 neg_lo:[1,1,0]
	s_delay_alu instid0(VALU_DEP_4) | instskip(NEXT) | instid1(VALU_DEP_4)
	v_dot4_i32_iu8 v193, v144, v180, v193 neg_lo:[1,1,0]
	v_dot4_i32_iu8 v143, v144, v188, v143 neg_lo:[1,1,0]
	s_delay_alu instid0(VALU_DEP_4) | instskip(NEXT) | instid1(VALU_DEP_4)
	v_dot4_i32_iu8 v144, v145, v171, v150 neg_lo:[1,1,0]
	v_dot4_i32_iu8 v150, v145, v181, v192 neg_lo:[1,1,0]
	s_delay_alu instid0(VALU_DEP_4) | instskip(NEXT) | instid1(VALU_DEP_4)
	v_dot4_i32_iu8 v192, v145, v228, v193 neg_lo:[1,1,0]
	v_dot4_i32_iu8 v143, v145, v230, v143 neg_lo:[1,1,0]
	s_delay_alu instid0(VALU_DEP_4) | instskip(NEXT) | instid1(VALU_DEP_4)
	v_dot4_i32_iu8 v193, v146, v172, v144 neg_lo:[1,1,0]
	v_dot4_i32_iu8 v150, v146, v182, v150 neg_lo:[1,1,0]
	s_delay_alu instid0(VALU_DEP_4) | instskip(NEXT) | instid1(VALU_DEP_4)
	v_dot4_i32_iu8 v192, v146, v229, v192 neg_lo:[1,1,0]
	v_dot4_i32_iu8 v194, v146, v231, v143 neg_lo:[1,1,0]
	ds_load_b128 v[143:146], v151 offset:33328
	s_waitcnt lgkmcnt(0)
	v_dot4_i32_iu8 v151, v143, v175, v198 neg_lo:[1,1,0]
	v_dot4_i32_iu8 v195, v143, v177, v199 neg_lo:[1,1,0]
	v_dot4_i32_iu8 v196, v143, v179, v200 neg_lo:[1,1,0]
	v_dot4_i32_iu8 v143, v143, v187, v201 neg_lo:[1,1,0]
	s_delay_alu instid0(VALU_DEP_4) | instskip(NEXT) | instid1(VALU_DEP_4)
	v_dot4_i32_iu8 v151, v144, v176, v151 neg_lo:[1,1,0]
	v_dot4_i32_iu8 v195, v144, v178, v195 neg_lo:[1,1,0]
	s_delay_alu instid0(VALU_DEP_4) | instskip(NEXT) | instid1(VALU_DEP_4)
	v_dot4_i32_iu8 v196, v144, v180, v196 neg_lo:[1,1,0]
	v_dot4_i32_iu8 v143, v144, v188, v143 neg_lo:[1,1,0]
	s_delay_alu instid0(VALU_DEP_4) | instskip(NEXT) | instid1(VALU_DEP_4)
	v_dot4_i32_iu8 v144, v145, v171, v151 neg_lo:[1,1,0]
	v_dot4_i32_iu8 v151, v145, v181, v195 neg_lo:[1,1,0]
	s_delay_alu instid0(VALU_DEP_4) | instskip(NEXT) | instid1(VALU_DEP_4)
	v_dot4_i32_iu8 v195, v145, v228, v196 neg_lo:[1,1,0]
	v_dot4_i32_iu8 v143, v145, v230, v143 neg_lo:[1,1,0]
	s_delay_alu instid0(VALU_DEP_4) | instskip(NEXT) | instid1(VALU_DEP_4)
	v_dot4_i32_iu8 v196, v146, v172, v144 neg_lo:[1,1,0]
	v_dot4_i32_iu8 v151, v146, v182, v151 neg_lo:[1,1,0]
	s_delay_alu instid0(VALU_DEP_4) | instskip(NEXT) | instid1(VALU_DEP_4)
	v_dot4_i32_iu8 v195, v146, v229, v195 neg_lo:[1,1,0]
	v_dot4_i32_iu8 v197, v146, v231, v143 neg_lo:[1,1,0]
	ds_load_b128 v[143:146], v152 offset:33328
	s_waitcnt lgkmcnt(0)
	v_dot4_i32_iu8 v152, v143, v175, v202 neg_lo:[1,1,0]
	v_dot4_i32_iu8 v198, v143, v177, v203 neg_lo:[1,1,0]
	v_dot4_i32_iu8 v199, v143, v179, v204 neg_lo:[1,1,0]
	v_dot4_i32_iu8 v143, v143, v187, v205 neg_lo:[1,1,0]
	s_delay_alu instid0(VALU_DEP_4) | instskip(NEXT) | instid1(VALU_DEP_4)
	v_dot4_i32_iu8 v152, v144, v176, v152 neg_lo:[1,1,0]
	v_dot4_i32_iu8 v198, v144, v178, v198 neg_lo:[1,1,0]
	s_delay_alu instid0(VALU_DEP_4) | instskip(NEXT) | instid1(VALU_DEP_4)
	v_dot4_i32_iu8 v199, v144, v180, v199 neg_lo:[1,1,0]
	v_dot4_i32_iu8 v143, v144, v188, v143 neg_lo:[1,1,0]
	s_delay_alu instid0(VALU_DEP_4) | instskip(NEXT) | instid1(VALU_DEP_4)
	v_dot4_i32_iu8 v144, v145, v171, v152 neg_lo:[1,1,0]
	v_dot4_i32_iu8 v152, v145, v181, v198 neg_lo:[1,1,0]
	s_delay_alu instid0(VALU_DEP_4) | instskip(NEXT) | instid1(VALU_DEP_4)
	v_dot4_i32_iu8 v198, v145, v228, v199 neg_lo:[1,1,0]
	v_dot4_i32_iu8 v143, v145, v230, v143 neg_lo:[1,1,0]
	s_delay_alu instid0(VALU_DEP_4) | instskip(NEXT) | instid1(VALU_DEP_4)
	v_dot4_i32_iu8 v199, v146, v172, v144 neg_lo:[1,1,0]
	v_dot4_i32_iu8 v152, v146, v182, v152 neg_lo:[1,1,0]
	s_delay_alu instid0(VALU_DEP_4) | instskip(NEXT) | instid1(VALU_DEP_4)
	v_dot4_i32_iu8 v198, v146, v229, v198 neg_lo:[1,1,0]
	v_dot4_i32_iu8 v200, v146, v231, v143 neg_lo:[1,1,0]
	ds_load_b128 v[143:146], v153 offset:33328
	s_waitcnt lgkmcnt(0)
	v_dot4_i32_iu8 v153, v143, v175, v206 neg_lo:[1,1,0]
	v_dot4_i32_iu8 v201, v143, v177, v207 neg_lo:[1,1,0]
	v_dot4_i32_iu8 v202, v143, v179, v208 neg_lo:[1,1,0]
	v_dot4_i32_iu8 v143, v143, v187, v209 neg_lo:[1,1,0]
	s_delay_alu instid0(VALU_DEP_4) | instskip(NEXT) | instid1(VALU_DEP_4)
	v_dot4_i32_iu8 v153, v144, v176, v153 neg_lo:[1,1,0]
	v_dot4_i32_iu8 v201, v144, v178, v201 neg_lo:[1,1,0]
	s_delay_alu instid0(VALU_DEP_4) | instskip(NEXT) | instid1(VALU_DEP_4)
	v_dot4_i32_iu8 v202, v144, v180, v202 neg_lo:[1,1,0]
	v_dot4_i32_iu8 v143, v144, v188, v143 neg_lo:[1,1,0]
	s_delay_alu instid0(VALU_DEP_4) | instskip(NEXT) | instid1(VALU_DEP_4)
	v_dot4_i32_iu8 v144, v145, v171, v153 neg_lo:[1,1,0]
	v_dot4_i32_iu8 v153, v145, v181, v201 neg_lo:[1,1,0]
	s_delay_alu instid0(VALU_DEP_4) | instskip(NEXT) | instid1(VALU_DEP_4)
	v_dot4_i32_iu8 v201, v145, v228, v202 neg_lo:[1,1,0]
	v_dot4_i32_iu8 v143, v145, v230, v143 neg_lo:[1,1,0]
	s_delay_alu instid0(VALU_DEP_4) | instskip(NEXT) | instid1(VALU_DEP_4)
	v_dot4_i32_iu8 v202, v146, v172, v144 neg_lo:[1,1,0]
	v_dot4_i32_iu8 v153, v146, v182, v153 neg_lo:[1,1,0]
	s_delay_alu instid0(VALU_DEP_4) | instskip(NEXT) | instid1(VALU_DEP_4)
	v_dot4_i32_iu8 v201, v146, v229, v201 neg_lo:[1,1,0]
	v_dot4_i32_iu8 v203, v146, v231, v143 neg_lo:[1,1,0]
	ds_load_b128 v[143:146], v154 offset:33328
	s_waitcnt lgkmcnt(0)
	v_dot4_i32_iu8 v154, v143, v175, v210 neg_lo:[1,1,0]
	v_dot4_i32_iu8 v175, v143, v177, v211 neg_lo:[1,1,0]
	s_delay_alu instid0(VALU_DEP_2) | instskip(SKIP_2) | instid1(VALU_DEP_4)
	v_dot4_i32_iu8 v154, v144, v176, v154 neg_lo:[1,1,0]
	v_dot4_i32_iu8 v176, v143, v179, v212 neg_lo:[1,1,0]
	;; [unrolled: 1-line block ×4, first 2 shown]
	s_delay_alu instid0(VALU_DEP_3) | instskip(NEXT) | instid1(VALU_DEP_3)
	v_dot4_i32_iu8 v176, v144, v180, v176 neg_lo:[1,1,0]
	v_dot4_i32_iu8 v143, v144, v188, v143 neg_lo:[1,1,0]
	;; [unrolled: 1-line block ×3, first 2 shown]
	s_delay_alu instid0(VALU_DEP_4) | instskip(NEXT) | instid1(VALU_DEP_4)
	v_dot4_i32_iu8 v154, v145, v181, v175 neg_lo:[1,1,0]
	v_dot4_i32_iu8 v171, v145, v228, v176 neg_lo:[1,1,0]
	s_delay_alu instid0(VALU_DEP_4) | instskip(NEXT) | instid1(VALU_DEP_4)
	v_dot4_i32_iu8 v143, v145, v230, v143 neg_lo:[1,1,0]
	v_dot4_i32_iu8 v144, v146, v172, v144 neg_lo:[1,1,0]
	;; [unrolled: 3-line block ×3, first 2 shown]
	s_delay_alu instid0(VALU_DEP_4) | instskip(SKIP_1) | instid1(VALU_DEP_1)
	v_dot4_i32_iu8 v145, v146, v231, v143 neg_lo:[1,1,0]
	v_lshlrev_b32_e32 v143, 2, v27
	v_add3_u32 v146, s16, v125, v143
	ds_load_u16 v143, v146
	s_waitcnt lgkmcnt(0)
	v_and_b32_e32 v175, 0xff, v143
	v_lshrrev_b16 v172, 8, v143
	s_delay_alu instid0(VALU_DEP_2) | instskip(NEXT) | instid1(VALU_DEP_2)
	v_mul_lo_u32 v143, v214, v175
	v_and_b32_e32 v172, 0xffff, v172
	s_delay_alu instid0(VALU_DEP_1) | instskip(SKIP_1) | instid1(VALU_DEP_4)
	v_mul_lo_u32 v147, v147, v172
	v_mul_lo_u32 v184, v184, v172
	v_cvt_f32_i32_e32 v176, v143
	ds_load_b64 v[142:143], v142 offset:43584
	v_mul_lo_u32 v190, v190, v172
	v_mul_lo_u32 v193, v193, v172
	;; [unrolled: 1-line block ×4, first 2 shown]
	v_cvt_f32_i32_e32 v147, v147
	v_cvt_f32_i32_e32 v184, v184
	;; [unrolled: 1-line block ×6, first 2 shown]
	s_waitcnt lgkmcnt(0)
	v_fma_mix_f32 v176, v142, v176, 0 op_sel_hi:[1,0,0]
	s_delay_alu instid0(VALU_DEP_1) | instskip(SKIP_1) | instid1(VALU_DEP_1)
	v_fma_mix_f32 v147, v143, v147, v176 op_sel_hi:[1,0,0]
	v_lshlrev_b32_e32 v176, 2, v108
	v_add3_u32 v176, s16, v176, v117
	ds_load_u16 v177, v176
	s_waitcnt lgkmcnt(0)
	v_lshrrev_b16 v178, 8, v177
	v_and_b32_e32 v177, 0xff, v177
	s_delay_alu instid0(VALU_DEP_2) | instskip(NEXT) | instid1(VALU_DEP_2)
	v_and_b32_e32 v178, 0xffff, v178
	v_mul_lo_u32 v157, v157, v177
	v_mul_lo_u32 v216, v216, v177
	;; [unrolled: 1-line block ×3, first 2 shown]
	s_delay_alu instid0(VALU_DEP_4)
	v_mul_lo_u32 v173, v173, v178
	v_mul_lo_u32 v148, v148, v178
	;; [unrolled: 1-line block ×4, first 2 shown]
	v_cvt_f32_i32_e32 v157, v157
	v_mul_lo_u32 v151, v151, v178
	v_cvt_f32_i32_e32 v216, v216
	v_mul_lo_u32 v152, v152, v178
	v_cvt_f32_i32_e32 v173, v173
	v_fma_mix_f32 v157, v142, v157, 0 op_sel_hi:[1,0,0]
	v_cvt_f32_i32_e32 v148, v148
	v_cvt_f32_i32_e32 v149, v149
	;; [unrolled: 1-line block ×4, first 2 shown]
	v_fma_mix_f32 v157, v143, v173, v157 op_sel_hi:[1,0,0]
	v_lshlrev_b32_e32 v173, 2, v109
	v_cvt_f32_i32_e32 v168, v168
	v_cvt_f32_i32_e32 v152, v152
	v_mul_lo_u32 v153, v153, v178
	v_mul_lo_u32 v154, v154, v178
	v_add3_u32 v173, s16, v173, v119
	ds_load_u16 v179, v173
	v_cvt_f32_i32_e32 v153, v153
	v_cvt_f32_i32_e32 v154, v154
	s_waitcnt lgkmcnt(0)
	v_lshrrev_b16 v180, 8, v179
	v_and_b32_e32 v179, 0xff, v179
	s_delay_alu instid0(VALU_DEP_2) | instskip(NEXT) | instid1(VALU_DEP_2)
	v_and_b32_e32 v180, 0xffff, v180
	v_mul_lo_u32 v156, v156, v179
	v_mul_lo_u32 v215, v215, v179
	;; [unrolled: 1-line block ×3, first 2 shown]
	s_delay_alu instid0(VALU_DEP_4)
	v_mul_lo_u32 v181, v189, v180
	v_mul_lo_u32 v183, v183, v180
	;; [unrolled: 1-line block ×4, first 2 shown]
	v_cvt_f32_i32_e32 v156, v156
	v_mul_lo_u32 v195, v195, v180
	v_cvt_f32_i32_e32 v215, v215
	v_cvt_f32_i32_e32 v167, v167
	;; [unrolled: 1-line block ×3, first 2 shown]
	v_fma_mix_f32 v156, v142, v156, 0 op_sel_hi:[1,0,0]
	v_cvt_f32_i32_e32 v183, v183
	v_cvt_f32_i32_e32 v186, v186
	;; [unrolled: 1-line block ×4, first 2 shown]
	v_fma_mix_f32 v156, v143, v181, v156 op_sel_hi:[1,0,0]
	v_lshlrev_b32_e32 v181, 2, v110
	v_mul_lo_u32 v171, v171, v180
	s_delay_alu instid0(VALU_DEP_2) | instskip(SKIP_4) | instid1(VALU_DEP_2)
	v_add3_u32 v181, s16, v181, v121
	ds_load_u16 v182, v181
	s_waitcnt lgkmcnt(0)
	v_lshrrev_b16 v187, 8, v182
	v_and_b32_e32 v182, 0xff, v182
	v_and_b32_e32 v187, 0xffff, v187
	s_delay_alu instid0(VALU_DEP_2) | instskip(SKIP_1) | instid1(VALU_DEP_3)
	v_mul_lo_u32 v155, v155, v182
	v_mul_lo_u32 v169, v169, v182
	;; [unrolled: 1-line block ×6, first 2 shown]
	v_cvt_f32_i32_e32 v155, v155
	v_mul_lo_u32 v197, v197, v187
	v_cvt_f32_i32_e32 v169, v169
	v_cvt_f32_i32_e32 v174, v174
	s_delay_alu instid0(VALU_DEP_4)
	v_fma_mix_f32 v155, v142, v155, 0 op_sel_hi:[1,0,0]
	v_cvt_f32_i32_e32 v185, v185
	v_cvt_f32_i32_e32 v191, v191
	;; [unrolled: 1-line block ×4, first 2 shown]
	v_fma_mix_f32 v155, v143, v174, v155 op_sel_hi:[1,0,0]
	ds_load_u16 v174, v176 offset:8
	ds_load_u16 v173, v173 offset:8
	;; [unrolled: 1-line block ×4, first 2 shown]
	s_waitcnt lgkmcnt(3)
	v_cvt_f32_ubyte0_e32 v181, v174
	s_waitcnt lgkmcnt(2)
	v_cvt_f32_ubyte0_e32 v188, v173
	;; [unrolled: 2-line block ×4, first 2 shown]
	v_cvt_f32_ubyte1_e32 v174, v174
	v_cvt_f32_ubyte1_e32 v173, v173
	;; [unrolled: 1-line block ×4, first 2 shown]
	v_fma_mix_f32 v205, v142, v181, 0 op_sel:[1,0,0] op_sel_hi:[1,0,0]
	v_fma_mix_f32 v206, v142, v188, 0 op_sel:[1,0,0] op_sel_hi:[1,0,0]
	;; [unrolled: 1-line block ×4, first 2 shown]
	s_delay_alu instid0(VALU_DEP_4) | instskip(NEXT) | instid1(VALU_DEP_4)
	v_fma_mix_f32 v205, v143, v174, v205 op_sel:[1,0,0] op_sel_hi:[1,0,0]
	v_fma_mix_f32 v206, v143, v173, v206 op_sel:[1,0,0] op_sel_hi:[1,0,0]
	s_delay_alu instid0(VALU_DEP_4) | instskip(NEXT) | instid1(VALU_DEP_4)
	v_fma_mix_f32 v207, v143, v176, v207 op_sel:[1,0,0] op_sel_hi:[1,0,0]
	v_fma_mix_f32 v143, v143, v146, v142 op_sel:[1,0,0] op_sel_hi:[1,0,0]
	v_mul_lo_u32 v142, v244, v175
	s_delay_alu instid0(VALU_DEP_1)
	v_cvt_f32_i32_e32 v208, v142
	ds_load_b64 v[141:142], v141 offset:43584
	s_waitcnt lgkmcnt(0)
	v_fma_mix_f32 v208, v141, v208, 0 op_sel_hi:[1,0,0]
	v_fma_mix_f32 v209, v188, v141, 0 op_sel:[0,1,0] op_sel_hi:[0,1,0]
	v_fma_mix_f32 v210, v189, v141, 0 op_sel:[0,1,0] op_sel_hi:[0,1,0]
	s_delay_alu instid0(VALU_DEP_3) | instskip(SKIP_1) | instid1(VALU_DEP_4)
	v_fma_mix_f32 v184, v142, v184, v208 op_sel_hi:[1,0,0]
	v_mul_lo_u32 v208, v245, v177
	v_fma_mix_f32 v209, v173, v142, v209 op_sel:[0,1,0] op_sel_hi:[0,1,0]
	s_delay_alu instid0(VALU_DEP_4) | instskip(NEXT) | instid1(VALU_DEP_3)
	v_fma_mix_f32 v210, v176, v142, v210 op_sel:[0,1,0] op_sel_hi:[0,1,0]
	v_cvt_f32_i32_e32 v208, v208
	s_delay_alu instid0(VALU_DEP_1) | instskip(NEXT) | instid1(VALU_DEP_1)
	v_fma_mix_f32 v208, v141, v208, 0 op_sel_hi:[1,0,0]
	v_fma_mix_f32 v148, v142, v148, v208 op_sel_hi:[1,0,0]
	v_mul_lo_u32 v208, v227, v179
	s_delay_alu instid0(VALU_DEP_1) | instskip(NEXT) | instid1(VALU_DEP_1)
	v_cvt_f32_i32_e32 v208, v208
	v_fma_mix_f32 v208, v141, v208, 0 op_sel_hi:[1,0,0]
	s_delay_alu instid0(VALU_DEP_1) | instskip(SKIP_1) | instid1(VALU_DEP_1)
	v_fma_mix_f32 v183, v142, v183, v208 op_sel_hi:[1,0,0]
	v_mul_lo_u32 v208, v225, v182
	v_cvt_f32_i32_e32 v208, v208
	s_delay_alu instid0(VALU_DEP_1) | instskip(NEXT) | instid1(VALU_DEP_1)
	v_fma_mix_f32 v208, v141, v208, 0 op_sel_hi:[1,0,0]
	v_fma_mix_f32 v185, v142, v185, v208 op_sel_hi:[1,0,0]
	v_fma_mix_f32 v208, v181, v141, 0 op_sel:[0,1,0] op_sel_hi:[0,1,0]
	v_fma_mix_f32 v141, v204, v141, 0 op_sel:[0,1,0] op_sel_hi:[0,1,0]
	s_delay_alu instid0(VALU_DEP_2) | instskip(NEXT) | instid1(VALU_DEP_2)
	v_fma_mix_f32 v208, v174, v142, v208 op_sel:[0,1,0] op_sel_hi:[0,1,0]
	v_fma_mix_f32 v142, v146, v142, v141 op_sel:[0,1,0] op_sel_hi:[0,1,0]
	v_mul_lo_u32 v141, v226, v175
	s_delay_alu instid0(VALU_DEP_2) | instskip(NEXT) | instid1(VALU_DEP_2)
	v_mul_f32_e32 v142, v142, v131
	v_cvt_f32_i32_e32 v211, v141
	ds_load_b64 v[140:141], v140 offset:43584
	v_fma_f32 v142, v184, v127, -v142
	s_delay_alu instid0(VALU_DEP_1) | instskip(SKIP_4) | instid1(VALU_DEP_3)
	v_add_f32_e32 v44, v44, v142
	s_waitcnt lgkmcnt(0)
	v_fma_mix_f32 v211, v140, v211, 0 op_sel_hi:[1,0,0]
	v_fma_mix_f32 v212, v188, v140, 0 op_sel:[0,1,0] op_sel_hi:[0,1,0]
	v_fma_mix_f32 v213, v189, v140, 0 op_sel:[0,1,0] op_sel_hi:[0,1,0]
	v_fma_mix_f32 v190, v141, v190, v211 op_sel_hi:[1,0,0]
	v_mul_lo_u32 v211, v224, v177
	s_delay_alu instid0(VALU_DEP_4) | instskip(NEXT) | instid1(VALU_DEP_4)
	v_fma_mix_f32 v212, v173, v141, v212 op_sel:[0,1,0] op_sel_hi:[0,1,0]
	v_fma_mix_f32 v213, v176, v141, v213 op_sel:[0,1,0] op_sel_hi:[0,1,0]
	s_delay_alu instid0(VALU_DEP_3) | instskip(NEXT) | instid1(VALU_DEP_1)
	v_cvt_f32_i32_e32 v211, v211
	v_fma_mix_f32 v211, v140, v211, 0 op_sel_hi:[1,0,0]
	s_delay_alu instid0(VALU_DEP_1) | instskip(SKIP_1) | instid1(VALU_DEP_1)
	v_fma_mix_f32 v149, v141, v149, v211 op_sel_hi:[1,0,0]
	v_mul_lo_u32 v211, v223, v179
	v_cvt_f32_i32_e32 v211, v211
	s_delay_alu instid0(VALU_DEP_1) | instskip(NEXT) | instid1(VALU_DEP_1)
	v_fma_mix_f32 v211, v140, v211, 0 op_sel_hi:[1,0,0]
	v_fma_mix_f32 v186, v141, v186, v211 op_sel_hi:[1,0,0]
	v_mul_lo_u32 v211, v221, v182
	s_delay_alu instid0(VALU_DEP_1) | instskip(NEXT) | instid1(VALU_DEP_1)
	v_cvt_f32_i32_e32 v211, v211
	v_fma_mix_f32 v211, v140, v211, 0 op_sel_hi:[1,0,0]
	s_delay_alu instid0(VALU_DEP_1) | instskip(SKIP_2) | instid1(VALU_DEP_2)
	v_fma_mix_f32 v191, v141, v191, v211 op_sel_hi:[1,0,0]
	v_fma_mix_f32 v211, v181, v140, 0 op_sel:[0,1,0] op_sel_hi:[0,1,0]
	v_fma_mix_f32 v140, v204, v140, 0 op_sel:[0,1,0] op_sel_hi:[0,1,0]
	;; [unrolled: 1-line block ×3, first 2 shown]
	s_delay_alu instid0(VALU_DEP_2) | instskip(SKIP_1) | instid1(VALU_DEP_2)
	v_fma_mix_f32 v141, v146, v141, v140 op_sel:[0,1,0] op_sel_hi:[0,1,0]
	v_mul_lo_u32 v140, v222, v175
	v_mul_f32_e32 v141, v141, v131
	s_delay_alu instid0(VALU_DEP_2) | instskip(SKIP_4) | instid1(VALU_DEP_1)
	v_cvt_f32_i32_e32 v214, v140
	ds_load_b64 v[139:140], v139 offset:43584
	v_fma_f32 v141, v190, v127, -v141
	s_waitcnt lgkmcnt(0)
	v_fma_mix_f32 v214, v139, v214, 0 op_sel_hi:[1,0,0]
	v_fma_mix_f32 v193, v140, v193, v214 op_sel_hi:[1,0,0]
	v_mul_lo_u32 v214, v220, v177
	s_delay_alu instid0(VALU_DEP_1) | instskip(NEXT) | instid1(VALU_DEP_1)
	v_cvt_f32_i32_e32 v214, v214
	v_fma_mix_f32 v214, v139, v214, 0 op_sel_hi:[1,0,0]
	s_delay_alu instid0(VALU_DEP_1) | instskip(SKIP_2) | instid1(VALU_DEP_1)
	v_fma_mix_f32 v150, v140, v150, v214 op_sel_hi:[1,0,0]
	v_mul_lo_u32 v214, v219, v179
	v_fma_mix_f32 v219, v189, v139, 0 op_sel:[0,1,0] op_sel_hi:[0,1,0]
	v_fma_mix_f32 v219, v176, v140, v219 op_sel:[0,1,0] op_sel_hi:[0,1,0]
	s_delay_alu instid0(VALU_DEP_3) | instskip(NEXT) | instid1(VALU_DEP_1)
	v_cvt_f32_i32_e32 v214, v214
	v_fma_mix_f32 v214, v139, v214, 0 op_sel_hi:[1,0,0]
	s_delay_alu instid0(VALU_DEP_1) | instskip(SKIP_2) | instid1(VALU_DEP_1)
	v_fma_mix_f32 v192, v140, v192, v214 op_sel_hi:[1,0,0]
	v_mul_lo_u32 v214, v217, v182
	v_fma_mix_f32 v217, v188, v139, 0 op_sel:[0,1,0] op_sel_hi:[0,1,0]
	v_fma_mix_f32 v217, v173, v140, v217 op_sel:[0,1,0] op_sel_hi:[0,1,0]
	s_delay_alu instid0(VALU_DEP_3) | instskip(NEXT) | instid1(VALU_DEP_1)
	v_cvt_f32_i32_e32 v214, v214
	v_fma_mix_f32 v214, v139, v214, 0 op_sel_hi:[1,0,0]
	s_delay_alu instid0(VALU_DEP_1) | instskip(SKIP_2) | instid1(VALU_DEP_2)
	v_fma_mix_f32 v194, v140, v194, v214 op_sel_hi:[1,0,0]
	v_fma_mix_f32 v214, v181, v139, 0 op_sel:[0,1,0] op_sel_hi:[0,1,0]
	v_fma_mix_f32 v139, v204, v139, 0 op_sel:[0,1,0] op_sel_hi:[0,1,0]
	;; [unrolled: 1-line block ×3, first 2 shown]
	s_delay_alu instid0(VALU_DEP_2) | instskip(SKIP_1) | instid1(VALU_DEP_2)
	v_fma_mix_f32 v140, v146, v140, v139 op_sel:[0,1,0] op_sel_hi:[0,1,0]
	v_mul_lo_u32 v139, v218, v175
	v_mul_f32_e32 v140, v140, v131
	s_delay_alu instid0(VALU_DEP_2) | instskip(SKIP_2) | instid1(VALU_DEP_1)
	v_cvt_f32_i32_e32 v218, v139
	ds_load_b64 v[138:139], v138 offset:43584
	v_fma_f32 v140, v193, v127, -v140
	v_add_f32_e32 v28, v28, v140
	s_waitcnt lgkmcnt(0)
	v_fma_mix_f32 v216, v138, v216, 0 op_sel_hi:[1,0,0]
	v_fma_mix_f32 v215, v138, v215, 0 op_sel_hi:[1,0,0]
	v_fma_mix_f32 v169, v138, v169, 0 op_sel_hi:[1,0,0]
	v_fma_mix_f32 v218, v138, v218, 0 op_sel_hi:[1,0,0]
	s_delay_alu instid0(VALU_DEP_4) | instskip(NEXT) | instid1(VALU_DEP_4)
	v_fma_mix_f32 v151, v139, v151, v216 op_sel_hi:[1,0,0]
	v_fma_mix_f32 v195, v139, v195, v215 op_sel_hi:[1,0,0]
	s_delay_alu instid0(VALU_DEP_4)
	v_fma_mix_f32 v169, v139, v197, v169 op_sel_hi:[1,0,0]
	v_fma_mix_f32 v197, v181, v138, 0 op_sel:[0,1,0] op_sel_hi:[0,1,0]
	v_fma_mix_f32 v215, v188, v138, 0 op_sel:[0,1,0] op_sel_hi:[0,1,0]
	;; [unrolled: 1-line block ×4, first 2 shown]
	v_fma_mix_f32 v196, v139, v196, v218 op_sel_hi:[1,0,0]
	v_fma_mix_f32 v197, v174, v139, v197 op_sel:[0,1,0] op_sel_hi:[0,1,0]
	v_fma_mix_f32 v215, v173, v139, v215 op_sel:[0,1,0] op_sel_hi:[0,1,0]
	;; [unrolled: 1-line block ×4, first 2 shown]
	v_mul_lo_u32 v138, v170, v175
	v_mul_lo_u32 v170, v199, v172
	s_delay_alu instid0(VALU_DEP_3)
	v_mul_f32_e32 v139, v139, v131
	v_mul_lo_u32 v165, v165, v182
	v_mul_lo_u32 v162, v162, v182
	;; [unrolled: 1-line block ×3, first 2 shown]
	v_cvt_f32_i32_e32 v199, v138
	ds_load_b64 v[137:138], v137 offset:43584
	v_cvt_f32_i32_e32 v170, v170
	v_fma_f32 v139, v196, v127, -v139
	v_cvt_f32_i32_e32 v165, v165
	v_cvt_f32_i32_e32 v162, v162
	s_waitcnt lgkmcnt(0)
	v_fma_mix_f32 v168, v137, v168, 0 op_sel_hi:[1,0,0]
	v_fma_mix_f32 v167, v137, v167, 0 op_sel_hi:[1,0,0]
	;; [unrolled: 1-line block ×4, first 2 shown]
	s_delay_alu instid0(VALU_DEP_4) | instskip(SKIP_2) | instid1(VALU_DEP_4)
	v_fma_mix_f32 v152, v138, v152, v168 op_sel_hi:[1,0,0]
	v_mul_lo_u32 v168, v198, v180
	v_fma_mix_f32 v198, v188, v137, 0 op_sel:[0,1,0] op_sel_hi:[0,1,0]
	v_fma_mix_f32 v170, v138, v170, v199 op_sel_hi:[1,0,0]
	v_fma_mix_f32 v199, v189, v137, 0 op_sel:[0,1,0] op_sel_hi:[0,1,0]
	s_delay_alu instid0(VALU_DEP_3) | instskip(SKIP_1) | instid1(VALU_DEP_3)
	v_fma_mix_f32 v198, v173, v138, v198 op_sel:[0,1,0] op_sel_hi:[0,1,0]
	v_cvt_f32_i32_e32 v168, v168
	v_fma_mix_f32 v199, v176, v138, v199 op_sel:[0,1,0] op_sel_hi:[0,1,0]
	s_delay_alu instid0(VALU_DEP_2) | instskip(SKIP_1) | instid1(VALU_DEP_1)
	v_fma_mix_f32 v167, v138, v168, v167 op_sel_hi:[1,0,0]
	v_mul_lo_u32 v168, v200, v187
	v_cvt_f32_i32_e32 v168, v168
	s_delay_alu instid0(VALU_DEP_1) | instskip(SKIP_2) | instid1(VALU_DEP_2)
	v_fma_mix_f32 v165, v138, v168, v165 op_sel_hi:[1,0,0]
	v_fma_mix_f32 v168, v181, v137, 0 op_sel:[0,1,0] op_sel_hi:[0,1,0]
	v_fma_mix_f32 v137, v204, v137, 0 op_sel:[0,1,0] op_sel_hi:[0,1,0]
	;; [unrolled: 1-line block ×3, first 2 shown]
	s_delay_alu instid0(VALU_DEP_2) | instskip(NEXT) | instid1(VALU_DEP_2)
	v_fma_mix_f32 v138, v146, v138, v137 op_sel:[0,1,0] op_sel_hi:[0,1,0]
	v_mul_f32_e32 v168, v168, v132
	v_mul_lo_u32 v137, v166, v175
	s_delay_alu instid0(VALU_DEP_3)
	v_mul_f32_e32 v138, v138, v131
	v_mul_lo_u32 v164, v164, v177
	v_mul_lo_u32 v166, v202, v172
	v_fma_f32 v152, v152, v128, -v168
	v_mul_f32_e32 v168, v198, v133
	v_mul_lo_u32 v163, v163, v179
	v_mul_lo_u32 v158, v158, v175
	v_cvt_f32_i32_e32 v200, v137
	ds_load_b64 v[136:137], v136 offset:43584
	v_cvt_f32_i32_e32 v164, v164
	v_cvt_f32_i32_e32 v166, v166
	v_mul_lo_u32 v159, v159, v177
	v_mul_lo_u32 v160, v160, v179
	v_cvt_f32_i32_e32 v163, v163
	v_cvt_f32_i32_e32 v158, v158
	v_mul_f32_e32 v172, v216, v134
	v_fma_f32 v167, v167, v129, -v168
	v_mul_f32_e32 v168, v199, v134
	v_fma_f32 v138, v170, v127, -v138
	v_add_f32_e32 v21, v21, v139
	v_fma_f32 v169, v169, v130, -v172
	v_add_f32_e32 v12, v12, v167
	v_fma_f32 v165, v165, v130, -v168
	s_delay_alu instid0(VALU_DEP_3)
	v_dual_add_f32 v14, v14, v138 :: v_dual_add_f32 v15, v15, v169
	s_waitcnt lgkmcnt(0)
	v_fma_mix_f32 v164, v136, v164, 0 op_sel_hi:[1,0,0]
	v_fma_mix_f32 v163, v136, v163, 0 op_sel_hi:[1,0,0]
	v_fma_mix_f32 v200, v136, v200, 0 op_sel_hi:[1,0,0]
	v_fma_mix_f32 v162, v136, v162, 0 op_sel_hi:[1,0,0]
	s_delay_alu instid0(VALU_DEP_4) | instskip(SKIP_1) | instid1(VALU_DEP_4)
	v_fma_mix_f32 v153, v137, v153, v164 op_sel_hi:[1,0,0]
	v_mul_lo_u32 v164, v201, v180
	v_fma_mix_f32 v166, v137, v166, v200 op_sel_hi:[1,0,0]
	v_fma_mix_f32 v200, v188, v136, 0 op_sel:[0,1,0] op_sel_hi:[0,1,0]
	v_fma_mix_f32 v201, v189, v136, 0 op_sel:[0,1,0] op_sel_hi:[0,1,0]
	s_delay_alu instid0(VALU_DEP_2) | instskip(SKIP_1) | instid1(VALU_DEP_3)
	v_fma_mix_f32 v200, v173, v137, v200 op_sel:[0,1,0] op_sel_hi:[0,1,0]
	v_cvt_f32_i32_e32 v164, v164
	v_fma_mix_f32 v201, v176, v137, v201 op_sel:[0,1,0] op_sel_hi:[0,1,0]
	s_delay_alu instid0(VALU_DEP_2) | instskip(SKIP_1) | instid1(VALU_DEP_1)
	v_fma_mix_f32 v163, v137, v164, v163 op_sel_hi:[1,0,0]
	v_mul_lo_u32 v164, v203, v187
	v_cvt_f32_i32_e32 v164, v164
	s_delay_alu instid0(VALU_DEP_1) | instskip(SKIP_2) | instid1(VALU_DEP_2)
	v_fma_mix_f32 v162, v137, v164, v162 op_sel_hi:[1,0,0]
	v_fma_mix_f32 v164, v181, v136, 0 op_sel:[0,1,0] op_sel_hi:[0,1,0]
	v_fma_mix_f32 v136, v204, v136, 0 op_sel:[0,1,0] op_sel_hi:[0,1,0]
	;; [unrolled: 1-line block ×3, first 2 shown]
	s_delay_alu instid0(VALU_DEP_2) | instskip(SKIP_2) | instid1(VALU_DEP_1)
	v_fma_mix_f32 v137, v146, v137, v136 op_sel:[0,1,0] op_sel_hi:[0,1,0]
	ds_load_b64 v[135:136], v135 offset:43584
	v_mul_f32_e32 v164, v164, v132
	v_fma_f32 v153, v153, v128, -v164
	v_mul_f32_e32 v164, v200, v133
	v_mul_lo_u32 v145, v145, v187
	s_delay_alu instid0(VALU_DEP_2) | instskip(SKIP_1) | instid1(VALU_DEP_3)
	v_fma_f32 v163, v163, v129, -v164
	v_dual_mul_f32 v164, v201, v134 :: v_dual_add_f32 v11, v11, v165
	v_cvt_f32_i32_e32 v145, v145
	s_delay_alu instid0(VALU_DEP_3) | instskip(SKIP_4) | instid1(VALU_DEP_3)
	v_add_f32_e32 v8, v8, v163
	s_waitcnt lgkmcnt(0)
	v_fma_mix_f32 v158, v135, v158, 0 op_sel_hi:[1,0,0]
	v_fma_mix_f32 v181, v181, v135, 0 op_sel:[0,1,0] op_sel_hi:[0,1,0]
	v_fma_f32 v162, v162, v130, -v164
	v_fma_mix_f32 v144, v136, v144, v158 op_sel_hi:[1,0,0]
	v_cvt_f32_i32_e32 v158, v159
	s_delay_alu instid0(VALU_DEP_4)
	v_fma_mix_f32 v174, v174, v136, v181 op_sel:[0,1,0] op_sel_hi:[0,1,0]
	v_fma_mix_f32 v181, v188, v135, 0 op_sel:[0,1,0] op_sel_hi:[0,1,0]
	v_cvt_f32_i32_e32 v159, v171
	v_mul_f32_e32 v137, v137, v131
	v_fma_mix_f32 v158, v135, v158, 0 op_sel_hi:[1,0,0]
	v_add_f32_e32 v7, v7, v162
	v_fma_mix_f32 v173, v173, v136, v181 op_sel:[0,1,0] op_sel_hi:[0,1,0]
	v_fma_mix_f32 v181, v189, v135, 0 op_sel:[0,1,0] op_sel_hi:[0,1,0]
	s_delay_alu instid0(VALU_DEP_4) | instskip(SKIP_2) | instid1(VALU_DEP_4)
	v_fma_mix_f32 v154, v136, v154, v158 op_sel_hi:[1,0,0]
	v_cvt_f32_i32_e32 v158, v160
	v_mul_f32_e32 v160, v214, v132
	v_fma_mix_f32 v176, v176, v136, v181 op_sel:[0,1,0] op_sel_hi:[0,1,0]
	v_fma_mix_f32 v181, v204, v135, 0 op_sel:[0,1,0] op_sel_hi:[0,1,0]
	s_delay_alu instid0(VALU_DEP_4) | instskip(NEXT) | instid1(VALU_DEP_4)
	v_fma_mix_f32 v158, v135, v158, 0 op_sel_hi:[1,0,0]
	v_fma_f32 v150, v150, v128, -v160
	v_mul_f32_e32 v160, v217, v133
	s_delay_alu instid0(VALU_DEP_4) | instskip(SKIP_3) | instid1(VALU_DEP_4)
	v_fma_mix_f32 v146, v146, v136, v181 op_sel:[0,1,0] op_sel_hi:[0,1,0]
	v_mul_f32_e32 v171, v197, v132
	v_fma_mix_f32 v158, v136, v159, v158 op_sel_hi:[1,0,0]
	v_cvt_f32_i32_e32 v159, v161
	v_dual_mul_f32 v161, v219, v134 :: v_dual_mul_f32 v146, v146, v131
	s_delay_alu instid0(VALU_DEP_4) | instskip(SKIP_1) | instid1(VALU_DEP_4)
	v_fma_f32 v151, v151, v128, -v171
	v_mul_f32_e32 v171, v215, v133
	v_fma_mix_f32 v135, v135, v159, 0 op_sel_hi:[1,0,0]
	v_mul_f32_e32 v159, v213, v134
	v_fma_f32 v144, v144, v127, -v146
	v_mul_f32_e32 v146, v174, v132
	v_fma_f32 v160, v192, v129, -v160
	v_fma_mix_f32 v135, v136, v145, v135 op_sel_hi:[1,0,0]
	v_dual_mul_f32 v136, v143, v131 :: v_dual_mul_f32 v143, v205, v132
	v_mul_f32_e32 v145, v206, v133
	v_fma_f32 v146, v154, v128, -v146
	v_fma_f32 v159, v191, v130, -v159
	s_delay_alu instid0(VALU_DEP_4) | instskip(SKIP_3) | instid1(VALU_DEP_4)
	v_fma_f32 v136, v147, v127, -v136
	v_mul_f32_e32 v147, v207, v134
	v_fma_f32 v143, v157, v128, -v143
	v_dual_mul_f32 v157, v211, v132 :: v_dual_mul_f32 v154, v173, v133
	v_add_f32_e32 v19, v19, v136
	s_delay_alu instid0(VALU_DEP_4)
	v_fma_f32 v147, v155, v130, -v147
	v_mul_f32_e32 v155, v208, v132
	v_fma_f32 v145, v156, v129, -v145
	v_mul_f32_e32 v156, v210, v134
	;; [unrolled: 2-line block ×4, first 2 shown]
	v_fma_f32 v154, v158, v129, -v154
	v_dual_mul_f32 v158, v176, v134 :: v_dual_add_f32 v67, v67, v143
	v_fma_f32 v156, v185, v130, -v156
	s_delay_alu instid0(VALU_DEP_4)
	v_fma_f32 v155, v183, v129, -v155
	v_fma_f32 v157, v186, v129, -v157
	;; [unrolled: 1-line block ×6, first 2 shown]
	v_add_f32_e32 v53, v53, v145
	v_dual_add_f32 v47, v47, v147 :: v_dual_add_f32 v34, v34, v156
	v_dual_add_f32 v39, v39, v148 :: v_dual_add_f32 v32, v32, v149
	v_add_f32_e32 v37, v37, v155
	v_dual_add_f32 v33, v33, v141 :: v_dual_add_f32 v30, v30, v159
	v_dual_add_f32 v31, v31, v157 :: v_dual_add_f32 v20, v20, v151
	;; [unrolled: 1-line block ×6, first 2 shown]
	v_add_f32_e32 v5, v5, v146
	v_dual_add_f32 v4, v4, v154 :: v_dual_add_f32 v3, v3, v135
	s_cbranch_scc1 .LBB133_7
; %bb.8:                                ;   in Loop: Header=BB133_6 Depth=2
	s_mov_b32 s14, 1
	s_and_b32 vcc_lo, exec_lo, s1
	s_mov_b32 s1, 0
	s_barrier
	buffer_gl0_inv
	s_cbranch_vccz .LBB133_6
; %bb.9:                                ;   in Loop: Header=BB133_5 Depth=1
	s_add_i32 s13, s13, 1
	s_delay_alu instid0(SALU_CYCLE_1)
	s_cmp_eq_u32 s13, s11
	s_cbranch_scc0 .LBB133_5
; %bb.10:
	v_dual_mov_b32 v1, v16 :: v_dual_mov_b32 v0, v17
.LBB133_11:
	s_mov_b32 s0, exec_lo
	v_cmpx_gt_u32_e64 s4, v24
	s_cbranch_execz .LBB133_62
; %bb.12:
	s_delay_alu instid0(VALU_DEP_2) | instskip(SKIP_1) | instid1(VALU_DEP_2)
	v_add_nc_u32_e32 v0, s10, v0
	v_mul_lo_u32 v24, v24, s6
	v_cmp_gt_u32_e32 vcc_lo, s6, v0
	s_and_saveexec_b32 s1, vcc_lo
	s_cbranch_execz .LBB133_14
; %bb.13:
	s_delay_alu instid0(VALU_DEP_2) | instskip(NEXT) | instid1(VALU_DEP_1)
	v_dual_mov_b32 v17, 0 :: v_dual_add_nc_u32 v16, v0, v24
	v_lshlrev_b64 v[16:17], 2, v[16:17]
	s_waitcnt lgkmcnt(0)
	s_delay_alu instid0(VALU_DEP_1) | instskip(NEXT) | instid1(VALU_DEP_1)
	v_add_co_u32 v16, s0, s8, v16
	v_add_co_ci_u32_e64 v17, s0, s9, v17, s0
	global_store_b32 v[16:17], v19, off
.LBB133_14:
	s_or_b32 exec_lo, exec_lo, s1
	v_add_nc_u32_e32 v2, 32, v0
	s_delay_alu instid0(VALU_DEP_1) | instskip(NEXT) | instid1(VALU_DEP_1)
	v_cmp_gt_u32_e64 s0, s6, v2
	s_and_saveexec_b32 s2, s0
	s_cbranch_execz .LBB133_16
; %bb.15:
	v_dual_mov_b32 v17, 0 :: v_dual_add_nc_u32 v16, v2, v24
	s_delay_alu instid0(VALU_DEP_1) | instskip(SKIP_1) | instid1(VALU_DEP_1)
	v_lshlrev_b64 v[16:17], 2, v[16:17]
	s_waitcnt lgkmcnt(0)
	v_add_co_u32 v16, s1, s8, v16
	s_delay_alu instid0(VALU_DEP_1)
	v_add_co_ci_u32_e64 v17, s1, s9, v17, s1
	global_store_b32 v[16:17], v67, off
.LBB133_16:
	s_or_b32 exec_lo, exec_lo, s2
	v_add_nc_u32_e32 v16, 64, v0
	s_delay_alu instid0(VALU_DEP_1) | instskip(NEXT) | instid1(VALU_DEP_1)
	v_cmp_gt_u32_e64 s1, s6, v16
	s_and_saveexec_b32 s3, s1
	s_cbranch_execz .LBB133_18
; %bb.17:
	v_dual_mov_b32 v27, 0 :: v_dual_add_nc_u32 v26, v16, v24
	s_delay_alu instid0(VALU_DEP_1) | instskip(SKIP_1) | instid1(VALU_DEP_1)
	v_lshlrev_b64 v[26:27], 2, v[26:27]
	s_waitcnt lgkmcnt(0)
	v_add_co_u32 v26, s2, s8, v26
	s_delay_alu instid0(VALU_DEP_1)
	v_add_co_ci_u32_e64 v27, s2, s9, v27, s2
	global_store_b32 v[26:27], v53, off
.LBB133_18:
	;; [unrolled: 16-line block ×3, first 2 shown]
	s_or_b32 exec_lo, exec_lo, s5
	v_add3_u32 v19, v1, s7, 8
	s_delay_alu instid0(VALU_DEP_1) | instskip(NEXT) | instid1(VALU_DEP_1)
	v_cmp_gt_u32_e64 s3, s4, v19
	s_and_b32 exec_lo, exec_lo, s3
	s_cbranch_execz .LBB133_62
; %bb.21:
	v_mul_lo_u32 v19, v19, s6
	s_and_saveexec_b32 s5, vcc_lo
	s_cbranch_execnz .LBB133_63
; %bb.22:
	s_or_b32 exec_lo, exec_lo, s5
	s_and_saveexec_b32 s5, s0
	s_cbranch_execnz .LBB133_64
.LBB133_23:
	s_or_b32 exec_lo, exec_lo, s5
	s_and_saveexec_b32 s5, s1
	s_cbranch_execnz .LBB133_65
.LBB133_24:
	s_or_b32 exec_lo, exec_lo, s5
	s_and_saveexec_b32 s5, s2
	s_cbranch_execz .LBB133_26
.LBB133_25:
	v_dual_mov_b32 v27, 0 :: v_dual_add_nc_u32 v26, v19, v17
	s_delay_alu instid0(VALU_DEP_1) | instskip(SKIP_1) | instid1(VALU_DEP_1)
	v_lshlrev_b64 v[26:27], 2, v[26:27]
	s_waitcnt lgkmcnt(0)
	v_add_co_u32 v26, s3, s8, v26
	s_delay_alu instid0(VALU_DEP_1)
	v_add_co_ci_u32_e64 v27, s3, s9, v27, s3
	global_store_b32 v[26:27], v34, off
.LBB133_26:
	s_or_b32 exec_lo, exec_lo, s5
	v_add3_u32 v19, v1, s7, 16
	s_delay_alu instid0(VALU_DEP_1) | instskip(NEXT) | instid1(VALU_DEP_1)
	v_cmp_gt_u32_e64 s3, s4, v19
	s_and_b32 exec_lo, exec_lo, s3
	s_cbranch_execz .LBB133_62
; %bb.27:
	v_mul_lo_u32 v19, v19, s6
	s_and_saveexec_b32 s5, vcc_lo
	s_cbranch_execnz .LBB133_66
; %bb.28:
	s_or_b32 exec_lo, exec_lo, s5
	s_and_saveexec_b32 s5, s0
	s_cbranch_execnz .LBB133_67
.LBB133_29:
	s_or_b32 exec_lo, exec_lo, s5
	s_and_saveexec_b32 s5, s1
	s_cbranch_execnz .LBB133_68
.LBB133_30:
	s_or_b32 exec_lo, exec_lo, s5
	s_and_saveexec_b32 s5, s2
	s_cbranch_execz .LBB133_32
.LBB133_31:
	v_dual_mov_b32 v27, 0 :: v_dual_add_nc_u32 v26, v19, v17
	s_delay_alu instid0(VALU_DEP_1) | instskip(SKIP_1) | instid1(VALU_DEP_1)
	v_lshlrev_b64 v[26:27], 2, v[26:27]
	s_waitcnt lgkmcnt(0)
	v_add_co_u32 v26, s3, s8, v26
	s_delay_alu instid0(VALU_DEP_1)
	v_add_co_ci_u32_e64 v27, s3, s9, v27, s3
	global_store_b32 v[26:27], v30, off
.LBB133_32:
	s_or_b32 exec_lo, exec_lo, s5
	v_add3_u32 v19, v1, s7, 24
	s_delay_alu instid0(VALU_DEP_1) | instskip(NEXT) | instid1(VALU_DEP_1)
	v_cmp_gt_u32_e64 s3, s4, v19
	s_and_b32 exec_lo, exec_lo, s3
	s_cbranch_execz .LBB133_62
; %bb.33:
	v_mul_lo_u32 v19, v19, s6
	s_and_saveexec_b32 s5, vcc_lo
	s_cbranch_execnz .LBB133_69
; %bb.34:
	s_or_b32 exec_lo, exec_lo, s5
	s_and_saveexec_b32 s5, s0
	s_cbranch_execnz .LBB133_70
.LBB133_35:
	s_or_b32 exec_lo, exec_lo, s5
	s_and_saveexec_b32 s5, s1
	s_cbranch_execnz .LBB133_71
.LBB133_36:
	s_or_b32 exec_lo, exec_lo, s5
	s_and_saveexec_b32 s5, s2
	s_cbranch_execz .LBB133_38
.LBB133_37:
	v_dual_mov_b32 v24, 0 :: v_dual_add_nc_u32 v23, v19, v17
	s_delay_alu instid0(VALU_DEP_1) | instskip(SKIP_1) | instid1(VALU_DEP_1)
	v_lshlrev_b64 v[23:24], 2, v[23:24]
	s_waitcnt lgkmcnt(0)
	v_add_co_u32 v23, s3, s8, v23
	s_delay_alu instid0(VALU_DEP_1)
	v_add_co_ci_u32_e64 v24, s3, s9, v24, s3
	global_store_b32 v[23:24], v22, off
.LBB133_38:
	s_or_b32 exec_lo, exec_lo, s5
	v_add3_u32 v19, v1, s7, 32
	s_delay_alu instid0(VALU_DEP_1) | instskip(NEXT) | instid1(VALU_DEP_1)
	v_cmp_gt_u32_e64 s3, s4, v19
	s_and_b32 exec_lo, exec_lo, s3
	s_cbranch_execz .LBB133_62
; %bb.39:
	v_mul_lo_u32 v19, v19, s6
	s_and_saveexec_b32 s5, vcc_lo
	s_cbranch_execnz .LBB133_72
; %bb.40:
	s_or_b32 exec_lo, exec_lo, s5
	s_and_saveexec_b32 s5, s0
	s_cbranch_execnz .LBB133_73
.LBB133_41:
	s_or_b32 exec_lo, exec_lo, s5
	s_and_saveexec_b32 s5, s1
	s_cbranch_execnz .LBB133_74
.LBB133_42:
	s_or_b32 exec_lo, exec_lo, s5
	s_and_saveexec_b32 s5, s2
	s_cbranch_execz .LBB133_44
.LBB133_43:
	v_dual_mov_b32 v19, 0 :: v_dual_add_nc_u32 v18, v19, v17
	s_delay_alu instid0(VALU_DEP_1) | instskip(SKIP_1) | instid1(VALU_DEP_1)
	v_lshlrev_b64 v[18:19], 2, v[18:19]
	s_waitcnt lgkmcnt(0)
	v_add_co_u32 v18, s3, s8, v18
	s_delay_alu instid0(VALU_DEP_1)
	v_add_co_ci_u32_e64 v19, s3, s9, v19, s3
	global_store_b32 v[18:19], v15, off
.LBB133_44:
	s_or_b32 exec_lo, exec_lo, s5
	v_add3_u32 v15, v1, s7, 40
	s_delay_alu instid0(VALU_DEP_1) | instskip(NEXT) | instid1(VALU_DEP_1)
	v_cmp_gt_u32_e64 s3, s4, v15
	s_and_b32 exec_lo, exec_lo, s3
	s_cbranch_execz .LBB133_62
; %bb.45:
	v_mul_lo_u32 v15, v15, s6
	s_and_saveexec_b32 s5, vcc_lo
	s_cbranch_execnz .LBB133_75
; %bb.46:
	s_or_b32 exec_lo, exec_lo, s5
	s_and_saveexec_b32 s5, s0
	s_cbranch_execnz .LBB133_76
.LBB133_47:
	s_or_b32 exec_lo, exec_lo, s5
	s_and_saveexec_b32 s5, s1
	s_cbranch_execnz .LBB133_77
.LBB133_48:
	s_or_b32 exec_lo, exec_lo, s5
	s_and_saveexec_b32 s5, s2
	s_cbranch_execz .LBB133_50
.LBB133_49:
	v_dual_mov_b32 v13, 0 :: v_dual_add_nc_u32 v12, v15, v17
	s_delay_alu instid0(VALU_DEP_1) | instskip(SKIP_1) | instid1(VALU_DEP_1)
	v_lshlrev_b64 v[12:13], 2, v[12:13]
	s_waitcnt lgkmcnt(0)
	v_add_co_u32 v12, s3, s8, v12
	s_delay_alu instid0(VALU_DEP_1)
	v_add_co_ci_u32_e64 v13, s3, s9, v13, s3
	global_store_b32 v[12:13], v11, off
.LBB133_50:
	s_or_b32 exec_lo, exec_lo, s5
	v_add3_u32 v11, v1, s7, 48
	s_delay_alu instid0(VALU_DEP_1) | instskip(NEXT) | instid1(VALU_DEP_1)
	v_cmp_gt_u32_e64 s3, s4, v11
	s_and_b32 exec_lo, exec_lo, s3
	s_cbranch_execz .LBB133_62
; %bb.51:
	v_mul_lo_u32 v11, v11, s6
	s_and_saveexec_b32 s5, vcc_lo
	s_cbranch_execnz .LBB133_78
; %bb.52:
	s_or_b32 exec_lo, exec_lo, s5
	s_and_saveexec_b32 s5, s0
	s_cbranch_execnz .LBB133_79
.LBB133_53:
	s_or_b32 exec_lo, exec_lo, s5
	s_and_saveexec_b32 s5, s1
	s_cbranch_execnz .LBB133_80
.LBB133_54:
	s_or_b32 exec_lo, exec_lo, s5
	s_and_saveexec_b32 s5, s2
	s_cbranch_execz .LBB133_56
.LBB133_55:
	v_dual_mov_b32 v9, 0 :: v_dual_add_nc_u32 v8, v11, v17
	s_delay_alu instid0(VALU_DEP_1) | instskip(SKIP_1) | instid1(VALU_DEP_1)
	v_lshlrev_b64 v[8:9], 2, v[8:9]
	s_waitcnt lgkmcnt(0)
	v_add_co_u32 v8, s3, s8, v8
	s_delay_alu instid0(VALU_DEP_1)
	v_add_co_ci_u32_e64 v9, s3, s9, v9, s3
	global_store_b32 v[8:9], v7, off
.LBB133_56:
	s_or_b32 exec_lo, exec_lo, s5
	v_add3_u32 v1, v1, s7, 56
	s_delay_alu instid0(VALU_DEP_1) | instskip(NEXT) | instid1(VALU_DEP_1)
	v_cmp_gt_u32_e64 s3, s4, v1
	s_and_b32 exec_lo, exec_lo, s3
	s_cbranch_execz .LBB133_62
; %bb.57:
	v_mul_lo_u32 v1, v1, s6
	s_and_saveexec_b32 s3, vcc_lo
	s_cbranch_execnz .LBB133_81
; %bb.58:
	s_or_b32 exec_lo, exec_lo, s3
	s_and_saveexec_b32 s3, s0
	s_cbranch_execnz .LBB133_82
.LBB133_59:
	s_or_b32 exec_lo, exec_lo, s3
	s_and_saveexec_b32 s0, s1
	s_cbranch_execnz .LBB133_83
.LBB133_60:
	s_or_b32 exec_lo, exec_lo, s0
	s_delay_alu instid0(SALU_CYCLE_1)
	s_and_b32 exec_lo, exec_lo, s2
	s_cbranch_execz .LBB133_62
.LBB133_61:
	v_dual_mov_b32 v1, 0 :: v_dual_add_nc_u32 v0, v1, v17
	s_delay_alu instid0(VALU_DEP_1) | instskip(SKIP_1) | instid1(VALU_DEP_1)
	v_lshlrev_b64 v[0:1], 2, v[0:1]
	s_waitcnt lgkmcnt(0)
	v_add_co_u32 v0, vcc_lo, s8, v0
	s_delay_alu instid0(VALU_DEP_2)
	v_add_co_ci_u32_e32 v1, vcc_lo, s9, v1, vcc_lo
	global_store_b32 v[0:1], v3, off
.LBB133_62:
	s_nop 0
	s_sendmsg sendmsg(MSG_DEALLOC_VGPRS)
	s_endpgm
.LBB133_63:
	s_delay_alu instid0(VALU_DEP_1) | instskip(NEXT) | instid1(VALU_DEP_1)
	v_dual_mov_b32 v27, 0 :: v_dual_add_nc_u32 v26, v19, v0
	v_lshlrev_b64 v[26:27], 2, v[26:27]
	s_waitcnt lgkmcnt(0)
	s_delay_alu instid0(VALU_DEP_1) | instskip(NEXT) | instid1(VALU_DEP_1)
	v_add_co_u32 v26, s3, s8, v26
	v_add_co_ci_u32_e64 v27, s3, s9, v27, s3
	global_store_b32 v[26:27], v44, off
	s_or_b32 exec_lo, exec_lo, s5
	s_and_saveexec_b32 s5, s0
	s_cbranch_execz .LBB133_23
.LBB133_64:
	s_delay_alu instid0(VALU_DEP_1) | instskip(NEXT) | instid1(VALU_DEP_1)
	v_dual_mov_b32 v27, 0 :: v_dual_add_nc_u32 v26, v19, v2
	v_lshlrev_b64 v[26:27], 2, v[26:27]
	s_waitcnt lgkmcnt(0)
	s_delay_alu instid0(VALU_DEP_1) | instskip(NEXT) | instid1(VALU_DEP_1)
	v_add_co_u32 v26, s3, s8, v26
	v_add_co_ci_u32_e64 v27, s3, s9, v27, s3
	global_store_b32 v[26:27], v39, off
	s_or_b32 exec_lo, exec_lo, s5
	s_and_saveexec_b32 s5, s1
	s_cbranch_execz .LBB133_24
.LBB133_65:
	v_dual_mov_b32 v27, 0 :: v_dual_add_nc_u32 v26, v19, v16
	s_delay_alu instid0(VALU_DEP_1) | instskip(SKIP_1) | instid1(VALU_DEP_1)
	v_lshlrev_b64 v[26:27], 2, v[26:27]
	s_waitcnt lgkmcnt(0)
	v_add_co_u32 v26, s3, s8, v26
	s_delay_alu instid0(VALU_DEP_1)
	v_add_co_ci_u32_e64 v27, s3, s9, v27, s3
	global_store_b32 v[26:27], v37, off
	s_or_b32 exec_lo, exec_lo, s5
	s_and_saveexec_b32 s5, s2
	s_cbranch_execnz .LBB133_25
	s_branch .LBB133_26
.LBB133_66:
	s_delay_alu instid0(VALU_DEP_1) | instskip(NEXT) | instid1(VALU_DEP_1)
	v_dual_mov_b32 v27, 0 :: v_dual_add_nc_u32 v26, v19, v0
	v_lshlrev_b64 v[26:27], 2, v[26:27]
	s_waitcnt lgkmcnt(0)
	s_delay_alu instid0(VALU_DEP_1) | instskip(NEXT) | instid1(VALU_DEP_1)
	v_add_co_u32 v26, s3, s8, v26
	v_add_co_ci_u32_e64 v27, s3, s9, v27, s3
	global_store_b32 v[26:27], v33, off
	s_or_b32 exec_lo, exec_lo, s5
	s_and_saveexec_b32 s5, s0
	s_cbranch_execz .LBB133_29
.LBB133_67:
	s_delay_alu instid0(VALU_DEP_1) | instskip(NEXT) | instid1(VALU_DEP_1)
	v_dual_mov_b32 v27, 0 :: v_dual_add_nc_u32 v26, v19, v2
	v_lshlrev_b64 v[26:27], 2, v[26:27]
	s_waitcnt lgkmcnt(0)
	s_delay_alu instid0(VALU_DEP_1) | instskip(NEXT) | instid1(VALU_DEP_1)
	v_add_co_u32 v26, s3, s8, v26
	v_add_co_ci_u32_e64 v27, s3, s9, v27, s3
	global_store_b32 v[26:27], v32, off
	s_or_b32 exec_lo, exec_lo, s5
	s_and_saveexec_b32 s5, s1
	s_cbranch_execz .LBB133_30
.LBB133_68:
	v_dual_mov_b32 v27, 0 :: v_dual_add_nc_u32 v26, v19, v16
	s_delay_alu instid0(VALU_DEP_1) | instskip(SKIP_1) | instid1(VALU_DEP_1)
	v_lshlrev_b64 v[26:27], 2, v[26:27]
	s_waitcnt lgkmcnt(0)
	v_add_co_u32 v26, s3, s8, v26
	s_delay_alu instid0(VALU_DEP_1)
	v_add_co_ci_u32_e64 v27, s3, s9, v27, s3
	global_store_b32 v[26:27], v31, off
	s_or_b32 exec_lo, exec_lo, s5
	s_and_saveexec_b32 s5, s2
	s_cbranch_execnz .LBB133_31
	s_branch .LBB133_32
.LBB133_69:
	s_delay_alu instid0(VALU_DEP_1) | instskip(NEXT) | instid1(VALU_DEP_1)
	v_dual_mov_b32 v27, 0 :: v_dual_add_nc_u32 v26, v19, v0
	v_lshlrev_b64 v[26:27], 2, v[26:27]
	s_waitcnt lgkmcnt(0)
	s_delay_alu instid0(VALU_DEP_1) | instskip(NEXT) | instid1(VALU_DEP_1)
	v_add_co_u32 v26, s3, s8, v26
	v_add_co_ci_u32_e64 v27, s3, s9, v27, s3
	global_store_b32 v[26:27], v28, off
	s_or_b32 exec_lo, exec_lo, s5
	s_and_saveexec_b32 s5, s0
	s_cbranch_execz .LBB133_35
.LBB133_70:
	s_delay_alu instid0(VALU_DEP_1) | instskip(NEXT) | instid1(VALU_DEP_1)
	v_dual_mov_b32 v27, 0 :: v_dual_add_nc_u32 v26, v19, v2
	v_lshlrev_b64 v[26:27], 2, v[26:27]
	s_waitcnt lgkmcnt(0)
	s_delay_alu instid0(VALU_DEP_1) | instskip(NEXT) | instid1(VALU_DEP_1)
	v_add_co_u32 v26, s3, s8, v26
	v_add_co_ci_u32_e64 v27, s3, s9, v27, s3
	global_store_b32 v[26:27], v25, off
	s_or_b32 exec_lo, exec_lo, s5
	s_and_saveexec_b32 s5, s1
	s_cbranch_execz .LBB133_36
.LBB133_71:
	v_dual_mov_b32 v25, 0 :: v_dual_add_nc_u32 v24, v19, v16
	s_delay_alu instid0(VALU_DEP_1) | instskip(SKIP_1) | instid1(VALU_DEP_1)
	v_lshlrev_b64 v[24:25], 2, v[24:25]
	s_waitcnt lgkmcnt(0)
	v_add_co_u32 v24, s3, s8, v24
	s_delay_alu instid0(VALU_DEP_1)
	v_add_co_ci_u32_e64 v25, s3, s9, v25, s3
	global_store_b32 v[24:25], v23, off
	s_or_b32 exec_lo, exec_lo, s5
	s_and_saveexec_b32 s5, s2
	s_cbranch_execnz .LBB133_37
	s_branch .LBB133_38
.LBB133_72:
	s_delay_alu instid0(VALU_DEP_1) | instskip(NEXT) | instid1(VALU_DEP_1)
	v_dual_mov_b32 v23, 0 :: v_dual_add_nc_u32 v22, v19, v0
	v_lshlrev_b64 v[22:23], 2, v[22:23]
	s_waitcnt lgkmcnt(0)
	s_delay_alu instid0(VALU_DEP_1) | instskip(NEXT) | instid1(VALU_DEP_1)
	v_add_co_u32 v22, s3, s8, v22
	v_add_co_ci_u32_e64 v23, s3, s9, v23, s3
	global_store_b32 v[22:23], v21, off
	s_or_b32 exec_lo, exec_lo, s5
	s_and_saveexec_b32 s5, s0
	s_cbranch_execz .LBB133_41
.LBB133_73:
	s_delay_alu instid0(VALU_DEP_1) | instskip(NEXT) | instid1(VALU_DEP_1)
	v_dual_mov_b32 v22, 0 :: v_dual_add_nc_u32 v21, v19, v2
	v_lshlrev_b64 v[21:22], 2, v[21:22]
	s_waitcnt lgkmcnt(0)
	s_delay_alu instid0(VALU_DEP_1) | instskip(NEXT) | instid1(VALU_DEP_1)
	v_add_co_u32 v21, s3, s8, v21
	v_add_co_ci_u32_e64 v22, s3, s9, v22, s3
	global_store_b32 v[21:22], v20, off
	s_or_b32 exec_lo, exec_lo, s5
	s_and_saveexec_b32 s5, s1
	s_cbranch_execz .LBB133_42
.LBB133_74:
	v_dual_mov_b32 v21, 0 :: v_dual_add_nc_u32 v20, v19, v16
	s_delay_alu instid0(VALU_DEP_1) | instskip(SKIP_1) | instid1(VALU_DEP_1)
	v_lshlrev_b64 v[20:21], 2, v[20:21]
	s_waitcnt lgkmcnt(0)
	v_add_co_u32 v20, s3, s8, v20
	s_delay_alu instid0(VALU_DEP_1)
	v_add_co_ci_u32_e64 v21, s3, s9, v21, s3
	global_store_b32 v[20:21], v18, off
	s_or_b32 exec_lo, exec_lo, s5
	s_and_saveexec_b32 s5, s2
	s_cbranch_execnz .LBB133_43
	s_branch .LBB133_44
.LBB133_75:
	s_delay_alu instid0(VALU_DEP_1) | instskip(NEXT) | instid1(VALU_DEP_1)
	v_dual_mov_b32 v19, 0 :: v_dual_add_nc_u32 v18, v15, v0
	v_lshlrev_b64 v[18:19], 2, v[18:19]
	s_waitcnt lgkmcnt(0)
	s_delay_alu instid0(VALU_DEP_1) | instskip(NEXT) | instid1(VALU_DEP_1)
	v_add_co_u32 v18, s3, s8, v18
	v_add_co_ci_u32_e64 v19, s3, s9, v19, s3
	global_store_b32 v[18:19], v14, off
	s_or_b32 exec_lo, exec_lo, s5
	s_and_saveexec_b32 s5, s0
	s_cbranch_execz .LBB133_47
.LBB133_76:
	s_delay_alu instid0(VALU_DEP_1) | instskip(NEXT) | instid1(VALU_DEP_1)
	v_dual_mov_b32 v19, 0 :: v_dual_add_nc_u32 v18, v15, v2
	v_lshlrev_b64 v[18:19], 2, v[18:19]
	s_waitcnt lgkmcnt(0)
	s_delay_alu instid0(VALU_DEP_1) | instskip(NEXT) | instid1(VALU_DEP_1)
	v_add_co_u32 v18, s3, s8, v18
	v_add_co_ci_u32_e64 v19, s3, s9, v19, s3
	global_store_b32 v[18:19], v13, off
	s_or_b32 exec_lo, exec_lo, s5
	s_and_saveexec_b32 s5, s1
	s_cbranch_execz .LBB133_48
.LBB133_77:
	v_dual_mov_b32 v14, 0 :: v_dual_add_nc_u32 v13, v15, v16
	s_delay_alu instid0(VALU_DEP_1) | instskip(SKIP_1) | instid1(VALU_DEP_1)
	v_lshlrev_b64 v[13:14], 2, v[13:14]
	s_waitcnt lgkmcnt(0)
	v_add_co_u32 v13, s3, s8, v13
	s_delay_alu instid0(VALU_DEP_1)
	v_add_co_ci_u32_e64 v14, s3, s9, v14, s3
	global_store_b32 v[13:14], v12, off
	s_or_b32 exec_lo, exec_lo, s5
	s_and_saveexec_b32 s5, s2
	s_cbranch_execnz .LBB133_49
	s_branch .LBB133_50
.LBB133_78:
	s_delay_alu instid0(VALU_DEP_1) | instskip(NEXT) | instid1(VALU_DEP_1)
	v_dual_mov_b32 v13, 0 :: v_dual_add_nc_u32 v12, v11, v0
	v_lshlrev_b64 v[12:13], 2, v[12:13]
	s_waitcnt lgkmcnt(0)
	s_delay_alu instid0(VALU_DEP_1) | instskip(NEXT) | instid1(VALU_DEP_1)
	v_add_co_u32 v12, s3, s8, v12
	v_add_co_ci_u32_e64 v13, s3, s9, v13, s3
	global_store_b32 v[12:13], v10, off
	s_or_b32 exec_lo, exec_lo, s5
	s_and_saveexec_b32 s5, s0
	s_cbranch_execz .LBB133_53
.LBB133_79:
	s_delay_alu instid0(VALU_DEP_1) | instskip(NEXT) | instid1(VALU_DEP_1)
	v_dual_mov_b32 v13, 0 :: v_dual_add_nc_u32 v12, v11, v2
	v_lshlrev_b64 v[12:13], 2, v[12:13]
	s_waitcnt lgkmcnt(0)
	s_delay_alu instid0(VALU_DEP_1) | instskip(NEXT) | instid1(VALU_DEP_1)
	v_add_co_u32 v12, s3, s8, v12
	v_add_co_ci_u32_e64 v13, s3, s9, v13, s3
	global_store_b32 v[12:13], v9, off
	s_or_b32 exec_lo, exec_lo, s5
	s_and_saveexec_b32 s5, s1
	s_cbranch_execz .LBB133_54
.LBB133_80:
	v_dual_mov_b32 v10, 0 :: v_dual_add_nc_u32 v9, v11, v16
	s_delay_alu instid0(VALU_DEP_1) | instskip(SKIP_1) | instid1(VALU_DEP_1)
	v_lshlrev_b64 v[9:10], 2, v[9:10]
	s_waitcnt lgkmcnt(0)
	v_add_co_u32 v9, s3, s8, v9
	s_delay_alu instid0(VALU_DEP_1)
	v_add_co_ci_u32_e64 v10, s3, s9, v10, s3
	global_store_b32 v[9:10], v8, off
	s_or_b32 exec_lo, exec_lo, s5
	s_and_saveexec_b32 s5, s2
	s_cbranch_execnz .LBB133_55
	s_branch .LBB133_56
.LBB133_81:
	s_delay_alu instid0(VALU_DEP_1) | instskip(NEXT) | instid1(VALU_DEP_1)
	v_dual_mov_b32 v8, 0 :: v_dual_add_nc_u32 v7, v1, v0
	v_lshlrev_b64 v[7:8], 2, v[7:8]
	s_waitcnt lgkmcnt(0)
	s_delay_alu instid0(VALU_DEP_1) | instskip(NEXT) | instid1(VALU_DEP_2)
	v_add_co_u32 v7, vcc_lo, s8, v7
	v_add_co_ci_u32_e32 v8, vcc_lo, s9, v8, vcc_lo
	global_store_b32 v[7:8], v6, off
	s_or_b32 exec_lo, exec_lo, s3
	s_and_saveexec_b32 s3, s0
	s_cbranch_execz .LBB133_59
.LBB133_82:
	s_delay_alu instid0(VALU_DEP_1) | instskip(NEXT) | instid1(VALU_DEP_1)
	v_dual_mov_b32 v7, 0 :: v_dual_add_nc_u32 v6, v1, v2
	v_lshlrev_b64 v[6:7], 2, v[6:7]
	s_waitcnt lgkmcnt(0)
	s_delay_alu instid0(VALU_DEP_1) | instskip(NEXT) | instid1(VALU_DEP_2)
	v_add_co_u32 v6, vcc_lo, s8, v6
	v_add_co_ci_u32_e32 v7, vcc_lo, s9, v7, vcc_lo
	global_store_b32 v[6:7], v5, off
	s_or_b32 exec_lo, exec_lo, s3
	s_and_saveexec_b32 s0, s1
	s_cbranch_execz .LBB133_60
.LBB133_83:
	v_dual_mov_b32 v6, 0 :: v_dual_add_nc_u32 v5, v1, v16
	s_delay_alu instid0(VALU_DEP_1) | instskip(SKIP_1) | instid1(VALU_DEP_1)
	v_lshlrev_b64 v[5:6], 2, v[5:6]
	s_waitcnt lgkmcnt(0)
	v_add_co_u32 v5, vcc_lo, s8, v5
	s_delay_alu instid0(VALU_DEP_2) | instskip(SKIP_2) | instid1(SALU_CYCLE_1)
	v_add_co_ci_u32_e32 v6, vcc_lo, s9, v6, vcc_lo
	global_store_b32 v[5:6], v4, off
	s_or_b32 exec_lo, exec_lo, s0
	s_and_b32 exec_lo, exec_lo, s2
	s_cbranch_execnz .LBB133_61
	s_branch .LBB133_62
	.section	.rodata,"a",@progbits
	.p2align	6, 0x0
	.amdhsa_kernel _ZL12mul_mat_q5_KIfLb0EEvPKvS1_PT_iiiii
		.amdhsa_group_segment_fixed_size 45136
		.amdhsa_private_segment_fixed_size 0
		.amdhsa_kernarg_size 44
		.amdhsa_user_sgpr_count 14
		.amdhsa_user_sgpr_dispatch_ptr 0
		.amdhsa_user_sgpr_queue_ptr 0
		.amdhsa_user_sgpr_kernarg_segment_ptr 1
		.amdhsa_user_sgpr_dispatch_id 0
		.amdhsa_user_sgpr_private_segment_size 0
		.amdhsa_wavefront_size32 1
		.amdhsa_uses_dynamic_stack 0
		.amdhsa_enable_private_segment 0
		.amdhsa_system_sgpr_workgroup_id_x 1
		.amdhsa_system_sgpr_workgroup_id_y 1
		.amdhsa_system_sgpr_workgroup_id_z 0
		.amdhsa_system_sgpr_workgroup_info 0
		.amdhsa_system_vgpr_workitem_id 1
		.amdhsa_next_free_vgpr 248
		.amdhsa_next_free_sgpr 18
		.amdhsa_reserve_vcc 1
		.amdhsa_float_round_mode_32 0
		.amdhsa_float_round_mode_16_64 0
		.amdhsa_float_denorm_mode_32 3
		.amdhsa_float_denorm_mode_16_64 3
		.amdhsa_dx10_clamp 1
		.amdhsa_ieee_mode 1
		.amdhsa_fp16_overflow 0
		.amdhsa_workgroup_processor_mode 1
		.amdhsa_memory_ordered 1
		.amdhsa_forward_progress 0
		.amdhsa_shared_vgpr_count 0
		.amdhsa_exception_fp_ieee_invalid_op 0
		.amdhsa_exception_fp_denorm_src 0
		.amdhsa_exception_fp_ieee_div_zero 0
		.amdhsa_exception_fp_ieee_overflow 0
		.amdhsa_exception_fp_ieee_underflow 0
		.amdhsa_exception_fp_ieee_inexact 0
		.amdhsa_exception_int_div_zero 0
	.end_amdhsa_kernel
	.section	.text._ZL12mul_mat_q5_KIfLb0EEvPKvS1_PT_iiiii,"axG",@progbits,_ZL12mul_mat_q5_KIfLb0EEvPKvS1_PT_iiiii,comdat
.Lfunc_end133:
	.size	_ZL12mul_mat_q5_KIfLb0EEvPKvS1_PT_iiiii, .Lfunc_end133-_ZL12mul_mat_q5_KIfLb0EEvPKvS1_PT_iiiii
                                        ; -- End function
	.section	.AMDGPU.csdata,"",@progbits
; Kernel info:
; codeLenInByte = 15728
; NumSgprs: 20
; NumVgprs: 248
; ScratchSize: 0
; MemoryBound: 0
; FloatMode: 240
; IeeeMode: 1
; LDSByteSize: 45136 bytes/workgroup (compile time only)
; SGPRBlocks: 2
; VGPRBlocks: 30
; NumSGPRsForWavesPerEU: 20
; NumVGPRsForWavesPerEU: 248
; Occupancy: 4
; WaveLimiterHint : 0
; COMPUTE_PGM_RSRC2:SCRATCH_EN: 0
; COMPUTE_PGM_RSRC2:USER_SGPR: 14
; COMPUTE_PGM_RSRC2:TRAP_HANDLER: 0
; COMPUTE_PGM_RSRC2:TGID_X_EN: 1
; COMPUTE_PGM_RSRC2:TGID_Y_EN: 1
; COMPUTE_PGM_RSRC2:TGID_Z_EN: 0
; COMPUTE_PGM_RSRC2:TIDIG_COMP_CNT: 1
	.section	.text._ZL12mul_mat_q5_KIfLb1EEvPKvS1_PT_iiiii,"axG",@progbits,_ZL12mul_mat_q5_KIfLb1EEvPKvS1_PT_iiiii,comdat
	.globl	_ZL12mul_mat_q5_KIfLb1EEvPKvS1_PT_iiiii ; -- Begin function _ZL12mul_mat_q5_KIfLb1EEvPKvS1_PT_iiiii
	.p2align	8
	.type	_ZL12mul_mat_q5_KIfLb1EEvPKvS1_PT_iiiii,@function
_ZL12mul_mat_q5_KIfLb1EEvPKvS1_PT_iiiii: ; @_ZL12mul_mat_q5_KIfLb1EEvPKvS1_PT_iiiii
; %bb.0:
	s_clause 0x1
	s_load_b128 s[4:7], s[0:1], 0x18
	s_load_b32 s10, s[0:1], 0x28
	v_bfe_u32 v28, v0, 10, 10
	v_and_b32_e32 v29, 0x3ff, v0
	s_lshl_b32 s11, s15, 6
	s_waitcnt lgkmcnt(0)
	s_cmpk_gt_i32 s4, 0xff
	s_cbranch_scc1 .LBB134_2
; %bb.1:
	v_bfe_u32 v1, v0, 10, 10
	v_and_b32_e32 v0, 0x3ff, v0
	s_mov_b32 s2, 0
	s_mov_b32 s3, 0
	s_delay_alu instid0(VALU_DEP_2)
	v_add_nc_u32_e32 v47, s11, v1
	s_branch .LBB134_3
.LBB134_2:
	s_mov_b32 s2, -1
                                        ; implicit-def: $sgpr3
                                        ; implicit-def: $vgpr1
                                        ; implicit-def: $vgpr0
                                        ; implicit-def: $vgpr47
.LBB134_3:
	s_load_b64 s[8:9], s[0:1], 0x10
	v_dual_mov_b32 v19, s3 :: v_dual_mov_b32 v34, s3
	v_dual_mov_b32 v23, s3 :: v_dual_mov_b32 v40, s3
	;; [unrolled: 1-line block ×15, first 2 shown]
	v_mov_b32_e32 v63, s3
	v_mov_b32_e32 v31, s3
	s_and_not1_b32 vcc_lo, exec_lo, s2
	s_lshl_b32 s12, s14, 7
	s_cbranch_vccnz .LBB134_11
; %bb.4:
	s_load_b128 s[0:3], s[0:1], 0x0
	s_ashr_i32 s13, s4, 31
	v_lshrrev_b32_e32 v30, 2, v29
	s_lshr_b32 s13, s13, 24
	s_ashr_i32 s14, s7, 31
	s_add_i32 s4, s4, s13
	s_lshr_b32 s13, s14, 27
	s_ashr_i32 s4, s4, 8
	v_dual_mov_b32 v31, 0 :: v_dual_lshlrev_b32 v0, 1, v29
	v_and_b32_e32 v1, 7, v29
	s_add_i32 s7, s7, s13
	s_mul_i32 s13, s4, s12
	v_and_b32_e32 v41, 6, v30
	v_lshl_add_u32 v73, v28, 3, v30
	v_and_b32_e32 v30, 3, v29
	s_ashr_i32 s14, s7, 5
	s_mul_i32 s7, s13, 0xb0
	s_mul_hi_i32 s13, s13, 0xb0
	v_and_or_b32 v0, v0, 48, v1
	s_waitcnt lgkmcnt(0)
	s_add_u32 s7, s0, s7
	s_addc_u32 s13, s1, s13
	s_not_b32 s0, s12
	v_add_nc_u32_e32 v77, 0xfe, v30
	v_cmp_gt_u32_e32 vcc_lo, 2, v30
	v_add_nc_u32_e32 v40, 8, v28
	v_add_nc_u32_e32 v46, 16, v28
	;; [unrolled: 1-line block ×3, first 2 shown]
	s_add_i32 s0, s0, s5
	v_add_nc_u32_e32 v49, 24, v28
	v_add_nc_u32_e32 v53, 32, v28
	v_min_i32_e32 v2, s0, v28
	v_lshlrev_b32_e32 v17, 2, v0
	v_add_nc_u32_e32 v57, 40, v28
	v_cndmask_b32_e32 v79, v77, v30, vcc_lo
	v_min_i32_e32 v3, s0, v40
	v_add_nc_u32_e32 v64, 56, v28
	v_min_i32_e32 v8, s0, v63
	v_dual_mov_b32 v63, 0 :: v_dual_lshlrev_b32 v96, 5, v63
	v_min_i32_e32 v4, s0, v46
	v_min_i32_e32 v5, s0, v49
	v_add_nc_u32_e32 v10, 64, v28
	v_min_i32_e32 v6, s0, v53
	v_add_nc_u32_e32 v11, 0x48, v28
	v_mad_u64_u32 v[0:1], null, 0x104, v2, v[17:18]
	v_min_i32_e32 v7, s0, v57
	v_add_nc_u32_e32 v12, 0x50, v28
	v_mul_lo_u32 v45, v2, s4
	v_mad_u64_u32 v[1:2], null, 0x104, v3, v[17:18]
	v_mul_lo_u32 v48, v3, s4
	v_mad_u64_u32 v[2:3], null, 0x104, v4, v[17:18]
	v_min_i32_e32 v9, s0, v64
	v_mul_lo_u32 v50, v4, s4
	v_mad_u64_u32 v[3:4], null, 0x104, v5, v[17:18]
	v_min_i32_e32 v10, s0, v10
	;; [unrolled: 3-line block ×4, first 2 shown]
	v_mul_lo_u32 v54, v7, s4
	v_mad_u64_u32 v[6:7], null, 0x104, v8, v[17:18]
	v_mul_lo_u32 v55, v8, s4
	v_mad_u64_u32 v[7:8], null, 0x104, v9, v[17:18]
	;; [unrolled: 2-line block ×3, first 2 shown]
	s_add_i32 s1, s6, -1
	v_mul_lo_u32 v58, v10, s4
	v_mad_u64_u32 v[9:10], null, 0x104, v11, v[17:18]
	v_mul_lo_u32 v59, v11, s4
	v_mad_u64_u32 v[10:11], null, 0x104, v12, v[17:18]
	v_cvt_f64_i32_e32 v[18:19], s1
	v_add_nc_u32_e32 v13, 0x58, v28
	v_add_nc_u32_e32 v47, s11, v28
	v_mul_lo_u32 v60, v12, s4
	v_add_nc_u32_e32 v11, 0x60, v28
	v_lshlrev_b32_e32 v83, 5, v40
	v_min_i32_e32 v13, s0, v13
	v_add_nc_u32_e32 v12, 8, v47
	v_add_nc_u32_e32 v14, 16, v47
	v_min_i32_e32 v36, s0, v11
	v_cvt_f64_u32_e32 v[15:16], v47
	v_mul_lo_u32 v67, v13, s4
	v_cvt_f64_u32_e32 v[20:21], v12
	v_cvt_f64_u32_e32 v[22:23], v14
	v_add_nc_u32_e32 v14, 24, v47
	v_add_nc_u32_e32 v32, 40, v47
	v_mov_b32_e32 v40, 0
	v_lshlrev_b32_e32 v68, 5, v28
	v_add_nc_u32_e32 v37, 56, v47
	v_cvt_f64_u32_e32 v[24:25], v14
	v_cvt_f64_u32_e32 v[32:33], v32
	v_add_nc_u32_e32 v14, 0x68, v28
	v_mul_lo_u32 v69, v36, s4
	v_add_nc_u32_e32 v62, 0x78, v28
	v_cmp_ne_u32_e32 vcc_lo, 0, v30
	v_lshlrev_b32_e32 v39, 2, v29
	v_min_i32_e32 v61, s0, v14
	v_add_nc_u32_e32 v14, 0x70, v28
	v_min_i32_e32 v71, s0, v62
	v_lshlrev_b32_e32 v85, 5, v46
	v_lshrrev_b32_e32 v38, 5, v29
	v_mul_lo_u32 v72, v61, s4
	v_min_i32_e32 v66, s0, v14
	v_mul_lo_u32 v75, v71, s4
	v_mul_u32_u24_e32 v114, 0x104, v29
	v_mov_b32_e32 v46, 0
	s_mov_b32 s5, 0
	v_mul_lo_u32 v74, v66, s4
	v_mad_u64_u32 v[11:12], null, 0x104, v13, v[17:18]
	v_add_nc_u32_e32 v13, 32, v47
	v_add_nc_u32_e32 v12, v68, v29
	s_delay_alu instid0(VALU_DEP_2) | instskip(SKIP_1) | instid1(VALU_DEP_3)
	v_cvt_f64_u32_e32 v[26:27], v13
	v_add_nc_u32_e32 v13, 48, v47
	v_and_b32_e32 v12, 0x7f, v12
	v_min_f64 v[20:21], v[20:21], v[18:19]
	s_delay_alu instid0(VALU_DEP_3) | instskip(NEXT) | instid1(VALU_DEP_3)
	v_cvt_f64_u32_e32 v[34:35], v13
	v_min_i32_e32 v65, s0, v12
	v_mad_u64_u32 v[12:13], null, 0x104, v36, v[17:18]
	v_cvt_f64_u32_e32 v[36:37], v37
	v_min_f64 v[22:23], v[22:23], v[18:19]
	s_delay_alu instid0(VALU_DEP_4) | instskip(SKIP_2) | instid1(VALU_DEP_3)
	v_ashrrev_i32_e32 v13, 31, v65
	v_lshlrev_b32_e32 v76, 2, v65
	v_mul_lo_u32 v77, v65, s4
	v_lshrrev_b32_e32 v70, 27, v13
	v_mad_u64_u32 v[13:14], null, 0x104, v61, v[17:18]
	v_min_f64 v[61:62], v[15:16], v[18:19]
	v_mad_u64_u32 v[14:15], null, 0x104, v66, v[17:18]
	v_mad_u64_u32 v[15:16], null, 0x104, v71, v[17:18]
	v_min_f64 v[16:17], v[24:25], v[18:19]
	v_add_nc_u32_e32 v70, v65, v70
	v_and_b32_e32 v65, 0xff, v79
	s_delay_alu instid0(VALU_DEP_2) | instskip(SKIP_1) | instid1(VALU_DEP_3)
	v_ashrrev_i32_e32 v66, 5, v70
	v_and_b32_e32 v70, 0x7f, v73
	v_lshlrev_b32_e32 v80, 1, v65
	s_delay_alu instid0(VALU_DEP_3) | instskip(NEXT) | instid1(VALU_DEP_3)
	v_lshlrev_b32_e32 v66, 2, v66
	v_min_i32_e32 v71, s0, v70
	v_min_f64 v[24:25], v[26:27], v[18:19]
	v_min_f64 v[26:27], v[32:33], v[18:19]
	v_xor_b32_e32 v70, 64, v70
	s_delay_alu instid0(VALU_DEP_4) | instskip(SKIP_2) | instid1(VALU_DEP_4)
	v_ashrrev_i32_e32 v78, 31, v71
	v_cvt_i32_f64_e32 v20, v[20:21]
	v_min_f64 v[32:33], v[34:35], v[18:19]
	v_min_i32_e32 v34, s0, v70
	v_mov_b32_e32 v70, 0
	v_lshrrev_b32_e32 v35, 29, v78
	v_min_f64 v[18:19], v[36:37], v[18:19]
	v_cvt_i32_f64_e32 v22, v[22:23]
	v_add3_u32 v78, v66, v76, 0xae40
	v_ashrrev_i32_e32 v66, 31, v34
	v_add_co_ci_u32_e32 v36, vcc_lo, 0, v65, vcc_lo
	v_cmp_lt_u32_e32 vcc_lo, 1, v30
	v_add_nc_u32_e32 v35, v71, v35
	s_delay_alu instid0(VALU_DEP_4)
	v_lshrrev_b32_e32 v37, 29, v66
	v_and_b32_e32 v66, 4, v39
	v_cvt_i32_f64_e32 v61, v[61:62]
	v_and_b32_e32 v42, 0x7c, v39
	v_cndmask_b32_e64 v21, 0, 1, vcc_lo
	v_add_nc_u32_e32 v37, v34, v37
	v_cndmask_b32_e32 v79, 0, v66, vcc_lo
	v_cvt_i32_f64_e32 v62, v[16:17]
	v_ashrrev_i32_e32 v35, 3, v35
	v_dual_mov_b32 v21, 0 :: v_dual_lshlrev_b32 v122, 2, v21
	v_ashrrev_i32_e32 v37, 3, v37
	v_dual_mov_b32 v36, 0 :: v_dual_lshlrev_b32 v121, 2, v36
	v_lshlrev_b32_e32 v92, 5, v53
	v_lshlrev_b32_e32 v35, 2, v35
	;; [unrolled: 1-line block ×4, first 2 shown]
	v_mov_b32_e32 v53, 0
	v_lshlrev_b32_e32 v103, 5, v64
	v_cvt_i32_f64_e32 v24, v[24:25]
	v_and_b32_e32 v25, 63, v73
	v_cvt_i32_f64_e32 v26, v[26:27]
	v_and_b32_e32 v27, 31, v29
	v_add3_u32 v35, v35, v23, 0xa200
	v_mul_lo_u32 v88, s14, v20
	v_cvt_i32_f64_e32 v32, v[32:33]
	v_or_b32_e32 v33, s11, v25
	v_or_b32_e32 v20, v92, v27
	v_add3_u32 v37, v37, v23, 0xa200
	v_cvt_i32_f64_e32 v66, v[18:19]
	v_lshl_or_b32 v23, v25, 4, v23
	v_min_i32_e32 v33, s1, v33
	v_lshl_add_u32 v99, v20, 2, 0x8200
	v_or_b32_e32 v20, v96, v27
	v_mul_lo_u32 v91, s14, v22
	v_add_nc_u32_e32 v84, 0xaa40, v23
	v_mad_u64_u32 v[18:19], null, v33, s14, v[30:31]
	v_or_b32_e32 v19, v68, v27
	v_or_b32_e32 v23, v83, v27
	v_lshl_add_u32 v104, v20, 2, 0x8200
	v_add_nc_u32_e32 v20, 64, v29
	v_add_nc_u32_e32 v22, 0x60, v29
	v_lshl_add_u32 v87, v19, 2, 0x8200
	v_or_b32_e32 v19, v85, v27
	v_mul_lo_u32 v95, s14, v62
	v_dual_mov_b32 v62, 0 :: v_dual_lshlrev_b32 v89, 5, v49
	v_dual_mov_b32 v76, 0 :: v_dual_and_b32 v43, 28, v39
	s_delay_alu instid0(VALU_DEP_4) | instskip(SKIP_1) | instid1(VALU_DEP_4)
	v_lshl_add_u32 v93, v19, 2, 0x8200
	v_lshl_add_u32 v90, v23, 2, 0x8200
	v_or_b32_e32 v19, v89, v27
	v_or_b32_e32 v23, v103, v27
	v_lshrrev_b32_e32 v107, 3, v20
	v_lshrrev_b32_e32 v108, 3, v22
	v_add_co_u32 v16, s0, s2, v43
	v_lshl_add_u32 v97, v19, 2, 0x8200
	v_add_co_ci_u32_e64 v17, null, s3, 0, s0
	s_movk_i32 s0, 0x2080
	v_lshlrev_b32_e32 v65, 4, v71
	v_mul_lo_u32 v102, s14, v32
	v_mov_b32_e32 v32, 0
	v_lshlrev_b32_e32 v94, 5, v57
	v_mul_lo_u32 v82, v34, s4
	v_lshlrev_b32_e32 v34, 4, v34
	v_mul_lo_u32 v98, s14, v24
	v_mul_lo_u32 v100, s14, v26
	v_or_b32_e32 v19, v94, v27
	v_lshl_add_u32 v109, v23, 2, 0x8200
	v_lshlrev_b32_e32 v23, 2, v38
	v_and_b32_e32 v25, 60, v107
	v_and_b32_e32 v26, 60, v108
	v_lshl_add_u32 v101, v19, 2, 0x8200
	v_add_nc_u32_e32 v19, 32, v29
	v_lshrrev_b32_e32 v27, 3, v29
	v_mad_u32_u24 v116, 0x104, v29, s0
	s_movk_i32 s0, 0x4100
	v_mul_lo_u32 v81, v71, s4
	v_lshrrev_b32_e32 v106, 3, v19
	v_mul_lo_u32 v86, s14, v61
	v_mul_lo_u32 v105, s14, v66
	v_mad_u32_u24 v118, 0x104, v29, s0
	s_movk_i32 s0, 0x6180
	v_and_b32_e32 v24, 60, v106
	v_add3_u32 v110, v23, v39, 0xae40
	v_add3_u32 v112, v39, v25, 0xae40
	;; [unrolled: 1-line block ×3, first 2 shown]
	v_lshlrev_b32_e32 v115, 4, v19
	v_add3_u32 v111, v39, v24, 0xae40
	v_lshlrev_b32_e32 v117, 4, v20
	v_lshlrev_b32_e32 v119, 4, v22
	v_mad_u32_u24 v120, 0x104, v29, s0
	v_add_nc_u32_e32 v123, v35, v65
	v_add_nc_u32_e32 v124, v37, v34
	v_lshlrev_b32_e32 v125, 2, v27
	v_mov_b32_e32 v37, 0
	v_dual_mov_b32 v33, 0 :: v_dual_mov_b32 v26, 0
	v_mov_b32_e32 v22, 0
	v_or_b32_e32 v44, 1, v41
	v_dual_mov_b32 v66, 0 :: v_dual_mov_b32 v49, 0
	v_mov_b32_e32 v25, 0
	v_mov_b32_e32 v73, 0
	;; [unrolled: 1-line block ×4, first 2 shown]
	v_dual_mov_b32 v35, 0 :: v_dual_mov_b32 v30, 0
	v_mov_b32_e32 v24, 0
	v_dual_mov_b32 v20, 0 :: v_dual_mov_b32 v71, 0
	v_dual_mov_b32 v64, 0 :: v_dual_mov_b32 v57, 0
	;; [unrolled: 1-line block ×3, first 2 shown]
	v_mov_b32_e32 v23, 0
	v_mov_b32_e32 v19, 0
.LBB134_5:                              ; =>This Loop Header: Depth=1
                                        ;     Child Loop BB134_6 Depth 2
                                        ;       Child Loop BB134_7 Depth 3
	s_mul_i32 s0, s5, 0xb0
	s_mul_hi_u32 s1, s5, 0xb0
	s_add_u32 s0, s7, s0
	s_addc_u32 s1, s13, s1
	s_mov_b32 s14, 0
	v_mad_u64_u32 v[126:127], null, 0xb0, v38, s[0:1]
	s_delay_alu instid0(VALU_DEP_1) | instskip(SKIP_3) | instid1(VALU_DEP_4)
	v_mad_i64_i32 v[128:129], null, 0xb0, v45, v[126:127]
	v_mad_i64_i32 v[130:131], null, 0xb0, v48, v[126:127]
	v_mad_i64_i32 v[136:137], null, 0xb0, v50, v[126:127]
	v_mad_i64_i32 v[138:139], null, 0xb0, v51, v[126:127]
	v_add_co_u32 v132, vcc_lo, v128, v42
	v_add_co_ci_u32_e32 v133, vcc_lo, 0, v129, vcc_lo
	v_add_co_u32 v128, vcc_lo, v128, v43
	v_add_co_ci_u32_e32 v129, vcc_lo, 0, v129, vcc_lo
	;; [unrolled: 2-line block ×6, first 2 shown]
	v_mad_i64_i32 v[144:145], null, 0xb0, v52, v[126:127]
	v_add_co_u32 v142, vcc_lo, v138, v42
	v_add_co_ci_u32_e32 v143, vcc_lo, 0, v139, vcc_lo
	v_add_co_u32 v138, vcc_lo, v138, v43
	v_add_co_ci_u32_e32 v139, vcc_lo, 0, v139, vcc_lo
	s_clause 0x7
	global_load_b32 v146, v[132:133], off offset:48
	global_load_b32 v147, v[128:129], off offset:16
	;; [unrolled: 1-line block ×8, first 2 shown]
	v_mad_i64_i32 v[128:129], null, 0xb0, v54, v[126:127]
	v_add_co_u32 v130, vcc_lo, v144, v42
	v_add_co_ci_u32_e32 v131, vcc_lo, 0, v145, vcc_lo
	v_add_co_u32 v132, vcc_lo, v144, v43
	v_mad_i64_i32 v[136:137], null, 0xb0, v55, v[126:127]
	v_add_co_ci_u32_e32 v133, vcc_lo, 0, v145, vcc_lo
	v_add_co_u32 v134, vcc_lo, v128, v42
	v_add_co_ci_u32_e32 v135, vcc_lo, 0, v129, vcc_lo
	v_add_co_u32 v128, vcc_lo, v128, v43
	v_mad_i64_i32 v[138:139], null, 0xb0, v56, v[126:127]
	v_add_co_ci_u32_e32 v129, vcc_lo, 0, v129, vcc_lo
	v_add_co_u32 v140, vcc_lo, v136, v42
	v_add_co_ci_u32_e32 v141, vcc_lo, 0, v137, vcc_lo
	v_add_co_u32 v136, vcc_lo, v136, v43
	v_add_co_ci_u32_e32 v137, vcc_lo, 0, v137, vcc_lo
	v_mad_i64_i32 v[144:145], null, 0xb0, v58, v[126:127]
	v_add_co_u32 v142, vcc_lo, v138, v42
	v_add_co_ci_u32_e32 v143, vcc_lo, 0, v139, vcc_lo
	v_add_co_u32 v138, vcc_lo, v138, v43
	v_add_co_ci_u32_e32 v139, vcc_lo, 0, v139, vcc_lo
	s_clause 0x7
	global_load_b32 v154, v[130:131], off offset:48
	global_load_b32 v155, v[132:133], off offset:16
	;; [unrolled: 1-line block ×8, first 2 shown]
	v_mad_i64_i32 v[128:129], null, 0xb0, v59, v[126:127]
	v_add_co_u32 v130, vcc_lo, v144, v42
	v_add_co_ci_u32_e32 v131, vcc_lo, 0, v145, vcc_lo
	v_add_co_u32 v132, vcc_lo, v144, v43
	v_mad_i64_i32 v[136:137], null, 0xb0, v60, v[126:127]
	v_add_co_ci_u32_e32 v133, vcc_lo, 0, v145, vcc_lo
	v_add_co_u32 v134, vcc_lo, v128, v42
	v_add_co_ci_u32_e32 v135, vcc_lo, 0, v129, vcc_lo
	v_add_co_u32 v128, vcc_lo, v128, v43
	v_mad_i64_i32 v[138:139], null, 0xb0, v67, v[126:127]
	v_add_co_ci_u32_e32 v129, vcc_lo, 0, v129, vcc_lo
	v_add_co_u32 v140, vcc_lo, v136, v42
	v_add_co_ci_u32_e32 v141, vcc_lo, 0, v137, vcc_lo
	v_add_co_u32 v136, vcc_lo, v136, v43
	v_add_co_ci_u32_e32 v137, vcc_lo, 0, v137, vcc_lo
	v_mad_i64_i32 v[144:145], null, 0xb0, v69, v[126:127]
	v_add_co_u32 v142, vcc_lo, v138, v42
	v_add_co_ci_u32_e32 v143, vcc_lo, 0, v139, vcc_lo
	v_add_co_u32 v138, vcc_lo, v138, v43
	v_add_co_ci_u32_e32 v139, vcc_lo, 0, v139, vcc_lo
	s_clause 0x7
	global_load_b32 v162, v[130:131], off offset:48
	global_load_b32 v163, v[132:133], off offset:16
	;; [unrolled: 1-line block ×8, first 2 shown]
	v_mad_i64_i32 v[128:129], null, 0xb0, v72, v[126:127]
	v_add_co_u32 v130, vcc_lo, v144, v42
	v_add_co_ci_u32_e32 v131, vcc_lo, 0, v145, vcc_lo
	v_add_co_u32 v132, vcc_lo, v144, v43
	v_add_co_ci_u32_e32 v133, vcc_lo, 0, v145, vcc_lo
	;; [unrolled: 2-line block ×4, first 2 shown]
	s_clause 0x3
	global_load_b32 v139, v[130:131], off offset:48
	global_load_b32 v141, v[132:133], off offset:16
	;; [unrolled: 1-line block ×4, first 2 shown]
	v_mad_i64_i32 v[128:129], null, 0xb0, v74, v[126:127]
	v_mad_i64_i32 v[130:131], null, 0xb0, v75, v[126:127]
	;; [unrolled: 1-line block ×3, first 2 shown]
	s_delay_alu instid0(VALU_DEP_3) | instskip(NEXT) | instid1(VALU_DEP_4)
	v_add_co_u32 v126, vcc_lo, v128, v42
	v_add_co_ci_u32_e32 v127, vcc_lo, 0, v129, vcc_lo
	v_add_co_u32 v128, vcc_lo, v128, v43
	v_add_co_ci_u32_e32 v129, vcc_lo, 0, v129, vcc_lo
	;; [unrolled: 2-line block ×4, first 2 shown]
	s_clause 0x3
	global_load_b32 v144, v[126:127], off offset:48
	global_load_b32 v145, v[128:129], off offset:16
	;; [unrolled: 1-line block ×4, first 2 shown]
	v_add_co_u32 v134, vcc_lo, v134, 4
	v_mad_i64_i32 v[126:127], null, 0xb0, v82, s[0:1]
	v_add_co_ci_u32_e32 v135, vcc_lo, 0, v135, vcc_lo
	s_delay_alu instid0(VALU_DEP_3) | instskip(SKIP_1) | instid1(VALU_DEP_3)
	v_add_co_u32 v130, vcc_lo, v134, v121
	v_mad_i64_i32 v[128:129], null, 0xb0, v77, s[0:1]
	v_add_co_ci_u32_e32 v131, vcc_lo, 0, v135, vcc_lo
	v_add_co_u32 v166, vcc_lo, v126, 4
	v_add_co_ci_u32_e32 v167, vcc_lo, 0, v127, vcc_lo
	global_load_b32 v168, v[130:131], off
	v_add_co_u32 v126, vcc_lo, v166, v121
	v_add_co_ci_u32_e32 v127, vcc_lo, 0, v167, vcc_lo
	v_add_co_u32 v130, vcc_lo, v134, v122
	v_add_co_ci_u32_e32 v131, vcc_lo, 0, v135, vcc_lo
	global_load_b32 v134, v[126:127], off
	v_add_co_u32 v126, vcc_lo, v166, v122
	v_add_co_ci_u32_e32 v127, vcc_lo, 0, v167, vcc_lo
	s_clause 0x2
	global_load_b32 v130, v[130:131], off
	global_load_b32 v126, v[126:127], off
	;; [unrolled: 1-line block ×3, first 2 shown]
	s_lshl_b32 s0, s5, 3
	s_mov_b32 s1, -1
	s_waitcnt vmcnt(36)
	v_lshrrev_b32_e32 v129, 4, v146
	s_waitcnt vmcnt(35)
	v_ashrrev_i32_e32 v131, v41, v147
	v_ashrrev_i32_e32 v135, v44, v147
	v_and_b32_e32 v128, 0xf0f0f0f, v146
	s_waitcnt vmcnt(34)
	v_and_b32_e32 v146, 0xf0f0f0f, v148
	v_lshrrev_b32_e32 v147, 4, v148
	s_waitcnt vmcnt(33)
	v_ashrrev_i32_e32 v148, v41, v149
	v_ashrrev_i32_e32 v149, v44, v149
	s_waitcnt vmcnt(32)
	v_and_b32_e32 v166, 0xf0f0f0f, v150
	v_lshrrev_b32_e32 v150, 4, v150
	s_waitcnt vmcnt(31)
	v_ashrrev_i32_e32 v167, v41, v151
	v_ashrrev_i32_e32 v151, v44, v151
	;; [unrolled: 6-line block ×3, first 2 shown]
	v_and_b32_e32 v129, 0xf0f0f0f, v129
	v_lshlrev_b32_e32 v131, 4, v131
	v_lshlrev_b32_e32 v135, 4, v135
	v_and_b32_e32 v147, 0xf0f0f0f, v147
	v_lshlrev_b32_e32 v148, 4, v148
	v_lshlrev_b32_e32 v149, 4, v149
	;; [unrolled: 3-line block ×4, first 2 shown]
	v_and_or_b32 v128, 0x10101010, v131, v128
	v_and_or_b32 v129, 0x10101010, v135, v129
	;; [unrolled: 1-line block ×8, first 2 shown]
	s_waitcnt vmcnt(28)
	v_and_b32_e32 v171, 0xf0f0f0f, v154
	v_lshrrev_b32_e32 v154, 4, v154
	s_waitcnt vmcnt(27)
	v_ashrrev_i32_e32 v172, v41, v155
	v_ashrrev_i32_e32 v155, v44, v155
	s_waitcnt vmcnt(26)
	v_and_b32_e32 v173, 0xf0f0f0f, v156
	v_lshrrev_b32_e32 v156, 4, v156
	s_waitcnt vmcnt(25)
	v_ashrrev_i32_e32 v174, v41, v157
	v_ashrrev_i32_e32 v157, v44, v157
	;; [unrolled: 6-line block ×4, first 2 shown]
	v_and_b32_e32 v154, 0xf0f0f0f, v154
	v_lshlrev_b32_e32 v172, 4, v172
	v_lshlrev_b32_e32 v155, 4, v155
	v_and_b32_e32 v156, 0xf0f0f0f, v156
	v_lshlrev_b32_e32 v174, 4, v174
	v_lshlrev_b32_e32 v157, 4, v157
	v_and_b32_e32 v158, 0xf0f0f0f, v158
	v_lshlrev_b32_e32 v176, 4, v176
	v_lshlrev_b32_e32 v159, 4, v159
	v_and_b32_e32 v160, 0xf0f0f0f, v160
	v_lshlrev_b32_e32 v178, 4, v178
	v_lshlrev_b32_e32 v161, 4, v161
	v_and_or_b32 v150, 0x10101010, v172, v171
	v_and_or_b32 v151, 0x10101010, v155, v154
	;; [unrolled: 1-line block ×8, first 2 shown]
	s_waitcnt vmcnt(20)
	v_and_b32_e32 v179, 0xf0f0f0f, v162
	v_lshrrev_b32_e32 v162, 4, v162
	s_waitcnt vmcnt(19)
	v_ashrrev_i32_e32 v180, v41, v163
	v_ashrrev_i32_e32 v163, v44, v163
	s_waitcnt vmcnt(18)
	v_and_b32_e32 v181, 0xf0f0f0f, v164
	v_lshrrev_b32_e32 v164, 4, v164
	s_waitcnt vmcnt(17)
	v_ashrrev_i32_e32 v182, v41, v165
	v_ashrrev_i32_e32 v165, v44, v165
	;; [unrolled: 6-line block ×4, first 2 shown]
	v_and_b32_e32 v162, 0xf0f0f0f, v162
	v_lshlrev_b32_e32 v180, 4, v180
	v_lshlrev_b32_e32 v163, 4, v163
	v_and_b32_e32 v164, 0xf0f0f0f, v164
	v_lshlrev_b32_e32 v182, 4, v182
	v_lshlrev_b32_e32 v165, 4, v165
	v_and_b32_e32 v140, 0xf0f0f0f, v140
	s_waitcnt vmcnt(12)
	v_and_b32_e32 v187, 0xf0f0f0f, v139
	v_lshrrev_b32_e32 v139, 4, v139
	s_waitcnt vmcnt(11)
	v_ashrrev_i32_e32 v188, v41, v141
	v_ashrrev_i32_e32 v141, v44, v141
	s_waitcnt vmcnt(10)
	v_lshrrev_b32_e32 v189, 4, v142
	s_waitcnt vmcnt(9)
	v_ashrrev_i32_e32 v190, v41, v143
	v_ashrrev_i32_e32 v143, v44, v143
	v_lshlrev_b32_e32 v184, 4, v184
	v_lshlrev_b32_e32 v136, 4, v136
	v_and_b32_e32 v137, 0xf0f0f0f, v137
	v_lshlrev_b32_e32 v186, 4, v186
	v_lshlrev_b32_e32 v138, 4, v138
	v_and_b32_e32 v139, 0xf0f0f0f, v139
	v_lshlrev_b32_e32 v188, 4, v188
	v_lshlrev_b32_e32 v141, 4, v141
	v_and_or_b32 v158, 0x10101010, v180, v179
	v_and_or_b32 v159, 0x10101010, v163, v162
	;; [unrolled: 1-line block ×6, first 2 shown]
	ds_store_2addr_b32 v0, v128, v129 offset1:8
	ds_store_2addr_b32 v1, v131, v135 offset1:8
	;; [unrolled: 1-line block ×10, first 2 shown]
	v_and_b32_e32 v128, 0xf0f0f0f, v142
	v_and_b32_e32 v129, 0xf0f0f0f, v189
	v_lshlrev_b32_e32 v131, 4, v190
	v_lshlrev_b32_e32 v135, 4, v143
	v_and_or_b32 v140, 0x10101010, v186, v185
	v_and_or_b32 v137, 0x10101010, v138, v137
	;; [unrolled: 1-line block ×4, first 2 shown]
	ds_store_2addr_b32 v10, v162, v136 offset1:8
	ds_store_2addr_b32 v11, v140, v137 offset1:8
	v_and_or_b32 v128, 0x10101010, v131, v128
	v_and_or_b32 v129, 0x10101010, v135, v129
	s_waitcnt vmcnt(8)
	v_lshrrev_b32_e32 v131, 4, v144
	s_waitcnt vmcnt(7)
	v_ashrrev_i32_e32 v135, v41, v145
	v_ashrrev_i32_e32 v136, v44, v145
	ds_store_2addr_b32 v12, v138, v139 offset1:8
	ds_store_2addr_b32 v13, v128, v129 offset1:8
	v_and_b32_e32 v128, 0xf0f0f0f, v144
	v_and_b32_e32 v129, 0xf0f0f0f, v131
	v_lshlrev_b32_e32 v131, 4, v135
	v_lshlrev_b32_e32 v135, 4, v136
	s_waitcnt vmcnt(5)
	v_ashrrev_i32_e32 v136, v41, v133
	v_lshrrev_b32_e32 v137, 4, v132
	v_ashrrev_i32_e32 v133, v44, v133
	v_and_or_b32 v128, 0x10101010, v131, v128
	v_and_b32_e32 v131, 0xf0f0f0f, v132
	v_lshlrev_b32_e32 v132, 4, v136
	v_and_b32_e32 v136, 0xf0f0f0f, v137
	v_lshlrev_b32_e32 v133, 4, v133
	s_waitcnt vmcnt(4)
	v_ashrrev_i32_e32 v137, v79, v168
	v_and_or_b32 v129, 0x10101010, v135, v129
	v_and_or_b32 v131, 0x10101010, v132, v131
	s_waitcnt vmcnt(3)
	v_ashrrev_i32_e32 v132, v79, v134
	v_and_or_b32 v133, 0x10101010, v133, v136
	v_and_b32_e32 v134, 0xf0f0f0f, v137
	ds_store_2addr_b32 v14, v128, v129 offset1:8
	s_waitcnt vmcnt(2)
	v_ashrrev_i32_e32 v130, v80, v130
	v_and_b32_e32 v128, 0xf0f0f0f, v132
	s_waitcnt vmcnt(1)
	v_ashrrev_i32_e32 v126, v80, v126
	ds_store_2addr_b32 v15, v131, v133 offset1:8
	s_waitcnt vmcnt(0)
	ds_store_b32 v78, v127
	v_and_or_b32 v129, 0x30303030, v130, v134
	v_and_or_b32 v127, 0x30303030, v126, v128
	v_add_nc_u32_e32 v126, s0, v18
	ds_store_b32 v123, v129
	ds_store_b32 v124, v127
.LBB134_6:                              ;   Parent Loop BB134_5 Depth=1
                                        ; =>  This Loop Header: Depth=2
                                        ;       Child Loop BB134_7 Depth 3
	v_lshl_add_u32 v127, s14, 5, v29
	v_lshl_add_u32 v145, s14, 2, v126
	s_lshl_b32 s14, s14, 4
	s_xor_b32 s1, s1, -1
	s_add_i32 s15, s14, 16
	v_lshrrev_b32_e32 v127, 3, v127
	s_delay_alu instid0(VALU_DEP_1) | instskip(NEXT) | instid1(VALU_DEP_1)
	v_add_nc_u32_e32 v139, s0, v127
	v_add_nc_u32_e32 v129, v139, v86
	;; [unrolled: 1-line block ×7, first 2 shown]
	v_mad_i64_i32 v[127:128], null, v129, 36, v[16:17]
	v_add_nc_u32_e32 v141, v139, v102
	v_mad_i64_i32 v[129:130], null, v131, 36, v[16:17]
	v_mad_i64_i32 v[131:132], null, v133, 36, v[16:17]
	v_add_nc_u32_e32 v143, v139, v105
	v_mad_i64_i32 v[133:134], null, v135, 36, v[16:17]
	v_mad_i64_i32 v[135:136], null, v137, 36, v[16:17]
	;; [unrolled: 1-line block ×5, first 2 shown]
	v_mad_u64_u32 v[143:144], null, v145, 36, s[2:3]
	s_clause 0x8
	global_load_b32 v127, v[127:128], off offset:4
	global_load_b32 v128, v[129:130], off offset:4
	;; [unrolled: 1-line block ×8, first 2 shown]
	global_load_b32 v135, v[143:144], off
	s_waitcnt vmcnt(8)
	ds_store_b32 v87, v127
	s_waitcnt vmcnt(7)
	ds_store_b32 v90, v128
	;; [unrolled: 2-line block ×9, first 2 shown]
	s_waitcnt lgkmcnt(0)
	s_barrier
	buffer_gl0_inv
	ds_load_b32 v128, v110
	ds_load_b32 v129, v111 offset:128
	ds_load_b32 v130, v112 offset:256
	;; [unrolled: 1-line block ×3, first 2 shown]
	s_waitcnt lgkmcnt(3)
	v_lshrrev_b32_e32 v132, 16, v128
	s_waitcnt lgkmcnt(2)
	v_lshrrev_b32_e32 v133, 16, v129
	;; [unrolled: 2-line block ×4, first 2 shown]
	v_cvt_f32_f16_e64 v127, v128
	v_cvt_f32_f16_e64 v128, v129
	;; [unrolled: 1-line block ×8, first 2 shown]
.LBB134_7:                              ;   Parent Loop BB134_5 Depth=1
                                        ;     Parent Loop BB134_6 Depth=2
                                        ; =>    This Inner Loop Header: Depth=3
	s_lshl_b32 s17, s14, 1
	s_lshl_b32 s16, s14, 3
	s_and_b32 s17, s17, 16
	v_add_nc_u32_e32 v143, s16, v114
	v_or_b32_e32 v142, s17, v68
	v_add_nc_u32_e32 v145, s16, v116
	v_add_nc_u32_e32 v146, s16, v118
	;; [unrolled: 1-line block ×3, first 2 shown]
	s_lshr_b32 s16, s14, 2
	v_lshlrev_b32_e32 v144, 2, v142
	s_and_b32 s16, s16, 0x3ffffffe
	v_lshrrev_b32_e32 v142, 1, v142
	s_add_i32 s16, s16, 0xa200
	ds_load_2addr_b32 v[183:184], v143 offset1:1
	ds_load_b128 v[135:138], v144 offset:33280
	ds_load_2addr_b32 v[185:186], v145 offset1:1
	ds_load_2addr_b32 v[193:194], v145 offset0:2 offset1:3
	ds_load_2addr_b32 v[187:188], v146 offset1:1
	ds_load_2addr_b32 v[189:190], v147 offset1:1
	ds_load_2addr_b32 v[197:198], v147 offset0:2 offset1:3
	ds_load_2addr_b32 v[191:192], v143 offset0:2 offset1:3
	;; [unrolled: 1-line block ×3, first 2 shown]
	s_add_i32 s14, s14, 8
	s_delay_alu instid0(SALU_CYCLE_1)
	s_cmp_lt_u32 s14, s15
	s_waitcnt lgkmcnt(7)
	v_dot4_i32_iu8 v139, v183, v135, 0 neg_lo:[1,1,0]
	s_waitcnt lgkmcnt(6)
	v_dot4_i32_iu8 v140, v185, v135, 0 neg_lo:[1,1,0]
	;; [unrolled: 2-line block ×4, first 2 shown]
	v_dot4_i32_iu8 v139, v184, v136, v139 neg_lo:[1,1,0]
	v_dot4_i32_iu8 v140, v186, v136, v140 neg_lo:[1,1,0]
	;; [unrolled: 1-line block ×3, first 2 shown]
	s_delay_alu instid0(VALU_DEP_4)
	v_dot4_i32_iu8 v135, v190, v136, v135 neg_lo:[1,1,0]
	s_waitcnt lgkmcnt(1)
	v_dot4_i32_iu8 v136, v191, v137, v139 neg_lo:[1,1,0]
	v_dot4_i32_iu8 v139, v193, v137, v140 neg_lo:[1,1,0]
	s_waitcnt lgkmcnt(0)
	v_dot4_i32_iu8 v140, v195, v137, v141 neg_lo:[1,1,0]
	v_or_b32_e32 v141, s17, v83
	v_dot4_i32_iu8 v135, v197, v137, v135 neg_lo:[1,1,0]
	v_dot4_i32_iu8 v230, v192, v138, v136 neg_lo:[1,1,0]
	;; [unrolled: 1-line block ×4, first 2 shown]
	v_lshlrev_b32_e32 v148, 2, v141
	v_dot4_i32_iu8 v236, v198, v138, v135 neg_lo:[1,1,0]
	v_lshrrev_b32_e32 v141, 1, v141
	ds_load_b128 v[135:138], v148 offset:33280
	s_waitcnt lgkmcnt(0)
	v_dot4_i32_iu8 v139, v135, v183, 0 neg_lo:[1,1,0]
	v_dot4_i32_iu8 v140, v135, v185, 0 neg_lo:[1,1,0]
	;; [unrolled: 1-line block ×4, first 2 shown]
	s_delay_alu instid0(VALU_DEP_4) | instskip(NEXT) | instid1(VALU_DEP_4)
	v_dot4_i32_iu8 v139, v136, v184, v139 neg_lo:[1,1,0]
	v_dot4_i32_iu8 v140, v136, v186, v140 neg_lo:[1,1,0]
	s_delay_alu instid0(VALU_DEP_4) | instskip(NEXT) | instid1(VALU_DEP_4)
	v_dot4_i32_iu8 v149, v136, v188, v149 neg_lo:[1,1,0]
	v_dot4_i32_iu8 v135, v136, v190, v135 neg_lo:[1,1,0]
	s_delay_alu instid0(VALU_DEP_4) | instskip(NEXT) | instid1(VALU_DEP_4)
	v_dot4_i32_iu8 v136, v137, v191, v139 neg_lo:[1,1,0]
	v_dot4_i32_iu8 v139, v137, v193, v140 neg_lo:[1,1,0]
	s_delay_alu instid0(VALU_DEP_4) | instskip(NEXT) | instid1(VALU_DEP_4)
	v_dot4_i32_iu8 v140, v137, v195, v149 neg_lo:[1,1,0]
	v_dot4_i32_iu8 v135, v137, v197, v135 neg_lo:[1,1,0]
	s_delay_alu instid0(VALU_DEP_4) | instskip(NEXT) | instid1(VALU_DEP_4)
	v_dot4_i32_iu8 v244, v138, v192, v136 neg_lo:[1,1,0]
	v_dot4_i32_iu8 v245, v138, v194, v139 neg_lo:[1,1,0]
	s_delay_alu instid0(VALU_DEP_4) | instskip(SKIP_2) | instid1(VALU_DEP_2)
	v_dot4_i32_iu8 v246, v138, v196, v140 neg_lo:[1,1,0]
	v_or_b32_e32 v140, s17, v85
	v_dot4_i32_iu8 v247, v138, v198, v135 neg_lo:[1,1,0]
	v_lshlrev_b32_e32 v149, 2, v140
	v_lshrrev_b32_e32 v140, 1, v140
	ds_load_b128 v[135:138], v149 offset:33280
	s_waitcnt lgkmcnt(0)
	v_dot4_i32_iu8 v139, v135, v183, 0 neg_lo:[1,1,0]
	v_dot4_i32_iu8 v150, v135, v185, 0 neg_lo:[1,1,0]
	;; [unrolled: 1-line block ×4, first 2 shown]
	s_delay_alu instid0(VALU_DEP_4) | instskip(NEXT) | instid1(VALU_DEP_4)
	v_dot4_i32_iu8 v139, v136, v184, v139 neg_lo:[1,1,0]
	v_dot4_i32_iu8 v150, v136, v186, v150 neg_lo:[1,1,0]
	s_delay_alu instid0(VALU_DEP_4) | instskip(NEXT) | instid1(VALU_DEP_4)
	v_dot4_i32_iu8 v151, v136, v188, v151 neg_lo:[1,1,0]
	v_dot4_i32_iu8 v135, v136, v190, v135 neg_lo:[1,1,0]
	;; [unrolled: 3-line block ×5, first 2 shown]
	v_or_b32_e32 v139, s17, v89
	v_dot4_i32_iu8 v160, v138, v196, v150 neg_lo:[1,1,0]
	v_dot4_i32_iu8 v161, v138, v198, v135 neg_lo:[1,1,0]
	s_delay_alu instid0(VALU_DEP_3)
	v_lshlrev_b32_e32 v150, 2, v139
	v_lshrrev_b32_e32 v139, 1, v139
	ds_load_b128 v[135:138], v150 offset:33280
	s_waitcnt lgkmcnt(0)
	v_dot4_i32_iu8 v151, v135, v183, 0 neg_lo:[1,1,0]
	v_dot4_i32_iu8 v152, v135, v185, 0 neg_lo:[1,1,0]
	;; [unrolled: 1-line block ×4, first 2 shown]
	s_delay_alu instid0(VALU_DEP_4) | instskip(NEXT) | instid1(VALU_DEP_4)
	v_dot4_i32_iu8 v151, v136, v184, v151 neg_lo:[1,1,0]
	v_dot4_i32_iu8 v152, v136, v186, v152 neg_lo:[1,1,0]
	s_delay_alu instid0(VALU_DEP_4) | instskip(NEXT) | instid1(VALU_DEP_4)
	v_dot4_i32_iu8 v153, v136, v188, v153 neg_lo:[1,1,0]
	v_dot4_i32_iu8 v135, v136, v190, v135 neg_lo:[1,1,0]
	;; [unrolled: 3-line block ×6, first 2 shown]
	v_or_b32_e32 v138, s17, v92
	s_delay_alu instid0(VALU_DEP_1)
	v_lshlrev_b32_e32 v151, 2, v138
	v_lshrrev_b32_e32 v138, 1, v138
	ds_load_b128 v[152:155], v151 offset:33280
	s_waitcnt lgkmcnt(0)
	v_dot4_i32_iu8 v137, v152, v187, 0 neg_lo:[1,1,0]
	v_dot4_i32_iu8 v135, v152, v183, 0 neg_lo:[1,1,0]
	v_dot4_i32_iu8 v136, v152, v185, 0 neg_lo:[1,1,0]
	v_dot4_i32_iu8 v152, v152, v189, 0 neg_lo:[1,1,0]
	s_delay_alu instid0(VALU_DEP_4) | instskip(NEXT) | instid1(VALU_DEP_4)
	v_dot4_i32_iu8 v137, v153, v188, v137 neg_lo:[1,1,0]
	v_dot4_i32_iu8 v135, v153, v184, v135 neg_lo:[1,1,0]
	s_delay_alu instid0(VALU_DEP_4) | instskip(NEXT) | instid1(VALU_DEP_4)
	v_dot4_i32_iu8 v136, v153, v186, v136 neg_lo:[1,1,0]
	v_dot4_i32_iu8 v152, v153, v190, v152 neg_lo:[1,1,0]
	s_delay_alu instid0(VALU_DEP_4) | instskip(NEXT) | instid1(VALU_DEP_4)
	v_dot4_i32_iu8 v137, v154, v195, v137 neg_lo:[1,1,0]
	v_dot4_i32_iu8 v135, v154, v191, v135 neg_lo:[1,1,0]
	s_delay_alu instid0(VALU_DEP_4) | instskip(NEXT) | instid1(VALU_DEP_4)
	v_dot4_i32_iu8 v136, v154, v193, v136 neg_lo:[1,1,0]
	v_dot4_i32_iu8 v152, v154, v197, v152 neg_lo:[1,1,0]
	s_delay_alu instid0(VALU_DEP_4) | instskip(SKIP_2) | instid1(VALU_DEP_4)
	v_dot4_i32_iu8 v168, v155, v196, v137 neg_lo:[1,1,0]
	v_or_b32_e32 v137, s17, v94
	v_dot4_i32_iu8 v166, v155, v192, v135 neg_lo:[1,1,0]
	v_dot4_i32_iu8 v169, v155, v198, v152 neg_lo:[1,1,0]
	v_dot4_i32_iu8 v167, v155, v194, v136 neg_lo:[1,1,0]
	s_delay_alu instid0(VALU_DEP_4)
	v_lshlrev_b32_e32 v152, 2, v137
	v_lshrrev_b32_e32 v137, 1, v137
	ds_load_b128 v[153:156], v152 offset:33280
	s_waitcnt lgkmcnt(0)
	v_dot4_i32_iu8 v136, v153, v185, 0 neg_lo:[1,1,0]
	v_dot4_i32_iu8 v135, v153, v183, 0 neg_lo:[1,1,0]
	v_dot4_i32_iu8 v157, v153, v187, 0 neg_lo:[1,1,0]
	v_dot4_i32_iu8 v153, v153, v189, 0 neg_lo:[1,1,0]
	s_delay_alu instid0(VALU_DEP_4) | instskip(NEXT) | instid1(VALU_DEP_4)
	v_dot4_i32_iu8 v136, v154, v186, v136 neg_lo:[1,1,0]
	v_dot4_i32_iu8 v135, v154, v184, v135 neg_lo:[1,1,0]
	s_delay_alu instid0(VALU_DEP_4) | instskip(NEXT) | instid1(VALU_DEP_4)
	v_dot4_i32_iu8 v157, v154, v188, v157 neg_lo:[1,1,0]
	v_dot4_i32_iu8 v153, v154, v190, v153 neg_lo:[1,1,0]
	s_delay_alu instid0(VALU_DEP_4) | instskip(NEXT) | instid1(VALU_DEP_4)
	v_dot4_i32_iu8 v136, v155, v193, v136 neg_lo:[1,1,0]
	v_dot4_i32_iu8 v135, v155, v191, v135 neg_lo:[1,1,0]
	s_delay_alu instid0(VALU_DEP_4) | instskip(NEXT) | instid1(VALU_DEP_4)
	v_dot4_i32_iu8 v154, v155, v195, v157 neg_lo:[1,1,0]
	v_dot4_i32_iu8 v153, v155, v197, v153 neg_lo:[1,1,0]
	s_delay_alu instid0(VALU_DEP_4) | instskip(SKIP_2) | instid1(VALU_DEP_4)
	v_dot4_i32_iu8 v171, v156, v194, v136 neg_lo:[1,1,0]
	v_or_b32_e32 v136, s17, v96
	v_dot4_i32_iu8 v170, v156, v192, v135 neg_lo:[1,1,0]
	v_dot4_i32_iu8 v173, v156, v198, v153 neg_lo:[1,1,0]
	v_dot4_i32_iu8 v172, v156, v196, v154 neg_lo:[1,1,0]
	s_delay_alu instid0(VALU_DEP_4)
	;; [unrolled: 27-line block ×3, first 2 shown]
	v_lshlrev_b32_e32 v154, 2, v135
	v_lshrrev_b32_e32 v135, 1, v135
	ds_load_b128 v[179:182], v154 offset:33280
	s_waitcnt lgkmcnt(0)
	v_dot4_i32_iu8 v155, v179, v183, 0 neg_lo:[1,1,0]
	v_dot4_i32_iu8 v156, v179, v185, 0 neg_lo:[1,1,0]
	;; [unrolled: 1-line block ×4, first 2 shown]
	s_delay_alu instid0(VALU_DEP_4) | instskip(NEXT) | instid1(VALU_DEP_4)
	v_dot4_i32_iu8 v155, v180, v184, v155 neg_lo:[1,1,0]
	v_dot4_i32_iu8 v156, v180, v186, v156 neg_lo:[1,1,0]
	s_delay_alu instid0(VALU_DEP_4) | instskip(NEXT) | instid1(VALU_DEP_4)
	v_dot4_i32_iu8 v157, v180, v188, v157 neg_lo:[1,1,0]
	v_dot4_i32_iu8 v183, v180, v190, v178 neg_lo:[1,1,0]
	s_delay_alu instid0(VALU_DEP_4) | instskip(NEXT) | instid1(VALU_DEP_1)
	v_dot4_i32_iu8 v155, v181, v191, v155 neg_lo:[1,1,0]
	v_dot4_i32_iu8 v178, v182, v192, v155 neg_lo:[1,1,0]
	;; [unrolled: 1-line block ×3, first 2 shown]
	s_delay_alu instid0(VALU_DEP_1) | instskip(SKIP_1) | instid1(VALU_DEP_1)
	v_dot4_i32_iu8 v179, v182, v194, v155 neg_lo:[1,1,0]
	v_dot4_i32_iu8 v155, v181, v195, v157 neg_lo:[1,1,0]
	;; [unrolled: 1-line block ×4, first 2 shown]
	s_delay_alu instid0(VALU_DEP_1)
	v_dot4_i32_iu8 v181, v182, v198, v155 neg_lo:[1,1,0]
	ds_load_2addr_b32 v[155:156], v143 offset0:8 offset1:9
	ds_load_b128 v[182:185], v144 offset:33312
	ds_load_2addr_b32 v[215:216], v145 offset0:8 offset1:9
	ds_load_2addr_b32 v[223:224], v145 offset0:10 offset1:11
	;; [unrolled: 1-line block ×7, first 2 shown]
	s_waitcnt lgkmcnt(7)
	v_dot4_i32_iu8 v157, v155, v182, 0 neg_lo:[1,1,0]
	s_waitcnt lgkmcnt(6)
	v_dot4_i32_iu8 v186, v215, v182, 0 neg_lo:[1,1,0]
	;; [unrolled: 2-line block ×4, first 2 shown]
	v_dot4_i32_iu8 v157, v156, v183, v157 neg_lo:[1,1,0]
	v_dot4_i32_iu8 v186, v216, v183, v186 neg_lo:[1,1,0]
	v_dot4_i32_iu8 v187, v218, v183, v187 neg_lo:[1,1,0]
	s_delay_alu instid0(VALU_DEP_4)
	v_dot4_i32_iu8 v182, v220, v183, v182 neg_lo:[1,1,0]
	s_waitcnt lgkmcnt(1)
	v_dot4_i32_iu8 v157, v221, v184, v157 neg_lo:[1,1,0]
	v_dot4_i32_iu8 v183, v223, v184, v186 neg_lo:[1,1,0]
	s_waitcnt lgkmcnt(0)
	v_dot4_i32_iu8 v186, v225, v184, v187 neg_lo:[1,1,0]
	v_dot4_i32_iu8 v182, v227, v184, v182 neg_lo:[1,1,0]
	;; [unrolled: 1-line block ×4, first 2 shown]
	s_delay_alu instid0(VALU_DEP_4) | instskip(NEXT) | instid1(VALU_DEP_4)
	v_dot4_i32_iu8 v187, v226, v185, v186 neg_lo:[1,1,0]
	v_dot4_i32_iu8 v182, v228, v185, v182 neg_lo:[1,1,0]
	ds_load_b128 v[183:186], v148 offset:33312
	s_waitcnt lgkmcnt(0)
	v_dot4_i32_iu8 v157, v183, v155, 0 neg_lo:[1,1,0]
	v_dot4_i32_iu8 v190, v183, v215, 0 neg_lo:[1,1,0]
	v_dot4_i32_iu8 v191, v183, v217, 0 neg_lo:[1,1,0]
	v_dot4_i32_iu8 v183, v183, v219, 0 neg_lo:[1,1,0]
	s_delay_alu instid0(VALU_DEP_4) | instskip(NEXT) | instid1(VALU_DEP_4)
	v_dot4_i32_iu8 v157, v184, v156, v157 neg_lo:[1,1,0]
	v_dot4_i32_iu8 v190, v184, v216, v190 neg_lo:[1,1,0]
	s_delay_alu instid0(VALU_DEP_4) | instskip(NEXT) | instid1(VALU_DEP_4)
	v_dot4_i32_iu8 v191, v184, v218, v191 neg_lo:[1,1,0]
	v_dot4_i32_iu8 v183, v184, v220, v183 neg_lo:[1,1,0]
	s_delay_alu instid0(VALU_DEP_4) | instskip(NEXT) | instid1(VALU_DEP_4)
	v_dot4_i32_iu8 v157, v185, v221, v157 neg_lo:[1,1,0]
	v_dot4_i32_iu8 v184, v185, v223, v190 neg_lo:[1,1,0]
	s_delay_alu instid0(VALU_DEP_4) | instskip(NEXT) | instid1(VALU_DEP_4)
	v_dot4_i32_iu8 v190, v185, v225, v191 neg_lo:[1,1,0]
	v_dot4_i32_iu8 v191, v185, v227, v183 neg_lo:[1,1,0]
	s_delay_alu instid0(VALU_DEP_4) | instskip(NEXT) | instid1(VALU_DEP_4)
	v_dot4_i32_iu8 v183, v186, v222, v157 neg_lo:[1,1,0]
	v_dot4_i32_iu8 v184, v186, v224, v184 neg_lo:[1,1,0]
	s_delay_alu instid0(VALU_DEP_4) | instskip(NEXT) | instid1(VALU_DEP_4)
	v_dot4_i32_iu8 v185, v186, v226, v190 neg_lo:[1,1,0]
	v_dot4_i32_iu8 v186, v186, v228, v191 neg_lo:[1,1,0]
	ds_load_b128 v[190:193], v149 offset:33312
	s_waitcnt lgkmcnt(0)
	v_dot4_i32_iu8 v157, v190, v155, 0 neg_lo:[1,1,0]
	v_dot4_i32_iu8 v194, v190, v215, 0 neg_lo:[1,1,0]
	v_dot4_i32_iu8 v195, v190, v217, 0 neg_lo:[1,1,0]
	v_dot4_i32_iu8 v190, v190, v219, 0 neg_lo:[1,1,0]
	s_delay_alu instid0(VALU_DEP_4) | instskip(NEXT) | instid1(VALU_DEP_4)
	v_dot4_i32_iu8 v157, v191, v156, v157 neg_lo:[1,1,0]
	v_dot4_i32_iu8 v194, v191, v216, v194 neg_lo:[1,1,0]
	s_delay_alu instid0(VALU_DEP_4) | instskip(NEXT) | instid1(VALU_DEP_4)
	v_dot4_i32_iu8 v195, v191, v218, v195 neg_lo:[1,1,0]
	v_dot4_i32_iu8 v190, v191, v220, v190 neg_lo:[1,1,0]
	s_delay_alu instid0(VALU_DEP_4) | instskip(NEXT) | instid1(VALU_DEP_4)
	v_dot4_i32_iu8 v157, v192, v221, v157 neg_lo:[1,1,0]
	v_dot4_i32_iu8 v191, v192, v223, v194 neg_lo:[1,1,0]
	s_delay_alu instid0(VALU_DEP_4) | instskip(NEXT) | instid1(VALU_DEP_4)
	v_dot4_i32_iu8 v194, v192, v225, v195 neg_lo:[1,1,0]
	v_dot4_i32_iu8 v195, v192, v227, v190 neg_lo:[1,1,0]
	s_delay_alu instid0(VALU_DEP_4) | instskip(NEXT) | instid1(VALU_DEP_4)
	v_dot4_i32_iu8 v190, v193, v222, v157 neg_lo:[1,1,0]
	v_dot4_i32_iu8 v191, v193, v224, v191 neg_lo:[1,1,0]
	;; [unrolled: 24-line block ×6, first 2 shown]
	s_delay_alu instid0(VALU_DEP_4) | instskip(NEXT) | instid1(VALU_DEP_4)
	v_dot4_i32_iu8 v208, v209, v226, v210 neg_lo:[1,1,0]
	v_dot4_i32_iu8 v209, v209, v228, v211 neg_lo:[1,1,0]
	ds_load_b128 v[211:214], v154 offset:33312
	s_waitcnt lgkmcnt(0)
	v_dot4_i32_iu8 v155, v211, v155, 0 neg_lo:[1,1,0]
	v_dot4_i32_iu8 v157, v211, v217, 0 neg_lo:[1,1,0]
	;; [unrolled: 1-line block ×3, first 2 shown]
	s_delay_alu instid0(VALU_DEP_3) | instskip(SKIP_1) | instid1(VALU_DEP_4)
	v_dot4_i32_iu8 v155, v212, v156, v155 neg_lo:[1,1,0]
	v_dot4_i32_iu8 v156, v211, v215, 0 neg_lo:[1,1,0]
	;; [unrolled: 1-line block ×3, first 2 shown]
	s_delay_alu instid0(VALU_DEP_4) | instskip(NEXT) | instid1(VALU_DEP_4)
	v_dot4_i32_iu8 v215, v212, v220, v210 neg_lo:[1,1,0]
	v_dot4_i32_iu8 v155, v213, v221, v155 neg_lo:[1,1,0]
	s_delay_alu instid0(VALU_DEP_4) | instskip(NEXT) | instid1(VALU_DEP_2)
	v_dot4_i32_iu8 v156, v212, v216, v156 neg_lo:[1,1,0]
	v_dot4_i32_iu8 v210, v214, v222, v155 neg_lo:[1,1,0]
	s_delay_alu instid0(VALU_DEP_2) | instskip(NEXT) | instid1(VALU_DEP_1)
	v_dot4_i32_iu8 v155, v213, v223, v156 neg_lo:[1,1,0]
	v_dot4_i32_iu8 v211, v214, v224, v155 neg_lo:[1,1,0]
	;; [unrolled: 1-line block ×3, first 2 shown]
	s_delay_alu instid0(VALU_DEP_1) | instskip(SKIP_1) | instid1(VALU_DEP_1)
	v_dot4_i32_iu8 v212, v214, v226, v155 neg_lo:[1,1,0]
	v_dot4_i32_iu8 v155, v213, v227, v215 neg_lo:[1,1,0]
	;; [unrolled: 1-line block ×3, first 2 shown]
	ds_load_2addr_b32 v[228:229], v143 offset0:4 offset1:5
	ds_load_b128 v[214:217], v144 offset:33296
	ds_load_2addr_b32 v[240:241], v146 offset0:6 offset1:7
	ds_load_2addr_b32 v[238:239], v145 offset0:6 offset1:7
	;; [unrolled: 1-line block ×3, first 2 shown]
	s_waitcnt lgkmcnt(3)
	v_dot4_i32_iu8 v155, v228, v214, v230 neg_lo:[1,1,0]
	ds_load_2addr_b32 v[230:231], v145 offset0:4 offset1:5
	v_dot4_i32_iu8 v155, v229, v215, v155 neg_lo:[1,1,0]
	s_waitcnt lgkmcnt(0)
	v_dot4_i32_iu8 v156, v230, v214, v232 neg_lo:[1,1,0]
	ds_load_2addr_b32 v[232:233], v146 offset0:4 offset1:5
	v_dot4_i32_iu8 v156, v231, v215, v156 neg_lo:[1,1,0]
	s_delay_alu instid0(VALU_DEP_1)
	v_dot4_i32_iu8 v156, v238, v216, v156 neg_lo:[1,1,0]
	s_waitcnt lgkmcnt(0)
	v_dot4_i32_iu8 v157, v232, v214, v234 neg_lo:[1,1,0]
	ds_load_2addr_b32 v[234:235], v147 offset0:4 offset1:5
	v_dot4_i32_iu8 v157, v233, v215, v157 neg_lo:[1,1,0]
	s_waitcnt lgkmcnt(0)
	v_dot4_i32_iu8 v214, v234, v214, v236 neg_lo:[1,1,0]
	ds_load_2addr_b32 v[236:237], v143 offset0:6 offset1:7
	v_dot4_i32_iu8 v214, v235, v215, v214 neg_lo:[1,1,0]
	v_dot4_i32_iu8 v215, v240, v216, v157 neg_lo:[1,1,0]
	;; [unrolled: 1-line block ×3, first 2 shown]
	s_delay_alu instid0(VALU_DEP_2) | instskip(SKIP_3) | instid1(VALU_DEP_2)
	v_dot4_i32_iu8 v156, v241, v217, v215 neg_lo:[1,1,0]
	s_waitcnt lgkmcnt(0)
	v_dot4_i32_iu8 v155, v236, v216, v155 neg_lo:[1,1,0]
	v_dot4_i32_iu8 v216, v242, v216, v214 neg_lo:[1,1,0]
	;; [unrolled: 1-line block ×3, first 2 shown]
	s_delay_alu instid0(VALU_DEP_2)
	v_dot4_i32_iu8 v155, v243, v217, v216 neg_lo:[1,1,0]
	ds_load_b128 v[215:218], v148 offset:33296
	s_waitcnt lgkmcnt(0)
	v_dot4_i32_iu8 v219, v215, v228, v244 neg_lo:[1,1,0]
	v_dot4_i32_iu8 v220, v215, v230, v245 neg_lo:[1,1,0]
	v_dot4_i32_iu8 v221, v215, v232, v246 neg_lo:[1,1,0]
	v_dot4_i32_iu8 v215, v215, v234, v247 neg_lo:[1,1,0]
	s_delay_alu instid0(VALU_DEP_4) | instskip(NEXT) | instid1(VALU_DEP_4)
	v_dot4_i32_iu8 v219, v216, v229, v219 neg_lo:[1,1,0]
	v_dot4_i32_iu8 v220, v216, v231, v220 neg_lo:[1,1,0]
	s_delay_alu instid0(VALU_DEP_4) | instskip(NEXT) | instid1(VALU_DEP_4)
	v_dot4_i32_iu8 v221, v216, v233, v221 neg_lo:[1,1,0]
	v_dot4_i32_iu8 v215, v216, v235, v215 neg_lo:[1,1,0]
	s_delay_alu instid0(VALU_DEP_4) | instskip(NEXT) | instid1(VALU_DEP_4)
	v_dot4_i32_iu8 v216, v217, v236, v219 neg_lo:[1,1,0]
	v_dot4_i32_iu8 v219, v217, v238, v220 neg_lo:[1,1,0]
	s_delay_alu instid0(VALU_DEP_4) | instskip(NEXT) | instid1(VALU_DEP_4)
	v_dot4_i32_iu8 v220, v217, v240, v221 neg_lo:[1,1,0]
	v_dot4_i32_iu8 v215, v217, v242, v215 neg_lo:[1,1,0]
	s_delay_alu instid0(VALU_DEP_4) | instskip(NEXT) | instid1(VALU_DEP_4)
	v_dot4_i32_iu8 v244, v218, v237, v216 neg_lo:[1,1,0]
	v_dot4_i32_iu8 v245, v218, v239, v219 neg_lo:[1,1,0]
	s_delay_alu instid0(VALU_DEP_4) | instskip(NEXT) | instid1(VALU_DEP_4)
	v_dot4_i32_iu8 v227, v218, v241, v220 neg_lo:[1,1,0]
	v_dot4_i32_iu8 v225, v218, v243, v215 neg_lo:[1,1,0]
	ds_load_b128 v[215:218], v149 offset:33296
	s_waitcnt lgkmcnt(0)
	v_dot4_i32_iu8 v158, v215, v228, v158 neg_lo:[1,1,0]
	v_dot4_i32_iu8 v159, v215, v230, v159 neg_lo:[1,1,0]
	v_dot4_i32_iu8 v160, v215, v232, v160 neg_lo:[1,1,0]
	v_dot4_i32_iu8 v161, v215, v234, v161 neg_lo:[1,1,0]
	s_delay_alu instid0(VALU_DEP_4) | instskip(NEXT) | instid1(VALU_DEP_4)
	v_dot4_i32_iu8 v158, v216, v229, v158 neg_lo:[1,1,0]
	v_dot4_i32_iu8 v159, v216, v231, v159 neg_lo:[1,1,0]
	s_delay_alu instid0(VALU_DEP_4) | instskip(NEXT) | instid1(VALU_DEP_4)
	v_dot4_i32_iu8 v160, v216, v233, v160 neg_lo:[1,1,0]
	v_dot4_i32_iu8 v161, v216, v235, v161 neg_lo:[1,1,0]
	s_delay_alu instid0(VALU_DEP_4) | instskip(NEXT) | instid1(VALU_DEP_4)
	v_dot4_i32_iu8 v158, v217, v236, v158 neg_lo:[1,1,0]
	v_dot4_i32_iu8 v159, v217, v238, v159 neg_lo:[1,1,0]
	s_delay_alu instid0(VALU_DEP_4) | instskip(NEXT) | instid1(VALU_DEP_4)
	v_dot4_i32_iu8 v160, v217, v240, v160 neg_lo:[1,1,0]
	v_dot4_i32_iu8 v161, v217, v242, v161 neg_lo:[1,1,0]
	s_delay_alu instid0(VALU_DEP_4) | instskip(NEXT) | instid1(VALU_DEP_4)
	v_dot4_i32_iu8 v226, v218, v237, v158 neg_lo:[1,1,0]
	v_dot4_i32_iu8 v224, v218, v239, v159 neg_lo:[1,1,0]
	s_delay_alu instid0(VALU_DEP_4) | instskip(NEXT) | instid1(VALU_DEP_4)
	v_dot4_i32_iu8 v223, v218, v241, v160 neg_lo:[1,1,0]
	;; [unrolled: 24-line block ×5, first 2 shown]
	v_dot4_i32_iu8 v165, v161, v243, v158 neg_lo:[1,1,0]
	ds_load_b128 v[158:161], v153 offset:33296
	s_waitcnt lgkmcnt(0)
	v_dot4_i32_iu8 v162, v158, v228, v174 neg_lo:[1,1,0]
	ds_load_b128 v[171:174], v154 offset:33296
	v_dot4_i32_iu8 v163, v158, v230, v175 neg_lo:[1,1,0]
	v_dot4_i32_iu8 v164, v158, v232, v176 neg_lo:[1,1,0]
	;; [unrolled: 1-line block ×4, first 2 shown]
	s_delay_alu instid0(VALU_DEP_4) | instskip(NEXT) | instid1(VALU_DEP_4)
	v_dot4_i32_iu8 v163, v159, v231, v163 neg_lo:[1,1,0]
	v_dot4_i32_iu8 v164, v159, v233, v164 neg_lo:[1,1,0]
	s_delay_alu instid0(VALU_DEP_4) | instskip(NEXT) | instid1(VALU_DEP_4)
	v_dot4_i32_iu8 v158, v159, v235, v158 neg_lo:[1,1,0]
	v_dot4_i32_iu8 v159, v160, v236, v162 neg_lo:[1,1,0]
	;; [unrolled: 3-line block ×5, first 2 shown]
	s_delay_alu instid0(VALU_DEP_4)
	v_dot4_i32_iu8 v162, v161, v243, v158 neg_lo:[1,1,0]
	s_waitcnt lgkmcnt(0)
	v_dot4_i32_iu8 v158, v171, v228, v178 neg_lo:[1,1,0]
	v_dot4_i32_iu8 v159, v171, v230, v179 neg_lo:[1,1,0]
	;; [unrolled: 1-line block ×4, first 2 shown]
	s_delay_alu instid0(VALU_DEP_4) | instskip(NEXT) | instid1(VALU_DEP_4)
	v_dot4_i32_iu8 v158, v172, v229, v158 neg_lo:[1,1,0]
	v_dot4_i32_iu8 v159, v172, v231, v159 neg_lo:[1,1,0]
	s_delay_alu instid0(VALU_DEP_4) | instskip(NEXT) | instid1(VALU_DEP_4)
	v_dot4_i32_iu8 v160, v172, v233, v160 neg_lo:[1,1,0]
	v_dot4_i32_iu8 v161, v172, v235, v161 neg_lo:[1,1,0]
	;; [unrolled: 3-line block ×6, first 2 shown]
	ds_load_2addr_b32 v[175:176], v143 offset0:12 offset1:13
	ds_load_b128 v[171:174], v144 offset:33328
	ds_load_2addr_b32 v[177:178], v145 offset0:12 offset1:13
	ds_load_2addr_b32 v[179:180], v146 offset0:12 offset1:13
	;; [unrolled: 1-line block ×3, first 2 shown]
	s_waitcnt lgkmcnt(3)
	v_dot4_i32_iu8 v144, v175, v171, v189 neg_lo:[1,1,0]
	s_waitcnt lgkmcnt(2)
	v_dot4_i32_iu8 v181, v177, v171, v188 neg_lo:[1,1,0]
	;; [unrolled: 2-line block ×3, first 2 shown]
	ds_load_2addr_b32 v[187:188], v147 offset0:12 offset1:13
	v_dot4_i32_iu8 v144, v176, v172, v144 neg_lo:[1,1,0]
	v_dot4_i32_iu8 v228, v178, v172, v181 neg_lo:[1,1,0]
	;; [unrolled: 1-line block ×3, first 2 shown]
	s_waitcnt lgkmcnt(0)
	v_dot4_i32_iu8 v171, v187, v171, v182 neg_lo:[1,1,0]
	ds_load_2addr_b32 v[181:182], v145 offset0:14 offset1:15
	v_dot4_i32_iu8 v232, v188, v172, v171 neg_lo:[1,1,0]
	ds_load_2addr_b32 v[171:172], v143 offset0:14 offset1:15
	s_waitcnt lgkmcnt(0)
	v_dot4_i32_iu8 v143, v171, v173, v144 neg_lo:[1,1,0]
	v_dot4_i32_iu8 v144, v181, v173, v228 neg_lo:[1,1,0]
	ds_load_2addr_b32 v[228:229], v146 offset0:14 offset1:15
	v_dot4_i32_iu8 v146, v230, v173, v232 neg_lo:[1,1,0]
	v_dot4_i32_iu8 v147, v172, v174, v143 neg_lo:[1,1,0]
	s_waitcnt lgkmcnt(0)
	v_dot4_i32_iu8 v145, v228, v173, v189 neg_lo:[1,1,0]
	v_dot4_i32_iu8 v173, v182, v174, v144 neg_lo:[1,1,0]
	s_delay_alu instid0(VALU_DEP_2)
	v_dot4_i32_iu8 v189, v229, v174, v145 neg_lo:[1,1,0]
	v_dot4_i32_iu8 v174, v231, v174, v146 neg_lo:[1,1,0]
	ds_load_b128 v[143:146], v148 offset:33328
	s_waitcnt lgkmcnt(0)
	v_dot4_i32_iu8 v148, v143, v175, v183 neg_lo:[1,1,0]
	v_dot4_i32_iu8 v183, v143, v177, v184 neg_lo:[1,1,0]
	v_dot4_i32_iu8 v184, v143, v179, v185 neg_lo:[1,1,0]
	v_dot4_i32_iu8 v143, v143, v187, v186 neg_lo:[1,1,0]
	s_delay_alu instid0(VALU_DEP_4) | instskip(NEXT) | instid1(VALU_DEP_4)
	v_dot4_i32_iu8 v148, v144, v176, v148 neg_lo:[1,1,0]
	v_dot4_i32_iu8 v183, v144, v178, v183 neg_lo:[1,1,0]
	s_delay_alu instid0(VALU_DEP_4) | instskip(NEXT) | instid1(VALU_DEP_4)
	v_dot4_i32_iu8 v184, v144, v180, v184 neg_lo:[1,1,0]
	v_dot4_i32_iu8 v143, v144, v188, v143 neg_lo:[1,1,0]
	s_delay_alu instid0(VALU_DEP_4) | instskip(NEXT) | instid1(VALU_DEP_4)
	v_dot4_i32_iu8 v144, v145, v171, v148 neg_lo:[1,1,0]
	v_dot4_i32_iu8 v148, v145, v181, v183 neg_lo:[1,1,0]
	s_delay_alu instid0(VALU_DEP_4) | instskip(NEXT) | instid1(VALU_DEP_4)
	v_dot4_i32_iu8 v183, v145, v228, v184 neg_lo:[1,1,0]
	v_dot4_i32_iu8 v143, v145, v230, v143 neg_lo:[1,1,0]
	s_delay_alu instid0(VALU_DEP_4) | instskip(NEXT) | instid1(VALU_DEP_4)
	v_dot4_i32_iu8 v184, v146, v172, v144 neg_lo:[1,1,0]
	v_dot4_i32_iu8 v148, v146, v182, v148 neg_lo:[1,1,0]
	s_delay_alu instid0(VALU_DEP_4) | instskip(NEXT) | instid1(VALU_DEP_4)
	v_dot4_i32_iu8 v183, v146, v229, v183 neg_lo:[1,1,0]
	v_dot4_i32_iu8 v185, v146, v231, v143 neg_lo:[1,1,0]
	ds_load_b128 v[143:146], v149 offset:33328
	s_waitcnt lgkmcnt(0)
	v_dot4_i32_iu8 v149, v143, v175, v190 neg_lo:[1,1,0]
	v_dot4_i32_iu8 v186, v143, v177, v191 neg_lo:[1,1,0]
	v_dot4_i32_iu8 v190, v143, v179, v192 neg_lo:[1,1,0]
	v_dot4_i32_iu8 v143, v143, v187, v193 neg_lo:[1,1,0]
	s_delay_alu instid0(VALU_DEP_4) | instskip(NEXT) | instid1(VALU_DEP_4)
	v_dot4_i32_iu8 v149, v144, v176, v149 neg_lo:[1,1,0]
	v_dot4_i32_iu8 v186, v144, v178, v186 neg_lo:[1,1,0]
	s_delay_alu instid0(VALU_DEP_4) | instskip(NEXT) | instid1(VALU_DEP_4)
	v_dot4_i32_iu8 v190, v144, v180, v190 neg_lo:[1,1,0]
	v_dot4_i32_iu8 v143, v144, v188, v143 neg_lo:[1,1,0]
	s_delay_alu instid0(VALU_DEP_4) | instskip(NEXT) | instid1(VALU_DEP_4)
	v_dot4_i32_iu8 v144, v145, v171, v149 neg_lo:[1,1,0]
	v_dot4_i32_iu8 v149, v145, v181, v186 neg_lo:[1,1,0]
	s_delay_alu instid0(VALU_DEP_4) | instskip(NEXT) | instid1(VALU_DEP_4)
	v_dot4_i32_iu8 v186, v145, v228, v190 neg_lo:[1,1,0]
	v_dot4_i32_iu8 v143, v145, v230, v143 neg_lo:[1,1,0]
	s_delay_alu instid0(VALU_DEP_4) | instskip(NEXT) | instid1(VALU_DEP_4)
	v_dot4_i32_iu8 v190, v146, v172, v144 neg_lo:[1,1,0]
	v_dot4_i32_iu8 v149, v146, v182, v149 neg_lo:[1,1,0]
	s_delay_alu instid0(VALU_DEP_4) | instskip(NEXT) | instid1(VALU_DEP_4)
	;; [unrolled: 24-line block ×6, first 2 shown]
	v_dot4_i32_iu8 v201, v146, v229, v201 neg_lo:[1,1,0]
	v_dot4_i32_iu8 v203, v146, v231, v143 neg_lo:[1,1,0]
	ds_load_b128 v[143:146], v154 offset:33328
	s_waitcnt lgkmcnt(0)
	v_dot4_i32_iu8 v154, v143, v175, v210 neg_lo:[1,1,0]
	v_dot4_i32_iu8 v175, v143, v177, v211 neg_lo:[1,1,0]
	s_delay_alu instid0(VALU_DEP_2) | instskip(SKIP_2) | instid1(VALU_DEP_4)
	v_dot4_i32_iu8 v154, v144, v176, v154 neg_lo:[1,1,0]
	v_dot4_i32_iu8 v176, v143, v179, v212 neg_lo:[1,1,0]
	;; [unrolled: 1-line block ×4, first 2 shown]
	s_delay_alu instid0(VALU_DEP_3) | instskip(NEXT) | instid1(VALU_DEP_3)
	v_dot4_i32_iu8 v176, v144, v180, v176 neg_lo:[1,1,0]
	v_dot4_i32_iu8 v143, v144, v188, v143 neg_lo:[1,1,0]
	v_dot4_i32_iu8 v144, v145, v171, v154 neg_lo:[1,1,0]
	s_delay_alu instid0(VALU_DEP_4) | instskip(NEXT) | instid1(VALU_DEP_4)
	v_dot4_i32_iu8 v154, v145, v181, v175 neg_lo:[1,1,0]
	v_dot4_i32_iu8 v171, v145, v228, v176 neg_lo:[1,1,0]
	s_delay_alu instid0(VALU_DEP_4) | instskip(NEXT) | instid1(VALU_DEP_4)
	v_dot4_i32_iu8 v143, v145, v230, v143 neg_lo:[1,1,0]
	v_dot4_i32_iu8 v144, v146, v172, v144 neg_lo:[1,1,0]
	s_delay_alu instid0(VALU_DEP_4) | instskip(NEXT) | instid1(VALU_DEP_4)
	v_dot4_i32_iu8 v154, v146, v182, v154 neg_lo:[1,1,0]
	v_dot4_i32_iu8 v171, v146, v229, v171 neg_lo:[1,1,0]
	s_delay_alu instid0(VALU_DEP_4) | instskip(SKIP_1) | instid1(VALU_DEP_1)
	v_dot4_i32_iu8 v145, v146, v231, v143 neg_lo:[1,1,0]
	v_lshlrev_b32_e32 v143, 2, v39
	v_add3_u32 v146, s16, v125, v143
	ds_load_u16 v143, v146
	s_waitcnt lgkmcnt(0)
	v_and_b32_e32 v175, 0xff, v143
	v_lshrrev_b16 v172, 8, v143
	s_delay_alu instid0(VALU_DEP_2) | instskip(NEXT) | instid1(VALU_DEP_2)
	v_mul_lo_u32 v143, v214, v175
	v_and_b32_e32 v172, 0xffff, v172
	s_delay_alu instid0(VALU_DEP_1) | instskip(SKIP_1) | instid1(VALU_DEP_4)
	v_mul_lo_u32 v147, v147, v172
	v_mul_lo_u32 v184, v184, v172
	v_cvt_f32_i32_e32 v176, v143
	ds_load_b64 v[142:143], v142 offset:43584
	v_mul_lo_u32 v190, v190, v172
	v_mul_lo_u32 v193, v193, v172
	;; [unrolled: 1-line block ×4, first 2 shown]
	v_cvt_f32_i32_e32 v147, v147
	v_cvt_f32_i32_e32 v184, v184
	;; [unrolled: 1-line block ×6, first 2 shown]
	s_waitcnt lgkmcnt(0)
	v_fma_mix_f32 v176, v142, v176, 0 op_sel_hi:[1,0,0]
	s_delay_alu instid0(VALU_DEP_1) | instskip(SKIP_1) | instid1(VALU_DEP_1)
	v_fma_mix_f32 v147, v143, v147, v176 op_sel_hi:[1,0,0]
	v_lshlrev_b32_e32 v176, 2, v106
	v_add3_u32 v176, s16, v176, v115
	ds_load_u16 v177, v176
	s_waitcnt lgkmcnt(0)
	v_lshrrev_b16 v178, 8, v177
	v_and_b32_e32 v177, 0xff, v177
	s_delay_alu instid0(VALU_DEP_2) | instskip(NEXT) | instid1(VALU_DEP_2)
	v_and_b32_e32 v178, 0xffff, v178
	v_mul_lo_u32 v157, v157, v177
	v_mul_lo_u32 v216, v216, v177
	v_mul_lo_u32 v168, v168, v177
	s_delay_alu instid0(VALU_DEP_4)
	v_mul_lo_u32 v173, v173, v178
	v_mul_lo_u32 v148, v148, v178
	;; [unrolled: 1-line block ×4, first 2 shown]
	v_cvt_f32_i32_e32 v157, v157
	v_mul_lo_u32 v151, v151, v178
	v_cvt_f32_i32_e32 v216, v216
	v_cvt_f32_i32_e32 v168, v168
	;; [unrolled: 1-line block ×3, first 2 shown]
	v_fma_mix_f32 v157, v142, v157, 0 op_sel_hi:[1,0,0]
	v_cvt_f32_i32_e32 v148, v148
	v_cvt_f32_i32_e32 v149, v149
	v_cvt_f32_i32_e32 v150, v150
	v_cvt_f32_i32_e32 v151, v151
	v_fma_mix_f32 v157, v143, v173, v157 op_sel_hi:[1,0,0]
	v_lshlrev_b32_e32 v173, 2, v107
	s_delay_alu instid0(VALU_DEP_1) | instskip(SKIP_4) | instid1(VALU_DEP_2)
	v_add3_u32 v173, s16, v173, v117
	ds_load_u16 v179, v173
	s_waitcnt lgkmcnt(0)
	v_lshrrev_b16 v180, 8, v179
	v_and_b32_e32 v179, 0xff, v179
	v_and_b32_e32 v180, 0xffff, v180
	s_delay_alu instid0(VALU_DEP_2) | instskip(SKIP_2) | instid1(VALU_DEP_4)
	v_mul_lo_u32 v156, v156, v179
	v_mul_lo_u32 v215, v215, v179
	;; [unrolled: 1-line block ×7, first 2 shown]
	v_cvt_f32_i32_e32 v156, v156
	v_mul_lo_u32 v195, v195, v180
	v_cvt_f32_i32_e32 v215, v215
	v_cvt_f32_i32_e32 v167, v167
	;; [unrolled: 1-line block ×3, first 2 shown]
	v_fma_mix_f32 v156, v142, v156, 0 op_sel_hi:[1,0,0]
	v_cvt_f32_i32_e32 v183, v183
	v_cvt_f32_i32_e32 v186, v186
	v_cvt_f32_i32_e32 v192, v192
	v_cvt_f32_i32_e32 v195, v195
	v_fma_mix_f32 v156, v143, v181, v156 op_sel_hi:[1,0,0]
	v_lshlrev_b32_e32 v181, 2, v108
	v_mul_lo_u32 v171, v171, v180
	s_delay_alu instid0(VALU_DEP_2) | instskip(SKIP_4) | instid1(VALU_DEP_2)
	v_add3_u32 v181, s16, v181, v119
	ds_load_u16 v182, v181
	s_waitcnt lgkmcnt(0)
	v_lshrrev_b16 v187, 8, v182
	v_and_b32_e32 v182, 0xff, v182
	v_and_b32_e32 v187, 0xffff, v187
	s_delay_alu instid0(VALU_DEP_2)
	v_mul_lo_u32 v155, v155, v182
	v_mul_lo_u32 v169, v169, v182
	;; [unrolled: 1-line block ×8, first 2 shown]
	v_cvt_f32_i32_e32 v155, v155
	v_mul_lo_u32 v197, v197, v187
	v_cvt_f32_i32_e32 v169, v169
	v_cvt_f32_i32_e32 v165, v165
	;; [unrolled: 1-line block ×3, first 2 shown]
	v_fma_mix_f32 v155, v142, v155, 0 op_sel_hi:[1,0,0]
	v_cvt_f32_i32_e32 v185, v185
	v_cvt_f32_i32_e32 v191, v191
	;; [unrolled: 1-line block ×4, first 2 shown]
	v_fma_mix_f32 v155, v143, v174, v155 op_sel_hi:[1,0,0]
	ds_load_u16 v174, v176 offset:8
	ds_load_u16 v173, v173 offset:8
	;; [unrolled: 1-line block ×4, first 2 shown]
	v_cvt_f32_i32_e32 v162, v162
	s_waitcnt lgkmcnt(3)
	v_cvt_f32_ubyte0_e32 v181, v174
	s_waitcnt lgkmcnt(2)
	v_cvt_f32_ubyte0_e32 v188, v173
	;; [unrolled: 2-line block ×4, first 2 shown]
	v_cvt_f32_ubyte1_e32 v174, v174
	v_cvt_f32_ubyte1_e32 v173, v173
	;; [unrolled: 1-line block ×4, first 2 shown]
	v_fma_mix_f32 v205, v142, v181, 0 op_sel:[1,0,0] op_sel_hi:[1,0,0]
	v_fma_mix_f32 v206, v142, v188, 0 op_sel:[1,0,0] op_sel_hi:[1,0,0]
	;; [unrolled: 1-line block ×4, first 2 shown]
	s_delay_alu instid0(VALU_DEP_4) | instskip(NEXT) | instid1(VALU_DEP_4)
	v_fma_mix_f32 v205, v143, v174, v205 op_sel:[1,0,0] op_sel_hi:[1,0,0]
	v_fma_mix_f32 v206, v143, v173, v206 op_sel:[1,0,0] op_sel_hi:[1,0,0]
	s_delay_alu instid0(VALU_DEP_4) | instskip(NEXT) | instid1(VALU_DEP_4)
	v_fma_mix_f32 v207, v143, v176, v207 op_sel:[1,0,0] op_sel_hi:[1,0,0]
	v_fma_mix_f32 v143, v143, v146, v142 op_sel:[1,0,0] op_sel_hi:[1,0,0]
	v_mul_lo_u32 v142, v244, v175
	s_delay_alu instid0(VALU_DEP_1)
	v_cvt_f32_i32_e32 v208, v142
	ds_load_b64 v[141:142], v141 offset:43584
	s_waitcnt lgkmcnt(0)
	v_fma_mix_f32 v208, v141, v208, 0 op_sel_hi:[1,0,0]
	v_fma_mix_f32 v209, v188, v141, 0 op_sel:[0,1,0] op_sel_hi:[0,1,0]
	v_fma_mix_f32 v210, v189, v141, 0 op_sel:[0,1,0] op_sel_hi:[0,1,0]
	s_delay_alu instid0(VALU_DEP_3) | instskip(SKIP_1) | instid1(VALU_DEP_4)
	v_fma_mix_f32 v184, v142, v184, v208 op_sel_hi:[1,0,0]
	v_mul_lo_u32 v208, v245, v177
	v_fma_mix_f32 v209, v173, v142, v209 op_sel:[0,1,0] op_sel_hi:[0,1,0]
	s_delay_alu instid0(VALU_DEP_4) | instskip(NEXT) | instid1(VALU_DEP_3)
	v_fma_mix_f32 v210, v176, v142, v210 op_sel:[0,1,0] op_sel_hi:[0,1,0]
	v_cvt_f32_i32_e32 v208, v208
	s_delay_alu instid0(VALU_DEP_1) | instskip(NEXT) | instid1(VALU_DEP_1)
	v_fma_mix_f32 v208, v141, v208, 0 op_sel_hi:[1,0,0]
	v_fma_mix_f32 v148, v142, v148, v208 op_sel_hi:[1,0,0]
	v_mul_lo_u32 v208, v227, v179
	s_delay_alu instid0(VALU_DEP_1) | instskip(NEXT) | instid1(VALU_DEP_1)
	v_cvt_f32_i32_e32 v208, v208
	v_fma_mix_f32 v208, v141, v208, 0 op_sel_hi:[1,0,0]
	s_delay_alu instid0(VALU_DEP_1) | instskip(SKIP_1) | instid1(VALU_DEP_1)
	v_fma_mix_f32 v183, v142, v183, v208 op_sel_hi:[1,0,0]
	v_mul_lo_u32 v208, v225, v182
	v_cvt_f32_i32_e32 v208, v208
	s_delay_alu instid0(VALU_DEP_1) | instskip(NEXT) | instid1(VALU_DEP_1)
	v_fma_mix_f32 v208, v141, v208, 0 op_sel_hi:[1,0,0]
	v_fma_mix_f32 v185, v142, v185, v208 op_sel_hi:[1,0,0]
	v_fma_mix_f32 v208, v181, v141, 0 op_sel:[0,1,0] op_sel_hi:[0,1,0]
	v_fma_mix_f32 v141, v204, v141, 0 op_sel:[0,1,0] op_sel_hi:[0,1,0]
	s_delay_alu instid0(VALU_DEP_2) | instskip(NEXT) | instid1(VALU_DEP_2)
	v_fma_mix_f32 v208, v174, v142, v208 op_sel:[0,1,0] op_sel_hi:[0,1,0]
	v_fma_mix_f32 v142, v146, v142, v141 op_sel:[0,1,0] op_sel_hi:[0,1,0]
	v_mul_lo_u32 v141, v226, v175
	s_delay_alu instid0(VALU_DEP_2) | instskip(NEXT) | instid1(VALU_DEP_2)
	v_mul_f32_e32 v142, v142, v131
	v_cvt_f32_i32_e32 v211, v141
	ds_load_b64 v[140:141], v140 offset:43584
	v_fma_f32 v142, v184, v127, -v142
	s_delay_alu instid0(VALU_DEP_1) | instskip(SKIP_4) | instid1(VALU_DEP_3)
	v_add_f32_e32 v70, v70, v142
	s_waitcnt lgkmcnt(0)
	v_fma_mix_f32 v211, v140, v211, 0 op_sel_hi:[1,0,0]
	v_fma_mix_f32 v212, v188, v140, 0 op_sel:[0,1,0] op_sel_hi:[0,1,0]
	v_fma_mix_f32 v213, v189, v140, 0 op_sel:[0,1,0] op_sel_hi:[0,1,0]
	v_fma_mix_f32 v190, v141, v190, v211 op_sel_hi:[1,0,0]
	v_mul_lo_u32 v211, v224, v177
	s_delay_alu instid0(VALU_DEP_4) | instskip(NEXT) | instid1(VALU_DEP_4)
	v_fma_mix_f32 v212, v173, v141, v212 op_sel:[0,1,0] op_sel_hi:[0,1,0]
	v_fma_mix_f32 v213, v176, v141, v213 op_sel:[0,1,0] op_sel_hi:[0,1,0]
	s_delay_alu instid0(VALU_DEP_3) | instskip(NEXT) | instid1(VALU_DEP_1)
	v_cvt_f32_i32_e32 v211, v211
	v_fma_mix_f32 v211, v140, v211, 0 op_sel_hi:[1,0,0]
	s_delay_alu instid0(VALU_DEP_1) | instskip(SKIP_1) | instid1(VALU_DEP_1)
	v_fma_mix_f32 v149, v141, v149, v211 op_sel_hi:[1,0,0]
	v_mul_lo_u32 v211, v223, v179
	v_cvt_f32_i32_e32 v211, v211
	s_delay_alu instid0(VALU_DEP_1) | instskip(NEXT) | instid1(VALU_DEP_1)
	v_fma_mix_f32 v211, v140, v211, 0 op_sel_hi:[1,0,0]
	v_fma_mix_f32 v186, v141, v186, v211 op_sel_hi:[1,0,0]
	v_mul_lo_u32 v211, v221, v182
	s_delay_alu instid0(VALU_DEP_1) | instskip(NEXT) | instid1(VALU_DEP_1)
	v_cvt_f32_i32_e32 v211, v211
	v_fma_mix_f32 v211, v140, v211, 0 op_sel_hi:[1,0,0]
	s_delay_alu instid0(VALU_DEP_1) | instskip(SKIP_2) | instid1(VALU_DEP_2)
	v_fma_mix_f32 v191, v141, v191, v211 op_sel_hi:[1,0,0]
	v_fma_mix_f32 v211, v181, v140, 0 op_sel:[0,1,0] op_sel_hi:[0,1,0]
	v_fma_mix_f32 v140, v204, v140, 0 op_sel:[0,1,0] op_sel_hi:[0,1,0]
	;; [unrolled: 1-line block ×3, first 2 shown]
	s_delay_alu instid0(VALU_DEP_2) | instskip(SKIP_1) | instid1(VALU_DEP_2)
	v_fma_mix_f32 v141, v146, v141, v140 op_sel:[0,1,0] op_sel_hi:[0,1,0]
	v_mul_lo_u32 v140, v222, v175
	v_mul_f32_e32 v141, v141, v131
	s_delay_alu instid0(VALU_DEP_2) | instskip(SKIP_2) | instid1(VALU_DEP_1)
	v_cvt_f32_i32_e32 v214, v140
	ds_load_b64 v[139:140], v139 offset:43584
	v_fma_f32 v141, v190, v127, -v141
	v_add_f32_e32 v63, v63, v141
	s_waitcnt lgkmcnt(0)
	v_fma_mix_f32 v214, v139, v214, 0 op_sel_hi:[1,0,0]
	s_delay_alu instid0(VALU_DEP_1) | instskip(SKIP_1) | instid1(VALU_DEP_1)
	v_fma_mix_f32 v193, v140, v193, v214 op_sel_hi:[1,0,0]
	v_mul_lo_u32 v214, v220, v177
	v_cvt_f32_i32_e32 v214, v214
	s_delay_alu instid0(VALU_DEP_1) | instskip(NEXT) | instid1(VALU_DEP_1)
	v_fma_mix_f32 v214, v139, v214, 0 op_sel_hi:[1,0,0]
	v_fma_mix_f32 v150, v140, v150, v214 op_sel_hi:[1,0,0]
	v_mul_lo_u32 v214, v219, v179
	v_fma_mix_f32 v219, v189, v139, 0 op_sel:[0,1,0] op_sel_hi:[0,1,0]
	s_delay_alu instid0(VALU_DEP_1) | instskip(NEXT) | instid1(VALU_DEP_3)
	v_fma_mix_f32 v219, v176, v140, v219 op_sel:[0,1,0] op_sel_hi:[0,1,0]
	v_cvt_f32_i32_e32 v214, v214
	s_delay_alu instid0(VALU_DEP_1) | instskip(NEXT) | instid1(VALU_DEP_1)
	v_fma_mix_f32 v214, v139, v214, 0 op_sel_hi:[1,0,0]
	v_fma_mix_f32 v192, v140, v192, v214 op_sel_hi:[1,0,0]
	v_mul_lo_u32 v214, v217, v182
	v_fma_mix_f32 v217, v188, v139, 0 op_sel:[0,1,0] op_sel_hi:[0,1,0]
	s_delay_alu instid0(VALU_DEP_1) | instskip(NEXT) | instid1(VALU_DEP_3)
	v_fma_mix_f32 v217, v173, v140, v217 op_sel:[0,1,0] op_sel_hi:[0,1,0]
	v_cvt_f32_i32_e32 v214, v214
	s_delay_alu instid0(VALU_DEP_1) | instskip(NEXT) | instid1(VALU_DEP_1)
	v_fma_mix_f32 v214, v139, v214, 0 op_sel_hi:[1,0,0]
	v_fma_mix_f32 v194, v140, v194, v214 op_sel_hi:[1,0,0]
	v_fma_mix_f32 v214, v181, v139, 0 op_sel:[0,1,0] op_sel_hi:[0,1,0]
	v_fma_mix_f32 v139, v204, v139, 0 op_sel:[0,1,0] op_sel_hi:[0,1,0]
	s_delay_alu instid0(VALU_DEP_2) | instskip(NEXT) | instid1(VALU_DEP_2)
	v_fma_mix_f32 v214, v174, v140, v214 op_sel:[0,1,0] op_sel_hi:[0,1,0]
	v_fma_mix_f32 v140, v146, v140, v139 op_sel:[0,1,0] op_sel_hi:[0,1,0]
	v_mul_lo_u32 v139, v218, v175
	s_delay_alu instid0(VALU_DEP_2) | instskip(NEXT) | instid1(VALU_DEP_2)
	v_mul_f32_e32 v140, v140, v131
	v_cvt_f32_i32_e32 v218, v139
	ds_load_b64 v[138:139], v138 offset:43584
	v_fma_f32 v140, v193, v127, -v140
	s_waitcnt lgkmcnt(0)
	v_fma_mix_f32 v216, v138, v216, 0 op_sel_hi:[1,0,0]
	v_fma_mix_f32 v215, v138, v215, 0 op_sel_hi:[1,0,0]
	;; [unrolled: 1-line block ×4, first 2 shown]
	s_delay_alu instid0(VALU_DEP_4) | instskip(NEXT) | instid1(VALU_DEP_4)
	v_fma_mix_f32 v151, v139, v151, v216 op_sel_hi:[1,0,0]
	v_fma_mix_f32 v195, v139, v195, v215 op_sel_hi:[1,0,0]
	s_delay_alu instid0(VALU_DEP_4)
	v_fma_mix_f32 v169, v139, v197, v169 op_sel_hi:[1,0,0]
	v_fma_mix_f32 v197, v181, v138, 0 op_sel:[0,1,0] op_sel_hi:[0,1,0]
	v_fma_mix_f32 v215, v188, v138, 0 op_sel:[0,1,0] op_sel_hi:[0,1,0]
	;; [unrolled: 1-line block ×4, first 2 shown]
	v_fma_mix_f32 v196, v139, v196, v218 op_sel_hi:[1,0,0]
	v_fma_mix_f32 v197, v174, v139, v197 op_sel:[0,1,0] op_sel_hi:[0,1,0]
	v_fma_mix_f32 v215, v173, v139, v215 op_sel:[0,1,0] op_sel_hi:[0,1,0]
	;; [unrolled: 1-line block ×4, first 2 shown]
	v_mul_lo_u32 v138, v170, v175
	v_mul_lo_u32 v170, v199, v172
	s_delay_alu instid0(VALU_DEP_3)
	v_mul_f32_e32 v139, v139, v131
	v_mul_lo_u32 v152, v152, v178
	v_mul_lo_u32 v153, v153, v178
	v_mul_lo_u32 v154, v154, v178
	v_cvt_f32_i32_e32 v199, v138
	ds_load_b64 v[137:138], v137 offset:43584
	v_cvt_f32_i32_e32 v170, v170
	v_fma_f32 v139, v196, v127, -v139
	v_cvt_f32_i32_e32 v152, v152
	v_cvt_f32_i32_e32 v153, v153
	;; [unrolled: 1-line block ×3, first 2 shown]
	s_waitcnt lgkmcnt(0)
	v_fma_mix_f32 v168, v137, v168, 0 op_sel_hi:[1,0,0]
	v_fma_mix_f32 v167, v137, v167, 0 op_sel_hi:[1,0,0]
	;; [unrolled: 1-line block ×4, first 2 shown]
	s_delay_alu instid0(VALU_DEP_4) | instskip(SKIP_2) | instid1(VALU_DEP_4)
	v_fma_mix_f32 v152, v138, v152, v168 op_sel_hi:[1,0,0]
	v_mul_lo_u32 v168, v198, v180
	v_fma_mix_f32 v198, v188, v137, 0 op_sel:[0,1,0] op_sel_hi:[0,1,0]
	v_fma_mix_f32 v170, v138, v170, v199 op_sel_hi:[1,0,0]
	v_fma_mix_f32 v199, v189, v137, 0 op_sel:[0,1,0] op_sel_hi:[0,1,0]
	s_delay_alu instid0(VALU_DEP_3) | instskip(SKIP_1) | instid1(VALU_DEP_3)
	v_fma_mix_f32 v198, v173, v138, v198 op_sel:[0,1,0] op_sel_hi:[0,1,0]
	v_cvt_f32_i32_e32 v168, v168
	v_fma_mix_f32 v199, v176, v138, v199 op_sel:[0,1,0] op_sel_hi:[0,1,0]
	s_delay_alu instid0(VALU_DEP_2) | instskip(SKIP_1) | instid1(VALU_DEP_1)
	v_fma_mix_f32 v167, v138, v168, v167 op_sel_hi:[1,0,0]
	v_mul_lo_u32 v168, v200, v187
	v_cvt_f32_i32_e32 v168, v168
	s_delay_alu instid0(VALU_DEP_1) | instskip(SKIP_2) | instid1(VALU_DEP_2)
	v_fma_mix_f32 v165, v138, v168, v165 op_sel_hi:[1,0,0]
	v_fma_mix_f32 v168, v181, v137, 0 op_sel:[0,1,0] op_sel_hi:[0,1,0]
	v_fma_mix_f32 v137, v204, v137, 0 op_sel:[0,1,0] op_sel_hi:[0,1,0]
	;; [unrolled: 1-line block ×3, first 2 shown]
	s_delay_alu instid0(VALU_DEP_2) | instskip(NEXT) | instid1(VALU_DEP_2)
	v_fma_mix_f32 v138, v146, v138, v137 op_sel:[0,1,0] op_sel_hi:[0,1,0]
	v_mul_f32_e32 v168, v168, v132
	v_mul_lo_u32 v137, v166, v175
	s_delay_alu instid0(VALU_DEP_3)
	v_mul_f32_e32 v138, v138, v131
	v_mul_lo_u32 v164, v164, v177
	v_mul_lo_u32 v166, v202, v172
	v_fma_f32 v152, v152, v128, -v168
	v_mul_f32_e32 v168, v198, v133
	v_mul_lo_u32 v158, v158, v175
	v_mul_lo_u32 v159, v159, v177
	v_cvt_f32_i32_e32 v200, v137
	ds_load_b64 v[136:137], v136 offset:43584
	v_cvt_f32_i32_e32 v164, v164
	v_fma_f32 v167, v167, v129, -v168
	v_mul_f32_e32 v168, v199, v134
	v_mul_lo_u32 v163, v163, v179
	v_cvt_f32_i32_e32 v166, v166
	v_cvt_f32_i32_e32 v158, v158
	v_mul_lo_u32 v160, v160, v179
	v_mul_f32_e32 v172, v216, v134
	v_fma_f32 v138, v170, v127, -v138
	v_fma_f32 v165, v165, v130, -v168
	v_add_f32_e32 v32, v32, v152
	v_cvt_f32_i32_e32 v163, v163
	v_fma_f32 v169, v169, v130, -v172
	v_add_f32_e32 v37, v37, v139
	v_dual_add_f32 v33, v33, v138 :: v_dual_add_f32 v30, v30, v167
	v_add_f32_e32 v27, v27, v165
	s_delay_alu instid0(VALU_DEP_4)
	v_add_f32_e32 v34, v34, v169
	s_waitcnt lgkmcnt(0)
	v_fma_mix_f32 v164, v136, v164, 0 op_sel_hi:[1,0,0]
	v_fma_mix_f32 v163, v136, v163, 0 op_sel_hi:[1,0,0]
	;; [unrolled: 1-line block ×4, first 2 shown]
	s_delay_alu instid0(VALU_DEP_4) | instskip(SKIP_1) | instid1(VALU_DEP_4)
	v_fma_mix_f32 v153, v137, v153, v164 op_sel_hi:[1,0,0]
	v_mul_lo_u32 v164, v201, v180
	v_fma_mix_f32 v166, v137, v166, v200 op_sel_hi:[1,0,0]
	v_fma_mix_f32 v200, v188, v136, 0 op_sel:[0,1,0] op_sel_hi:[0,1,0]
	v_fma_mix_f32 v201, v189, v136, 0 op_sel:[0,1,0] op_sel_hi:[0,1,0]
	s_delay_alu instid0(VALU_DEP_2) | instskip(SKIP_1) | instid1(VALU_DEP_3)
	v_fma_mix_f32 v200, v173, v137, v200 op_sel:[0,1,0] op_sel_hi:[0,1,0]
	v_cvt_f32_i32_e32 v164, v164
	v_fma_mix_f32 v201, v176, v137, v201 op_sel:[0,1,0] op_sel_hi:[0,1,0]
	s_delay_alu instid0(VALU_DEP_2) | instskip(SKIP_1) | instid1(VALU_DEP_1)
	v_fma_mix_f32 v163, v137, v164, v163 op_sel_hi:[1,0,0]
	v_mul_lo_u32 v164, v203, v187
	v_cvt_f32_i32_e32 v164, v164
	s_delay_alu instid0(VALU_DEP_1) | instskip(SKIP_2) | instid1(VALU_DEP_2)
	v_fma_mix_f32 v162, v137, v164, v162 op_sel_hi:[1,0,0]
	v_fma_mix_f32 v164, v181, v136, 0 op_sel:[0,1,0] op_sel_hi:[0,1,0]
	v_fma_mix_f32 v136, v204, v136, 0 op_sel:[0,1,0] op_sel_hi:[0,1,0]
	;; [unrolled: 1-line block ×3, first 2 shown]
	s_delay_alu instid0(VALU_DEP_2) | instskip(SKIP_3) | instid1(VALU_DEP_2)
	v_fma_mix_f32 v137, v146, v137, v136 op_sel:[0,1,0] op_sel_hi:[0,1,0]
	ds_load_b64 v[135:136], v135 offset:43584
	v_mul_f32_e32 v164, v164, v132
	v_mul_lo_u32 v145, v145, v187
	v_fma_f32 v153, v153, v128, -v164
	v_mul_f32_e32 v164, v200, v133
	s_delay_alu instid0(VALU_DEP_3) | instskip(NEXT) | instid1(VALU_DEP_2)
	v_cvt_f32_i32_e32 v145, v145
	v_fma_f32 v163, v163, v129, -v164
	v_mul_f32_e32 v164, v201, v134
	s_delay_alu instid0(VALU_DEP_2) | instskip(SKIP_4) | instid1(VALU_DEP_3)
	v_dual_add_f32 v25, v25, v153 :: v_dual_add_f32 v24, v24, v163
	s_waitcnt lgkmcnt(0)
	v_fma_mix_f32 v158, v135, v158, 0 op_sel_hi:[1,0,0]
	v_fma_mix_f32 v181, v181, v135, 0 op_sel:[0,1,0] op_sel_hi:[0,1,0]
	v_fma_f32 v162, v162, v130, -v164
	v_fma_mix_f32 v144, v136, v144, v158 op_sel_hi:[1,0,0]
	v_cvt_f32_i32_e32 v158, v159
	s_delay_alu instid0(VALU_DEP_4)
	v_fma_mix_f32 v174, v174, v136, v181 op_sel:[0,1,0] op_sel_hi:[0,1,0]
	v_fma_mix_f32 v181, v188, v135, 0 op_sel:[0,1,0] op_sel_hi:[0,1,0]
	v_cvt_f32_i32_e32 v159, v171
	v_mul_f32_e32 v171, v197, v132
	v_fma_mix_f32 v158, v135, v158, 0 op_sel_hi:[1,0,0]
	v_mul_lo_u32 v161, v161, v182
	v_fma_mix_f32 v173, v173, v136, v181 op_sel:[0,1,0] op_sel_hi:[0,1,0]
	v_fma_mix_f32 v181, v189, v135, 0 op_sel:[0,1,0] op_sel_hi:[0,1,0]
	v_mul_f32_e32 v137, v137, v131
	v_fma_mix_f32 v154, v136, v154, v158 op_sel_hi:[1,0,0]
	v_cvt_f32_i32_e32 v158, v160
	v_mul_f32_e32 v160, v214, v132
	v_fma_mix_f32 v176, v176, v136, v181 op_sel:[0,1,0] op_sel_hi:[0,1,0]
	v_fma_mix_f32 v181, v204, v135, 0 op_sel:[0,1,0] op_sel_hi:[0,1,0]
	v_fma_f32 v151, v151, v128, -v171
	v_fma_mix_f32 v158, v135, v158, 0 op_sel_hi:[1,0,0]
	v_fma_f32 v150, v150, v128, -v160
	v_mul_f32_e32 v160, v217, v133
	v_fma_mix_f32 v146, v146, v136, v181 op_sel:[0,1,0] op_sel_hi:[0,1,0]
	v_mul_f32_e32 v171, v215, v133
	v_fma_mix_f32 v158, v136, v159, v158 op_sel_hi:[1,0,0]
	v_cvt_f32_i32_e32 v159, v161
	s_delay_alu instid0(VALU_DEP_4) | instskip(SKIP_2) | instid1(VALU_DEP_4)
	v_dual_mul_f32 v161, v219, v134 :: v_dual_mul_f32 v146, v146, v131
	v_fma_f32 v160, v192, v129, -v160
	v_fma_f32 v171, v195, v129, -v171
	v_fma_mix_f32 v135, v135, v159, 0 op_sel_hi:[1,0,0]
	v_mul_f32_e32 v159, v213, v134
	v_fma_f32 v144, v144, v127, -v146
	v_mul_f32_e32 v146, v174, v132
	v_fma_f32 v161, v194, v130, -v161
	v_fma_mix_f32 v135, v136, v145, v135 op_sel_hi:[1,0,0]
	v_dual_mul_f32 v136, v143, v131 :: v_dual_mul_f32 v143, v205, v132
	v_mul_f32_e32 v145, v206, v133
	v_fma_f32 v146, v154, v128, -v146
	v_fma_f32 v159, v191, v130, -v159
	s_delay_alu instid0(VALU_DEP_4) | instskip(SKIP_3) | instid1(VALU_DEP_4)
	v_fma_f32 v136, v147, v127, -v136
	v_mul_f32_e32 v147, v207, v134
	v_fma_f32 v143, v157, v128, -v143
	v_dual_mul_f32 v157, v211, v132 :: v_dual_mul_f32 v154, v173, v133
	v_add_f32_e32 v31, v31, v136
	s_delay_alu instid0(VALU_DEP_4)
	v_fma_f32 v147, v155, v130, -v147
	v_mul_f32_e32 v155, v208, v132
	v_fma_f32 v145, v156, v129, -v145
	v_mul_f32_e32 v156, v210, v134
	v_fma_f32 v149, v149, v128, -v157
	v_mul_f32_e32 v157, v212, v133
	v_fma_f32 v148, v148, v128, -v155
	v_mul_f32_e32 v155, v209, v133
	v_fma_f32 v154, v158, v129, -v154
	v_dual_mul_f32 v158, v176, v134 :: v_dual_add_f32 v73, v73, v145
	v_fma_f32 v156, v185, v130, -v156
	s_delay_alu instid0(VALU_DEP_4)
	v_fma_f32 v155, v183, v129, -v155
	v_fma_f32 v157, v186, v129, -v157
	;; [unrolled: 1-line block ×4, first 2 shown]
	v_add_f32_e32 v76, v76, v143
	v_dual_add_f32 v71, v71, v147 :: v_dual_add_f32 v66, v66, v148
	v_dual_add_f32 v65, v65, v155 :: v_dual_add_f32 v64, v64, v156
	v_add_f32_e32 v61, v61, v157
	v_dual_add_f32 v62, v62, v149 :: v_dual_add_f32 v57, v57, v159
	v_dual_add_f32 v53, v53, v140 :: v_dual_add_f32 v40, v40, v161
	;; [unrolled: 1-line block ×3, first 2 shown]
	v_add_f32_e32 v36, v36, v151
	v_dual_add_f32 v35, v35, v171 :: v_dual_add_f32 v26, v26, v137
	v_dual_add_f32 v23, v23, v162 :: v_dual_add_f32 v22, v22, v144
	v_add_f32_e32 v21, v21, v146
	v_dual_add_f32 v20, v20, v154 :: v_dual_add_f32 v19, v19, v135
	s_cbranch_scc1 .LBB134_7
; %bb.8:                                ;   in Loop: Header=BB134_6 Depth=2
	s_mov_b32 s14, 1
	s_and_b32 vcc_lo, exec_lo, s1
	s_mov_b32 s1, 0
	s_barrier
	buffer_gl0_inv
	s_cbranch_vccz .LBB134_6
; %bb.9:                                ;   in Loop: Header=BB134_5 Depth=1
	s_add_i32 s5, s5, 1
	s_delay_alu instid0(SALU_CYCLE_1)
	s_cmp_eq_u32 s5, s4
	s_cbranch_scc0 .LBB134_5
; %bb.10:
	v_dual_mov_b32 v1, v28 :: v_dual_mov_b32 v0, v29
.LBB134_11:
	s_mov_b32 s0, exec_lo
	v_cmpx_gt_u32_e64 s6, v47
	s_cbranch_execz .LBB134_62
; %bb.12:
	s_delay_alu instid0(VALU_DEP_2) | instskip(SKIP_1) | instid1(VALU_DEP_2)
	v_add_nc_u32_e32 v0, s12, v0
	v_mul_lo_u32 v5, v47, s10
	v_cmp_gt_u32_e32 vcc_lo, s10, v0
	s_and_saveexec_b32 s1, vcc_lo
	s_cbranch_execz .LBB134_14
; %bb.13:
	s_delay_alu instid0(VALU_DEP_2) | instskip(NEXT) | instid1(VALU_DEP_1)
	v_dual_mov_b32 v3, 0 :: v_dual_add_nc_u32 v2, v0, v5
	v_lshlrev_b64 v[2:3], 2, v[2:3]
	s_waitcnt lgkmcnt(0)
	s_delay_alu instid0(VALU_DEP_1) | instskip(NEXT) | instid1(VALU_DEP_1)
	v_add_co_u32 v2, s0, s8, v2
	v_add_co_ci_u32_e64 v3, s0, s9, v3, s0
	global_store_b32 v[2:3], v31, off
.LBB134_14:
	s_or_b32 exec_lo, exec_lo, s1
	v_add_nc_u32_e32 v2, 32, v0
	s_delay_alu instid0(VALU_DEP_1) | instskip(NEXT) | instid1(VALU_DEP_1)
	v_cmp_gt_u32_e64 s0, s10, v2
	s_and_saveexec_b32 s2, s0
	s_cbranch_execz .LBB134_16
; %bb.15:
	v_dual_mov_b32 v4, 0 :: v_dual_add_nc_u32 v3, v2, v5
	s_delay_alu instid0(VALU_DEP_1) | instskip(SKIP_1) | instid1(VALU_DEP_1)
	v_lshlrev_b64 v[3:4], 2, v[3:4]
	s_waitcnt lgkmcnt(0)
	v_add_co_u32 v3, s1, s8, v3
	s_delay_alu instid0(VALU_DEP_1)
	v_add_co_ci_u32_e64 v4, s1, s9, v4, s1
	global_store_b32 v[3:4], v76, off
.LBB134_16:
	s_or_b32 exec_lo, exec_lo, s2
	v_add_nc_u32_e32 v3, 64, v0
	s_delay_alu instid0(VALU_DEP_1) | instskip(NEXT) | instid1(VALU_DEP_1)
	v_cmp_gt_u32_e64 s1, s10, v3
	s_and_saveexec_b32 s3, s1
	s_cbranch_execz .LBB134_18
; %bb.17:
	v_dual_mov_b32 v7, 0 :: v_dual_add_nc_u32 v6, v3, v5
	s_delay_alu instid0(VALU_DEP_1) | instskip(SKIP_1) | instid1(VALU_DEP_1)
	v_lshlrev_b64 v[6:7], 2, v[6:7]
	s_waitcnt lgkmcnt(0)
	v_add_co_u32 v6, s2, s8, v6
	s_delay_alu instid0(VALU_DEP_1)
	v_add_co_ci_u32_e64 v7, s2, s9, v7, s2
	global_store_b32 v[6:7], v73, off
.LBB134_18:
	;; [unrolled: 16-line block ×3, first 2 shown]
	s_or_b32 exec_lo, exec_lo, s4
	v_add3_u32 v5, v1, s11, 8
	s_delay_alu instid0(VALU_DEP_1) | instskip(NEXT) | instid1(VALU_DEP_1)
	v_cmp_gt_u32_e64 s3, s6, v5
	s_and_b32 exec_lo, exec_lo, s3
	s_cbranch_execz .LBB134_62
; %bb.21:
	v_mul_lo_u32 v5, v5, s10
	s_and_saveexec_b32 s4, vcc_lo
	s_cbranch_execnz .LBB134_63
; %bb.22:
	s_or_b32 exec_lo, exec_lo, s4
	s_and_saveexec_b32 s4, s0
	s_cbranch_execnz .LBB134_64
.LBB134_23:
	s_or_b32 exec_lo, exec_lo, s4
	s_and_saveexec_b32 s4, s1
	s_cbranch_execnz .LBB134_65
.LBB134_24:
	s_or_b32 exec_lo, exec_lo, s4
	s_and_saveexec_b32 s4, s2
	s_cbranch_execz .LBB134_26
.LBB134_25:
	v_dual_mov_b32 v6, 0 :: v_dual_add_nc_u32 v5, v5, v4
	s_delay_alu instid0(VALU_DEP_1) | instskip(SKIP_1) | instid1(VALU_DEP_1)
	v_lshlrev_b64 v[5:6], 2, v[5:6]
	s_waitcnt lgkmcnt(0)
	v_add_co_u32 v5, s3, s8, v5
	s_delay_alu instid0(VALU_DEP_1)
	v_add_co_ci_u32_e64 v6, s3, s9, v6, s3
	global_store_b32 v[5:6], v64, off
.LBB134_26:
	s_or_b32 exec_lo, exec_lo, s4
	v_add3_u32 v5, v1, s11, 16
	s_delay_alu instid0(VALU_DEP_1) | instskip(NEXT) | instid1(VALU_DEP_1)
	v_cmp_gt_u32_e64 s3, s6, v5
	s_and_b32 exec_lo, exec_lo, s3
	s_cbranch_execz .LBB134_62
; %bb.27:
	v_mul_lo_u32 v5, v5, s10
	s_and_saveexec_b32 s4, vcc_lo
	s_cbranch_execnz .LBB134_66
; %bb.28:
	s_or_b32 exec_lo, exec_lo, s4
	s_and_saveexec_b32 s4, s0
	s_cbranch_execnz .LBB134_67
.LBB134_29:
	s_or_b32 exec_lo, exec_lo, s4
	s_and_saveexec_b32 s4, s1
	s_cbranch_execnz .LBB134_68
.LBB134_30:
	s_or_b32 exec_lo, exec_lo, s4
	s_and_saveexec_b32 s4, s2
	s_cbranch_execz .LBB134_32
.LBB134_31:
	v_dual_mov_b32 v6, 0 :: v_dual_add_nc_u32 v5, v5, v4
	s_delay_alu instid0(VALU_DEP_1) | instskip(SKIP_1) | instid1(VALU_DEP_1)
	v_lshlrev_b64 v[5:6], 2, v[5:6]
	s_waitcnt lgkmcnt(0)
	v_add_co_u32 v5, s3, s8, v5
	s_delay_alu instid0(VALU_DEP_1)
	v_add_co_ci_u32_e64 v6, s3, s9, v6, s3
	global_store_b32 v[5:6], v57, off
.LBB134_32:
	s_or_b32 exec_lo, exec_lo, s4
	v_add3_u32 v5, v1, s11, 24
	s_delay_alu instid0(VALU_DEP_1) | instskip(NEXT) | instid1(VALU_DEP_1)
	v_cmp_gt_u32_e64 s3, s6, v5
	s_and_b32 exec_lo, exec_lo, s3
	s_cbranch_execz .LBB134_62
; %bb.33:
	v_mul_lo_u32 v5, v5, s10
	s_and_saveexec_b32 s4, vcc_lo
	s_cbranch_execnz .LBB134_69
; %bb.34:
	s_or_b32 exec_lo, exec_lo, s4
	s_and_saveexec_b32 s4, s0
	s_cbranch_execnz .LBB134_70
.LBB134_35:
	s_or_b32 exec_lo, exec_lo, s4
	s_and_saveexec_b32 s4, s1
	s_cbranch_execnz .LBB134_71
.LBB134_36:
	s_or_b32 exec_lo, exec_lo, s4
	s_and_saveexec_b32 s4, s2
	s_cbranch_execz .LBB134_38
.LBB134_37:
	v_dual_mov_b32 v6, 0 :: v_dual_add_nc_u32 v5, v5, v4
	s_delay_alu instid0(VALU_DEP_1) | instskip(SKIP_1) | instid1(VALU_DEP_1)
	v_lshlrev_b64 v[5:6], 2, v[5:6]
	s_waitcnt lgkmcnt(0)
	v_add_co_u32 v5, s3, s8, v5
	s_delay_alu instid0(VALU_DEP_1)
	v_add_co_ci_u32_e64 v6, s3, s9, v6, s3
	global_store_b32 v[5:6], v40, off
.LBB134_38:
	s_or_b32 exec_lo, exec_lo, s4
	v_add3_u32 v5, v1, s11, 32
	s_delay_alu instid0(VALU_DEP_1) | instskip(NEXT) | instid1(VALU_DEP_1)
	v_cmp_gt_u32_e64 s3, s6, v5
	s_and_b32 exec_lo, exec_lo, s3
	s_cbranch_execz .LBB134_62
; %bb.39:
	v_mul_lo_u32 v5, v5, s10
	s_and_saveexec_b32 s4, vcc_lo
	s_cbranch_execnz .LBB134_72
; %bb.40:
	s_or_b32 exec_lo, exec_lo, s4
	s_and_saveexec_b32 s4, s0
	s_cbranch_execnz .LBB134_73
.LBB134_41:
	s_or_b32 exec_lo, exec_lo, s4
	s_and_saveexec_b32 s4, s1
	s_cbranch_execnz .LBB134_74
.LBB134_42:
	s_or_b32 exec_lo, exec_lo, s4
	s_and_saveexec_b32 s4, s2
	s_cbranch_execz .LBB134_44
.LBB134_43:
	v_dual_mov_b32 v6, 0 :: v_dual_add_nc_u32 v5, v5, v4
	s_delay_alu instid0(VALU_DEP_1) | instskip(SKIP_1) | instid1(VALU_DEP_1)
	v_lshlrev_b64 v[5:6], 2, v[5:6]
	s_waitcnt lgkmcnt(0)
	v_add_co_u32 v5, s3, s8, v5
	s_delay_alu instid0(VALU_DEP_1)
	v_add_co_ci_u32_e64 v6, s3, s9, v6, s3
	global_store_b32 v[5:6], v34, off
.LBB134_44:
	s_or_b32 exec_lo, exec_lo, s4
	v_add3_u32 v5, v1, s11, 40
	s_delay_alu instid0(VALU_DEP_1) | instskip(NEXT) | instid1(VALU_DEP_1)
	v_cmp_gt_u32_e64 s3, s6, v5
	s_and_b32 exec_lo, exec_lo, s3
	s_cbranch_execz .LBB134_62
; %bb.45:
	v_mul_lo_u32 v5, v5, s10
	s_and_saveexec_b32 s4, vcc_lo
	s_cbranch_execnz .LBB134_75
; %bb.46:
	s_or_b32 exec_lo, exec_lo, s4
	s_and_saveexec_b32 s4, s0
	s_cbranch_execnz .LBB134_76
.LBB134_47:
	s_or_b32 exec_lo, exec_lo, s4
	s_and_saveexec_b32 s4, s1
	s_cbranch_execnz .LBB134_77
.LBB134_48:
	s_or_b32 exec_lo, exec_lo, s4
	s_and_saveexec_b32 s4, s2
	s_cbranch_execz .LBB134_50
.LBB134_49:
	v_dual_mov_b32 v6, 0 :: v_dual_add_nc_u32 v5, v5, v4
	s_delay_alu instid0(VALU_DEP_1) | instskip(SKIP_1) | instid1(VALU_DEP_1)
	v_lshlrev_b64 v[5:6], 2, v[5:6]
	s_waitcnt lgkmcnt(0)
	v_add_co_u32 v5, s3, s8, v5
	s_delay_alu instid0(VALU_DEP_1)
	v_add_co_ci_u32_e64 v6, s3, s9, v6, s3
	global_store_b32 v[5:6], v27, off
.LBB134_50:
	s_or_b32 exec_lo, exec_lo, s4
	v_add3_u32 v5, v1, s11, 48
	s_delay_alu instid0(VALU_DEP_1) | instskip(NEXT) | instid1(VALU_DEP_1)
	v_cmp_gt_u32_e64 s3, s6, v5
	s_and_b32 exec_lo, exec_lo, s3
	s_cbranch_execz .LBB134_62
; %bb.51:
	v_mul_lo_u32 v5, v5, s10
	s_and_saveexec_b32 s4, vcc_lo
	s_cbranch_execnz .LBB134_78
; %bb.52:
	s_or_b32 exec_lo, exec_lo, s4
	s_and_saveexec_b32 s4, s0
	s_cbranch_execnz .LBB134_79
.LBB134_53:
	s_or_b32 exec_lo, exec_lo, s4
	s_and_saveexec_b32 s4, s1
	s_cbranch_execnz .LBB134_80
.LBB134_54:
	s_or_b32 exec_lo, exec_lo, s4
	s_and_saveexec_b32 s4, s2
	s_cbranch_execz .LBB134_56
.LBB134_55:
	v_dual_mov_b32 v6, 0 :: v_dual_add_nc_u32 v5, v5, v4
	s_delay_alu instid0(VALU_DEP_1) | instskip(SKIP_1) | instid1(VALU_DEP_1)
	v_lshlrev_b64 v[5:6], 2, v[5:6]
	s_waitcnt lgkmcnt(0)
	v_add_co_u32 v5, s3, s8, v5
	s_delay_alu instid0(VALU_DEP_1)
	v_add_co_ci_u32_e64 v6, s3, s9, v6, s3
	global_store_b32 v[5:6], v23, off
.LBB134_56:
	s_or_b32 exec_lo, exec_lo, s4
	v_add3_u32 v1, v1, s11, 56
	s_delay_alu instid0(VALU_DEP_1) | instskip(NEXT) | instid1(VALU_DEP_1)
	v_cmp_gt_u32_e64 s3, s6, v1
	s_and_b32 exec_lo, exec_lo, s3
	s_cbranch_execz .LBB134_62
; %bb.57:
	v_mul_lo_u32 v1, v1, s10
	s_and_saveexec_b32 s3, vcc_lo
	s_cbranch_execnz .LBB134_81
; %bb.58:
	s_or_b32 exec_lo, exec_lo, s3
	s_and_saveexec_b32 s3, s0
	s_cbranch_execnz .LBB134_82
.LBB134_59:
	s_or_b32 exec_lo, exec_lo, s3
	s_and_saveexec_b32 s0, s1
	s_cbranch_execnz .LBB134_83
.LBB134_60:
	s_or_b32 exec_lo, exec_lo, s0
	s_delay_alu instid0(SALU_CYCLE_1)
	s_and_b32 exec_lo, exec_lo, s2
	s_cbranch_execz .LBB134_62
.LBB134_61:
	v_dual_mov_b32 v1, 0 :: v_dual_add_nc_u32 v0, v1, v4
	s_delay_alu instid0(VALU_DEP_1) | instskip(SKIP_1) | instid1(VALU_DEP_1)
	v_lshlrev_b64 v[0:1], 2, v[0:1]
	s_waitcnt lgkmcnt(0)
	v_add_co_u32 v0, vcc_lo, s8, v0
	s_delay_alu instid0(VALU_DEP_2)
	v_add_co_ci_u32_e32 v1, vcc_lo, s9, v1, vcc_lo
	global_store_b32 v[0:1], v19, off
.LBB134_62:
	s_nop 0
	s_sendmsg sendmsg(MSG_DEALLOC_VGPRS)
	s_endpgm
.LBB134_63:
	s_delay_alu instid0(VALU_DEP_1) | instskip(NEXT) | instid1(VALU_DEP_1)
	v_dual_mov_b32 v7, 0 :: v_dual_add_nc_u32 v6, v5, v0
	v_lshlrev_b64 v[6:7], 2, v[6:7]
	s_waitcnt lgkmcnt(0)
	s_delay_alu instid0(VALU_DEP_1) | instskip(NEXT) | instid1(VALU_DEP_1)
	v_add_co_u32 v6, s3, s8, v6
	v_add_co_ci_u32_e64 v7, s3, s9, v7, s3
	global_store_b32 v[6:7], v70, off
	s_or_b32 exec_lo, exec_lo, s4
	s_and_saveexec_b32 s4, s0
	s_cbranch_execz .LBB134_23
.LBB134_64:
	s_delay_alu instid0(VALU_DEP_1) | instskip(NEXT) | instid1(VALU_DEP_1)
	v_dual_mov_b32 v7, 0 :: v_dual_add_nc_u32 v6, v5, v2
	v_lshlrev_b64 v[6:7], 2, v[6:7]
	s_waitcnt lgkmcnt(0)
	s_delay_alu instid0(VALU_DEP_1) | instskip(NEXT) | instid1(VALU_DEP_1)
	v_add_co_u32 v6, s3, s8, v6
	v_add_co_ci_u32_e64 v7, s3, s9, v7, s3
	global_store_b32 v[6:7], v66, off
	s_or_b32 exec_lo, exec_lo, s4
	s_and_saveexec_b32 s4, s1
	s_cbranch_execz .LBB134_24
.LBB134_65:
	v_dual_mov_b32 v7, 0 :: v_dual_add_nc_u32 v6, v5, v3
	s_delay_alu instid0(VALU_DEP_1) | instskip(SKIP_1) | instid1(VALU_DEP_1)
	v_lshlrev_b64 v[6:7], 2, v[6:7]
	s_waitcnt lgkmcnt(0)
	v_add_co_u32 v6, s3, s8, v6
	s_delay_alu instid0(VALU_DEP_1)
	v_add_co_ci_u32_e64 v7, s3, s9, v7, s3
	global_store_b32 v[6:7], v65, off
	s_or_b32 exec_lo, exec_lo, s4
	s_and_saveexec_b32 s4, s2
	s_cbranch_execnz .LBB134_25
	s_branch .LBB134_26
.LBB134_66:
	s_delay_alu instid0(VALU_DEP_1) | instskip(NEXT) | instid1(VALU_DEP_1)
	v_dual_mov_b32 v7, 0 :: v_dual_add_nc_u32 v6, v5, v0
	v_lshlrev_b64 v[6:7], 2, v[6:7]
	s_waitcnt lgkmcnt(0)
	s_delay_alu instid0(VALU_DEP_1) | instskip(NEXT) | instid1(VALU_DEP_1)
	v_add_co_u32 v6, s3, s8, v6
	v_add_co_ci_u32_e64 v7, s3, s9, v7, s3
	global_store_b32 v[6:7], v63, off
	s_or_b32 exec_lo, exec_lo, s4
	s_and_saveexec_b32 s4, s0
	s_cbranch_execz .LBB134_29
.LBB134_67:
	s_delay_alu instid0(VALU_DEP_1) | instskip(NEXT) | instid1(VALU_DEP_1)
	v_dual_mov_b32 v7, 0 :: v_dual_add_nc_u32 v6, v5, v2
	v_lshlrev_b64 v[6:7], 2, v[6:7]
	s_waitcnt lgkmcnt(0)
	s_delay_alu instid0(VALU_DEP_1) | instskip(NEXT) | instid1(VALU_DEP_1)
	v_add_co_u32 v6, s3, s8, v6
	v_add_co_ci_u32_e64 v7, s3, s9, v7, s3
	global_store_b32 v[6:7], v62, off
	s_or_b32 exec_lo, exec_lo, s4
	s_and_saveexec_b32 s4, s1
	s_cbranch_execz .LBB134_30
.LBB134_68:
	v_dual_mov_b32 v7, 0 :: v_dual_add_nc_u32 v6, v5, v3
	s_delay_alu instid0(VALU_DEP_1) | instskip(SKIP_1) | instid1(VALU_DEP_1)
	v_lshlrev_b64 v[6:7], 2, v[6:7]
	s_waitcnt lgkmcnt(0)
	v_add_co_u32 v6, s3, s8, v6
	s_delay_alu instid0(VALU_DEP_1)
	v_add_co_ci_u32_e64 v7, s3, s9, v7, s3
	global_store_b32 v[6:7], v61, off
	s_or_b32 exec_lo, exec_lo, s4
	s_and_saveexec_b32 s4, s2
	s_cbranch_execnz .LBB134_31
	s_branch .LBB134_32
.LBB134_69:
	s_delay_alu instid0(VALU_DEP_1) | instskip(NEXT) | instid1(VALU_DEP_1)
	v_dual_mov_b32 v7, 0 :: v_dual_add_nc_u32 v6, v5, v0
	v_lshlrev_b64 v[6:7], 2, v[6:7]
	s_waitcnt lgkmcnt(0)
	s_delay_alu instid0(VALU_DEP_1) | instskip(NEXT) | instid1(VALU_DEP_1)
	v_add_co_u32 v6, s3, s8, v6
	v_add_co_ci_u32_e64 v7, s3, s9, v7, s3
	global_store_b32 v[6:7], v53, off
	s_or_b32 exec_lo, exec_lo, s4
	s_and_saveexec_b32 s4, s0
	s_cbranch_execz .LBB134_35
.LBB134_70:
	s_delay_alu instid0(VALU_DEP_1) | instskip(NEXT) | instid1(VALU_DEP_1)
	v_dual_mov_b32 v7, 0 :: v_dual_add_nc_u32 v6, v5, v2
	v_lshlrev_b64 v[6:7], 2, v[6:7]
	s_waitcnt lgkmcnt(0)
	s_delay_alu instid0(VALU_DEP_1) | instskip(NEXT) | instid1(VALU_DEP_1)
	v_add_co_u32 v6, s3, s8, v6
	v_add_co_ci_u32_e64 v7, s3, s9, v7, s3
	global_store_b32 v[6:7], v49, off
	s_or_b32 exec_lo, exec_lo, s4
	s_and_saveexec_b32 s4, s1
	s_cbranch_execz .LBB134_36
.LBB134_71:
	v_dual_mov_b32 v7, 0 :: v_dual_add_nc_u32 v6, v5, v3
	s_delay_alu instid0(VALU_DEP_1) | instskip(SKIP_1) | instid1(VALU_DEP_1)
	v_lshlrev_b64 v[6:7], 2, v[6:7]
	s_waitcnt lgkmcnt(0)
	v_add_co_u32 v6, s3, s8, v6
	s_delay_alu instid0(VALU_DEP_1)
	v_add_co_ci_u32_e64 v7, s3, s9, v7, s3
	global_store_b32 v[6:7], v46, off
	s_or_b32 exec_lo, exec_lo, s4
	s_and_saveexec_b32 s4, s2
	s_cbranch_execnz .LBB134_37
	s_branch .LBB134_38
.LBB134_72:
	s_delay_alu instid0(VALU_DEP_1) | instskip(NEXT) | instid1(VALU_DEP_1)
	v_dual_mov_b32 v7, 0 :: v_dual_add_nc_u32 v6, v5, v0
	v_lshlrev_b64 v[6:7], 2, v[6:7]
	s_waitcnt lgkmcnt(0)
	s_delay_alu instid0(VALU_DEP_1) | instskip(NEXT) | instid1(VALU_DEP_1)
	v_add_co_u32 v6, s3, s8, v6
	v_add_co_ci_u32_e64 v7, s3, s9, v7, s3
	global_store_b32 v[6:7], v37, off
	s_or_b32 exec_lo, exec_lo, s4
	s_and_saveexec_b32 s4, s0
	s_cbranch_execz .LBB134_41
.LBB134_73:
	s_delay_alu instid0(VALU_DEP_1) | instskip(NEXT) | instid1(VALU_DEP_1)
	v_dual_mov_b32 v7, 0 :: v_dual_add_nc_u32 v6, v5, v2
	v_lshlrev_b64 v[6:7], 2, v[6:7]
	s_waitcnt lgkmcnt(0)
	s_delay_alu instid0(VALU_DEP_1) | instskip(NEXT) | instid1(VALU_DEP_1)
	v_add_co_u32 v6, s3, s8, v6
	v_add_co_ci_u32_e64 v7, s3, s9, v7, s3
	global_store_b32 v[6:7], v36, off
	s_or_b32 exec_lo, exec_lo, s4
	s_and_saveexec_b32 s4, s1
	s_cbranch_execz .LBB134_42
.LBB134_74:
	v_dual_mov_b32 v7, 0 :: v_dual_add_nc_u32 v6, v5, v3
	s_delay_alu instid0(VALU_DEP_1) | instskip(SKIP_1) | instid1(VALU_DEP_1)
	v_lshlrev_b64 v[6:7], 2, v[6:7]
	s_waitcnt lgkmcnt(0)
	v_add_co_u32 v6, s3, s8, v6
	s_delay_alu instid0(VALU_DEP_1)
	v_add_co_ci_u32_e64 v7, s3, s9, v7, s3
	global_store_b32 v[6:7], v35, off
	s_or_b32 exec_lo, exec_lo, s4
	s_and_saveexec_b32 s4, s2
	s_cbranch_execnz .LBB134_43
	s_branch .LBB134_44
.LBB134_75:
	s_delay_alu instid0(VALU_DEP_1) | instskip(NEXT) | instid1(VALU_DEP_1)
	v_dual_mov_b32 v7, 0 :: v_dual_add_nc_u32 v6, v5, v0
	v_lshlrev_b64 v[6:7], 2, v[6:7]
	s_waitcnt lgkmcnt(0)
	s_delay_alu instid0(VALU_DEP_1) | instskip(NEXT) | instid1(VALU_DEP_1)
	v_add_co_u32 v6, s3, s8, v6
	v_add_co_ci_u32_e64 v7, s3, s9, v7, s3
	global_store_b32 v[6:7], v33, off
	s_or_b32 exec_lo, exec_lo, s4
	s_and_saveexec_b32 s4, s0
	s_cbranch_execz .LBB134_47
.LBB134_76:
	s_delay_alu instid0(VALU_DEP_1) | instskip(NEXT) | instid1(VALU_DEP_1)
	v_dual_mov_b32 v7, 0 :: v_dual_add_nc_u32 v6, v5, v2
	v_lshlrev_b64 v[6:7], 2, v[6:7]
	s_waitcnt lgkmcnt(0)
	s_delay_alu instid0(VALU_DEP_1) | instskip(NEXT) | instid1(VALU_DEP_1)
	v_add_co_u32 v6, s3, s8, v6
	v_add_co_ci_u32_e64 v7, s3, s9, v7, s3
	global_store_b32 v[6:7], v32, off
	s_or_b32 exec_lo, exec_lo, s4
	s_and_saveexec_b32 s4, s1
	s_cbranch_execz .LBB134_48
.LBB134_77:
	v_dual_mov_b32 v7, 0 :: v_dual_add_nc_u32 v6, v5, v3
	s_delay_alu instid0(VALU_DEP_1) | instskip(SKIP_1) | instid1(VALU_DEP_1)
	v_lshlrev_b64 v[6:7], 2, v[6:7]
	s_waitcnt lgkmcnt(0)
	v_add_co_u32 v6, s3, s8, v6
	s_delay_alu instid0(VALU_DEP_1)
	v_add_co_ci_u32_e64 v7, s3, s9, v7, s3
	global_store_b32 v[6:7], v30, off
	s_or_b32 exec_lo, exec_lo, s4
	s_and_saveexec_b32 s4, s2
	s_cbranch_execnz .LBB134_49
	s_branch .LBB134_50
.LBB134_78:
	s_delay_alu instid0(VALU_DEP_1) | instskip(NEXT) | instid1(VALU_DEP_1)
	v_dual_mov_b32 v7, 0 :: v_dual_add_nc_u32 v6, v5, v0
	v_lshlrev_b64 v[6:7], 2, v[6:7]
	s_waitcnt lgkmcnt(0)
	s_delay_alu instid0(VALU_DEP_1) | instskip(NEXT) | instid1(VALU_DEP_1)
	v_add_co_u32 v6, s3, s8, v6
	v_add_co_ci_u32_e64 v7, s3, s9, v7, s3
	global_store_b32 v[6:7], v26, off
	s_or_b32 exec_lo, exec_lo, s4
	s_and_saveexec_b32 s4, s0
	s_cbranch_execz .LBB134_53
.LBB134_79:
	s_delay_alu instid0(VALU_DEP_1) | instskip(NEXT) | instid1(VALU_DEP_1)
	v_dual_mov_b32 v7, 0 :: v_dual_add_nc_u32 v6, v5, v2
	v_lshlrev_b64 v[6:7], 2, v[6:7]
	s_waitcnt lgkmcnt(0)
	s_delay_alu instid0(VALU_DEP_1) | instskip(NEXT) | instid1(VALU_DEP_1)
	v_add_co_u32 v6, s3, s8, v6
	v_add_co_ci_u32_e64 v7, s3, s9, v7, s3
	global_store_b32 v[6:7], v25, off
	s_or_b32 exec_lo, exec_lo, s4
	s_and_saveexec_b32 s4, s1
	s_cbranch_execz .LBB134_54
.LBB134_80:
	v_dual_mov_b32 v7, 0 :: v_dual_add_nc_u32 v6, v5, v3
	s_delay_alu instid0(VALU_DEP_1) | instskip(SKIP_1) | instid1(VALU_DEP_1)
	v_lshlrev_b64 v[6:7], 2, v[6:7]
	s_waitcnt lgkmcnt(0)
	v_add_co_u32 v6, s3, s8, v6
	s_delay_alu instid0(VALU_DEP_1)
	v_add_co_ci_u32_e64 v7, s3, s9, v7, s3
	global_store_b32 v[6:7], v24, off
	s_or_b32 exec_lo, exec_lo, s4
	s_and_saveexec_b32 s4, s2
	s_cbranch_execnz .LBB134_55
	s_branch .LBB134_56
.LBB134_81:
	s_delay_alu instid0(VALU_DEP_1) | instskip(NEXT) | instid1(VALU_DEP_1)
	v_dual_mov_b32 v6, 0 :: v_dual_add_nc_u32 v5, v1, v0
	v_lshlrev_b64 v[5:6], 2, v[5:6]
	s_waitcnt lgkmcnt(0)
	s_delay_alu instid0(VALU_DEP_1) | instskip(NEXT) | instid1(VALU_DEP_2)
	v_add_co_u32 v5, vcc_lo, s8, v5
	v_add_co_ci_u32_e32 v6, vcc_lo, s9, v6, vcc_lo
	global_store_b32 v[5:6], v22, off
	s_or_b32 exec_lo, exec_lo, s3
	s_and_saveexec_b32 s3, s0
	s_cbranch_execz .LBB134_59
.LBB134_82:
	s_delay_alu instid0(VALU_DEP_1) | instskip(NEXT) | instid1(VALU_DEP_1)
	v_dual_mov_b32 v6, 0 :: v_dual_add_nc_u32 v5, v1, v2
	v_lshlrev_b64 v[5:6], 2, v[5:6]
	s_waitcnt lgkmcnt(0)
	s_delay_alu instid0(VALU_DEP_1) | instskip(NEXT) | instid1(VALU_DEP_2)
	v_add_co_u32 v5, vcc_lo, s8, v5
	v_add_co_ci_u32_e32 v6, vcc_lo, s9, v6, vcc_lo
	global_store_b32 v[5:6], v21, off
	s_or_b32 exec_lo, exec_lo, s3
	s_and_saveexec_b32 s0, s1
	s_cbranch_execz .LBB134_60
.LBB134_83:
	v_dual_mov_b32 v3, 0 :: v_dual_add_nc_u32 v2, v1, v3
	s_delay_alu instid0(VALU_DEP_1) | instskip(SKIP_1) | instid1(VALU_DEP_1)
	v_lshlrev_b64 v[2:3], 2, v[2:3]
	s_waitcnt lgkmcnt(0)
	v_add_co_u32 v2, vcc_lo, s8, v2
	s_delay_alu instid0(VALU_DEP_2) | instskip(SKIP_2) | instid1(SALU_CYCLE_1)
	v_add_co_ci_u32_e32 v3, vcc_lo, s9, v3, vcc_lo
	global_store_b32 v[2:3], v20, off
	s_or_b32 exec_lo, exec_lo, s0
	s_and_b32 exec_lo, exec_lo, s2
	s_cbranch_execnz .LBB134_61
	s_branch .LBB134_62
	.section	.rodata,"a",@progbits
	.p2align	6, 0x0
	.amdhsa_kernel _ZL12mul_mat_q5_KIfLb1EEvPKvS1_PT_iiiii
		.amdhsa_group_segment_fixed_size 45136
		.amdhsa_private_segment_fixed_size 0
		.amdhsa_kernarg_size 44
		.amdhsa_user_sgpr_count 14
		.amdhsa_user_sgpr_dispatch_ptr 0
		.amdhsa_user_sgpr_queue_ptr 0
		.amdhsa_user_sgpr_kernarg_segment_ptr 1
		.amdhsa_user_sgpr_dispatch_id 0
		.amdhsa_user_sgpr_private_segment_size 0
		.amdhsa_wavefront_size32 1
		.amdhsa_uses_dynamic_stack 0
		.amdhsa_enable_private_segment 0
		.amdhsa_system_sgpr_workgroup_id_x 1
		.amdhsa_system_sgpr_workgroup_id_y 1
		.amdhsa_system_sgpr_workgroup_id_z 0
		.amdhsa_system_sgpr_workgroup_info 0
		.amdhsa_system_vgpr_workitem_id 1
		.amdhsa_next_free_vgpr 248
		.amdhsa_next_free_sgpr 18
		.amdhsa_reserve_vcc 1
		.amdhsa_float_round_mode_32 0
		.amdhsa_float_round_mode_16_64 0
		.amdhsa_float_denorm_mode_32 3
		.amdhsa_float_denorm_mode_16_64 3
		.amdhsa_dx10_clamp 1
		.amdhsa_ieee_mode 1
		.amdhsa_fp16_overflow 0
		.amdhsa_workgroup_processor_mode 1
		.amdhsa_memory_ordered 1
		.amdhsa_forward_progress 0
		.amdhsa_shared_vgpr_count 0
		.amdhsa_exception_fp_ieee_invalid_op 0
		.amdhsa_exception_fp_denorm_src 0
		.amdhsa_exception_fp_ieee_div_zero 0
		.amdhsa_exception_fp_ieee_overflow 0
		.amdhsa_exception_fp_ieee_underflow 0
		.amdhsa_exception_fp_ieee_inexact 0
		.amdhsa_exception_int_div_zero 0
	.end_amdhsa_kernel
	.section	.text._ZL12mul_mat_q5_KIfLb1EEvPKvS1_PT_iiiii,"axG",@progbits,_ZL12mul_mat_q5_KIfLb1EEvPKvS1_PT_iiiii,comdat
.Lfunc_end134:
	.size	_ZL12mul_mat_q5_KIfLb1EEvPKvS1_PT_iiiii, .Lfunc_end134-_ZL12mul_mat_q5_KIfLb1EEvPKvS1_PT_iiiii
                                        ; -- End function
	.section	.AMDGPU.csdata,"",@progbits
; Kernel info:
; codeLenInByte = 16024
; NumSgprs: 20
; NumVgprs: 248
; ScratchSize: 0
; MemoryBound: 0
; FloatMode: 240
; IeeeMode: 1
; LDSByteSize: 45136 bytes/workgroup (compile time only)
; SGPRBlocks: 2
; VGPRBlocks: 30
; NumSGPRsForWavesPerEU: 20
; NumVGPRsForWavesPerEU: 248
; Occupancy: 4
; WaveLimiterHint : 0
; COMPUTE_PGM_RSRC2:SCRATCH_EN: 0
; COMPUTE_PGM_RSRC2:USER_SGPR: 14
; COMPUTE_PGM_RSRC2:TRAP_HANDLER: 0
; COMPUTE_PGM_RSRC2:TGID_X_EN: 1
; COMPUTE_PGM_RSRC2:TGID_Y_EN: 1
; COMPUTE_PGM_RSRC2:TGID_Z_EN: 0
; COMPUTE_PGM_RSRC2:TIDIG_COMP_CNT: 1
	.section	.text._ZL12mul_mat_q6_KIfLb0EEvPKvS1_PT_iiiii,"axG",@progbits,_ZL12mul_mat_q6_KIfLb0EEvPKvS1_PT_iiiii,comdat
	.globl	_ZL12mul_mat_q6_KIfLb0EEvPKvS1_PT_iiiii ; -- Begin function _ZL12mul_mat_q6_KIfLb0EEvPKvS1_PT_iiiii
	.p2align	8
	.type	_ZL12mul_mat_q6_KIfLb0EEvPKvS1_PT_iiiii,@function
_ZL12mul_mat_q6_KIfLb0EEvPKvS1_PT_iiiii: ; @_ZL12mul_mat_q6_KIfLb0EEvPKvS1_PT_iiiii
; %bb.0:
	s_clause 0x1
	s_load_b32 s11, s[0:1], 0x18
	s_load_b128 s[4:7], s[0:1], 0x20
	v_bfe_u32 v29, v0, 10, 10
	v_and_b32_e32 v30, 0x3ff, v0
	s_waitcnt lgkmcnt(0)
	s_lshl_b32 s7, s15, 6
	s_cmpk_gt_i32 s11, 0xff
	s_cbranch_scc1 .LBB135_2
; %bb.1:
	v_bfe_u32 v1, v0, 10, 10
	v_and_b32_e32 v0, 0x3ff, v0
	s_mov_b32 s2, 0
	s_mov_b32 s3, 0
	s_delay_alu instid0(VALU_DEP_2)
	v_add_nc_u32_e32 v2, s7, v1
	s_branch .LBB135_3
.LBB135_2:
	s_mov_b32 s2, -1
                                        ; implicit-def: $sgpr3
                                        ; implicit-def: $vgpr1
                                        ; implicit-def: $vgpr0
                                        ; implicit-def: $vgpr2
.LBB135_3:
	s_load_b64 s[8:9], s[0:1], 0x10
	v_dual_mov_b32 v17, s3 :: v_dual_mov_b32 v42, s3
	v_dual_mov_b32 v21, s3 :: v_dual_mov_b32 v18, s3
	;; [unrolled: 1-line block ×13, first 2 shown]
	v_mov_b32_e32 v39, s3
	v_mov_b32_e32 v45, s3
	;; [unrolled: 1-line block ×6, first 2 shown]
	s_and_not1_b32 vcc_lo, exec_lo, s2
	s_lshl_b32 s10, s14, 7
	s_cbranch_vccnz .LBB135_11
; %bb.4:
	s_load_b128 s[0:3], s[0:1], 0x0
	s_ashr_i32 s12, s11, 31
	s_ashr_i32 s13, s5, 31
	s_lshr_b32 s12, s12, 24
	v_lshrrev_b32_e32 v28, 5, v30
	s_add_i32 s11, s11, s12
	s_lshr_b32 s12, s13, 27
	s_ashr_i32 s11, s11, 8
	s_add_i32 s5, s5, s12
	s_mul_i32 s12, s11, s10
	v_dual_mov_b32 v48, v28 :: v_dual_add_nc_u32 v13, s7, v29
	s_ashr_i32 s13, s5, 5
	s_mul_i32 s5, s12, 0xd2
	s_mul_hi_i32 s12, s12, 0xd2
	s_delay_alu instid0(VALU_DEP_1)
	v_dual_mov_b32 v41, 0 :: v_dual_add_nc_u32 v4, 8, v13
	v_mul_i32_i24_e32 v26, s11, v29
	v_dual_mov_b32 v55, 0 :: v_dual_and_b32 v18, 31, v30
	s_waitcnt lgkmcnt(0)
	s_add_u32 s5, s0, s5
	s_addc_u32 s12, s1, s12
	s_lshl_b32 s0, s11, 3
	s_add_i32 s1, s4, -1
	v_mad_i32_i24 v5, s11, v29, s0
	v_cvt_f64_i32_e32 v[2:3], s1
	v_cmp_lt_u32_e32 vcc_lo, 15, v18
	v_add_nc_u16 v23, v18, -16
	v_cvt_f64_u32_e32 v[0:1], v13
	scratch_store_b32 off, v5, off          ; 4-byte Folded Spill
	v_dual_mov_b32 v53, 0 :: v_dual_add_nc_u32 v50, s0, v5
	v_cvt_f64_u32_e32 v[4:5], v4
	v_cndmask_b32_e64 v16, 0, 1, vcc_lo
	v_cmp_gt_u32_e32 vcc_lo, 16, v18
	v_lshlrev_b32_e32 v44, 5, v29
	v_dual_mov_b32 v35, 0 :: v_dual_add_nc_u32 v6, 16, v13
	v_add_nc_u32_e32 v51, s0, v50
	v_dual_cndmask_b32 v23, v23, v18 :: v_dual_add_nc_u32 v8, 24, v13
	v_mov_b32_e32 v45, 0
	s_delay_alu instid0(VALU_DEP_4) | instskip(NEXT) | instid1(VALU_DEP_4)
	v_cvt_f64_u32_e32 v[6:7], v6
	v_add_nc_u32_e32 v54, s0, v51
	s_delay_alu instid0(VALU_DEP_4)
	v_cmp_lt_u16_e32 vcc_lo, 7, v23
	v_cvt_f64_u32_e32 v[8:9], v8
	v_dual_mov_b32 v33, 0 :: v_dual_add_nc_u32 v24, v44, v30
	v_mov_b32_e32 v49, 0
	v_cndmask_b32_e64 v23, 0, 1, vcc_lo
	v_dual_mov_b32 v32, 0 :: v_dual_and_b32 v19, 7, v30
	v_add_nc_u32_e32 v10, 32, v13
	v_add_nc_u32_e32 v12, 40, v13
	s_delay_alu instid0(VALU_DEP_4) | instskip(SKIP_4) | instid1(VALU_DEP_4)
	v_lshlrev_b32_e32 v65, 1, v23
	v_dual_mov_b32 v23, 0 :: v_dual_add_nc_u32 v56, s0, v54
	v_dual_mov_b32 v43, 0 :: v_dual_add_nc_u32 v14, 48, v13
	v_add_nc_u32_e32 v17, 56, v13
	v_dual_mov_b32 v88, 0 :: v_dual_lshlrev_b32 v25, 5, v16
	v_add_nc_u32_e32 v57, s0, v56
	v_dual_mov_b32 v72, 0 :: v_dual_and_b32 v27, 0x7f, v24
	scratch_store_b32 off, v13, off offset:36 ; 4-byte Folded Spill
	v_cvt_f64_u32_e32 v[12:13], v12
	v_dual_mov_b32 v59, 0 :: v_dual_add_nc_u32 v58, s0, v57
	v_cvt_f64_u32_e32 v[14:15], v14
	v_min_f64 v[4:5], v[4:5], v[2:3]
	v_cvt_f64_u32_e32 v[16:17], v17
	v_lshl_or_b32 v64, v19, 2, v25
	v_mul_i32_i24_e32 v19, s11, v27
	v_dual_mov_b32 v34, 0 :: v_dual_add_nc_u32 v61, s0, v58
	v_min_f64 v[0:1], v[0:1], v[2:3]
	v_dual_mov_b32 v38, 0 :: v_dual_mov_b32 v47, 0
	s_delay_alu instid0(VALU_DEP_3) | instskip(SKIP_3) | instid1(VALU_DEP_4)
	v_add_nc_u32_e32 v63, s0, v61
	v_min_f64 v[6:7], v[6:7], v[2:3]
	v_mov_b32_e32 v37, 0
	v_dual_mov_b32 v46, 0 :: v_dual_lshlrev_b32 v21, 3, v29
	v_add_nc_u32_e32 v66, s0, v63
	v_min_f64 v[8:9], v[8:9], v[2:3]
	v_lshrrev_b32_e32 v22, 2, v30
	v_mul_u32_u24_e32 v20, 0x41, v29
	s_delay_alu instid0(VALU_DEP_4)
	v_dual_mov_b32 v31, 0 :: v_dual_add_nc_u32 v70, s0, v66
	v_add_nc_u32_e32 v98, 0x200, v44
	v_add_nc_u32_e32 v102, 0x300, v44
	;; [unrolled: 1-line block ×8, first 2 shown]
	v_dual_mov_b32 v39, 0 :: v_dual_lshlrev_b32 v52, 2, v18
	v_add_nc_u32_e32 v79, s0, v75
	v_mul_u32_u24_e32 v125, 0x104, v30
	v_mov_b32_e32 v42, 0
	scratch_store_b32 off, v19, off offset:12 ; 4-byte Folded Spill
	v_min_f64 v[12:13], v[12:13], v[2:3]
	v_add_nc_u32_e32 v82, s0, v79
	v_add_nc_u16 v19, v22, v21
	v_min_f64 v[14:15], v[14:15], v[2:3]
	v_cvt_i32_f64_e32 v4, v[4:5]
	v_lshlrev_b32_e32 v5, 2, v27
	v_mov_b32_e32 v27, 0
	v_cvt_f64_u32_e32 v[10:11], v10
	v_cvt_i32_f64_e32 v6, v[6:7]
	v_mul_lo_u32 v101, s13, v4
	v_or_b32_e32 v4, v105, v18
	s_delay_alu instid0(VALU_DEP_4)
	v_min_f64 v[10:11], v[10:11], v[2:3]
	v_min_f64 v[2:3], v[16:17], v[2:3]
	v_add_nc_u32_e32 v16, s0, v82
	scratch_store_b32 off, v26, off offset:4 ; 4-byte Folded Spill
	v_and_or_b32 v26, v30, 15, v25
	v_add_nc_u32_e32 v17, v22, v21
	v_mov_b32_e32 v25, 0
	s_clause 0x1
	scratch_store_b32 off, v16, off offset:8
	scratch_store_b32 off, v29, off offset:32
	v_and_b32_e32 v16, 3, v30
	v_add_lshl_u32 v62, v26, v20, 2
	v_lshrrev_b32_e32 v20, 3, v24
	v_and_b32_e32 v21, 0x7f, v17
	v_cvt_i32_f64_e32 v22, v[0:1]
	v_lshlrev_b32_e32 v90, 2, v16
	v_lshrrev_b16 v0, 1, v19
	v_and_b32_e32 v1, 12, v20
	v_xor_b32_e32 v7, 64, v21
	v_lshl_add_u32 v112, v4, 2, 0x8200
	v_lshl_or_b32 v19, v21, 4, v90
	v_and_b32_e32 v0, 60, v0
	v_add3_u32 v1, v5, v1, 0xae40
	v_cvt_i32_f64_e32 v5, v[8:9]
	v_and_b32_e32 v8, 63, v17
	v_or_b32_e32 v4, v109, v18
	v_add3_u32 v0, v19, v0, 0xa200
	scratch_store_b32 off, v1, off offset:16 ; 4-byte Folded Spill
	v_mul_i32_i24_e32 v1, s11, v21
	v_mov_b32_e32 v21, 0
	v_mul_lo_u32 v104, s13, v6
	scratch_store_b32 off, v0, off offset:24 ; 4-byte Folded Spill
	v_mul_i32_i24_e32 v0, s11, v7
	scratch_store_b32 off, v1, off offset:20 ; 4-byte Folded Spill
	v_lshl_or_b32 v1, v7, 4, v90
	v_lshl_add_u32 v117, v4, 2, 0x8200
	v_add_nc_u32_e32 v4, 32, v30
	scratch_store_b32 off, v0, off offset:28 ; 4-byte Folded Spill
	v_lshrrev_b32_e32 v0, 1, v7
	v_or_b32_e32 v7, s7, v8
	v_cvt_i32_f64_e32 v9, v[10:11]
	v_cvt_i32_f64_e32 v11, v[12:13]
	;; [unrolled: 1-line block ×4, first 2 shown]
	v_min_i32_e32 v7, s1, v7
	v_add_nc_u32_e32 v6, 0x60, v30
	v_lshlrev_b32_e32 v10, 2, v30
	v_and_b32_e32 v0, 60, v0
	v_mov_b32_e32 v24, 0
	v_mad_u64_u32 v[2:3], null, v7, s13, v[16:17]
	v_or_b32_e32 v3, v44, v18
	v_or_b32_e32 v7, v96, v18
	v_mov_b32_e32 v17, 0
	v_lshl_or_b32 v8, v8, 4, v90
	v_and_b32_e32 v12, 28, v10
	v_lshl_add_u32 v100, v3, 2, 0x8200
	v_or_b32_e32 v3, v98, v18
	v_lshl_add_u32 v103, v7, 2, 0x8200
	v_add_nc_u32_e32 v97, 0xaa40, v8
	v_lshrrev_b32_e32 v8, 3, v6
	v_mul_lo_u32 v107, s13, v5
	v_lshl_add_u32 v106, v3, 2, 0x8200
	v_or_b32_e32 v3, v102, v18
	v_add_nc_u32_e32 v5, 64, v30
	v_and_b32_e32 v8, 60, v8
	v_add3_u32 v95, v1, v0, 0xa200
	v_add_co_u32 v0, s0, s2, v12
	v_lshl_add_u32 v110, v3, 2, 0x8200
	v_or_b32_e32 v3, v108, v18
	v_lshrrev_b32_e32 v7, 3, v5
	v_add3_u32 v123, v10, v8, 0xae40
	v_lshrrev_b32_e32 v8, 1, v6
	v_lshlrev_b32_e32 v12, 4, v30
	v_lshl_add_u32 v115, v3, 2, 0x8200
	v_or_b32_e32 v3, v113, v18
	v_and_b32_e32 v7, 60, v7
	v_mul_lo_u32 v111, s13, v9
	v_lshrrev_b32_e32 v9, 1, v30
	v_mul_lo_u32 v114, s13, v11
	v_lshl_add_u32 v119, v3, 2, 0x8200
	v_lshrrev_b32_e32 v3, 3, v4
	v_add3_u32 v122, v10, v7, 0xae40
	v_lshrrev_b32_e32 v7, 1, v5
	v_lshlrev_b32_e32 v11, 2, v28
	v_and_b32_e32 v9, 0x7c, v9
	v_and_b32_e32 v3, 60, v3
	v_lshlrev_b32_e32 v5, 4, v5
	v_and_b32_e32 v7, 0xfc, v7
	v_and_b32_e32 v8, 0xfc, v8
	v_lshlrev_b32_e32 v6, 4, v6
	v_add3_u32 v121, v10, v3, 0xae40
	v_lshrrev_b32_e32 v3, 1, v4
	v_lshlrev_b32_e32 v4, 4, v4
	v_mul_lo_u32 v99, s13, v22
	v_mul_lo_u32 v116, s13, v13
	;; [unrolled: 1-line block ×3, first 2 shown]
	v_and_b32_e32 v3, 0xfc, v3
	v_add_co_ci_u32_e64 v1, null, s3, 0, s0
	s_movk_i32 s0, 0x104
	v_add3_u32 v120, v11, v10, 0xae40
	v_add3_u32 v124, v12, v9, 0xa200
	;; [unrolled: 1-line block ×3, first 2 shown]
	v_mad_u32_u24 v127, v30, s0, 0x2080
	v_add3_u32 v128, v5, v7, 0xa200
	v_mad_u32_u24 v129, v30, s0, 0x4100
	v_add3_u32 v130, v6, v8, 0xa200
	v_mad_u32_u24 v131, v30, s0, 0x6180
	v_mov_b32_e32 v28, 0
	v_dual_mov_b32 v20, 0 :: v_dual_mov_b32 v19, 0
	v_mov_b32_e32 v26, 0
	v_mov_b32_e32 v22, 0
	;; [unrolled: 1-line block ×3, first 2 shown]
	s_mov_b32 s13, 0
.LBB135_5:                              ; =>This Loop Header: Depth=1
                                        ;     Child Loop BB135_6 Depth 2
                                        ;       Child Loop BB135_7 Depth 3
	s_clause 0x1
	scratch_load_b32 v7, off, off offset:4
	scratch_load_b32 v9, off, off
	s_mul_i32 s0, s13, 0xd2
	s_mul_hi_u32 s1, s13, 0xd2
	s_add_u32 s0, s5, s0
	s_addc_u32 s1, s12, s1
	v_add_nc_u32_e32 v29, 0x820, v62
	v_mad_u64_u32 v[3:4], null, 0xd2, v48, s[0:1]
	s_mov_b32 s14, 0
	s_delay_alu instid0(VALU_DEP_1)
	v_mad_u64_u32 v[132:133], null, 0xd2, v51, v[3:4]
	v_mad_u64_u32 v[139:140], null, 0xd2, v54, v[3:4]
	s_waitcnt vmcnt(1)
	v_mad_u64_u32 v[5:6], null, 0xd2, v7, v[3:4]
	s_waitcnt vmcnt(0)
	v_mad_u64_u32 v[7:8], null, 0xd2, v9, v[3:4]
	v_mad_u64_u32 v[9:10], null, 0xd2, v50, v[3:4]
	s_delay_alu instid0(VALU_DEP_3) | instskip(NEXT) | instid1(VALU_DEP_4)
	v_add_co_u32 v11, vcc_lo, v5, v52
	v_add_co_ci_u32_e32 v12, vcc_lo, 0, v6, vcc_lo
	v_add_co_u32 v5, vcc_lo, v5, v64
	v_add_co_ci_u32_e32 v6, vcc_lo, 0, v6, vcc_lo
	;; [unrolled: 2-line block ×9, first 2 shown]
	s_clause 0x8
	global_load_b32 v137, v[11:12], off
	global_load_b32 v138, v[5:6], off offset:128
	global_load_b32 v135, v[13:14], off
	global_load_b32 v136, v[7:8], off offset:128
	global_load_b32 v132, v[15:16], off
	global_load_b32 v133, v[9:10], off offset:128
	global_load_b32 v15, v[141:142], off
	global_load_b32 v16, v[143:144], off offset:128
	global_load_b32 v134, v[145:146], off
	v_mad_u64_u32 v[5:6], null, 0xd2, v56, v[3:4]
	v_add_co_u32 v7, vcc_lo, v139, v64
	v_mad_u64_u32 v[9:10], null, 0xd2, v57, v[3:4]
	v_add_co_ci_u32_e32 v8, vcc_lo, 0, v140, vcc_lo
	s_delay_alu instid0(VALU_DEP_4)
	v_add_co_u32 v11, vcc_lo, v5, v52
	v_add_co_ci_u32_e32 v12, vcc_lo, 0, v6, vcc_lo
	v_add_co_u32 v5, vcc_lo, v5, v64
	v_add_co_ci_u32_e32 v6, vcc_lo, 0, v6, vcc_lo
	;; [unrolled: 2-line block ×3, first 2 shown]
	s_clause 0x3
	global_load_b32 v157, v[7:8], off offset:128
	global_load_b32 v158, v[11:12], off
	global_load_b32 v159, v[5:6], off offset:128
	global_load_b32 v160, v[13:14], off offset:128
	v_add_co_u32 v5, vcc_lo, v9, v52
	v_add_co_ci_u32_e32 v6, vcc_lo, 0, v10, vcc_lo
	v_mad_u64_u32 v[7:8], null, 0xd2, v58, v[3:4]
	v_mad_u64_u32 v[9:10], null, 0xd2, v61, v[3:4]
	global_load_b32 v6, v[5:6], off
	v_mad_u64_u32 v[11:12], null, 0xd2, v63, v[3:4]
	v_mad_u64_u32 v[13:14], null, 0xd2, v66, v[3:4]
	v_add_co_u32 v145, vcc_lo, v7, v52
	v_add_co_ci_u32_e32 v146, vcc_lo, 0, v8, vcc_lo
	v_add_co_u32 v7, vcc_lo, v7, v64
	v_add_co_ci_u32_e32 v8, vcc_lo, 0, v8, vcc_lo
	v_add_co_u32 v147, vcc_lo, v9, v52
	v_add_co_ci_u32_e32 v148, vcc_lo, 0, v10, vcc_lo
	v_add_co_u32 v9, vcc_lo, v9, v64
	v_add_co_ci_u32_e32 v10, vcc_lo, 0, v10, vcc_lo
	v_add_co_u32 v149, vcc_lo, v11, v52
	v_add_co_ci_u32_e32 v150, vcc_lo, 0, v12, vcc_lo
	v_add_co_u32 v11, vcc_lo, v11, v64
	v_mad_u64_u32 v[139:140], null, 0xd2, v70, v[3:4]
	v_add_co_ci_u32_e32 v12, vcc_lo, 0, v12, vcc_lo
	v_add_co_u32 v151, vcc_lo, v13, v52
	v_add_co_ci_u32_e32 v152, vcc_lo, 0, v14, vcc_lo
	v_add_co_u32 v153, vcc_lo, v13, v64
	v_mad_u64_u32 v[141:142], null, 0xd2, v75, v[3:4]
	v_add_co_ci_u32_e32 v154, vcc_lo, 0, v14, vcc_lo
	s_clause 0x1
	global_load_b32 v161, v[145:146], off
	global_load_b32 v162, v[7:8], off offset:128
	v_add_co_u32 v7, vcc_lo, v139, v52
	v_add_co_ci_u32_e32 v8, vcc_lo, 0, v140, vcc_lo
	v_add_co_u32 v139, vcc_lo, v139, v64
	v_mad_u64_u32 v[143:144], null, 0xd2, v79, v[3:4]
	v_add_co_ci_u32_e32 v140, vcc_lo, 0, v140, vcc_lo
	v_add_co_u32 v145, vcc_lo, v141, v52
	v_add_co_ci_u32_e32 v146, vcc_lo, 0, v142, vcc_lo
	v_add_co_u32 v141, vcc_lo, v141, v64
	;; [unrolled: 2-line block ×4, first 2 shown]
	v_add_co_ci_u32_e32 v144, vcc_lo, 0, v144, vcc_lo
	s_clause 0xb
	global_load_b32 v147, v[147:148], off
	global_load_b32 v148, v[9:10], off offset:128
	global_load_b32 v14, v[149:150], off
	global_load_b32 v149, v[11:12], off offset:128
	global_load_b32 v12, v[151:152], off
	global_load_b32 v13, v[153:154], off offset:128
	global_load_b32 v10, v[7:8], off
	global_load_b32 v11, v[139:140], off offset:128
	global_load_b32 v8, v[145:146], off
	global_load_b32 v9, v[141:142], off offset:128
	global_load_b32 v5, v[155:156], off
	global_load_b32 v7, v[143:144], off offset:128
	s_waitcnt vmcnt(27)
	v_and_b32_e32 v139, 0xf0f0f0f, v137
	s_waitcnt vmcnt(26)
	v_ashrrev_i32_e32 v138, v65, v138
	v_lshrrev_b32_e32 v137, 4, v137
	s_waitcnt vmcnt(24)
	v_ashrrev_i32_e32 v136, v65, v136
	v_and_b32_e32 v140, 0xf0f0f0f, v135
	v_lshrrev_b32_e32 v135, 4, v135
	s_waitcnt vmcnt(22)
	v_ashrrev_i32_e32 v133, v65, v133
	s_waitcnt vmcnt(20)
	v_ashrrev_i32_e32 v16, v65, v16
	v_lshlrev_b32_e32 v152, 4, v138
	v_and_b32_e32 v138, 0x30303030, v138
	v_lshlrev_b32_e32 v153, 4, v136
	v_and_b32_e32 v136, 0x30303030, v136
	v_and_b32_e32 v141, 0xf0f0f0f, v132
	v_lshrrev_b32_e32 v132, 4, v132
	v_and_b32_e32 v142, 0xf0f0f0f, v15
	v_lshrrev_b32_e32 v15, 4, v15
	s_waitcnt vmcnt(19)
	v_and_b32_e32 v143, 0xf0f0f0f, v134
	v_lshrrev_b32_e32 v134, 4, v134
	v_lshlrev_b32_e32 v154, 4, v133
	v_and_b32_e32 v133, 0x30303030, v133
	v_lshlrev_b32_e32 v155, 4, v16
	v_and_b32_e32 v16, 0x30303030, v16
	v_and_or_b32 v139, 0x30303030, v152, v139
	v_and_or_b32 v137, 0xf0f0f0f, v137, v138
	;; [unrolled: 1-line block ×4, first 2 shown]
	s_waitcnt vmcnt(18)
	v_ashrrev_i32_e32 v144, v65, v157
	s_waitcnt vmcnt(17)
	v_and_b32_e32 v145, 0xf0f0f0f, v158
	s_waitcnt vmcnt(16)
	v_ashrrev_i32_e32 v150, v65, v159
	v_lshrrev_b32_e32 v146, 4, v158
	v_and_or_b32 v136, 0x30303030, v154, v141
	v_lshlrev_b32_e32 v156, 4, v144
	v_and_b32_e32 v144, 0x30303030, v144
	v_lshlrev_b32_e32 v157, 4, v150
	v_and_b32_e32 v150, 0x30303030, v150
	v_and_or_b32 v132, 0xf0f0f0f, v132, v133
	v_and_or_b32 v133, 0x30303030, v155, v142
	;; [unrolled: 1-line block ×7, first 2 shown]
	v_lshrrev_b32_e32 v142, 16, v139
	v_and_b32_e32 v143, 0x3f00, v139
	v_lshlrev_b16 v139, 8, v139
	v_lshrrev_b32_e32 v144, 16, v137
	v_and_b32_e32 v145, 0x3f00, v137
	v_lshlrev_b16 v137, 8, v137
	v_lshrrev_b32_e32 v146, 16, v138
	v_lshrrev_b32_e32 v152, 16, v135
	v_and_b32_e32 v150, 0x3f00, v138
	v_lshlrev_b16 v138, 8, v138
	v_and_b32_e32 v153, 0x3f00, v135
	v_lshlrev_b16 v135, 8, v135
	v_lshrrev_b32_e32 v154, 16, v136
	v_lshrrev_b32_e32 v156, 16, v132
	v_add_nc_u16 v139, v139, 0xe000
	v_and_b32_e32 v172, 0x3f00, v142
	v_lshlrev_b16 v142, 8, v142
	v_add_nc_u16 v137, v137, 0xe000
	v_and_b32_e32 v173, 0x3f00, v144
	v_lshlrev_b16 v144, 8, v144
	v_and_b32_e32 v174, 0x3f00, v146
	v_lshlrev_b16 v146, 8, v146
	;; [unrolled: 2-line block ×3, first 2 shown]
	s_waitcnt vmcnt(15)
	v_ashrrev_i32_e32 v151, v65, v160
	v_and_b32_e32 v155, 0x3f00, v136
	v_lshlrev_b16 v136, 8, v136
	v_and_b32_e32 v157, 0x3f00, v132
	v_lshlrev_b16 v132, 8, v132
	v_lshrrev_b32_e32 v158, 16, v133
	v_lshrrev_b32_e32 v160, 16, v15
	v_add_nc_u16 v138, v138, 0xe000
	v_add_nc_u16 v135, v135, 0xe000
	v_and_b32_e32 v176, 0x3f00, v154
	v_lshlrev_b16 v154, 8, v154
	v_and_b32_e32 v177, 0x3f00, v156
	v_lshlrev_b16 v156, 8, v156
	v_lshrrev_b16 v139, 8, v139
	v_add_nc_u16 v142, v142, 0xe000
	v_lshrrev_b16 v137, 8, v137
	v_add_nc_u16 v144, v144, 0xe000
	v_add_nc_u16 v146, v146, 0xe000
	;; [unrolled: 1-line block ×3, first 2 shown]
	v_and_b32_e32 v159, 0x3f00, v133
	v_lshlrev_b16 v133, 8, v133
	v_and_b32_e32 v163, 0x3f00, v15
	v_lshlrev_b16 v15, 8, v15
	v_lshrrev_b32_e32 v164, 16, v16
	v_lshrrev_b32_e32 v166, 16, v134
	v_add_nc_u16 v136, v136, 0xe000
	v_add_nc_u16 v132, v132, 0xe000
	v_and_b32_e32 v178, 0x3f00, v158
	v_lshlrev_b16 v158, 8, v158
	v_and_b32_e32 v179, 0x3f00, v160
	v_lshlrev_b16 v160, 8, v160
	v_lshrrev_b16 v138, 8, v138
	v_lshrrev_b16 v135, 8, v135
	v_add_nc_u16 v154, v154, 0xe000
	v_add_nc_u16 v156, v156, 0xe000
	v_or_b32_e32 v139, v143, v139
	v_lshrrev_b16 v142, 8, v142
	v_or_b32_e32 v137, v145, v137
	v_lshrrev_b16 v143, 8, v144
	v_lshrrev_b16 v144, 8, v146
	;; [unrolled: 1-line block ×3, first 2 shown]
	v_and_b32_e32 v165, 0x3f00, v16
	v_lshlrev_b16 v16, 8, v16
	v_and_b32_e32 v167, 0x3f00, v134
	v_lshlrev_b16 v134, 8, v134
	v_add_nc_u16 v133, v133, 0xe000
	v_add_nc_u16 v15, v15, 0xe000
	v_and_b32_e32 v180, 0x3f00, v164
	v_lshlrev_b16 v164, 8, v164
	v_and_b32_e32 v181, 0x3f00, v166
	v_lshlrev_b16 v166, 8, v166
	v_lshrrev_b16 v136, 8, v136
	v_lshrrev_b16 v132, 8, v132
	v_add_nc_u16 v158, v158, 0xe000
	v_add_nc_u16 v160, v160, 0xe000
	v_or_b32_e32 v138, v150, v138
	v_or_b32_e32 v135, v153, v135
	v_lshrrev_b16 v146, 8, v154
	v_lshrrev_b16 v150, 8, v156
	v_or_b32_e32 v142, v172, v142
	v_or_b32_e32 v143, v173, v143
	;; [unrolled: 1-line block ×4, first 2 shown]
	v_add_nc_u16 v16, v16, 0xe000
	v_add_nc_u16 v134, v134, 0xe000
	v_lshrrev_b16 v133, 8, v133
	v_lshrrev_b16 v15, 8, v15
	v_add_nc_u16 v164, v164, 0xe000
	v_add_nc_u16 v166, v166, 0xe000
	v_or_b32_e32 v136, v155, v136
	v_or_b32_e32 v132, v157, v132
	v_lshrrev_b16 v152, 8, v158
	v_lshrrev_b16 v153, 8, v160
	v_add_nc_u16 v139, v139, 0xe000
	v_add_nc_u16 v137, v137, 0xe000
	;; [unrolled: 1-line block ×4, first 2 shown]
	v_or_b32_e32 v146, v176, v146
	v_or_b32_e32 v150, v177, v150
	v_add_nc_u16 v142, v142, 0xe000
	v_add_nc_u16 v143, v143, 0xe000
	;; [unrolled: 1-line block ×4, first 2 shown]
	v_lshrrev_b16 v16, 8, v16
	v_lshrrev_b16 v134, 8, v134
	v_or_b32_e32 v133, v159, v133
	v_or_b32_e32 v15, v163, v15
	v_lshrrev_b16 v154, 8, v164
	v_lshrrev_b16 v155, 8, v166
	v_add_nc_u16 v136, v136, 0xe000
	v_add_nc_u16 v132, v132, 0xe000
	v_or_b32_e32 v152, v178, v152
	v_or_b32_e32 v153, v179, v153
	v_and_b32_e32 v139, 0xffff, v139
	v_and_b32_e32 v137, 0xffff, v137
	;; [unrolled: 1-line block ×4, first 2 shown]
	v_add_nc_u16 v146, v146, 0xe000
	v_add_nc_u16 v150, v150, 0xe000
	v_lshlrev_b32_e32 v142, 16, v142
	v_lshlrev_b32_e32 v143, 16, v143
	;; [unrolled: 1-line block ×4, first 2 shown]
	v_lshrrev_b32_e32 v168, 16, v140
	v_or_b32_e32 v16, v165, v16
	v_or_b32_e32 v134, v167, v134
	v_add_nc_u16 v133, v133, 0xe000
	v_add_nc_u16 v15, v15, 0xe000
	v_or_b32_e32 v154, v180, v154
	v_or_b32_e32 v155, v181, v155
	v_and_b32_e32 v136, 0xffff, v136
	v_and_b32_e32 v132, 0xffff, v132
	v_add_nc_u16 v152, v152, 0xe000
	v_add_nc_u16 v153, v153, 0xe000
	v_lshlrev_b32_e32 v146, 16, v146
	v_lshlrev_b32_e32 v150, 16, v150
	v_or_b32_e32 v139, v139, v142
	v_or_b32_e32 v137, v137, v143
	;; [unrolled: 1-line block ×4, first 2 shown]
	v_and_b32_e32 v169, 0x3f00, v140
	v_lshlrev_b16 v140, 8, v140
	v_and_b32_e32 v182, 0x3f00, v168
	v_lshlrev_b16 v168, 8, v168
	v_lshrrev_b32_e32 v170, 16, v141
	v_and_b32_e32 v171, 0x3f00, v141
	v_lshlrev_b16 v141, 8, v141
	v_add_nc_u16 v16, v16, 0xe000
	v_add_nc_u16 v134, v134, 0xe000
	v_and_b32_e32 v133, 0xffff, v133
	v_and_b32_e32 v15, 0xffff, v15
	v_add_nc_u16 v154, v154, 0xe000
	v_add_nc_u16 v155, v155, 0xe000
	v_lshlrev_b32_e32 v152, 16, v152
	v_lshlrev_b32_e32 v153, 16, v153
	v_or_b32_e32 v136, v136, v146
	v_or_b32_e32 v132, v132, v150
	ds_store_2addr_b32 v62, v139, v137 offset1:16
	ds_store_2addr_b32 v29, v138, v135 offset1:16
	v_add_nc_u32_e32 v29, 0x1040, v62
	v_add_nc_u16 v140, v140, 0xe000
	v_add_nc_u16 v168, v168, 0xe000
	;; [unrolled: 1-line block ×3, first 2 shown]
	v_lshlrev_b16 v183, 8, v170
	v_and_b32_e32 v16, 0xffff, v16
	v_and_b32_e32 v134, 0xffff, v134
	v_lshlrev_b32_e32 v154, 16, v154
	v_lshlrev_b32_e32 v155, 16, v155
	v_or_b32_e32 v133, v133, v152
	v_or_b32_e32 v15, v15, v153
	ds_store_2addr_b32 v29, v136, v132 offset1:16
	v_add_nc_u32_e32 v29, 0x1860, v62
	v_lshrrev_b16 v140, 8, v140
	v_lshrrev_b16 v156, 8, v168
	;; [unrolled: 1-line block ×3, first 2 shown]
	v_add_nc_u16 v183, v183, 0xe000
	v_or_b32_e32 v16, v16, v154
	v_or_b32_e32 v134, v134, v155
	ds_store_2addr_b32 v29, v133, v15 offset1:16
	v_add_nc_u32_e32 v15, 0x2080, v62
	v_or_b32_e32 v140, v169, v140
	v_or_b32_e32 v156, v182, v156
	v_lshrrev_b16 v132, 8, v183
	s_waitcnt vmcnt(14)
	v_and_b32_e32 v133, 0xf0f0f0f, v6
	ds_store_2addr_b32 v15, v16, v134 offset1:16
	v_or_b32_e32 v15, v171, v141
	v_and_b32_e32 v16, 0x3f00, v170
	v_add_nc_u16 v140, v140, 0xe000
	v_add_nc_u16 v156, v156, 0xe000
	v_lshlrev_b32_e32 v134, 4, v151
	v_add_nc_u16 v137, v15, 0xe000
	v_or_b32_e32 v132, v16, v132
	v_mad_u64_u32 v[15:16], null, 0xd2, v82, v[3:4]
	v_and_b32_e32 v135, 0xffff, v140
	v_lshlrev_b32_e32 v136, 16, v156
	v_and_or_b32 v134, 0x30303030, v134, v133
	v_add_nc_u32_e32 v29, 0x28a0, v62
	v_lshrrev_b32_e32 v6, 4, v6
	v_and_b32_e32 v140, 0x30303030, v151
	v_or_b32_e32 v135, v135, v136
	v_and_b32_e32 v136, 0xffff, v137
	v_add_nc_u16 v137, v132, 0xe000
	v_add_co_u32 v132, vcc_lo, v15, v52
	v_add_co_ci_u32_e32 v133, vcc_lo, 0, v16, vcc_lo
	v_add_co_u32 v15, vcc_lo, v15, v64
	v_add_co_ci_u32_e32 v16, vcc_lo, 0, v16, vcc_lo
	s_clause 0x1
	global_load_b32 v142, v[132:133], off
	global_load_b32 v143, v[15:16], off offset:128
	v_lshlrev_b32_e32 v15, 16, v137
	v_lshrrev_b32_e32 v138, 16, v134
	v_and_or_b32 v6, 0xf0f0f0f, v6, v140
	v_lshlrev_b16 v139, 8, v134
	v_and_b32_e32 v132, 0x3f00, v134
	v_or_b32_e32 v15, v136, v15
	v_lshlrev_b16 v141, 8, v138
	v_and_b32_e32 v134, 0x3f00, v138
	v_lshlrev_b16 v136, 8, v6
	v_add_nc_u16 v139, v139, 0xe000
	ds_store_2addr_b32 v29, v135, v15 offset1:16
	scratch_load_b32 v29, off, off offset:8 ; 4-byte Folded Reload
	v_add_nc_u16 v16, v141, 0xe000
	v_add_nc_u16 v15, v136, 0xe000
	v_lshrrev_b16 v133, 8, v139
	v_lshrrev_b32_e32 v137, 16, v6
	v_and_b32_e32 v6, 0x3f00, v6
	v_lshrrev_b16 v16, 8, v16
	v_lshrrev_b16 v135, 8, v15
	s_waitcnt vmcnt(15)
	v_ashrrev_i32_e32 v136, v65, v162
	v_or_b32_e32 v132, v132, v133
	v_lshlrev_b16 v133, 8, v137
	v_or_b32_e32 v16, v134, v16
	v_or_b32_e32 v6, v6, v135
	v_and_b32_e32 v135, 0x3f00, v137
	v_and_b32_e32 v137, 0xf0f0f0f, v161
	v_lshlrev_b32_e32 v138, 4, v136
	v_add_nc_u16 v134, v16, 0xe000
	v_add_nc_u16 v133, v133, 0xe000
	v_lshrrev_b32_e32 v139, 4, v161
	v_add_nc_u16 v132, v132, 0xe000
	v_add_nc_u16 v6, v6, 0xe000
	v_lshlrev_b32_e32 v134, 16, v134
	v_lshrrev_b16 v133, 8, v133
	s_waitcnt vmcnt(9)
	v_ashrrev_i32_e32 v13, v65, v13
	v_and_b32_e32 v132, 0xffff, v132
	v_and_b32_e32 v6, 0xffff, v6
	s_waitcnt vmcnt(7)
	v_ashrrev_i32_e32 v11, v65, v11
	s_waitcnt vmcnt(5)
	v_ashrrev_i32_e32 v9, v65, v9
	;; [unrolled: 2-line block ×3, first 2 shown]
	v_or_b32_e32 v134, v132, v134
	s_waitcnt vmcnt(0)
	v_mad_u64_u32 v[15:16], null, 0xd2, v29, v[3:4]
	s_delay_alu instid0(VALU_DEP_1) | instskip(NEXT) | instid1(VALU_DEP_2)
	v_add_co_u32 v3, vcc_lo, v15, v52
	v_add_co_ci_u32_e32 v4, vcc_lo, 0, v16, vcc_lo
	v_add_co_u32 v15, vcc_lo, v15, v64
	v_add_co_ci_u32_e32 v16, vcc_lo, 0, v16, vcc_lo
	s_clause 0x1
	global_load_b32 v140, v[3:4], off
	global_load_b32 v141, v[15:16], off offset:128
	v_and_or_b32 v4, 0x30303030, v138, v137
	v_and_b32_e32 v3, 0x30303030, v136
	v_or_b32_e32 v15, v135, v133
	scratch_load_b32 v29, off, off offset:20 ; 4-byte Folded Reload
	v_and_b32_e32 v138, 0xf0f0f0f, v147
	v_lshrrev_b32_e32 v16, 16, v4
	v_and_or_b32 v3, 0xf0f0f0f, v139, v3
	v_lshlrev_b16 v132, 8, v4
	v_add_nc_u16 v15, v15, 0xe000
	v_and_b32_e32 v4, 0x3f00, v4
	v_lshlrev_b16 v135, 8, v16
	v_lshrrev_b32_e32 v133, 16, v3
	v_and_b32_e32 v16, 0x3f00, v16
	v_add_nc_u16 v132, v132, 0xe000
	v_lshlrev_b32_e32 v15, 16, v15
	v_add_nc_u16 v135, v135, 0xe000
	v_lshlrev_b16 v137, 8, v133
	v_and_b32_e32 v133, 0x3f00, v133
	v_lshrrev_b16 v132, 8, v132
	v_or_b32_e32 v6, v6, v15
	v_lshrrev_b16 v135, 8, v135
	v_add_nc_u16 v137, v137, 0xe000
	v_lshlrev_b16 v136, 8, v3
	v_or_b32_e32 v4, v4, v132
	v_and_b32_e32 v3, 0x3f00, v3
	v_or_b32_e32 v16, v16, v135
	v_lshrrev_b16 v137, 8, v137
	v_add_nc_u16 v136, v136, 0xe000
	v_add_nc_u16 v4, v4, 0xe000
	v_ashrrev_i32_e32 v135, v65, v148
	v_add_nc_u16 v15, v16, 0xe000
	v_or_b32_e32 v132, v133, v137
	v_lshrrev_b16 v136, 8, v136
	s_delay_alu instid0(VALU_DEP_4) | instskip(NEXT) | instid1(VALU_DEP_4)
	v_lshlrev_b32_e32 v139, 4, v135
	v_lshlrev_b32_e32 v133, 16, v15
	scratch_load_b32 v15, off, off offset:12 ; 4-byte Folded Reload
	v_or_b32_e32 v3, v3, v136
	v_add_nc_u16 v16, v132, 0xe000
	v_and_b32_e32 v132, 0xffff, v4
	v_and_b32_e32 v135, 0x30303030, v135
	s_delay_alu instid0(VALU_DEP_4) | instskip(NEXT) | instid1(VALU_DEP_4)
	v_add_nc_u16 v3, v3, 0xe000
	v_lshlrev_b32_e32 v137, 16, v16
	s_delay_alu instid0(VALU_DEP_4) | instskip(NEXT) | instid1(VALU_DEP_3)
	v_or_b32_e32 v144, v132, v133
	v_and_b32_e32 v136, 0xffff, v3
	s_delay_alu instid0(VALU_DEP_1) | instskip(SKIP_2) | instid1(VALU_DEP_1)
	v_or_b32_e32 v136, v136, v137
	v_and_or_b32 v137, 0x30303030, v139, v138
	v_lshrrev_b32_e32 v139, 4, v147
	v_and_or_b32 v135, 0xf0f0f0f, v139, v135
	s_waitcnt vmcnt(0)
	v_mad_u64_u32 v[3:4], null, 0xd2, v15, s[0:1]
	v_add_co_u32 v15, s0, s0, v90
	s_delay_alu instid0(VALU_DEP_1) | instskip(SKIP_2) | instid1(VALU_DEP_1)
	v_add_co_ci_u32_e64 v16, null, s1, 0, s0
	s_lshl_b32 s0, s13, 3
	s_mov_b32 s1, -1
	v_mad_u64_u32 v[132:133], null, 0xd2, v29, v[15:16]
	global_load_u16 v138, v[3:4], off offset:208
	scratch_load_b32 v29, off, off offset:28 ; 4-byte Folded Reload
	global_load_b32 v133, v[132:133], off offset:192
	s_waitcnt vmcnt(1)
	v_mad_u64_u32 v[3:4], null, 0xd2, v29, v[15:16]
	v_lshlrev_b16 v15, 8, v137
	v_lshrrev_b32_e32 v16, 16, v137
	v_add_nc_u32_e32 v29, 0x30c0, v62
	s_delay_alu instid0(VALU_DEP_3)
	v_add_nc_u16 v15, v15, 0xe000
	global_load_b32 v3, v[3:4], off offset:192
	v_lshlrev_b16 v132, 8, v16
	v_and_b32_e32 v4, 0x3f00, v137
	ds_store_2addr_b32 v29, v134, v6 offset1:16
	v_lshrrev_b16 v15, 8, v15
	v_add_nc_u32_e32 v29, 0x38e0, v62
	v_add_nc_u16 v6, v132, 0xe000
	v_lshrrev_b32_e32 v132, 16, v135
	s_delay_alu instid0(VALU_DEP_4)
	v_or_b32_e32 v4, v4, v15
	ds_store_2addr_b32 v29, v144, v136 offset1:16
	v_and_b32_e32 v15, 0x3f00, v16
	v_lshrrev_b16 v6, 8, v6
	v_lshlrev_b16 v16, 8, v135
	v_lshlrev_b16 v134, 8, v132
	v_ashrrev_i32_e32 v136, v65, v149
	v_and_b32_e32 v135, 0x3f00, v135
	v_or_b32_e32 v6, v15, v6
	v_add_nc_u16 v15, v16, 0xe000
	v_add_nc_u16 v16, v134, 0xe000
	v_and_b32_e32 v134, 0xf0f0f0f, v14
	v_lshlrev_b32_e32 v137, 4, v136
	v_and_b32_e32 v132, 0x3f00, v132
	v_lshrrev_b16 v15, 8, v15
	v_lshrrev_b16 v16, 8, v16
	v_add_nc_u16 v4, v4, 0xe000
	v_and_or_b32 v134, 0x30303030, v137, v134
	v_add_nc_u16 v6, v6, 0xe000
	v_or_b32_e32 v15, v135, v15
	v_or_b32_e32 v16, v132, v16
	v_lshrrev_b32_e32 v14, 4, v14
	v_lshlrev_b16 v132, 8, v134
	v_lshrrev_b32_e32 v135, 16, v134
	v_add_nc_u16 v15, v15, 0xe000
	v_add_nc_u16 v16, v16, 0xe000
	v_and_b32_e32 v136, 0x30303030, v136
	v_add_nc_u16 v132, v132, 0xe000
	v_lshlrev_b16 v137, 8, v135
	v_and_b32_e32 v134, 0x3f00, v134
	v_and_b32_e32 v4, 0xffff, v4
	v_lshlrev_b32_e32 v6, 16, v6
	v_lshrrev_b16 v132, 8, v132
	v_add_nc_u16 v137, v137, 0xe000
	v_and_b32_e32 v15, 0xffff, v15
	v_lshlrev_b32_e32 v16, 16, v16
	v_and_or_b32 v14, 0xf0f0f0f, v14, v136
	v_or_b32_e32 v132, v134, v132
	v_and_b32_e32 v134, 0x3f00, v135
	v_lshrrev_b16 v135, 8, v137
	v_or_b32_e32 v4, v4, v6
	v_lshrrev_b32_e32 v6, 16, v14
	v_or_b32_e32 v15, v15, v16
	v_add_nc_u16 v132, v132, 0xe000
	v_or_b32_e32 v16, v134, v135
	v_lshlrev_b16 v134, 8, v14
	v_lshlrev_b16 v135, 8, v6
	v_and_b32_e32 v136, 0xf0f0f0f, v12
	v_lshlrev_b32_e32 v137, 4, v13
	v_add_nc_u16 v16, v16, 0xe000
	v_add_nc_u16 v134, v134, 0xe000
	v_and_b32_e32 v132, 0xffff, v132
	v_add_nc_u16 v135, v135, 0xe000
	v_and_b32_e32 v14, 0x3f00, v14
	v_and_or_b32 v136, 0x30303030, v137, v136
	v_lshrrev_b16 v134, 8, v134
	v_lshlrev_b32_e32 v16, 16, v16
	v_add_nc_u32_e32 v29, 0x4100, v62
	v_and_b32_e32 v6, 0x3f00, v6
	v_lshrrev_b16 v135, 8, v135
	v_lshrrev_b32_e32 v12, 4, v12
	v_and_b32_e32 v13, 0x30303030, v13
	ds_store_2addr_b32 v29, v4, v15 offset1:16
	v_or_b32_e32 v4, v14, v134
	v_lshlrev_b16 v14, 8, v136
	v_or_b32_e32 v15, v132, v16
	v_lshrrev_b32_e32 v16, 16, v136
	v_or_b32_e32 v6, v6, v135
	v_add_nc_u16 v4, v4, 0xe000
	v_add_nc_u16 v14, v14, 0xe000
	v_and_b32_e32 v134, 0x3f00, v136
	v_lshlrev_b16 v132, 8, v16
	v_add_nc_u16 v6, v6, 0xe000
	v_and_or_b32 v12, 0xf0f0f0f, v12, v13
	v_lshrrev_b16 v14, 8, v14
	v_and_b32_e32 v4, 0xffff, v4
	v_add_nc_u16 v132, v132, 0xe000
	v_lshlrev_b32_e32 v6, 16, v6
	v_add_nc_u32_e32 v29, 0x4920, v62
	v_or_b32_e32 v13, v134, v14
	v_and_b32_e32 v14, 0x3f00, v16
	v_lshrrev_b16 v16, 8, v132
	v_lshrrev_b32_e32 v132, 16, v12
	v_or_b32_e32 v4, v4, v6
	v_lshlrev_b16 v6, 8, v12
	v_add_nc_u16 v13, v13, 0xe000
	v_or_b32_e32 v14, v14, v16
	v_lshlrev_b16 v16, 8, v132
	ds_store_2addr_b32 v29, v15, v4 offset1:16
	v_add_nc_u16 v4, v6, 0xe000
	v_and_b32_e32 v6, 0xffff, v13
	v_add_nc_u16 v13, v14, 0xe000
	v_add_nc_u16 v14, v16, 0xe000
	v_and_b32_e32 v12, 0x3f00, v12
	v_lshrrev_b16 v4, 8, v4
	v_and_b32_e32 v15, 0x3f00, v132
	v_and_b32_e32 v16, 0xf0f0f0f, v10
	v_lshrrev_b16 v14, 8, v14
	v_lshlrev_b32_e32 v132, 4, v11
	v_lshrrev_b32_e32 v10, 4, v10
	v_and_b32_e32 v11, 0x30303030, v11
	v_or_b32_e32 v4, v12, v4
	v_or_b32_e32 v12, v15, v14
	v_and_or_b32 v14, 0x30303030, v132, v16
	v_lshlrev_b32_e32 v13, 16, v13
	v_and_or_b32 v10, 0xf0f0f0f, v10, v11
	v_add_nc_u16 v4, v4, 0xe000
	v_add_nc_u16 v12, v12, 0xe000
	v_lshrrev_b32_e32 v11, 16, v14
	v_or_b32_e32 v6, v6, v13
	v_lshrrev_b32_e32 v15, 16, v10
	v_lshlrev_b16 v13, 8, v14
	v_lshlrev_b16 v132, 8, v10
	v_lshlrev_b16 v16, 8, v11
	v_and_b32_e32 v14, 0x3f00, v14
	v_lshlrev_b16 v134, 8, v15
	v_add_nc_u16 v13, v13, 0xe000
	v_add_nc_u16 v132, v132, 0xe000
	;; [unrolled: 1-line block ×3, first 2 shown]
	v_and_b32_e32 v11, 0x3f00, v11
	v_add_nc_u16 v134, v134, 0xe000
	v_lshrrev_b16 v13, 8, v13
	v_and_b32_e32 v15, 0x3f00, v15
	v_lshrrev_b16 v16, 8, v16
	v_and_b32_e32 v10, 0x3f00, v10
	v_lshrrev_b16 v134, 8, v134
	v_lshrrev_b16 v132, 8, v132
	v_or_b32_e32 v13, v14, v13
	v_or_b32_e32 v11, v11, v16
	v_lshlrev_b32_e32 v16, 4, v9
	v_or_b32_e32 v14, v15, v134
	v_and_b32_e32 v15, 0xf0f0f0f, v8
	v_or_b32_e32 v10, v10, v132
	v_add_nc_u16 v13, v13, 0xe000
	v_add_nc_u16 v11, v11, 0xe000
	v_and_b32_e32 v4, 0xffff, v4
	v_and_or_b32 v15, 0x30303030, v16, v15
	v_lshlrev_b32_e32 v12, 16, v12
	v_add_nc_u16 v10, v10, 0xe000
	v_add_nc_u16 v14, v14, 0xe000
	v_and_b32_e32 v13, 0xffff, v13
	v_lshlrev_b32_e32 v11, 16, v11
	v_lshlrev_b16 v16, 8, v15
	v_and_b32_e32 v10, 0xffff, v10
	v_lshlrev_b32_e32 v14, 16, v14
	v_or_b32_e32 v4, v4, v12
	v_or_b32_e32 v11, v13, v11
	v_lshrrev_b32_e32 v12, 16, v15
	v_add_nc_u16 v13, v16, 0xe000
	v_lshrrev_b32_e32 v8, 4, v8
	v_and_b32_e32 v9, 0x30303030, v9
	v_add_nc_u32_e32 v16, 0x5140, v62
	v_or_b32_e32 v10, v10, v14
	v_lshlrev_b16 v14, 8, v12
	v_and_b32_e32 v15, 0x3f00, v15
	v_lshrrev_b16 v13, 8, v13
	ds_store_2addr_b32 v16, v6, v4 offset1:16
	v_and_or_b32 v4, 0xf0f0f0f, v8, v9
	v_add_nc_u32_e32 v8, 0x5960, v62
	v_add_nc_u16 v6, v14, 0xe000
	v_and_b32_e32 v9, 0x3f00, v12
	ds_store_2addr_b32 v8, v11, v10 offset1:16
	v_lshrrev_b32_e32 v10, 16, v4
	v_lshrrev_b16 v6, 8, v6
	v_lshlrev_b16 v11, 8, v4
	v_or_b32_e32 v8, v15, v13
	v_lshlrev_b32_e32 v13, 4, v7
	v_lshlrev_b16 v12, 8, v10
	v_or_b32_e32 v6, v9, v6
	v_add_nc_u16 v9, v11, 0xe000
	v_and_b32_e32 v11, 0xf0f0f0f, v5
	v_and_b32_e32 v4, 0x3f00, v4
	v_add_nc_u16 v12, v12, 0xe000
	v_and_b32_e32 v10, 0x3f00, v10
	v_lshrrev_b16 v9, 8, v9
	v_and_or_b32 v11, 0x30303030, v13, v11
	v_lshrrev_b32_e32 v5, 4, v5
	v_lshrrev_b16 v12, 8, v12
	v_and_b32_e32 v7, 0x30303030, v7
	v_or_b32_e32 v4, v4, v9
	v_lshrrev_b32_e32 v9, 16, v11
	v_add_nc_u16 v8, v8, 0xe000
	v_or_b32_e32 v10, v10, v12
	v_lshlrev_b16 v12, 8, v11
	v_add_nc_u16 v4, v4, 0xe000
	v_lshlrev_b16 v13, 8, v9
	v_and_b32_e32 v11, 0x3f00, v11
	v_add_nc_u16 v10, v10, 0xe000
	v_add_nc_u16 v12, v12, 0xe000
	v_and_or_b32 v5, 0xf0f0f0f, v5, v7
	v_add_nc_u16 v13, v13, 0xe000
	v_add_nc_u16 v6, v6, 0xe000
	v_and_b32_e32 v9, 0x3f00, v9
	v_lshrrev_b16 v12, 8, v12
	v_and_b32_e32 v4, 0xffff, v4
	v_lshrrev_b16 v7, 8, v13
	v_lshlrev_b32_e32 v10, 16, v10
	v_and_b32_e32 v8, 0xffff, v8
	v_or_b32_e32 v11, v11, v12
	v_lshlrev_b16 v12, 8, v5
	v_lshlrev_b32_e32 v6, 16, v6
	v_or_b32_e32 v7, v9, v7
	v_or_b32_e32 v4, v4, v10
	v_ashrrev_i32_e32 v10, v65, v143
	v_add_nc_u16 v9, v12, 0xe000
	v_or_b32_e32 v6, v8, v6
	v_add_nc_u16 v8, v11, 0xe000
	v_add_nc_u16 v7, v7, 0xe000
	v_lshrrev_b32_e32 v11, 16, v5
	v_and_b32_e32 v5, 0x3f00, v5
	v_lshrrev_b16 v9, 8, v9
	v_and_b32_e32 v12, 0xf0f0f0f, v142
	v_lshlrev_b32_e32 v13, 4, v10
	v_and_b32_e32 v8, 0xffff, v8
	v_lshlrev_b32_e32 v7, 16, v7
	v_or_b32_e32 v5, v5, v9
	v_lshlrev_b16 v9, 8, v11
	v_and_or_b32 v12, 0x30303030, v13, v12
	v_add_nc_u32_e32 v13, 0x6180, v62
	v_lshrrev_b32_e32 v15, 4, v140
	v_add_nc_u16 v5, v5, 0xe000
	ds_store_2addr_b32 v13, v6, v4 offset1:16
	v_or_b32_e32 v4, v8, v7
	v_add_nc_u16 v6, v9, 0xe000
	v_lshlrev_b16 v7, 8, v12
	v_lshrrev_b32_e32 v8, 4, v142
	v_and_b32_e32 v9, 0x30303030, v10
	v_and_b32_e32 v10, 0x3f00, v11
	v_lshrrev_b32_e32 v11, 16, v12
	v_add_nc_u16 v7, v7, 0xe000
	v_lshrrev_b16 v6, 8, v6
	v_and_or_b32 v8, 0xf0f0f0f, v8, v9
	v_and_b32_e32 v9, 0x3f00, v12
	v_lshlrev_b16 v12, 8, v11
	v_lshrrev_b16 v7, 8, v7
	v_or_b32_e32 v6, v10, v6
	v_lshlrev_b16 v10, 8, v8
	v_and_b32_e32 v5, 0xffff, v5
	v_add_nc_u16 v12, v12, 0xe000
	v_or_b32_e32 v7, v9, v7
	v_add_nc_u16 v6, v6, 0xe000
	v_add_nc_u16 v9, v10, 0xe000
	v_and_b32_e32 v10, 0x3f00, v11
	v_lshrrev_b16 v11, 8, v12
	v_and_b32_e32 v12, 0x3f00, v8
	v_lshrrev_b32_e32 v8, 16, v8
	v_lshrrev_b16 v9, 8, v9
	v_add_nc_u16 v7, v7, 0xe000
	v_or_b32_e32 v10, v10, v11
	v_ashrrev_i32_e32 v11, v65, v141
	v_lshlrev_b16 v14, 8, v8
	v_or_b32_e32 v9, v12, v9
	v_and_b32_e32 v12, 0xf0f0f0f, v140
	v_and_b32_e32 v8, 0x3f00, v8
	v_lshlrev_b32_e32 v13, 4, v11
	v_and_b32_e32 v11, 0x30303030, v11
	v_add_nc_u16 v10, v10, 0xe000
	v_lshlrev_b32_e32 v6, 16, v6
	v_and_b32_e32 v7, 0xffff, v7
	v_and_or_b32 v12, 0x30303030, v13, v12
	v_and_or_b32 v11, 0xf0f0f0f, v15, v11
	v_add_nc_u16 v13, v14, 0xe000
	v_add_nc_u16 v9, v9, 0xe000
	v_lshlrev_b32_e32 v10, 16, v10
	v_lshrrev_b32_e32 v14, 16, v12
	v_lshrrev_b32_e32 v16, 16, v11
	v_lshlrev_b16 v15, 8, v12
	v_lshlrev_b16 v134, 8, v11
	v_lshrrev_b16 v13, 8, v13
	v_lshlrev_b16 v132, 8, v14
	v_lshlrev_b16 v135, 8, v16
	v_add_nc_u16 v15, v15, 0xe000
	v_add_nc_u16 v134, v134, 0xe000
	v_and_b32_e32 v12, 0x3f00, v12
	v_add_nc_u16 v132, v132, 0xe000
	v_add_nc_u16 v135, v135, 0xe000
	v_lshrrev_b16 v15, 8, v15
	v_and_b32_e32 v14, 0x3f00, v14
	v_and_b32_e32 v11, 0x3f00, v11
	v_lshrrev_b16 v132, 8, v132
	v_lshrrev_b16 v134, 8, v134
	v_and_b32_e32 v16, 0x3f00, v16
	v_lshrrev_b16 v135, 8, v135
	v_or_b32_e32 v8, v8, v13
	v_or_b32_e32 v12, v12, v15
	;; [unrolled: 1-line block ×5, first 2 shown]
	v_add_nc_u16 v8, v8, 0xe000
	v_and_b32_e32 v9, 0xffff, v9
	v_add_nc_u16 v12, v12, 0xe000
	v_add_nc_u16 v13, v13, 0xe000
	;; [unrolled: 1-line block ×4, first 2 shown]
	v_lshlrev_b32_e32 v8, 16, v8
	v_or_b32_e32 v5, v5, v6
	v_or_b32_e32 v6, v7, v10
	v_add_nc_u32_e32 v10, 0x69a0, v62
	v_and_b32_e32 v12, 0xffff, v12
	v_lshlrev_b32_e32 v13, 16, v13
	v_and_b32_e32 v11, 0xffff, v11
	v_lshlrev_b32_e32 v14, 16, v14
	v_or_b32_e32 v7, v9, v8
	ds_store_2addr_b32 v10, v4, v5 offset1:16
	v_add_nc_u32_e32 v5, 0x71c0, v62
	v_or_b32_e32 v8, v12, v13
	v_or_b32_e32 v9, v11, v14
	v_cvt_f32_f16_e64 v4, v138
	v_add_nc_u32_e32 v132, s0, v2
	ds_store_2addr_b32 v5, v6, v7 offset1:16
	v_add_nc_u32_e32 v5, 0x79e0, v62
	ds_store_2addr_b32 v5, v8, v9 offset1:16
	scratch_load_b32 v5, off, off offset:16 ; 4-byte Folded Reload
	s_waitcnt vmcnt(0)
	ds_store_b32 v5, v4
	scratch_load_b32 v4, off, off offset:24 ; 4-byte Folded Reload
	s_waitcnt vmcnt(0)
	ds_store_b32 v4, v133
	ds_store_b32 v95, v3
.LBB135_6:                              ;   Parent Loop BB135_5 Depth=1
                                        ; =>  This Loop Header: Depth=2
                                        ;       Child Loop BB135_7 Depth 3
	v_lshl_add_u32 v3, s14, 5, v30
	v_lshl_add_u32 v16, s14, 2, v132
	s_lshl_b32 s14, s14, 4
	s_xor_b32 s1, s1, -1
	s_add_i32 s15, s14, 16
	v_lshrrev_b32_e32 v3, 3, v3
	s_delay_alu instid0(VALU_DEP_1) | instskip(NEXT) | instid1(VALU_DEP_1)
	v_add_nc_u32_e32 v15, s0, v3
	v_add_nc_u32_e32 v5, v15, v99
	;; [unrolled: 1-line block ×7, first 2 shown]
	v_mad_i64_i32 v[3:4], null, v5, 36, v[0:1]
	v_mad_i64_i32 v[5:6], null, v7, 36, v[0:1]
	;; [unrolled: 1-line block ×5, first 2 shown]
	v_mad_u64_u32 v[13:14], null, v16, 36, s[2:3]
	v_add_nc_u32_e32 v135, v15, v116
	v_add_nc_u32_e32 v137, v15, v118
	v_mad_i64_i32 v[15:16], null, v133, 36, v[0:1]
	s_delay_alu instid0(VALU_DEP_3) | instskip(NEXT) | instid1(VALU_DEP_3)
	v_mad_i64_i32 v[133:134], null, v135, 36, v[0:1]
	v_mad_i64_i32 v[135:136], null, v137, 36, v[0:1]
	s_clause 0x8
	global_load_b32 v13, v[13:14], off
	global_load_b32 v5, v[5:6], off offset:4
	global_load_b32 v6, v[7:8], off offset:4
	;; [unrolled: 1-line block ×8, first 2 shown]
	s_waitcnt vmcnt(8)
	v_cvt_f32_f16_e32 v4, v13
	s_waitcnt vmcnt(7)
	ds_store_b32 v103, v5
	s_waitcnt vmcnt(6)
	ds_store_b32 v106, v6
	;; [unrolled: 2-line block ×8, first 2 shown]
	ds_store_b32 v97, v4
	s_waitcnt lgkmcnt(0)
	s_waitcnt_vscnt null, 0x0
	s_barrier
	buffer_gl0_inv
	ds_load_b32 v133, v120
	ds_load_b32 v134, v121 offset:128
	ds_load_b32 v135, v122 offset:256
	;; [unrolled: 1-line block ×3, first 2 shown]
.LBB135_7:                              ;   Parent Loop BB135_5 Depth=1
                                        ;     Parent Loop BB135_6 Depth=2
                                        ; =>    This Inner Loop Header: Depth=3
	s_lshl_b32 s16, s14, 1
	s_lshl_b32 s17, s14, 3
	s_and_b32 s16, s16, 16
	v_add_nc_u32_e32 v138, s17, v125
	v_or_b32_e32 v137, s16, v44
	v_add_nc_u32_e32 v175, s17, v127
	v_add_nc_u32_e32 v176, s17, v129
	;; [unrolled: 1-line block ×3, first 2 shown]
	s_delay_alu instid0(VALU_DEP_4)
	v_lshlrev_b32_e32 v174, 2, v137
	v_lshrrev_b32_e32 v137, 1, v137
	ds_load_2addr_b32 v[3:4], v138 offset0:14 offset1:15
	ds_load_b128 v[139:142], v174 offset:33328
	ds_load_2addr_b32 v[187:188], v138 offset0:12 offset1:13
	ds_load_2addr_b32 v[15:16], v175 offset0:12 offset1:13
	;; [unrolled: 1-line block ×4, first 2 shown]
	s_waitcnt lgkmcnt(4)
	v_dot4_i32_iu8 v5, v3, v141, 0 neg_lo:[1,1,0]
	s_waitcnt lgkmcnt(3)
	s_delay_alu instid0(VALU_DEP_1) | instskip(SKIP_3) | instid1(VALU_DEP_1)
	v_dot4_i32_iu8 v143, v187, v139, v5 neg_lo:[1,1,0]
	ds_load_2addr_b32 v[5:6], v175 offset0:14 offset1:15
	s_waitcnt lgkmcnt(0)
	v_dot4_i32_iu8 v7, v5, v141, 0 neg_lo:[1,1,0]
	v_dot4_i32_iu8 v144, v15, v139, v7 neg_lo:[1,1,0]
	ds_load_2addr_b32 v[7:8], v176 offset0:14 offset1:15
	s_waitcnt lgkmcnt(0)
	v_dot4_i32_iu8 v9, v7, v141, 0 neg_lo:[1,1,0]
	s_delay_alu instid0(VALU_DEP_1) | instskip(SKIP_3) | instid1(VALU_DEP_1)
	v_dot4_i32_iu8 v145, v13, v139, v9 neg_lo:[1,1,0]
	ds_load_2addr_b32 v[9:10], v177 offset0:14 offset1:15
	s_waitcnt lgkmcnt(0)
	v_dot4_i32_iu8 v141, v9, v141, 0 neg_lo:[1,1,0]
	v_dot4_i32_iu8 v139, v11, v139, v141 neg_lo:[1,1,0]
	;; [unrolled: 1-line block ×5, first 2 shown]
	s_delay_alu instid0(VALU_DEP_4) | instskip(NEXT) | instid1(VALU_DEP_4)
	v_dot4_i32_iu8 v139, v12, v140, v139 neg_lo:[1,1,0]
	v_dot4_i32_iu8 v169, v4, v142, v141 neg_lo:[1,1,0]
	s_delay_alu instid0(VALU_DEP_4) | instskip(NEXT) | instid1(VALU_DEP_4)
	v_dot4_i32_iu8 v165, v6, v142, v143 neg_lo:[1,1,0]
	v_dot4_i32_iu8 v162, v8, v142, v144 neg_lo:[1,1,0]
	s_delay_alu instid0(VALU_DEP_4) | instskip(SKIP_1) | instid1(VALU_DEP_1)
	v_dot4_i32_iu8 v161, v10, v142, v139 neg_lo:[1,1,0]
	v_or_b32_e32 v139, s16, v96
	v_lshlrev_b32_e32 v178, 2, v139
	ds_load_b128 v[143:146], v178 offset:33328
	s_waitcnt lgkmcnt(0)
	v_dot4_i32_iu8 v140, v145, v3, 0 neg_lo:[1,1,0]
	v_dot4_i32_iu8 v141, v145, v5, 0 neg_lo:[1,1,0]
	v_dot4_i32_iu8 v142, v145, v7, 0 neg_lo:[1,1,0]
	v_dot4_i32_iu8 v145, v145, v9, 0 neg_lo:[1,1,0]
	s_delay_alu instid0(VALU_DEP_4) | instskip(NEXT) | instid1(VALU_DEP_4)
	v_dot4_i32_iu8 v140, v143, v187, v140 neg_lo:[1,1,0]
	v_dot4_i32_iu8 v141, v143, v15, v141 neg_lo:[1,1,0]
	s_delay_alu instid0(VALU_DEP_4) | instskip(NEXT) | instid1(VALU_DEP_4)
	v_dot4_i32_iu8 v142, v143, v13, v142 neg_lo:[1,1,0]
	v_dot4_i32_iu8 v143, v143, v11, v145 neg_lo:[1,1,0]
	s_delay_alu instid0(VALU_DEP_4) | instskip(NEXT) | instid1(VALU_DEP_4)
	v_dot4_i32_iu8 v140, v144, v188, v140 neg_lo:[1,1,0]
	v_dot4_i32_iu8 v141, v144, v16, v141 neg_lo:[1,1,0]
	s_delay_alu instid0(VALU_DEP_4) | instskip(NEXT) | instid1(VALU_DEP_4)
	v_dot4_i32_iu8 v142, v144, v14, v142 neg_lo:[1,1,0]
	v_dot4_i32_iu8 v147, v144, v12, v143 neg_lo:[1,1,0]
	s_delay_alu instid0(VALU_DEP_4) | instskip(SKIP_4) | instid1(VALU_DEP_4)
	v_dot4_i32_iu8 v145, v146, v4, v140 neg_lo:[1,1,0]
	v_or_b32_e32 v140, s16, v98
	v_dot4_i32_iu8 v144, v146, v6, v141 neg_lo:[1,1,0]
	v_dot4_i32_iu8 v143, v146, v8, v142 neg_lo:[1,1,0]
	v_dot4_i32_iu8 v142, v146, v10, v147 neg_lo:[1,1,0]
	v_lshlrev_b32_e32 v179, 2, v140
	ds_load_b128 v[148:151], v179 offset:33328
	s_waitcnt lgkmcnt(0)
	v_dot4_i32_iu8 v141, v150, v3, 0 neg_lo:[1,1,0]
	v_dot4_i32_iu8 v146, v150, v5, 0 neg_lo:[1,1,0]
	v_dot4_i32_iu8 v147, v150, v7, 0 neg_lo:[1,1,0]
	v_dot4_i32_iu8 v150, v150, v9, 0 neg_lo:[1,1,0]
	s_delay_alu instid0(VALU_DEP_4) | instskip(NEXT) | instid1(VALU_DEP_4)
	v_dot4_i32_iu8 v141, v148, v187, v141 neg_lo:[1,1,0]
	v_dot4_i32_iu8 v146, v148, v15, v146 neg_lo:[1,1,0]
	s_delay_alu instid0(VALU_DEP_4) | instskip(NEXT) | instid1(VALU_DEP_4)
	v_dot4_i32_iu8 v147, v148, v13, v147 neg_lo:[1,1,0]
	v_dot4_i32_iu8 v148, v148, v11, v150 neg_lo:[1,1,0]
	s_delay_alu instid0(VALU_DEP_4) | instskip(NEXT) | instid1(VALU_DEP_4)
	v_dot4_i32_iu8 v141, v149, v188, v141 neg_lo:[1,1,0]
	v_dot4_i32_iu8 v146, v149, v16, v146 neg_lo:[1,1,0]
	s_delay_alu instid0(VALU_DEP_4) | instskip(NEXT) | instid1(VALU_DEP_4)
	v_dot4_i32_iu8 v147, v149, v14, v147 neg_lo:[1,1,0]
	v_dot4_i32_iu8 v152, v149, v12, v148 neg_lo:[1,1,0]
	s_delay_alu instid0(VALU_DEP_4) | instskip(SKIP_4) | instid1(VALU_DEP_4)
	v_dot4_i32_iu8 v150, v151, v4, v141 neg_lo:[1,1,0]
	v_or_b32_e32 v141, s16, v102
	v_dot4_i32_iu8 v149, v151, v6, v146 neg_lo:[1,1,0]
	v_dot4_i32_iu8 v148, v151, v8, v147 neg_lo:[1,1,0]
	v_dot4_i32_iu8 v147, v151, v10, v152 neg_lo:[1,1,0]
	;; [unrolled: 25-line block ×5, first 2 shown]
	v_lshlrev_b32_e32 v192, 2, v156
	ds_load_b128 v[183:186], v192 offset:33328
	s_waitcnt lgkmcnt(0)
	v_dot4_i32_iu8 v163, v185, v3, 0 neg_lo:[1,1,0]
	v_dot4_i32_iu8 v170, v185, v5, 0 neg_lo:[1,1,0]
	;; [unrolled: 1-line block ×4, first 2 shown]
	s_delay_alu instid0(VALU_DEP_4) | instskip(NEXT) | instid1(VALU_DEP_4)
	v_dot4_i32_iu8 v163, v183, v187, v163 neg_lo:[1,1,0]
	v_dot4_i32_iu8 v170, v183, v15, v170 neg_lo:[1,1,0]
	s_delay_alu instid0(VALU_DEP_4) | instskip(NEXT) | instid1(VALU_DEP_4)
	v_dot4_i32_iu8 v171, v183, v13, v171 neg_lo:[1,1,0]
	v_dot4_i32_iu8 v172, v183, v11, v172 neg_lo:[1,1,0]
	;; [unrolled: 3-line block ×4, first 2 shown]
	s_delay_alu instid0(VALU_DEP_4)
	v_dot4_i32_iu8 v173, v186, v4, v163 neg_lo:[1,1,0]
	v_or_b32_e32 v163, s16, v113
	v_dot4_i32_iu8 v172, v186, v6, v170 neg_lo:[1,1,0]
	v_dot4_i32_iu8 v171, v186, v8, v171 neg_lo:[1,1,0]
	;; [unrolled: 1-line block ×3, first 2 shown]
	s_lshr_b32 s16, s14, 1
	v_lshlrev_b32_e32 v202, 2, v163
	s_add_i32 s14, s14, 8
	s_delay_alu instid0(SALU_CYCLE_1)
	s_cmp_lt_u32 s14, s15
	ds_load_b128 v[183:186], v202 offset:33328
	s_waitcnt lgkmcnt(0)
	v_dot4_i32_iu8 v3, v185, v3, 0 neg_lo:[1,1,0]
	v_dot4_i32_iu8 v5, v185, v5, 0 neg_lo:[1,1,0]
	;; [unrolled: 1-line block ×4, first 2 shown]
	s_delay_alu instid0(VALU_DEP_4) | instskip(NEXT) | instid1(VALU_DEP_4)
	v_dot4_i32_iu8 v3, v183, v187, v3 neg_lo:[1,1,0]
	v_dot4_i32_iu8 v5, v183, v15, v5 neg_lo:[1,1,0]
	s_delay_alu instid0(VALU_DEP_4) | instskip(NEXT) | instid1(VALU_DEP_4)
	v_dot4_i32_iu8 v7, v183, v13, v7 neg_lo:[1,1,0]
	v_dot4_i32_iu8 v9, v183, v11, v9 neg_lo:[1,1,0]
	;; [unrolled: 3-line block ×6, first 2 shown]
	ds_load_2addr_b32 v[207:208], v138 offset0:10 offset1:11
	ds_load_b128 v[7:10], v174 offset:33312
	ds_load_2addr_b32 v[211:212], v175 offset0:10 offset1:11
	ds_load_2addr_b32 v[217:218], v176 offset0:8 offset1:9
	;; [unrolled: 1-line block ×7, first 2 shown]
	ds_load_b128 v[203:206], v202 offset:33312
	s_waitcnt lgkmcnt(8)
	v_dot4_i32_iu8 v11, v207, v9, 0 neg_lo:[1,1,0]
	s_waitcnt lgkmcnt(7)
	v_dot4_i32_iu8 v12, v211, v9, 0 neg_lo:[1,1,0]
	;; [unrolled: 2-line block ×6, first 2 shown]
	v_dot4_i32_iu8 v13, v217, v7, v13 neg_lo:[1,1,0]
	v_dot4_i32_iu8 v7, v221, v7, v9 neg_lo:[1,1,0]
	v_dot4_i32_iu8 v9, v210, v8, v11 neg_lo:[1,1,0]
	s_delay_alu instid0(VALU_DEP_4) | instskip(NEXT) | instid1(VALU_DEP_4)
	v_dot4_i32_iu8 v11, v214, v8, v12 neg_lo:[1,1,0]
	v_dot4_i32_iu8 v12, v218, v8, v13 neg_lo:[1,1,0]
	s_delay_alu instid0(VALU_DEP_4) | instskip(NEXT) | instid1(VALU_DEP_4)
	v_dot4_i32_iu8 v7, v222, v8, v7 neg_lo:[1,1,0]
	v_dot4_i32_iu8 v251, v208, v10, v9 neg_lo:[1,1,0]
	;; [unrolled: 3-line block ×3, first 2 shown]
	s_delay_alu instid0(VALU_DEP_4)
	v_dot4_i32_iu8 v254, v220, v10, v7 neg_lo:[1,1,0]
	ds_load_b128 v[7:10], v178 offset:33312
	s_waitcnt lgkmcnt(0)
	v_dot4_i32_iu8 v11, v9, v207, 0 neg_lo:[1,1,0]
	v_dot4_i32_iu8 v12, v9, v211, 0 neg_lo:[1,1,0]
	v_dot4_i32_iu8 v13, v9, v215, 0 neg_lo:[1,1,0]
	v_dot4_i32_iu8 v9, v9, v219, 0 neg_lo:[1,1,0]
	s_delay_alu instid0(VALU_DEP_4) | instskip(NEXT) | instid1(VALU_DEP_4)
	v_dot4_i32_iu8 v11, v7, v209, v11 neg_lo:[1,1,0]
	v_dot4_i32_iu8 v12, v7, v213, v12 neg_lo:[1,1,0]
	s_delay_alu instid0(VALU_DEP_4) | instskip(NEXT) | instid1(VALU_DEP_4)
	v_dot4_i32_iu8 v13, v7, v217, v13 neg_lo:[1,1,0]
	v_dot4_i32_iu8 v7, v7, v221, v9 neg_lo:[1,1,0]
	s_delay_alu instid0(VALU_DEP_4) | instskip(NEXT) | instid1(VALU_DEP_4)
	v_dot4_i32_iu8 v9, v8, v210, v11 neg_lo:[1,1,0]
	v_dot4_i32_iu8 v11, v8, v214, v12 neg_lo:[1,1,0]
	s_delay_alu instid0(VALU_DEP_4) | instskip(NEXT) | instid1(VALU_DEP_4)
	v_dot4_i32_iu8 v12, v8, v218, v13 neg_lo:[1,1,0]
	v_dot4_i32_iu8 v7, v8, v222, v7 neg_lo:[1,1,0]
	s_delay_alu instid0(VALU_DEP_4) | instskip(NEXT) | instid1(VALU_DEP_4)
	v_dot4_i32_iu8 v201, v10, v208, v9 neg_lo:[1,1,0]
	v_dot4_i32_iu8 v200, v10, v212, v11 neg_lo:[1,1,0]
	s_delay_alu instid0(VALU_DEP_4) | instskip(NEXT) | instid1(VALU_DEP_4)
	v_dot4_i32_iu8 v199, v10, v216, v12 neg_lo:[1,1,0]
	v_dot4_i32_iu8 v198, v10, v220, v7 neg_lo:[1,1,0]
	ds_load_b128 v[7:10], v179 offset:33312
	s_waitcnt lgkmcnt(0)
	v_dot4_i32_iu8 v11, v9, v207, 0 neg_lo:[1,1,0]
	v_dot4_i32_iu8 v12, v9, v211, 0 neg_lo:[1,1,0]
	v_dot4_i32_iu8 v13, v9, v215, 0 neg_lo:[1,1,0]
	v_dot4_i32_iu8 v9, v9, v219, 0 neg_lo:[1,1,0]
	s_delay_alu instid0(VALU_DEP_4) | instskip(NEXT) | instid1(VALU_DEP_4)
	v_dot4_i32_iu8 v11, v7, v209, v11 neg_lo:[1,1,0]
	v_dot4_i32_iu8 v12, v7, v213, v12 neg_lo:[1,1,0]
	s_delay_alu instid0(VALU_DEP_4) | instskip(NEXT) | instid1(VALU_DEP_4)
	v_dot4_i32_iu8 v13, v7, v217, v13 neg_lo:[1,1,0]
	v_dot4_i32_iu8 v7, v7, v221, v9 neg_lo:[1,1,0]
	s_delay_alu instid0(VALU_DEP_4) | instskip(NEXT) | instid1(VALU_DEP_4)
	v_dot4_i32_iu8 v9, v8, v210, v11 neg_lo:[1,1,0]
	v_dot4_i32_iu8 v11, v8, v214, v12 neg_lo:[1,1,0]
	s_delay_alu instid0(VALU_DEP_4) | instskip(NEXT) | instid1(VALU_DEP_4)
	v_dot4_i32_iu8 v12, v8, v218, v13 neg_lo:[1,1,0]
	v_dot4_i32_iu8 v7, v8, v222, v7 neg_lo:[1,1,0]
	s_delay_alu instid0(VALU_DEP_4) | instskip(NEXT) | instid1(VALU_DEP_4)
	v_dot4_i32_iu8 v197, v10, v208, v9 neg_lo:[1,1,0]
	v_dot4_i32_iu8 v196, v10, v212, v11 neg_lo:[1,1,0]
	s_delay_alu instid0(VALU_DEP_4) | instskip(NEXT) | instid1(VALU_DEP_4)
	v_dot4_i32_iu8 v195, v10, v216, v12 neg_lo:[1,1,0]
	;; [unrolled: 24-line block ×5, first 2 shown]
	v_dot4_i32_iu8 v15, v10, v220, v7 neg_lo:[1,1,0]
	ds_load_b128 v[7:10], v192 offset:33312
	s_waitcnt lgkmcnt(0)
	v_dot4_i32_iu8 v11, v9, v207, 0 neg_lo:[1,1,0]
	v_dot4_i32_iu8 v12, v9, v211, 0 neg_lo:[1,1,0]
	;; [unrolled: 1-line block ×4, first 2 shown]
	s_delay_alu instid0(VALU_DEP_4) | instskip(NEXT) | instid1(VALU_DEP_4)
	v_dot4_i32_iu8 v11, v7, v209, v11 neg_lo:[1,1,0]
	v_dot4_i32_iu8 v12, v7, v213, v12 neg_lo:[1,1,0]
	s_delay_alu instid0(VALU_DEP_4) | instskip(NEXT) | instid1(VALU_DEP_4)
	v_dot4_i32_iu8 v13, v7, v217, v13 neg_lo:[1,1,0]
	v_dot4_i32_iu8 v7, v7, v221, v9 neg_lo:[1,1,0]
	;; [unrolled: 3-line block ×4, first 2 shown]
	v_dot4_i32_iu8 v8, v205, v211, 0 neg_lo:[1,1,0]
	v_dot4_i32_iu8 v14, v10, v208, v9 neg_lo:[1,1,0]
	;; [unrolled: 1-line block ×9, first 2 shown]
	s_delay_alu instid0(VALU_DEP_4) | instskip(NEXT) | instid1(VALU_DEP_4)
	v_dot4_i32_iu8 v7, v203, v209, v7 neg_lo:[1,1,0]
	v_dot4_i32_iu8 v8, v204, v214, v8 neg_lo:[1,1,0]
	s_delay_alu instid0(VALU_DEP_4) | instskip(SKIP_1) | instid1(VALU_DEP_4)
	v_dot4_i32_iu8 v207, v204, v218, v9 neg_lo:[1,1,0]
	v_dot4_i32_iu8 v9, v205, v219, 0 neg_lo:[1,1,0]
	;; [unrolled: 1-line block ×3, first 2 shown]
	s_delay_alu instid0(VALU_DEP_2) | instskip(NEXT) | instid1(VALU_DEP_2)
	v_dot4_i32_iu8 v9, v203, v221, v9 neg_lo:[1,1,0]
	v_dot4_i32_iu8 v10, v206, v208, v7 neg_lo:[1,1,0]
	s_delay_alu instid0(VALU_DEP_2) | instskip(SKIP_2) | instid1(VALU_DEP_3)
	v_dot4_i32_iu8 v203, v204, v222, v9 neg_lo:[1,1,0]
	v_dot4_i32_iu8 v9, v206, v212, v8 neg_lo:[1,1,0]
	;; [unrolled: 1-line block ×4, first 2 shown]
	ds_load_2addr_b32 v[235:236], v138 offset0:6 offset1:7
	ds_load_b128 v[203:206], v174 offset:33296
	ds_load_2addr_b32 v[239:240], v175 offset0:6 offset1:7
	ds_load_2addr_b32 v[245:246], v176 offset0:4 offset1:5
	;; [unrolled: 1-line block ×7, first 2 shown]
	ds_load_b128 v[231:234], v202 offset:33296
	s_waitcnt lgkmcnt(8)
	v_dot4_i32_iu8 v207, v235, v205, 0 neg_lo:[1,1,0]
	s_waitcnt lgkmcnt(7)
	v_dot4_i32_iu8 v208, v239, v205, 0 neg_lo:[1,1,0]
	;; [unrolled: 2-line block ×6, first 2 shown]
	v_dot4_i32_iu8 v209, v245, v203, v209 neg_lo:[1,1,0]
	v_dot4_i32_iu8 v203, v249, v203, v205 neg_lo:[1,1,0]
	;; [unrolled: 1-line block ×3, first 2 shown]
	s_delay_alu instid0(VALU_DEP_4) | instskip(NEXT) | instid1(VALU_DEP_4)
	v_dot4_i32_iu8 v207, v242, v204, v208 neg_lo:[1,1,0]
	v_dot4_i32_iu8 v208, v246, v204, v209 neg_lo:[1,1,0]
	s_delay_alu instid0(VALU_DEP_4) | instskip(NEXT) | instid1(VALU_DEP_4)
	v_dot4_i32_iu8 v203, v250, v204, v203 neg_lo:[1,1,0]
	v_dot4_i32_iu8 v255, v236, v206, v205 neg_lo:[1,1,0]
	;; [unrolled: 3-line block ×3, first 2 shown]
	s_delay_alu instid0(VALU_DEP_4)
	v_dot4_i32_iu8 v40, v248, v206, v203 neg_lo:[1,1,0]
	ds_load_b128 v[203:206], v178 offset:33296
	s_waitcnt lgkmcnt(0)
	v_dot4_i32_iu8 v207, v205, v235, 0 neg_lo:[1,1,0]
	v_dot4_i32_iu8 v208, v205, v239, 0 neg_lo:[1,1,0]
	v_dot4_i32_iu8 v209, v205, v243, 0 neg_lo:[1,1,0]
	v_dot4_i32_iu8 v205, v205, v247, 0 neg_lo:[1,1,0]
	s_delay_alu instid0(VALU_DEP_4) | instskip(NEXT) | instid1(VALU_DEP_4)
	v_dot4_i32_iu8 v207, v203, v237, v207 neg_lo:[1,1,0]
	v_dot4_i32_iu8 v208, v203, v241, v208 neg_lo:[1,1,0]
	s_delay_alu instid0(VALU_DEP_4) | instskip(NEXT) | instid1(VALU_DEP_4)
	v_dot4_i32_iu8 v209, v203, v245, v209 neg_lo:[1,1,0]
	v_dot4_i32_iu8 v203, v203, v249, v205 neg_lo:[1,1,0]
	s_delay_alu instid0(VALU_DEP_4) | instskip(NEXT) | instid1(VALU_DEP_4)
	v_dot4_i32_iu8 v205, v204, v238, v207 neg_lo:[1,1,0]
	v_dot4_i32_iu8 v207, v204, v242, v208 neg_lo:[1,1,0]
	s_delay_alu instid0(VALU_DEP_4) | instskip(NEXT) | instid1(VALU_DEP_4)
	v_dot4_i32_iu8 v208, v204, v246, v209 neg_lo:[1,1,0]
	v_dot4_i32_iu8 v203, v204, v250, v203 neg_lo:[1,1,0]
	s_delay_alu instid0(VALU_DEP_4) | instskip(NEXT) | instid1(VALU_DEP_4)
	v_dot4_i32_iu8 v230, v206, v236, v205 neg_lo:[1,1,0]
	v_dot4_i32_iu8 v229, v206, v240, v207 neg_lo:[1,1,0]
	s_delay_alu instid0(VALU_DEP_4) | instskip(NEXT) | instid1(VALU_DEP_4)
	v_dot4_i32_iu8 v228, v206, v244, v208 neg_lo:[1,1,0]
	v_dot4_i32_iu8 v227, v206, v248, v203 neg_lo:[1,1,0]
	ds_load_b128 v[203:206], v179 offset:33296
	s_waitcnt lgkmcnt(0)
	v_dot4_i32_iu8 v207, v205, v235, 0 neg_lo:[1,1,0]
	v_dot4_i32_iu8 v208, v205, v239, 0 neg_lo:[1,1,0]
	v_dot4_i32_iu8 v209, v205, v243, 0 neg_lo:[1,1,0]
	v_dot4_i32_iu8 v205, v205, v247, 0 neg_lo:[1,1,0]
	s_delay_alu instid0(VALU_DEP_4) | instskip(NEXT) | instid1(VALU_DEP_4)
	v_dot4_i32_iu8 v207, v203, v237, v207 neg_lo:[1,1,0]
	v_dot4_i32_iu8 v208, v203, v241, v208 neg_lo:[1,1,0]
	s_delay_alu instid0(VALU_DEP_4) | instskip(NEXT) | instid1(VALU_DEP_4)
	v_dot4_i32_iu8 v209, v203, v245, v209 neg_lo:[1,1,0]
	v_dot4_i32_iu8 v203, v203, v249, v205 neg_lo:[1,1,0]
	s_delay_alu instid0(VALU_DEP_4) | instskip(NEXT) | instid1(VALU_DEP_4)
	v_dot4_i32_iu8 v205, v204, v238, v207 neg_lo:[1,1,0]
	v_dot4_i32_iu8 v207, v204, v242, v208 neg_lo:[1,1,0]
	s_delay_alu instid0(VALU_DEP_4) | instskip(NEXT) | instid1(VALU_DEP_4)
	v_dot4_i32_iu8 v208, v204, v246, v209 neg_lo:[1,1,0]
	v_dot4_i32_iu8 v203, v204, v250, v203 neg_lo:[1,1,0]
	s_delay_alu instid0(VALU_DEP_4) | instskip(NEXT) | instid1(VALU_DEP_4)
	v_dot4_i32_iu8 v226, v206, v236, v205 neg_lo:[1,1,0]
	v_dot4_i32_iu8 v225, v206, v240, v207 neg_lo:[1,1,0]
	s_delay_alu instid0(VALU_DEP_4) | instskip(NEXT) | instid1(VALU_DEP_4)
	v_dot4_i32_iu8 v224, v206, v244, v208 neg_lo:[1,1,0]
	;; [unrolled: 24-line block ×5, first 2 shown]
	v_dot4_i32_iu8 v211, v206, v248, v203 neg_lo:[1,1,0]
	ds_load_b128 v[203:206], v192 offset:33296
	s_waitcnt lgkmcnt(0)
	v_dot4_i32_iu8 v207, v205, v235, 0 neg_lo:[1,1,0]
	v_dot4_i32_iu8 v208, v205, v239, 0 neg_lo:[1,1,0]
	v_dot4_i32_iu8 v209, v205, v243, 0 neg_lo:[1,1,0]
	v_dot4_i32_iu8 v205, v205, v247, 0 neg_lo:[1,1,0]
	s_delay_alu instid0(VALU_DEP_4) | instskip(NEXT) | instid1(VALU_DEP_4)
	v_dot4_i32_iu8 v207, v203, v237, v207 neg_lo:[1,1,0]
	v_dot4_i32_iu8 v208, v203, v241, v208 neg_lo:[1,1,0]
	s_delay_alu instid0(VALU_DEP_4) | instskip(NEXT) | instid1(VALU_DEP_4)
	v_dot4_i32_iu8 v209, v203, v245, v209 neg_lo:[1,1,0]
	v_dot4_i32_iu8 v203, v203, v249, v205 neg_lo:[1,1,0]
	;; [unrolled: 3-line block ×4, first 2 shown]
	v_dot4_i32_iu8 v204, v233, v239, 0 neg_lo:[1,1,0]
	v_dot4_i32_iu8 v210, v206, v236, v205 neg_lo:[1,1,0]
	;; [unrolled: 1-line block ×9, first 2 shown]
	s_delay_alu instid0(VALU_DEP_4) | instskip(NEXT) | instid1(VALU_DEP_4)
	v_dot4_i32_iu8 v203, v231, v237, v203 neg_lo:[1,1,0]
	v_dot4_i32_iu8 v204, v232, v242, v204 neg_lo:[1,1,0]
	s_delay_alu instid0(VALU_DEP_4) | instskip(SKIP_1) | instid1(VALU_DEP_4)
	v_dot4_i32_iu8 v235, v232, v246, v205 neg_lo:[1,1,0]
	v_dot4_i32_iu8 v205, v233, v247, 0 neg_lo:[1,1,0]
	v_dot4_i32_iu8 v203, v232, v238, v203 neg_lo:[1,1,0]
	s_delay_alu instid0(VALU_DEP_2) | instskip(NEXT) | instid1(VALU_DEP_2)
	v_dot4_i32_iu8 v205, v231, v249, v205 neg_lo:[1,1,0]
	v_dot4_i32_iu8 v206, v234, v236, v203 neg_lo:[1,1,0]
	s_delay_alu instid0(VALU_DEP_2) | instskip(SKIP_2) | instid1(VALU_DEP_3)
	v_dot4_i32_iu8 v231, v232, v250, v205 neg_lo:[1,1,0]
	v_dot4_i32_iu8 v205, v234, v240, v204 neg_lo:[1,1,0]
	;; [unrolled: 1-line block ×4, first 2 shown]
	ds_load_2addr_b32 v[235:236], v138 offset0:2 offset1:3
	ds_load_2addr_b32 v[237:238], v138 offset1:1
	ds_load_b128 v[231:234], v174 offset:33280
	ds_load_2addr_b32 v[239:240], v175 offset0:2 offset1:3
	ds_load_2addr_b32 v[241:242], v175 offset1:1
	ds_load_2addr_b32 v[243:244], v176 offset0:2 offset1:3
	ds_load_2addr_b32 v[245:246], v176 offset1:1
	ds_load_2addr_b32 v[247:248], v177 offset0:2 offset1:3
	ds_load_2addr_b32 v[249:250], v177 offset1:1
	s_waitcnt lgkmcnt(6)
	v_dot4_i32_iu8 v138, v235, v233, 0 neg_lo:[1,1,0]
	s_waitcnt lgkmcnt(5)
	v_dot4_i32_iu8 v174, v239, v233, 0 neg_lo:[1,1,0]
	;; [unrolled: 2-line block ×4, first 2 shown]
	v_dot4_i32_iu8 v138, v237, v231, v138 neg_lo:[1,1,0]
	v_dot4_i32_iu8 v174, v241, v231, v174 neg_lo:[1,1,0]
	;; [unrolled: 1-line block ×3, first 2 shown]
	s_waitcnt lgkmcnt(0)
	v_dot4_i32_iu8 v176, v249, v231, v176 neg_lo:[1,1,0]
	v_dot4_i32_iu8 v138, v238, v232, v138 neg_lo:[1,1,0]
	;; [unrolled: 1-line block ×4, first 2 shown]
	s_delay_alu instid0(VALU_DEP_4) | instskip(NEXT) | instid1(VALU_DEP_4)
	v_dot4_i32_iu8 v176, v250, v232, v176 neg_lo:[1,1,0]
	v_dot4_i32_iu8 v231, v236, v234, v138 neg_lo:[1,1,0]
	s_delay_alu instid0(VALU_DEP_4) | instskip(NEXT) | instid1(VALU_DEP_4)
	v_dot4_i32_iu8 v232, v240, v234, v174 neg_lo:[1,1,0]
	v_dot4_i32_iu8 v233, v244, v234, v175 neg_lo:[1,1,0]
	s_delay_alu instid0(VALU_DEP_4)
	v_dot4_i32_iu8 v234, v248, v234, v176 neg_lo:[1,1,0]
	ds_load_b128 v[174:177], v178 offset:33280
	s_waitcnt lgkmcnt(0)
	v_dot4_i32_iu8 v138, v176, v235, 0 neg_lo:[1,1,0]
	v_dot4_i32_iu8 v178, v176, v239, 0 neg_lo:[1,1,0]
	v_dot4_i32_iu8 v60, v176, v243, 0 neg_lo:[1,1,0]
	v_dot4_i32_iu8 v176, v176, v247, 0 neg_lo:[1,1,0]
	s_delay_alu instid0(VALU_DEP_4) | instskip(NEXT) | instid1(VALU_DEP_4)
	v_dot4_i32_iu8 v138, v174, v237, v138 neg_lo:[1,1,0]
	v_dot4_i32_iu8 v178, v174, v241, v178 neg_lo:[1,1,0]
	s_delay_alu instid0(VALU_DEP_4) | instskip(NEXT) | instid1(VALU_DEP_4)
	v_dot4_i32_iu8 v60, v174, v245, v60 neg_lo:[1,1,0]
	v_dot4_i32_iu8 v174, v174, v249, v176 neg_lo:[1,1,0]
	s_delay_alu instid0(VALU_DEP_4) | instskip(NEXT) | instid1(VALU_DEP_4)
	v_dot4_i32_iu8 v138, v175, v238, v138 neg_lo:[1,1,0]
	v_dot4_i32_iu8 v176, v175, v242, v178 neg_lo:[1,1,0]
	s_delay_alu instid0(VALU_DEP_4) | instskip(NEXT) | instid1(VALU_DEP_4)
	v_dot4_i32_iu8 v60, v175, v246, v60 neg_lo:[1,1,0]
	v_dot4_i32_iu8 v174, v175, v250, v174 neg_lo:[1,1,0]
	s_delay_alu instid0(VALU_DEP_4) | instskip(NEXT) | instid1(VALU_DEP_4)
	v_dot4_i32_iu8 v67, v177, v236, v138 neg_lo:[1,1,0]
	v_dot4_i32_iu8 v68, v177, v240, v176 neg_lo:[1,1,0]
	s_delay_alu instid0(VALU_DEP_4) | instskip(NEXT) | instid1(VALU_DEP_4)
	v_dot4_i32_iu8 v60, v177, v244, v60 neg_lo:[1,1,0]
	v_dot4_i32_iu8 v69, v177, v248, v174 neg_lo:[1,1,0]
	ds_load_b128 v[174:177], v179 offset:33280
	s_waitcnt lgkmcnt(0)
	v_dot4_i32_iu8 v138, v176, v235, 0 neg_lo:[1,1,0]
	v_dot4_i32_iu8 v178, v176, v239, 0 neg_lo:[1,1,0]
	v_dot4_i32_iu8 v179, v176, v243, 0 neg_lo:[1,1,0]
	v_dot4_i32_iu8 v176, v176, v247, 0 neg_lo:[1,1,0]
	s_delay_alu instid0(VALU_DEP_4) | instskip(NEXT) | instid1(VALU_DEP_4)
	v_dot4_i32_iu8 v138, v174, v237, v138 neg_lo:[1,1,0]
	v_dot4_i32_iu8 v178, v174, v241, v178 neg_lo:[1,1,0]
	s_delay_alu instid0(VALU_DEP_4) | instskip(NEXT) | instid1(VALU_DEP_4)
	v_dot4_i32_iu8 v179, v174, v245, v179 neg_lo:[1,1,0]
	v_dot4_i32_iu8 v174, v174, v249, v176 neg_lo:[1,1,0]
	s_delay_alu instid0(VALU_DEP_4) | instskip(NEXT) | instid1(VALU_DEP_4)
	v_dot4_i32_iu8 v138, v175, v238, v138 neg_lo:[1,1,0]
	v_dot4_i32_iu8 v176, v175, v242, v178 neg_lo:[1,1,0]
	s_delay_alu instid0(VALU_DEP_4) | instskip(NEXT) | instid1(VALU_DEP_4)
	v_dot4_i32_iu8 v178, v175, v246, v179 neg_lo:[1,1,0]
	v_dot4_i32_iu8 v174, v175, v250, v174 neg_lo:[1,1,0]
	s_delay_alu instid0(VALU_DEP_4) | instskip(NEXT) | instid1(VALU_DEP_4)
	v_dot4_i32_iu8 v71, v177, v236, v138 neg_lo:[1,1,0]
	v_dot4_i32_iu8 v73, v177, v240, v176 neg_lo:[1,1,0]
	s_delay_alu instid0(VALU_DEP_4) | instskip(NEXT) | instid1(VALU_DEP_4)
	v_dot4_i32_iu8 v74, v177, v244, v178 neg_lo:[1,1,0]
	;; [unrolled: 24-line block ×6, first 2 shown]
	v_dot4_i32_iu8 v94, v177, v248, v174 neg_lo:[1,1,0]
	ds_load_b128 v[174:177], v202 offset:33280
	s_waitcnt lgkmcnt(0)
	v_dot4_i32_iu8 v138, v176, v235, 0 neg_lo:[1,1,0]
	v_dot4_i32_iu8 v178, v176, v239, 0 neg_lo:[1,1,0]
	;; [unrolled: 1-line block ×4, first 2 shown]
	s_delay_alu instid0(VALU_DEP_4) | instskip(NEXT) | instid1(VALU_DEP_4)
	v_dot4_i32_iu8 v138, v174, v237, v138 neg_lo:[1,1,0]
	v_dot4_i32_iu8 v178, v174, v241, v178 neg_lo:[1,1,0]
	s_delay_alu instid0(VALU_DEP_4) | instskip(NEXT) | instid1(VALU_DEP_4)
	v_dot4_i32_iu8 v179, v174, v245, v179 neg_lo:[1,1,0]
	v_dot4_i32_iu8 v174, v174, v249, v176 neg_lo:[1,1,0]
	;; [unrolled: 3-line block ×4, first 2 shown]
	s_delay_alu instid0(VALU_DEP_4) | instskip(SKIP_2) | instid1(VALU_DEP_4)
	v_dot4_i32_iu8 v202, v177, v236, v138 neg_lo:[1,1,0]
	v_add_nc_u32_e32 v138, s16, v124
	v_dot4_i32_iu8 v235, v177, v240, v178 neg_lo:[1,1,0]
	v_dot4_i32_iu8 v237, v177, v248, v174 neg_lo:[1,1,0]
	;; [unrolled: 1-line block ×3, first 2 shown]
	ds_load_b32 v176, v138
	s_waitcnt lgkmcnt(0)
	v_bfe_i32 v238, v176, 8, 8
	v_bfe_i32 v239, v176, 0, 8
	;; [unrolled: 1-line block ×3, first 2 shown]
	s_delay_alu instid0(VALU_DEP_3) | instskip(NEXT) | instid1(VALU_DEP_1)
	v_mul_lo_u32 v138, v255, v238
	v_mad_u64_u32 v[174:175], null, v231, v239, v[138:139]
	v_ashrrev_i32_e32 v231, 24, v176
	s_delay_alu instid0(VALU_DEP_1) | instskip(SKIP_1) | instid1(VALU_DEP_2)
	v_mul_lo_u32 v138, v169, v231
	v_mul_lo_u32 v3, v3, v231
	v_mad_u64_u32 v[175:176], null, v251, v240, v[138:139]
	v_add_nc_u32_e32 v138, s16, v126
	ds_load_b32 v169, v138
	s_waitcnt lgkmcnt(0)
	v_bfe_i32 v241, v169, 8, 8
	v_bfe_i32 v242, v169, 0, 8
	s_delay_alu instid0(VALU_DEP_2) | instskip(SKIP_2) | instid1(VALU_DEP_3)
	v_mul_lo_u32 v138, v29, v241
	v_ashrrev_i32_e32 v29, 24, v169
	v_bfe_i32 v169, v169, 16, 8
	v_mad_u64_u32 v[176:177], null, v232, v242, v[138:139]
	s_delay_alu instid0(VALU_DEP_3) | instskip(NEXT) | instid1(VALU_DEP_1)
	v_mul_lo_u32 v138, v165, v29
	v_mad_u64_u32 v[177:178], null, v252, v169, v[138:139]
	v_add_nc_u32_e32 v138, s16, v128
	ds_load_b32 v165, v138
	s_waitcnt lgkmcnt(0)
	v_bfe_i32 v232, v165, 8, 8
	v_bfe_i32 v243, v165, 0, 8
	s_delay_alu instid0(VALU_DEP_2) | instskip(SKIP_2) | instid1(VALU_DEP_3)
	v_mul_lo_u32 v138, v36, v232
	v_ashrrev_i32_e32 v36, 24, v165
	v_bfe_i32 v165, v165, 16, 8
	v_mad_u64_u32 v[178:179], null, v233, v243, v[138:139]
	s_delay_alu instid0(VALU_DEP_3) | instskip(NEXT) | instid1(VALU_DEP_1)
	v_mul_lo_u32 v138, v162, v36
	v_mad_u64_u32 v[179:180], null, v253, v165, v[138:139]
	v_add_nc_u32_e32 v138, s16, v130
	ds_load_b32 v162, v138
	s_waitcnt lgkmcnt(0)
	v_bfe_i32 v233, v162, 8, 8
	v_bfe_i32 v244, v162, 0, 8
	s_delay_alu instid0(VALU_DEP_2) | instskip(SKIP_1) | instid1(VALU_DEP_2)
	v_mul_lo_u32 v138, v40, v233
	v_ashrrev_i32_e32 v40, 24, v162
	v_mad_u64_u32 v[180:181], null, v234, v244, v[138:139]
	s_delay_alu instid0(VALU_DEP_2) | instskip(SKIP_1) | instid1(VALU_DEP_1)
	v_mul_lo_u32 v138, v161, v40
	v_bfe_i32 v181, v162, 16, 8
	v_mad_u64_u32 v[161:162], null, v254, v181, v[138:139]
	ds_load_b64 v[137:138], v137 offset:43584
	v_cvt_f32_i32_e32 v162, v174
	v_cvt_f32_i32_e32 v174, v175
	;; [unrolled: 1-line block ×8, first 2 shown]
	s_waitcnt lgkmcnt(0)
	v_fma_f32 v180, v137, v162, 0
	v_fma_f32 v234, v137, v175, 0
	v_fma_f32 v245, v137, v177, 0
	v_fma_f32 v246, v137, v179, 0
	v_mul_lo_u32 v137, v230, v238
	v_fmac_f32_e32 v180, v138, v174
	v_fmac_f32_e32 v234, v138, v176
	;; [unrolled: 1-line block ×4, first 2 shown]
	v_mad_u64_u32 v[161:162], null, v67, v239, v[137:138]
	v_mul_lo_u32 v137, v145, v231
	s_delay_alu instid0(VALU_DEP_3) | instskip(NEXT) | instid1(VALU_DEP_2)
	v_fmac_f32_e32 v59, v136, v246
	v_mad_u64_u32 v[174:175], null, v201, v240, v[137:138]
	v_mul_lo_u32 v137, v229, v241
	s_delay_alu instid0(VALU_DEP_2) | instskip(NEXT) | instid1(VALU_DEP_2)
	v_cvt_f32_i32_e32 v67, v174
	v_mad_u64_u32 v[175:176], null, v68, v242, v[137:138]
	v_mul_lo_u32 v137, v144, v29
	s_delay_alu instid0(VALU_DEP_2) | instskip(NEXT) | instid1(VALU_DEP_2)
	v_cvt_f32_i32_e32 v68, v175
	v_mad_u64_u32 v[144:145], null, v200, v169, v[137:138]
	v_mul_lo_u32 v137, v228, v232
	s_delay_alu instid0(VALU_DEP_1) | instskip(SKIP_2) | instid1(VALU_DEP_2)
	v_mad_u64_u32 v[176:177], null, v60, v243, v[137:138]
	v_mul_lo_u32 v137, v143, v36
	v_cvt_f32_i32_e32 v60, v161
	v_mad_u64_u32 v[177:178], null, v199, v165, v[137:138]
	v_mul_lo_u32 v137, v227, v233
	s_delay_alu instid0(VALU_DEP_1) | instskip(SKIP_3) | instid1(VALU_DEP_4)
	v_mad_u64_u32 v[178:179], null, v69, v244, v[137:138]
	v_mul_lo_u32 v137, v142, v40
	v_cvt_f32_i32_e32 v69, v144
	v_cvt_f32_i32_e32 v144, v177
	;; [unrolled: 1-line block ×3, first 2 shown]
	s_delay_alu instid0(VALU_DEP_4)
	v_mad_u64_u32 v[142:143], null, v198, v181, v[137:138]
	v_lshrrev_b32_e32 v137, 1, v139
	v_cvt_f32_i32_e32 v143, v176
	ds_load_b64 v[137:138], v137 offset:43584
	v_cvt_f32_i32_e32 v142, v142
	s_waitcnt lgkmcnt(0)
	v_fma_f32 v60, v137, v60, 0
	s_delay_alu instid0(VALU_DEP_1) | instskip(SKIP_2) | instid1(VALU_DEP_3)
	v_fmac_f32_e32 v60, v138, v67
	v_fma_f32 v67, v137, v68, 0
	v_fma_f32 v68, v137, v143, 0
	v_fmac_f32_e32 v55, v133, v60
	s_delay_alu instid0(VALU_DEP_3) | instskip(SKIP_3) | instid1(VALU_DEP_4)
	v_fmac_f32_e32 v67, v138, v69
	v_fma_f32 v69, v137, v145, 0
	v_mul_lo_u32 v137, v226, v238
	v_fmac_f32_e32 v68, v138, v144
	v_fmac_f32_e32 v53, v134, v67
	s_delay_alu instid0(VALU_DEP_4) | instskip(NEXT) | instid1(VALU_DEP_4)
	v_fmac_f32_e32 v69, v138, v142
	v_mad_u64_u32 v[138:139], null, v71, v239, v[137:138]
	v_mul_lo_u32 v137, v150, v231
	s_delay_alu instid0(VALU_DEP_3) | instskip(NEXT) | instid1(VALU_DEP_3)
	v_fmac_f32_e32 v47, v136, v69
	v_cvt_f32_i32_e32 v71, v138
	s_delay_alu instid0(VALU_DEP_3) | instskip(SKIP_1) | instid1(VALU_DEP_1)
	v_mad_u64_u32 v[142:143], null, v197, v240, v[137:138]
	v_mul_lo_u32 v137, v225, v241
	v_mad_u64_u32 v[143:144], null, v73, v242, v[137:138]
	v_mul_lo_u32 v137, v149, v29
	s_delay_alu instid0(VALU_DEP_4) | instskip(NEXT) | instid1(VALU_DEP_2)
	v_cvt_f32_i32_e32 v73, v142
	v_mad_u64_u32 v[144:145], null, v196, v169, v[137:138]
	v_mul_lo_u32 v137, v224, v232
	s_delay_alu instid0(VALU_DEP_1) | instskip(SKIP_2) | instid1(VALU_DEP_3)
	v_mad_u64_u32 v[149:150], null, v74, v243, v[137:138]
	v_mul_lo_u32 v137, v148, v36
	v_cvt_f32_i32_e32 v74, v143
	v_cvt_f32_i32_e32 v139, v149
	s_delay_alu instid0(VALU_DEP_3) | instskip(SKIP_1) | instid1(VALU_DEP_2)
	v_mad_u64_u32 v[161:162], null, v195, v165, v[137:138]
	v_mul_lo_u32 v137, v223, v233
	v_cvt_f32_i32_e32 v142, v161
	s_delay_alu instid0(VALU_DEP_2) | instskip(SKIP_2) | instid1(VALU_DEP_3)
	v_mad_u64_u32 v[174:175], null, v76, v244, v[137:138]
	v_mul_lo_u32 v137, v147, v40
	v_cvt_f32_i32_e32 v76, v144
	v_cvt_f32_i32_e32 v143, v174
	s_delay_alu instid0(VALU_DEP_3)
	v_mad_u64_u32 v[147:148], null, v194, v181, v[137:138]
	v_lshrrev_b32_e32 v137, 1, v140
	ds_load_b64 v[137:138], v137 offset:43584
	v_cvt_f32_i32_e32 v144, v147
	s_waitcnt lgkmcnt(0)
	v_fma_f32 v71, v137, v71, 0
	s_delay_alu instid0(VALU_DEP_1) | instskip(SKIP_2) | instid1(VALU_DEP_2)
	v_fmac_f32_e32 v71, v138, v73
	v_fma_f32 v73, v137, v74, 0
	v_fma_f32 v74, v137, v139, 0
	v_fmac_f32_e32 v73, v138, v76
	v_fma_f32 v76, v137, v143, 0
	v_mul_lo_u32 v137, v222, v238
	s_delay_alu instid0(VALU_DEP_4) | instskip(NEXT) | instid1(VALU_DEP_4)
	v_fmac_f32_e32 v74, v138, v142
	v_fmac_f32_e32 v45, v134, v73
	s_delay_alu instid0(VALU_DEP_4) | instskip(NEXT) | instid1(VALU_DEP_4)
	v_fmac_f32_e32 v76, v138, v144
	v_mad_u64_u32 v[138:139], null, v77, v239, v[137:138]
	v_mul_lo_u32 v137, v155, v231
	s_delay_alu instid0(VALU_DEP_2) | instskip(NEXT) | instid1(VALU_DEP_2)
	v_cvt_f32_i32_e32 v77, v138
	v_mad_u64_u32 v[139:140], null, v193, v240, v[137:138]
	v_mul_lo_u32 v137, v221, v241
	s_delay_alu instid0(VALU_DEP_1) | instskip(SKIP_1) | instid1(VALU_DEP_4)
	v_mad_u64_u32 v[142:143], null, v78, v242, v[137:138]
	v_mul_lo_u32 v137, v154, v29
	v_cvt_f32_i32_e32 v78, v139
	s_delay_alu instid0(VALU_DEP_2) | instskip(SKIP_1) | instid1(VALU_DEP_1)
	v_mad_u64_u32 v[143:144], null, v191, v169, v[137:138]
	v_mul_lo_u32 v137, v220, v232
	v_mad_u64_u32 v[144:145], null, v80, v243, v[137:138]
	v_mul_lo_u32 v137, v153, v36
	v_cvt_f32_i32_e32 v80, v142
	s_delay_alu instid0(VALU_DEP_3) | instskip(NEXT) | instid1(VALU_DEP_3)
	v_cvt_f32_i32_e32 v139, v144
	v_mad_u64_u32 v[147:148], null, v190, v165, v[137:138]
	v_mul_lo_u32 v137, v219, v233
	s_delay_alu instid0(VALU_DEP_2) | instskip(NEXT) | instid1(VALU_DEP_2)
	v_cvt_f32_i32_e32 v140, v147
	v_mad_u64_u32 v[148:149], null, v81, v244, v[137:138]
	v_mul_lo_u32 v137, v152, v40
	v_cvt_f32_i32_e32 v81, v143
	s_delay_alu instid0(VALU_DEP_3) | instskip(NEXT) | instid1(VALU_DEP_3)
	v_cvt_f32_i32_e32 v142, v148
	v_mad_u64_u32 v[149:150], null, v189, v181, v[137:138]
	v_lshrrev_b32_e32 v137, 1, v141
	ds_load_b64 v[137:138], v137 offset:43584
	v_cvt_f32_i32_e32 v143, v149
	s_waitcnt lgkmcnt(0)
	v_fma_f32 v77, v137, v77, 0
	s_delay_alu instid0(VALU_DEP_1) | instskip(SKIP_2) | instid1(VALU_DEP_3)
	v_fmac_f32_e32 v77, v138, v78
	v_fma_f32 v78, v137, v80, 0
	v_fma_f32 v80, v137, v139, 0
	v_dual_fmac_f32 v88, v134, v234 :: v_dual_fmac_f32 v41, v133, v77
	s_delay_alu instid0(VALU_DEP_3) | instskip(SKIP_3) | instid1(VALU_DEP_4)
	v_fmac_f32_e32 v78, v138, v81
	v_fma_f32 v81, v137, v142, 0
	v_mul_lo_u32 v137, v218, v238
	v_fmac_f32_e32 v80, v138, v140
	v_dual_fmac_f32 v72, v135, v245 :: v_dual_fmac_f32 v39, v134, v78
	s_delay_alu instid0(VALU_DEP_4) | instskip(NEXT) | instid1(VALU_DEP_4)
	v_fmac_f32_e32 v81, v138, v143
	v_mad_u64_u32 v[138:139], null, v83, v239, v[137:138]
	v_mul_lo_u32 v137, v160, v231
	s_delay_alu instid0(VALU_DEP_2) | instskip(NEXT) | instid1(VALU_DEP_2)
	v_cvt_f32_i32_e32 v83, v138
	v_mad_u64_u32 v[139:140], null, v188, v240, v[137:138]
	v_mul_lo_u32 v137, v217, v241
	s_delay_alu instid0(VALU_DEP_1) | instskip(SKIP_1) | instid1(VALU_DEP_4)
	v_mad_u64_u32 v[140:141], null, v84, v242, v[137:138]
	v_mul_lo_u32 v137, v159, v29
	v_cvt_f32_i32_e32 v84, v139
	s_delay_alu instid0(VALU_DEP_2) | instskip(SKIP_1) | instid1(VALU_DEP_1)
	v_mad_u64_u32 v[141:142], null, v187, v169, v[137:138]
	v_mul_lo_u32 v137, v216, v232
	v_mad_u64_u32 v[142:143], null, v85, v243, v[137:138]
	v_mul_lo_u32 v137, v158, v36
	v_cvt_f32_i32_e32 v85, v140
	s_delay_alu instid0(VALU_DEP_3) | instskip(NEXT) | instid1(VALU_DEP_3)
	v_cvt_f32_i32_e32 v139, v142
	v_mad_u64_u32 v[143:144], null, v186, v165, v[137:138]
	v_mul_lo_u32 v137, v215, v233
	s_delay_alu instid0(VALU_DEP_2) | instskip(NEXT) | instid1(VALU_DEP_2)
	v_cvt_f32_i32_e32 v140, v143
	v_mad_u64_u32 v[144:145], null, v86, v244, v[137:138]
	v_mul_lo_u32 v137, v157, v40
	v_cvt_f32_i32_e32 v86, v141
	s_delay_alu instid0(VALU_DEP_3) | instskip(NEXT) | instid1(VALU_DEP_3)
	v_cvt_f32_i32_e32 v141, v144
	v_mad_u64_u32 v[147:148], null, v185, v181, v[137:138]
	v_lshrrev_b32_e32 v137, 1, v146
	ds_load_b64 v[137:138], v137 offset:43584
	v_cvt_f32_i32_e32 v142, v147
	s_waitcnt lgkmcnt(0)
	v_fma_f32 v83, v137, v83, 0
	s_delay_alu instid0(VALU_DEP_1) | instskip(SKIP_2) | instid1(VALU_DEP_2)
	v_fmac_f32_e32 v83, v138, v84
	v_fma_f32 v84, v137, v85, 0
	v_fma_f32 v85, v137, v139, 0
	v_dual_fmac_f32 v35, v133, v83 :: v_dual_fmac_f32 v84, v138, v86
	v_fma_f32 v86, v137, v141, 0
	v_mul_lo_u32 v137, v214, v238
	s_delay_alu instid0(VALU_DEP_4) | instskip(NEXT) | instid1(VALU_DEP_3)
	v_fmac_f32_e32 v85, v138, v140
	v_fmac_f32_e32 v86, v138, v142
	s_delay_alu instid0(VALU_DEP_3) | instskip(SKIP_1) | instid1(VALU_DEP_1)
	v_mad_u64_u32 v[138:139], null, v182, v239, v[137:138]
	v_mul_lo_u32 v137, v168, v231
	v_mad_u64_u32 v[139:140], null, v184, v240, v[137:138]
	v_mul_lo_u32 v137, v213, v241
	s_delay_alu instid0(VALU_DEP_1) | instskip(SKIP_2) | instid1(VALU_DEP_2)
	v_mad_u64_u32 v[140:141], null, v87, v242, v[137:138]
	v_mul_lo_u32 v137, v167, v29
	v_cvt_f32_i32_e32 v87, v138
	v_mad_u64_u32 v[141:142], null, v183, v169, v[137:138]
	v_mul_lo_u32 v137, v212, v232
	s_delay_alu instid0(VALU_DEP_1) | instskip(SKIP_2) | instid1(VALU_DEP_2)
	v_mad_u64_u32 v[142:143], null, v89, v243, v[137:138]
	v_mul_lo_u32 v137, v166, v36
	v_cvt_f32_i32_e32 v89, v139
	v_mad_u64_u32 v[143:144], null, v16, v165, v[137:138]
	v_mul_lo_u32 v16, v211, v233
	v_cvt_f32_i32_e32 v138, v142
	v_cvt_f32_i32_e32 v137, v141
	s_delay_alu instid0(VALU_DEP_4) | instskip(NEXT) | instid1(VALU_DEP_4)
	v_cvt_f32_i32_e32 v139, v143
	v_mad_u64_u32 v[144:145], null, v91, v244, v[16:17]
	v_mul_lo_u32 v16, v164, v40
	v_cvt_f32_i32_e32 v91, v140
	s_delay_alu instid0(VALU_DEP_3) | instskip(NEXT) | instid1(VALU_DEP_3)
	v_cvt_f32_i32_e32 v140, v144
	v_mad_u64_u32 v[145:146], null, v15, v181, v[16:17]
	v_lshrrev_b32_e32 v15, 1, v151
	ds_load_b64 v[15:16], v15 offset:43584
	v_cvt_f32_i32_e32 v141, v145
	s_waitcnt lgkmcnt(0)
	v_fma_f32 v87, v15, v87, 0
	v_fma_f32 v144, v15, v140, 0
	s_delay_alu instid0(VALU_DEP_2)
	v_fmac_f32_e32 v87, v16, v89
	v_fma_f32 v89, v15, v91, 0
	v_fma_f32 v91, v15, v138, 0
	v_mul_lo_u32 v15, v210, v238
	v_fmac_f32_e32 v144, v16, v141
	v_dual_fmac_f32 v46, v133, v71 :: v_dual_fmac_f32 v37, v136, v81
	v_fmac_f32_e32 v89, v16, v137
	v_fmac_f32_e32 v91, v16, v139
	s_delay_alu instid0(VALU_DEP_4) | instskip(SKIP_1) | instid1(VALU_DEP_4)
	v_dual_fmac_f32 v28, v133, v87 :: v_dual_fmac_f32 v25, v136, v144
	v_mad_u64_u32 v[137:138], null, v192, v239, v[15:16]
	v_fmac_f32_e32 v27, v134, v89
	v_mul_lo_u32 v15, v173, v231
	v_fmac_f32_e32 v26, v135, v91
	s_delay_alu instid0(VALU_DEP_2) | instskip(SKIP_1) | instid1(VALU_DEP_1)
	v_mad_u64_u32 v[138:139], null, v14, v240, v[15:16]
	v_mul_lo_u32 v14, v209, v241
	v_mad_u64_u32 v[15:16], null, v92, v242, v[14:15]
	v_mul_lo_u32 v14, v172, v29
	s_delay_alu instid0(VALU_DEP_4) | instskip(NEXT) | instid1(VALU_DEP_2)
	v_cvt_f32_i32_e32 v16, v138
	v_mad_u64_u32 v[139:140], null, v13, v169, v[14:15]
	v_mul_lo_u32 v13, v208, v232
	v_cvt_f32_i32_e32 v15, v15
	s_delay_alu instid0(VALU_DEP_3) | instskip(NEXT) | instid1(VALU_DEP_3)
	v_cvt_f32_i32_e32 v92, v139
	v_mad_u64_u32 v[140:141], null, v93, v243, v[13:14]
	v_mul_lo_u32 v13, v171, v36
	s_delay_alu instid0(VALU_DEP_2) | instskip(NEXT) | instid1(VALU_DEP_2)
	v_cvt_f32_i32_e32 v93, v140
	v_mad_u64_u32 v[141:142], null, v12, v165, v[13:14]
	v_mul_lo_u32 v12, v207, v233
	s_delay_alu instid0(VALU_DEP_1) | instskip(SKIP_3) | instid1(VALU_DEP_3)
	v_mad_u64_u32 v[13:14], null, v94, v244, v[12:13]
	v_mul_lo_u32 v12, v170, v40
	v_cvt_f32_i32_e32 v14, v137
	v_cvt_f32_i32_e32 v94, v141
	v_mad_u64_u32 v[142:143], null, v11, v181, v[12:13]
	v_lshrrev_b32_e32 v11, 1, v156
	v_cvt_f32_i32_e32 v13, v13
	ds_load_b64 v[11:12], v11 offset:43584
	v_cvt_f32_i32_e32 v137, v142
	s_waitcnt lgkmcnt(0)
	v_fma_f32 v139, v11, v15, 0
	v_fma_f32 v138, v11, v14, 0
	s_delay_alu instid0(VALU_DEP_2) | instskip(SKIP_3) | instid1(VALU_DEP_4)
	v_fmac_f32_e32 v139, v12, v92
	v_fma_f32 v92, v11, v93, 0
	v_fma_f32 v93, v11, v13, 0
	v_mul_lo_u32 v11, v206, v238
	v_dual_fmac_f32 v138, v12, v16 :: v_dual_fmac_f32 v23, v134, v139
	s_delay_alu instid0(VALU_DEP_4) | instskip(NEXT) | instid1(VALU_DEP_4)
	v_fmac_f32_e32 v92, v12, v94
	v_dual_fmac_f32 v93, v12, v137 :: v_dual_fmac_f32 v34, v134, v84
	s_delay_alu instid0(VALU_DEP_3) | instskip(SKIP_4) | instid1(VALU_DEP_2)
	v_dual_fmac_f32 v33, v135, v85 :: v_dual_fmac_f32 v24, v133, v138
	v_mad_u64_u32 v[12:13], null, v202, v239, v[11:12]
	v_mad_u64_u32 v[13:14], null, v10, v240, v[3:4]
	v_mul_lo_u32 v3, v205, v241
	v_dual_fmac_f32 v22, v135, v92 :: v_dual_fmac_f32 v21, v136, v93
	v_mad_u64_u32 v[10:11], null, v235, v242, v[3:4]
	v_mul_lo_u32 v3, v4, v29
	s_delay_alu instid0(VALU_DEP_1) | instskip(SKIP_1) | instid1(VALU_DEP_1)
	v_mad_u64_u32 v[14:15], null, v9, v169, v[3:4]
	v_mul_lo_u32 v3, v204, v232
	v_mad_u64_u32 v[15:16], null, v236, v243, v[3:4]
	v_mul_lo_u32 v3, v5, v36
	s_delay_alu instid0(VALU_DEP_2) | instskip(NEXT) | instid1(VALU_DEP_2)
	v_cvt_f32_i32_e32 v11, v15
	v_mad_u64_u32 v[4:5], null, v8, v165, v[3:4]
	v_mul_lo_u32 v3, v203, v233
	s_delay_alu instid0(VALU_DEP_1) | instskip(SKIP_3) | instid1(VALU_DEP_4)
	v_mad_u64_u32 v[8:9], null, v237, v244, v[3:4]
	v_mul_lo_u32 v3, v6, v40
	v_cvt_f32_i32_e32 v9, v10
	v_cvt_f32_i32_e32 v10, v14
	;; [unrolled: 1-line block ×3, first 2 shown]
	s_delay_alu instid0(VALU_DEP_4)
	v_mad_u64_u32 v[5:6], null, v7, v181, v[3:4]
	v_lshrrev_b32_e32 v3, 1, v163
	v_cvt_f32_i32_e32 v6, v12
	v_cvt_f32_i32_e32 v12, v4
	;; [unrolled: 1-line block ×3, first 2 shown]
	ds_load_b64 v[3:4], v3 offset:43584
	v_cvt_f32_i32_e32 v5, v5
	s_waitcnt lgkmcnt(0)
	v_fma_f32 v6, v3, v6, 0
	s_delay_alu instid0(VALU_DEP_1) | instskip(SKIP_3) | instid1(VALU_DEP_3)
	v_fmac_f32_e32 v6, v4, v7
	v_fma_f32 v7, v3, v9, 0
	v_fma_f32 v9, v3, v11, 0
	;; [unrolled: 1-line block ×3, first 2 shown]
	v_fmac_f32_e32 v7, v4, v10
	s_delay_alu instid0(VALU_DEP_3) | instskip(NEXT) | instid1(VALU_DEP_3)
	v_fmac_f32_e32 v9, v4, v12
	v_dual_fmac_f32 v3, v4, v5 :: v_dual_fmac_f32 v32, v133, v180
	v_fmac_f32_e32 v43, v135, v74
	v_fmac_f32_e32 v49, v135, v68
	;; [unrolled: 1-line block ×3, first 2 shown]
	v_dual_fmac_f32 v38, v135, v80 :: v_dual_fmac_f32 v31, v136, v86
	v_dual_fmac_f32 v20, v133, v6 :: v_dual_fmac_f32 v19, v134, v7
	;; [unrolled: 1-line block ×3, first 2 shown]
	s_cbranch_scc1 .LBB135_7
; %bb.8:                                ;   in Loop: Header=BB135_6 Depth=2
	s_mov_b32 s14, 1
	s_and_b32 vcc_lo, exec_lo, s1
	s_mov_b32 s1, 0
	s_barrier
	buffer_gl0_inv
	s_cbranch_vccz .LBB135_6
; %bb.9:                                ;   in Loop: Header=BB135_5 Depth=1
	s_add_i32 s13, s13, 1
	s_delay_alu instid0(SALU_CYCLE_1)
	s_cmp_eq_u32 s13, s11
	s_cbranch_scc0 .LBB135_5
; %bb.10:
	s_clause 0x1
	scratch_load_b32 v1, off, off offset:32
	scratch_load_b32 v2, off, off offset:36
	v_mov_b32_e32 v0, v30
.LBB135_11:
	s_mov_b32 s0, exec_lo
	s_waitcnt vmcnt(0)
	v_cmpx_gt_u32_e64 s4, v2
	s_cbranch_execz .LBB135_62
; %bb.12:
	v_add_nc_u32_e32 v0, s10, v0
	v_mul_lo_u32 v5, v2, s6
	s_delay_alu instid0(VALU_DEP_2)
	v_cmp_gt_u32_e32 vcc_lo, s6, v0
	s_and_saveexec_b32 s1, vcc_lo
	s_cbranch_execz .LBB135_14
; %bb.13:
	s_delay_alu instid0(VALU_DEP_2) | instskip(NEXT) | instid1(VALU_DEP_1)
	v_dual_mov_b32 v3, 0 :: v_dual_add_nc_u32 v2, v0, v5
	v_lshlrev_b64 v[2:3], 2, v[2:3]
	s_waitcnt lgkmcnt(0)
	s_delay_alu instid0(VALU_DEP_1) | instskip(NEXT) | instid1(VALU_DEP_1)
	v_add_co_u32 v2, s0, s8, v2
	v_add_co_ci_u32_e64 v3, s0, s9, v3, s0
	global_store_b32 v[2:3], v32, off
.LBB135_14:
	s_or_b32 exec_lo, exec_lo, s1
	v_add_nc_u32_e32 v2, 32, v0
	s_delay_alu instid0(VALU_DEP_1) | instskip(NEXT) | instid1(VALU_DEP_1)
	v_cmp_gt_u32_e64 s0, s6, v2
	s_and_saveexec_b32 s2, s0
	s_cbranch_execz .LBB135_16
; %bb.15:
	v_dual_mov_b32 v4, 0 :: v_dual_add_nc_u32 v3, v2, v5
	s_delay_alu instid0(VALU_DEP_1) | instskip(SKIP_1) | instid1(VALU_DEP_1)
	v_lshlrev_b64 v[3:4], 2, v[3:4]
	s_waitcnt lgkmcnt(0)
	v_add_co_u32 v3, s1, s8, v3
	s_delay_alu instid0(VALU_DEP_1)
	v_add_co_ci_u32_e64 v4, s1, s9, v4, s1
	global_store_b32 v[3:4], v88, off
.LBB135_16:
	s_or_b32 exec_lo, exec_lo, s2
	v_add_nc_u32_e32 v3, 64, v0
	s_delay_alu instid0(VALU_DEP_1) | instskip(NEXT) | instid1(VALU_DEP_1)
	v_cmp_gt_u32_e64 s1, s6, v3
	s_and_saveexec_b32 s3, s1
	s_cbranch_execz .LBB135_18
; %bb.17:
	v_dual_mov_b32 v7, 0 :: v_dual_add_nc_u32 v6, v3, v5
	s_delay_alu instid0(VALU_DEP_1) | instskip(SKIP_1) | instid1(VALU_DEP_1)
	v_lshlrev_b64 v[6:7], 2, v[6:7]
	s_waitcnt lgkmcnt(0)
	v_add_co_u32 v6, s2, s8, v6
	s_delay_alu instid0(VALU_DEP_1)
	v_add_co_ci_u32_e64 v7, s2, s9, v7, s2
	global_store_b32 v[6:7], v72, off
.LBB135_18:
	;; [unrolled: 16-line block ×3, first 2 shown]
	s_or_b32 exec_lo, exec_lo, s5
	v_add3_u32 v5, v1, s7, 8
	s_delay_alu instid0(VALU_DEP_1) | instskip(NEXT) | instid1(VALU_DEP_1)
	v_cmp_gt_u32_e64 s3, s4, v5
	s_and_b32 exec_lo, exec_lo, s3
	s_cbranch_execz .LBB135_62
; %bb.21:
	v_mul_lo_u32 v5, v5, s6
	s_and_saveexec_b32 s5, vcc_lo
	s_cbranch_execnz .LBB135_63
; %bb.22:
	s_or_b32 exec_lo, exec_lo, s5
	s_and_saveexec_b32 s5, s0
	s_cbranch_execnz .LBB135_64
.LBB135_23:
	s_or_b32 exec_lo, exec_lo, s5
	s_and_saveexec_b32 s5, s1
	s_cbranch_execnz .LBB135_65
.LBB135_24:
	s_or_b32 exec_lo, exec_lo, s5
	s_and_saveexec_b32 s5, s2
	s_cbranch_execz .LBB135_26
.LBB135_25:
	v_dual_mov_b32 v6, 0 :: v_dual_add_nc_u32 v5, v5, v4
	s_delay_alu instid0(VALU_DEP_1) | instskip(SKIP_1) | instid1(VALU_DEP_1)
	v_lshlrev_b64 v[5:6], 2, v[5:6]
	s_waitcnt lgkmcnt(0)
	v_add_co_u32 v5, s3, s8, v5
	s_delay_alu instid0(VALU_DEP_1)
	v_add_co_ci_u32_e64 v6, s3, s9, v6, s3
	global_store_b32 v[5:6], v47, off
.LBB135_26:
	s_or_b32 exec_lo, exec_lo, s5
	v_add3_u32 v5, v1, s7, 16
	s_delay_alu instid0(VALU_DEP_1) | instskip(NEXT) | instid1(VALU_DEP_1)
	v_cmp_gt_u32_e64 s3, s4, v5
	s_and_b32 exec_lo, exec_lo, s3
	s_cbranch_execz .LBB135_62
; %bb.27:
	v_mul_lo_u32 v5, v5, s6
	s_and_saveexec_b32 s5, vcc_lo
	s_cbranch_execnz .LBB135_66
; %bb.28:
	s_or_b32 exec_lo, exec_lo, s5
	s_and_saveexec_b32 s5, s0
	s_cbranch_execnz .LBB135_67
.LBB135_29:
	s_or_b32 exec_lo, exec_lo, s5
	s_and_saveexec_b32 s5, s1
	s_cbranch_execnz .LBB135_68
.LBB135_30:
	s_or_b32 exec_lo, exec_lo, s5
	s_and_saveexec_b32 s5, s2
	s_cbranch_execz .LBB135_32
.LBB135_31:
	v_dual_mov_b32 v6, 0 :: v_dual_add_nc_u32 v5, v5, v4
	s_delay_alu instid0(VALU_DEP_1) | instskip(SKIP_1) | instid1(VALU_DEP_1)
	v_lshlrev_b64 v[5:6], 2, v[5:6]
	s_waitcnt lgkmcnt(0)
	v_add_co_u32 v5, s3, s8, v5
	s_delay_alu instid0(VALU_DEP_1)
	v_add_co_ci_u32_e64 v6, s3, s9, v6, s3
	global_store_b32 v[5:6], v42, off
.LBB135_32:
	s_or_b32 exec_lo, exec_lo, s5
	v_add3_u32 v5, v1, s7, 24
	s_delay_alu instid0(VALU_DEP_1) | instskip(NEXT) | instid1(VALU_DEP_1)
	v_cmp_gt_u32_e64 s3, s4, v5
	s_and_b32 exec_lo, exec_lo, s3
	s_cbranch_execz .LBB135_62
; %bb.33:
	v_mul_lo_u32 v5, v5, s6
	s_and_saveexec_b32 s5, vcc_lo
	s_cbranch_execnz .LBB135_69
; %bb.34:
	s_or_b32 exec_lo, exec_lo, s5
	s_and_saveexec_b32 s5, s0
	s_cbranch_execnz .LBB135_70
.LBB135_35:
	s_or_b32 exec_lo, exec_lo, s5
	s_and_saveexec_b32 s5, s1
	s_cbranch_execnz .LBB135_71
.LBB135_36:
	s_or_b32 exec_lo, exec_lo, s5
	s_and_saveexec_b32 s5, s2
	s_cbranch_execz .LBB135_38
.LBB135_37:
	v_dual_mov_b32 v6, 0 :: v_dual_add_nc_u32 v5, v5, v4
	s_delay_alu instid0(VALU_DEP_1) | instskip(SKIP_1) | instid1(VALU_DEP_1)
	v_lshlrev_b64 v[5:6], 2, v[5:6]
	s_waitcnt lgkmcnt(0)
	v_add_co_u32 v5, s3, s8, v5
	s_delay_alu instid0(VALU_DEP_1)
	v_add_co_ci_u32_e64 v6, s3, s9, v6, s3
	global_store_b32 v[5:6], v37, off
.LBB135_38:
	s_or_b32 exec_lo, exec_lo, s5
	v_add3_u32 v5, v1, s7, 32
	s_delay_alu instid0(VALU_DEP_1) | instskip(NEXT) | instid1(VALU_DEP_1)
	v_cmp_gt_u32_e64 s3, s4, v5
	s_and_b32 exec_lo, exec_lo, s3
	s_cbranch_execz .LBB135_62
; %bb.39:
	v_mul_lo_u32 v5, v5, s6
	s_and_saveexec_b32 s5, vcc_lo
	s_cbranch_execnz .LBB135_72
; %bb.40:
	s_or_b32 exec_lo, exec_lo, s5
	s_and_saveexec_b32 s5, s0
	s_cbranch_execnz .LBB135_73
.LBB135_41:
	s_or_b32 exec_lo, exec_lo, s5
	s_and_saveexec_b32 s5, s1
	s_cbranch_execnz .LBB135_74
.LBB135_42:
	s_or_b32 exec_lo, exec_lo, s5
	s_and_saveexec_b32 s5, s2
	s_cbranch_execz .LBB135_44
.LBB135_43:
	v_dual_mov_b32 v6, 0 :: v_dual_add_nc_u32 v5, v5, v4
	s_delay_alu instid0(VALU_DEP_1) | instskip(SKIP_1) | instid1(VALU_DEP_1)
	v_lshlrev_b64 v[5:6], 2, v[5:6]
	s_waitcnt lgkmcnt(0)
	v_add_co_u32 v5, s3, s8, v5
	s_delay_alu instid0(VALU_DEP_1)
	v_add_co_ci_u32_e64 v6, s3, s9, v6, s3
	global_store_b32 v[5:6], v31, off
.LBB135_44:
	s_or_b32 exec_lo, exec_lo, s5
	v_add3_u32 v5, v1, s7, 40
	s_delay_alu instid0(VALU_DEP_1) | instskip(NEXT) | instid1(VALU_DEP_1)
	v_cmp_gt_u32_e64 s3, s4, v5
	s_and_b32 exec_lo, exec_lo, s3
	s_cbranch_execz .LBB135_62
; %bb.45:
	v_mul_lo_u32 v5, v5, s6
	s_and_saveexec_b32 s5, vcc_lo
	s_cbranch_execnz .LBB135_75
; %bb.46:
	s_or_b32 exec_lo, exec_lo, s5
	s_and_saveexec_b32 s5, s0
	s_cbranch_execnz .LBB135_76
.LBB135_47:
	s_or_b32 exec_lo, exec_lo, s5
	s_and_saveexec_b32 s5, s1
	s_cbranch_execnz .LBB135_77
.LBB135_48:
	s_or_b32 exec_lo, exec_lo, s5
	s_and_saveexec_b32 s5, s2
	s_cbranch_execz .LBB135_50
.LBB135_49:
	v_dual_mov_b32 v6, 0 :: v_dual_add_nc_u32 v5, v5, v4
	s_delay_alu instid0(VALU_DEP_1) | instskip(SKIP_1) | instid1(VALU_DEP_1)
	v_lshlrev_b64 v[5:6], 2, v[5:6]
	s_waitcnt lgkmcnt(0)
	v_add_co_u32 v5, s3, s8, v5
	s_delay_alu instid0(VALU_DEP_1)
	v_add_co_ci_u32_e64 v6, s3, s9, v6, s3
	global_store_b32 v[5:6], v25, off
.LBB135_50:
	s_or_b32 exec_lo, exec_lo, s5
	v_add3_u32 v5, v1, s7, 48
	s_delay_alu instid0(VALU_DEP_1) | instskip(NEXT) | instid1(VALU_DEP_1)
	v_cmp_gt_u32_e64 s3, s4, v5
	s_and_b32 exec_lo, exec_lo, s3
	s_cbranch_execz .LBB135_62
; %bb.51:
	v_mul_lo_u32 v5, v5, s6
	s_and_saveexec_b32 s5, vcc_lo
	s_cbranch_execnz .LBB135_78
; %bb.52:
	s_or_b32 exec_lo, exec_lo, s5
	s_and_saveexec_b32 s5, s0
	s_cbranch_execnz .LBB135_79
.LBB135_53:
	s_or_b32 exec_lo, exec_lo, s5
	s_and_saveexec_b32 s5, s1
	s_cbranch_execnz .LBB135_80
.LBB135_54:
	s_or_b32 exec_lo, exec_lo, s5
	s_and_saveexec_b32 s5, s2
	s_cbranch_execz .LBB135_56
.LBB135_55:
	v_dual_mov_b32 v6, 0 :: v_dual_add_nc_u32 v5, v5, v4
	s_delay_alu instid0(VALU_DEP_1) | instskip(SKIP_1) | instid1(VALU_DEP_1)
	v_lshlrev_b64 v[5:6], 2, v[5:6]
	s_waitcnt lgkmcnt(0)
	v_add_co_u32 v5, s3, s8, v5
	s_delay_alu instid0(VALU_DEP_1)
	v_add_co_ci_u32_e64 v6, s3, s9, v6, s3
	global_store_b32 v[5:6], v21, off
.LBB135_56:
	s_or_b32 exec_lo, exec_lo, s5
	v_add3_u32 v1, v1, s7, 56
	s_delay_alu instid0(VALU_DEP_1) | instskip(NEXT) | instid1(VALU_DEP_1)
	v_cmp_gt_u32_e64 s3, s4, v1
	s_and_b32 exec_lo, exec_lo, s3
	s_cbranch_execz .LBB135_62
; %bb.57:
	v_mul_lo_u32 v1, v1, s6
	s_and_saveexec_b32 s3, vcc_lo
	s_cbranch_execnz .LBB135_81
; %bb.58:
	s_or_b32 exec_lo, exec_lo, s3
	s_and_saveexec_b32 s3, s0
	s_cbranch_execnz .LBB135_82
.LBB135_59:
	s_or_b32 exec_lo, exec_lo, s3
	s_and_saveexec_b32 s0, s1
	s_cbranch_execnz .LBB135_83
.LBB135_60:
	s_or_b32 exec_lo, exec_lo, s0
	s_delay_alu instid0(SALU_CYCLE_1)
	s_and_b32 exec_lo, exec_lo, s2
	s_cbranch_execz .LBB135_62
.LBB135_61:
	v_dual_mov_b32 v1, 0 :: v_dual_add_nc_u32 v0, v1, v4
	s_delay_alu instid0(VALU_DEP_1) | instskip(SKIP_1) | instid1(VALU_DEP_1)
	v_lshlrev_b64 v[0:1], 2, v[0:1]
	s_waitcnt lgkmcnt(0)
	v_add_co_u32 v0, vcc_lo, s8, v0
	s_delay_alu instid0(VALU_DEP_2)
	v_add_co_ci_u32_e32 v1, vcc_lo, s9, v1, vcc_lo
	global_store_b32 v[0:1], v17, off
.LBB135_62:
	s_nop 0
	s_sendmsg sendmsg(MSG_DEALLOC_VGPRS)
	s_endpgm
.LBB135_63:
	s_delay_alu instid0(VALU_DEP_1) | instskip(NEXT) | instid1(VALU_DEP_1)
	v_dual_mov_b32 v7, 0 :: v_dual_add_nc_u32 v6, v5, v0
	v_lshlrev_b64 v[6:7], 2, v[6:7]
	s_waitcnt lgkmcnt(0)
	s_delay_alu instid0(VALU_DEP_1) | instskip(NEXT) | instid1(VALU_DEP_1)
	v_add_co_u32 v6, s3, s8, v6
	v_add_co_ci_u32_e64 v7, s3, s9, v7, s3
	global_store_b32 v[6:7], v55, off
	s_or_b32 exec_lo, exec_lo, s5
	s_and_saveexec_b32 s5, s0
	s_cbranch_execz .LBB135_23
.LBB135_64:
	s_delay_alu instid0(VALU_DEP_1) | instskip(NEXT) | instid1(VALU_DEP_1)
	v_dual_mov_b32 v7, 0 :: v_dual_add_nc_u32 v6, v5, v2
	v_lshlrev_b64 v[6:7], 2, v[6:7]
	s_waitcnt lgkmcnt(0)
	s_delay_alu instid0(VALU_DEP_1) | instskip(NEXT) | instid1(VALU_DEP_1)
	v_add_co_u32 v6, s3, s8, v6
	v_add_co_ci_u32_e64 v7, s3, s9, v7, s3
	global_store_b32 v[6:7], v53, off
	s_or_b32 exec_lo, exec_lo, s5
	s_and_saveexec_b32 s5, s1
	s_cbranch_execz .LBB135_24
.LBB135_65:
	v_dual_mov_b32 v7, 0 :: v_dual_add_nc_u32 v6, v5, v3
	s_delay_alu instid0(VALU_DEP_1) | instskip(SKIP_1) | instid1(VALU_DEP_1)
	v_lshlrev_b64 v[6:7], 2, v[6:7]
	s_waitcnt lgkmcnt(0)
	v_add_co_u32 v6, s3, s8, v6
	s_delay_alu instid0(VALU_DEP_1)
	v_add_co_ci_u32_e64 v7, s3, s9, v7, s3
	global_store_b32 v[6:7], v49, off
	s_or_b32 exec_lo, exec_lo, s5
	s_and_saveexec_b32 s5, s2
	s_cbranch_execnz .LBB135_25
	s_branch .LBB135_26
.LBB135_66:
	s_delay_alu instid0(VALU_DEP_1) | instskip(NEXT) | instid1(VALU_DEP_1)
	v_dual_mov_b32 v7, 0 :: v_dual_add_nc_u32 v6, v5, v0
	v_lshlrev_b64 v[6:7], 2, v[6:7]
	s_waitcnt lgkmcnt(0)
	s_delay_alu instid0(VALU_DEP_1) | instskip(NEXT) | instid1(VALU_DEP_1)
	v_add_co_u32 v6, s3, s8, v6
	v_add_co_ci_u32_e64 v7, s3, s9, v7, s3
	global_store_b32 v[6:7], v46, off
	s_or_b32 exec_lo, exec_lo, s5
	s_and_saveexec_b32 s5, s0
	s_cbranch_execz .LBB135_29
.LBB135_67:
	s_delay_alu instid0(VALU_DEP_1) | instskip(NEXT) | instid1(VALU_DEP_1)
	v_dual_mov_b32 v7, 0 :: v_dual_add_nc_u32 v6, v5, v2
	v_lshlrev_b64 v[6:7], 2, v[6:7]
	s_waitcnt lgkmcnt(0)
	s_delay_alu instid0(VALU_DEP_1) | instskip(NEXT) | instid1(VALU_DEP_1)
	v_add_co_u32 v6, s3, s8, v6
	v_add_co_ci_u32_e64 v7, s3, s9, v7, s3
	global_store_b32 v[6:7], v45, off
	s_or_b32 exec_lo, exec_lo, s5
	s_and_saveexec_b32 s5, s1
	s_cbranch_execz .LBB135_30
.LBB135_68:
	v_dual_mov_b32 v7, 0 :: v_dual_add_nc_u32 v6, v5, v3
	s_delay_alu instid0(VALU_DEP_1) | instskip(SKIP_1) | instid1(VALU_DEP_1)
	v_lshlrev_b64 v[6:7], 2, v[6:7]
	s_waitcnt lgkmcnt(0)
	v_add_co_u32 v6, s3, s8, v6
	s_delay_alu instid0(VALU_DEP_1)
	v_add_co_ci_u32_e64 v7, s3, s9, v7, s3
	global_store_b32 v[6:7], v43, off
	s_or_b32 exec_lo, exec_lo, s5
	s_and_saveexec_b32 s5, s2
	s_cbranch_execnz .LBB135_31
	s_branch .LBB135_32
.LBB135_69:
	s_delay_alu instid0(VALU_DEP_1) | instskip(NEXT) | instid1(VALU_DEP_1)
	v_dual_mov_b32 v7, 0 :: v_dual_add_nc_u32 v6, v5, v0
	v_lshlrev_b64 v[6:7], 2, v[6:7]
	s_waitcnt lgkmcnt(0)
	s_delay_alu instid0(VALU_DEP_1) | instskip(NEXT) | instid1(VALU_DEP_1)
	v_add_co_u32 v6, s3, s8, v6
	v_add_co_ci_u32_e64 v7, s3, s9, v7, s3
	global_store_b32 v[6:7], v41, off
	s_or_b32 exec_lo, exec_lo, s5
	s_and_saveexec_b32 s5, s0
	s_cbranch_execz .LBB135_35
.LBB135_70:
	s_delay_alu instid0(VALU_DEP_1) | instskip(NEXT) | instid1(VALU_DEP_1)
	v_dual_mov_b32 v7, 0 :: v_dual_add_nc_u32 v6, v5, v2
	v_lshlrev_b64 v[6:7], 2, v[6:7]
	s_waitcnt lgkmcnt(0)
	s_delay_alu instid0(VALU_DEP_1) | instskip(NEXT) | instid1(VALU_DEP_1)
	v_add_co_u32 v6, s3, s8, v6
	v_add_co_ci_u32_e64 v7, s3, s9, v7, s3
	global_store_b32 v[6:7], v39, off
	s_or_b32 exec_lo, exec_lo, s5
	s_and_saveexec_b32 s5, s1
	s_cbranch_execz .LBB135_36
.LBB135_71:
	v_dual_mov_b32 v7, 0 :: v_dual_add_nc_u32 v6, v5, v3
	s_delay_alu instid0(VALU_DEP_1) | instskip(SKIP_1) | instid1(VALU_DEP_1)
	v_lshlrev_b64 v[6:7], 2, v[6:7]
	s_waitcnt lgkmcnt(0)
	v_add_co_u32 v6, s3, s8, v6
	s_delay_alu instid0(VALU_DEP_1)
	v_add_co_ci_u32_e64 v7, s3, s9, v7, s3
	global_store_b32 v[6:7], v38, off
	s_or_b32 exec_lo, exec_lo, s5
	s_and_saveexec_b32 s5, s2
	s_cbranch_execnz .LBB135_37
	s_branch .LBB135_38
.LBB135_72:
	s_delay_alu instid0(VALU_DEP_1) | instskip(NEXT) | instid1(VALU_DEP_1)
	v_dual_mov_b32 v7, 0 :: v_dual_add_nc_u32 v6, v5, v0
	v_lshlrev_b64 v[6:7], 2, v[6:7]
	s_waitcnt lgkmcnt(0)
	s_delay_alu instid0(VALU_DEP_1) | instskip(NEXT) | instid1(VALU_DEP_1)
	v_add_co_u32 v6, s3, s8, v6
	v_add_co_ci_u32_e64 v7, s3, s9, v7, s3
	global_store_b32 v[6:7], v35, off
	s_or_b32 exec_lo, exec_lo, s5
	s_and_saveexec_b32 s5, s0
	s_cbranch_execz .LBB135_41
.LBB135_73:
	s_delay_alu instid0(VALU_DEP_1) | instskip(NEXT) | instid1(VALU_DEP_1)
	v_dual_mov_b32 v7, 0 :: v_dual_add_nc_u32 v6, v5, v2
	v_lshlrev_b64 v[6:7], 2, v[6:7]
	s_waitcnt lgkmcnt(0)
	s_delay_alu instid0(VALU_DEP_1) | instskip(NEXT) | instid1(VALU_DEP_1)
	v_add_co_u32 v6, s3, s8, v6
	v_add_co_ci_u32_e64 v7, s3, s9, v7, s3
	global_store_b32 v[6:7], v34, off
	s_or_b32 exec_lo, exec_lo, s5
	s_and_saveexec_b32 s5, s1
	s_cbranch_execz .LBB135_42
.LBB135_74:
	v_dual_mov_b32 v7, 0 :: v_dual_add_nc_u32 v6, v5, v3
	s_delay_alu instid0(VALU_DEP_1) | instskip(SKIP_1) | instid1(VALU_DEP_1)
	v_lshlrev_b64 v[6:7], 2, v[6:7]
	s_waitcnt lgkmcnt(0)
	v_add_co_u32 v6, s3, s8, v6
	s_delay_alu instid0(VALU_DEP_1)
	v_add_co_ci_u32_e64 v7, s3, s9, v7, s3
	global_store_b32 v[6:7], v33, off
	s_or_b32 exec_lo, exec_lo, s5
	s_and_saveexec_b32 s5, s2
	s_cbranch_execnz .LBB135_43
	s_branch .LBB135_44
.LBB135_75:
	s_delay_alu instid0(VALU_DEP_1) | instskip(NEXT) | instid1(VALU_DEP_1)
	v_dual_mov_b32 v7, 0 :: v_dual_add_nc_u32 v6, v5, v0
	v_lshlrev_b64 v[6:7], 2, v[6:7]
	s_waitcnt lgkmcnt(0)
	s_delay_alu instid0(VALU_DEP_1) | instskip(NEXT) | instid1(VALU_DEP_1)
	v_add_co_u32 v6, s3, s8, v6
	v_add_co_ci_u32_e64 v7, s3, s9, v7, s3
	global_store_b32 v[6:7], v28, off
	s_or_b32 exec_lo, exec_lo, s5
	s_and_saveexec_b32 s5, s0
	s_cbranch_execz .LBB135_47
.LBB135_76:
	s_delay_alu instid0(VALU_DEP_1) | instskip(NEXT) | instid1(VALU_DEP_1)
	v_dual_mov_b32 v7, 0 :: v_dual_add_nc_u32 v6, v5, v2
	v_lshlrev_b64 v[6:7], 2, v[6:7]
	s_waitcnt lgkmcnt(0)
	s_delay_alu instid0(VALU_DEP_1) | instskip(NEXT) | instid1(VALU_DEP_1)
	v_add_co_u32 v6, s3, s8, v6
	v_add_co_ci_u32_e64 v7, s3, s9, v7, s3
	global_store_b32 v[6:7], v27, off
	s_or_b32 exec_lo, exec_lo, s5
	s_and_saveexec_b32 s5, s1
	s_cbranch_execz .LBB135_48
.LBB135_77:
	v_dual_mov_b32 v7, 0 :: v_dual_add_nc_u32 v6, v5, v3
	s_delay_alu instid0(VALU_DEP_1) | instskip(SKIP_1) | instid1(VALU_DEP_1)
	v_lshlrev_b64 v[6:7], 2, v[6:7]
	s_waitcnt lgkmcnt(0)
	v_add_co_u32 v6, s3, s8, v6
	s_delay_alu instid0(VALU_DEP_1)
	v_add_co_ci_u32_e64 v7, s3, s9, v7, s3
	global_store_b32 v[6:7], v26, off
	s_or_b32 exec_lo, exec_lo, s5
	s_and_saveexec_b32 s5, s2
	s_cbranch_execnz .LBB135_49
	s_branch .LBB135_50
.LBB135_78:
	s_delay_alu instid0(VALU_DEP_1) | instskip(NEXT) | instid1(VALU_DEP_1)
	v_dual_mov_b32 v7, 0 :: v_dual_add_nc_u32 v6, v5, v0
	v_lshlrev_b64 v[6:7], 2, v[6:7]
	s_waitcnt lgkmcnt(0)
	s_delay_alu instid0(VALU_DEP_1) | instskip(NEXT) | instid1(VALU_DEP_1)
	v_add_co_u32 v6, s3, s8, v6
	v_add_co_ci_u32_e64 v7, s3, s9, v7, s3
	global_store_b32 v[6:7], v24, off
	s_or_b32 exec_lo, exec_lo, s5
	s_and_saveexec_b32 s5, s0
	s_cbranch_execz .LBB135_53
.LBB135_79:
	s_delay_alu instid0(VALU_DEP_1) | instskip(NEXT) | instid1(VALU_DEP_1)
	v_dual_mov_b32 v7, 0 :: v_dual_add_nc_u32 v6, v5, v2
	v_lshlrev_b64 v[6:7], 2, v[6:7]
	s_waitcnt lgkmcnt(0)
	s_delay_alu instid0(VALU_DEP_1) | instskip(NEXT) | instid1(VALU_DEP_1)
	v_add_co_u32 v6, s3, s8, v6
	v_add_co_ci_u32_e64 v7, s3, s9, v7, s3
	global_store_b32 v[6:7], v23, off
	s_or_b32 exec_lo, exec_lo, s5
	s_and_saveexec_b32 s5, s1
	s_cbranch_execz .LBB135_54
.LBB135_80:
	v_dual_mov_b32 v7, 0 :: v_dual_add_nc_u32 v6, v5, v3
	s_delay_alu instid0(VALU_DEP_1) | instskip(SKIP_1) | instid1(VALU_DEP_1)
	v_lshlrev_b64 v[6:7], 2, v[6:7]
	s_waitcnt lgkmcnt(0)
	v_add_co_u32 v6, s3, s8, v6
	s_delay_alu instid0(VALU_DEP_1)
	v_add_co_ci_u32_e64 v7, s3, s9, v7, s3
	global_store_b32 v[6:7], v22, off
	s_or_b32 exec_lo, exec_lo, s5
	s_and_saveexec_b32 s5, s2
	s_cbranch_execnz .LBB135_55
	s_branch .LBB135_56
.LBB135_81:
	s_delay_alu instid0(VALU_DEP_1) | instskip(NEXT) | instid1(VALU_DEP_1)
	v_dual_mov_b32 v6, 0 :: v_dual_add_nc_u32 v5, v1, v0
	v_lshlrev_b64 v[5:6], 2, v[5:6]
	s_waitcnt lgkmcnt(0)
	s_delay_alu instid0(VALU_DEP_1) | instskip(NEXT) | instid1(VALU_DEP_2)
	v_add_co_u32 v5, vcc_lo, s8, v5
	v_add_co_ci_u32_e32 v6, vcc_lo, s9, v6, vcc_lo
	global_store_b32 v[5:6], v20, off
	s_or_b32 exec_lo, exec_lo, s3
	s_and_saveexec_b32 s3, s0
	s_cbranch_execz .LBB135_59
.LBB135_82:
	s_delay_alu instid0(VALU_DEP_1) | instskip(NEXT) | instid1(VALU_DEP_1)
	v_dual_mov_b32 v6, 0 :: v_dual_add_nc_u32 v5, v1, v2
	v_lshlrev_b64 v[5:6], 2, v[5:6]
	s_waitcnt lgkmcnt(0)
	s_delay_alu instid0(VALU_DEP_1) | instskip(NEXT) | instid1(VALU_DEP_2)
	v_add_co_u32 v5, vcc_lo, s8, v5
	v_add_co_ci_u32_e32 v6, vcc_lo, s9, v6, vcc_lo
	global_store_b32 v[5:6], v19, off
	s_or_b32 exec_lo, exec_lo, s3
	s_and_saveexec_b32 s0, s1
	s_cbranch_execz .LBB135_60
.LBB135_83:
	v_dual_mov_b32 v3, 0 :: v_dual_add_nc_u32 v2, v1, v3
	s_delay_alu instid0(VALU_DEP_1) | instskip(SKIP_1) | instid1(VALU_DEP_1)
	v_lshlrev_b64 v[2:3], 2, v[2:3]
	s_waitcnt lgkmcnt(0)
	v_add_co_u32 v2, vcc_lo, s8, v2
	s_delay_alu instid0(VALU_DEP_2) | instskip(SKIP_2) | instid1(SALU_CYCLE_1)
	v_add_co_ci_u32_e32 v3, vcc_lo, s9, v3, vcc_lo
	global_store_b32 v[2:3], v18, off
	s_or_b32 exec_lo, exec_lo, s0
	s_and_b32 exec_lo, exec_lo, s2
	s_cbranch_execnz .LBB135_61
	s_branch .LBB135_62
	.section	.rodata,"a",@progbits
	.p2align	6, 0x0
	.amdhsa_kernel _ZL12mul_mat_q6_KIfLb0EEvPKvS1_PT_iiiii
		.amdhsa_group_segment_fixed_size 45136
		.amdhsa_private_segment_fixed_size 44
		.amdhsa_kernarg_size 44
		.amdhsa_user_sgpr_count 14
		.amdhsa_user_sgpr_dispatch_ptr 0
		.amdhsa_user_sgpr_queue_ptr 0
		.amdhsa_user_sgpr_kernarg_segment_ptr 1
		.amdhsa_user_sgpr_dispatch_id 0
		.amdhsa_user_sgpr_private_segment_size 0
		.amdhsa_wavefront_size32 1
		.amdhsa_uses_dynamic_stack 0
		.amdhsa_enable_private_segment 1
		.amdhsa_system_sgpr_workgroup_id_x 1
		.amdhsa_system_sgpr_workgroup_id_y 1
		.amdhsa_system_sgpr_workgroup_id_z 0
		.amdhsa_system_sgpr_workgroup_info 0
		.amdhsa_system_vgpr_workitem_id 1
		.amdhsa_next_free_vgpr 256
		.amdhsa_next_free_sgpr 18
		.amdhsa_reserve_vcc 1
		.amdhsa_float_round_mode_32 0
		.amdhsa_float_round_mode_16_64 0
		.amdhsa_float_denorm_mode_32 3
		.amdhsa_float_denorm_mode_16_64 3
		.amdhsa_dx10_clamp 1
		.amdhsa_ieee_mode 1
		.amdhsa_fp16_overflow 0
		.amdhsa_workgroup_processor_mode 1
		.amdhsa_memory_ordered 1
		.amdhsa_forward_progress 0
		.amdhsa_shared_vgpr_count 0
		.amdhsa_exception_fp_ieee_invalid_op 0
		.amdhsa_exception_fp_denorm_src 0
		.amdhsa_exception_fp_ieee_div_zero 0
		.amdhsa_exception_fp_ieee_overflow 0
		.amdhsa_exception_fp_ieee_underflow 0
		.amdhsa_exception_fp_ieee_inexact 0
		.amdhsa_exception_int_div_zero 0
	.end_amdhsa_kernel
	.section	.text._ZL12mul_mat_q6_KIfLb0EEvPKvS1_PT_iiiii,"axG",@progbits,_ZL12mul_mat_q6_KIfLb0EEvPKvS1_PT_iiiii,comdat
.Lfunc_end135:
	.size	_ZL12mul_mat_q6_KIfLb0EEvPKvS1_PT_iiiii, .Lfunc_end135-_ZL12mul_mat_q6_KIfLb0EEvPKvS1_PT_iiiii
                                        ; -- End function
	.section	.AMDGPU.csdata,"",@progbits
; Kernel info:
; codeLenInByte = 18948
; NumSgprs: 20
; NumVgprs: 256
; ScratchSize: 44
; MemoryBound: 0
; FloatMode: 240
; IeeeMode: 1
; LDSByteSize: 45136 bytes/workgroup (compile time only)
; SGPRBlocks: 2
; VGPRBlocks: 31
; NumSGPRsForWavesPerEU: 20
; NumVGPRsForWavesPerEU: 256
; Occupancy: 4
; WaveLimiterHint : 0
; COMPUTE_PGM_RSRC2:SCRATCH_EN: 1
; COMPUTE_PGM_RSRC2:USER_SGPR: 14
; COMPUTE_PGM_RSRC2:TRAP_HANDLER: 0
; COMPUTE_PGM_RSRC2:TGID_X_EN: 1
; COMPUTE_PGM_RSRC2:TGID_Y_EN: 1
; COMPUTE_PGM_RSRC2:TGID_Z_EN: 0
; COMPUTE_PGM_RSRC2:TIDIG_COMP_CNT: 1
	.section	.text._ZL12mul_mat_q6_KIfLb1EEvPKvS1_PT_iiiii,"axG",@progbits,_ZL12mul_mat_q6_KIfLb1EEvPKvS1_PT_iiiii,comdat
	.globl	_ZL12mul_mat_q6_KIfLb1EEvPKvS1_PT_iiiii ; -- Begin function _ZL12mul_mat_q6_KIfLb1EEvPKvS1_PT_iiiii
	.p2align	8
	.type	_ZL12mul_mat_q6_KIfLb1EEvPKvS1_PT_iiiii,@function
_ZL12mul_mat_q6_KIfLb1EEvPKvS1_PT_iiiii: ; @_ZL12mul_mat_q6_KIfLb1EEvPKvS1_PT_iiiii
; %bb.0:
	s_clause 0x1
	s_load_b128 s[4:7], s[0:1], 0x18
	s_load_b32 s10, s[0:1], 0x28
	v_bfe_u32 v42, v0, 10, 10
	v_and_b32_e32 v43, 0x3ff, v0
	s_lshl_b32 s11, s15, 6
	s_waitcnt lgkmcnt(0)
	s_cmpk_gt_i32 s4, 0xff
	s_cbranch_scc1 .LBB136_2
; %bb.1:
	v_bfe_u32 v1, v0, 10, 10
	v_and_b32_e32 v0, 0x3ff, v0
	s_mov_b32 s2, 0
	s_mov_b32 s3, 0
	s_delay_alu instid0(VALU_DEP_2)
	v_add_nc_u32_e32 v2, s11, v1
	s_branch .LBB136_3
.LBB136_2:
	s_mov_b32 s2, -1
                                        ; implicit-def: $sgpr3
                                        ; implicit-def: $vgpr1
                                        ; implicit-def: $vgpr0
                                        ; implicit-def: $vgpr2
.LBB136_3:
	s_load_b64 s[8:9], s[0:1], 0x10
	v_dual_mov_b32 v33, s3 :: v_dual_mov_b32 v48, s3
	v_dual_mov_b32 v37, s3 :: v_dual_mov_b32 v54, s3
	;; [unrolled: 1-line block ×15, first 2 shown]
	v_mov_b32_e32 v79, s3
	v_mov_b32_e32 v45, s3
	s_and_not1_b32 vcc_lo, exec_lo, s2
	s_lshl_b32 s12, s14, 7
	s_cbranch_vccnz .LBB136_11
; %bb.4:
	s_load_b128 s[0:3], s[0:1], 0x0
	s_ashr_i32 s13, s4, 31
	v_dual_mov_b32 v45, 0 :: v_dual_and_b32 v36, 31, v43
	s_lshr_b32 s13, s13, 24
	s_ashr_i32 s14, s7, 31
	s_add_i32 s4, s4, s13
	s_lshr_b32 s14, s14, 27
	s_ashr_i32 s4, s4, 8
	v_add_nc_u16 v1, v36, -16
	v_cmp_gt_u32_e32 vcc_lo, 16, v36
	s_add_i32 s7, s7, s14
	s_mul_i32 s13, s4, s12
	s_ashr_i32 s14, s7, 5
	s_mul_i32 s7, s13, 0xd2
	s_mul_hi_i32 s13, s13, 0xd2
	v_dual_cndmask_b32 v1, v1, v36 :: v_dual_and_b32 v0, 7, v43
	v_cmp_lt_u32_e32 vcc_lo, 15, v36
	v_dual_mov_b32 v65, 0 :: v_dual_and_b32 v2, 15, v43
	s_waitcnt lgkmcnt(0)
	s_add_u32 s7, s0, s7
	s_addc_u32 s13, s1, s13
	s_not_b32 s0, s12
	v_dual_mov_b32 v86, 0 :: v_dual_add_nc_u32 v31, s11, v42
	s_add_i32 s0, s0, s5
	v_dual_mov_b32 v79, 0 :: v_dual_lshlrev_b32 v0, 2, v0
	v_cndmask_b32_e64 v3, 0, 1, vcc_lo
	v_min_i32_e32 v4, s0, v42
	v_cmp_lt_u16_e32 vcc_lo, 7, v1
	v_lshlrev_b32_e32 v2, 2, v2
	v_dual_mov_b32 v70, 0 :: v_dual_add_nc_u32 v13, 16, v31
	v_dual_mov_b32 v75, 0 :: v_dual_add_nc_u32 v16, 0x50, v42
	v_add_nc_u32_e32 v37, 8, v42
	v_lshl_or_b32 v56, v3, 5, v0
	v_mul_lo_u32 v0, v4, s4
	v_cndmask_b32_e64 v1, 0, 1, vcc_lo
	v_lshl_or_b32 v17, v3, 7, v2
	v_cvt_f64_u32_e32 v[22:23], v13
	v_min_i32_e32 v13, s0, v16
	v_min_i32_e32 v3, s0, v37
	v_lshlrev_b32_e32 v57, 1, v1
	v_dual_mov_b32 v89, 0 :: v_dual_add_nc_u32 v38, 16, v42
	s_delay_alu instid0(VALU_DEP_4)
	v_mul_lo_u32 v16, v13, s4
	scratch_store_b32 off, v0, off          ; 4-byte Folded Spill
	v_mad_u64_u32 v[0:1], null, 0x104, v4, v[17:18]
	v_mul_lo_u32 v1, v3, s4
	v_min_i32_e32 v4, s0, v38
	v_add_nc_u32_e32 v39, 24, v42
	v_dual_mov_b32 v77, 0 :: v_dual_add_nc_u32 v40, 32, v42
	v_add_nc_u32_e32 v41, 40, v42
	v_dual_mov_b32 v71, 0 :: v_dual_add_nc_u32 v44, 48, v42
	s_clause 0x1
	scratch_store_b32 off, v1, off offset:4
	scratch_store_b32 off, v42, off offset:88
	v_mad_u64_u32 v[1:2], null, 0x104, v3, v[17:18]
	v_mul_lo_u32 v2, v4, s4
	v_min_i32_e32 v5, s0, v39
	v_min_i32_e32 v6, s0, v40
	;; [unrolled: 1-line block ×4, first 2 shown]
	v_dual_mov_b32 v61, 0 :: v_dual_add_nc_u32 v46, 56, v42
	s_add_i32 s1, s6, -1
	s_clause 0x1
	scratch_store_b32 off, v2, off offset:8
	scratch_store_b32 off, v31, off offset:92
	v_mad_u64_u32 v[2:3], null, 0x104, v4, v[17:18]
	v_mul_lo_u32 v3, v5, s4
	v_min_i32_e32 v9, s0, v46
	v_add_nc_u32_e32 v10, 64, v42
	v_dual_mov_b32 v39, 0 :: v_dual_lshlrev_b32 v100, 5, v39
	v_add_nc_u32_e32 v11, 0x48, v42
	v_dual_mov_b32 v46, 0 :: v_dual_lshlrev_b32 v113, 5, v46
	scratch_store_b32 off, v3, off offset:12 ; 4-byte Folded Spill
	v_mad_u64_u32 v[3:4], null, 0x104, v5, v[17:18]
	v_mul_lo_u32 v4, v6, s4
	v_min_i32_e32 v10, s0, v10
	v_min_i32_e32 v11, s0, v11
	v_add_nc_u32_e32 v12, 8, v31
	v_cvt_f64_u32_e32 v[14:15], v31
	scratch_store_b32 off, v16, off offset:40 ; 4-byte Folded Spill
	v_dual_mov_b32 v69, 0 :: v_dual_add_nc_u32 v30, 0x60, v42
	scratch_store_b32 off, v4, off offset:16 ; 4-byte Folded Spill
	v_mad_u64_u32 v[4:5], null, 0x104, v6, v[17:18]
	v_mul_lo_u32 v5, v7, s4
	v_cvt_f64_u32_e32 v[20:21], v12
	v_add_nc_u32_e32 v12, 24, v31
	v_min_i32_e32 v34, s0, v30
	v_lshlrev_b32_e32 v108, 5, v44
	v_lshlrev_b32_e32 v81, 5, v42
	v_dual_mov_b32 v38, 0 :: v_dual_lshlrev_b32 v97, 5, v38
	scratch_store_b32 off, v5, off offset:20 ; 4-byte Folded Spill
	v_mad_u64_u32 v[5:6], null, 0x104, v7, v[17:18]
	v_mul_lo_u32 v6, v8, s4
	v_cvt_f64_u32_e32 v[24:25], v12
	v_add_nc_u32_e32 v12, 40, v31
	v_add_nc_u32_e32 v35, v81, v43
	;; [unrolled: 1-line block ×3, first 2 shown]
	v_lshlrev_b32_e32 v103, 5, v40
	v_lshrrev_b32_e32 v51, 5, v43
	v_cvt_f64_u32_e32 v[28:29], v12
	scratch_store_b32 off, v6, off offset:24 ; 4-byte Folded Spill
	v_mad_u64_u32 v[6:7], null, 0x104, v8, v[17:18]
	v_mul_lo_u32 v7, v9, s4
	v_add_nc_u32_e32 v12, 48, v31
	v_and_b32_e32 v47, 0x7f, v35
	v_dual_mov_b32 v72, 0 :: v_dual_lshlrev_b32 v53, 2, v36
	v_mul_u32_u24_e32 v123, 0x104, v43
	v_mov_b32_e32 v40, 0
	s_delay_alu instid0(VALU_DEP_4)
	v_min_i32_e32 v47, s0, v47
	scratch_store_b32 off, v7, off offset:28 ; 4-byte Folded Spill
	v_mad_u64_u32 v[7:8], null, 0x104, v9, v[17:18]
	v_cvt_f64_i32_e32 v[18:19], s1
	v_mul_lo_u32 v8, v10, s4
	s_mov_b32 s5, 0
	v_dual_mov_b32 v58, 0 :: v_dual_mov_b32 v83, 0
	v_mov_b32_e32 v44, 0
	v_mov_b32_e32 v74, 0
	scratch_store_b32 off, v8, off offset:32 ; 4-byte Folded Spill
	v_mad_u64_u32 v[8:9], null, 0x104, v10, v[17:18]
	v_mul_lo_u32 v9, v11, s4
	v_min_f64 v[20:21], v[20:21], v[18:19]
	v_min_f64 v[22:23], v[22:23], v[18:19]
	;; [unrolled: 1-line block ×4, first 2 shown]
	scratch_store_b32 off, v9, off offset:36 ; 4-byte Folded Spill
	v_mad_u64_u32 v[9:10], null, 0x104, v11, v[17:18]
	v_add_nc_u32_e32 v10, 0x58, v42
	v_add_nc_u32_e32 v11, 32, v31
	s_delay_alu instid0(VALU_DEP_2) | instskip(NEXT) | instid1(VALU_DEP_2)
	v_min_i32_e32 v16, s0, v10
	v_cvt_f64_u32_e32 v[26:27], v11
	v_mad_u64_u32 v[10:11], null, 0x104, v13, v[17:18]
	v_add_nc_u32_e32 v11, 56, v31
	v_cvt_f64_u32_e32 v[30:31], v12
	v_mul_lo_u32 v13, v16, s4
	s_delay_alu instid0(VALU_DEP_3)
	v_cvt_f64_u32_e32 v[32:33], v11
	v_mad_u64_u32 v[11:12], null, 0x104, v16, v[17:18]
	v_mul_lo_u32 v12, v34, s4
	v_add_nc_u32_e32 v16, 0x68, v42
	scratch_store_b32 off, v13, off offset:44 ; 4-byte Folded Spill
	v_min_i32_e32 v16, s0, v16
	scratch_store_b32 off, v12, off offset:48 ; 4-byte Folded Spill
	v_mad_u64_u32 v[12:13], null, 0x104, v34, v[17:18]
	v_add_nc_u32_e32 v13, 0x70, v42
	v_min_f64 v[34:35], v[14:15], v[18:19]
	v_mul_lo_u32 v15, v16, s4
	v_lshrrev_b32_e32 v14, 2, v43
	v_cvt_i32_f64_e32 v20, v[20:21]
	v_min_i32_e32 v48, s0, v13
	v_cvt_i32_f64_e32 v21, v[22:23]
	v_cvt_i32_f64_e32 v23, v[24:25]
	v_lshl_add_u32 v49, v42, 3, v14
	v_mad_u64_u32 v[13:14], null, 0x104, v16, v[17:18]
	scratch_store_b32 off, v15, off offset:52 ; 4-byte Folded Spill
	v_mul_lo_u32 v15, v48, s4
	v_ashrrev_i32_e32 v14, 31, v47
	v_and_b32_e32 v16, 0x7f, v49
	v_and_b32_e32 v25, 63, v49
	v_min_f64 v[26:27], v[26:27], v[18:19]
	v_cvt_i32_f64_e32 v28, v[28:29]
	v_lshrrev_b32_e32 v52, 27, v14
	v_min_i32_e32 v54, s0, v16
	scratch_store_b32 off, v15, off offset:56 ; 4-byte Folded Spill
	v_mad_u64_u32 v[14:15], null, 0x104, v48, v[17:18]
	v_min_f64 v[30:31], v[30:31], v[18:19]
	v_min_f64 v[18:19], v[32:33], v[18:19]
	v_min_i32_e32 v48, s0, v50
	v_add_nc_u32_e32 v15, v47, v52
	v_ashrrev_i32_e32 v50, 31, v54
	v_xor_b32_e32 v16, 64, v16
	v_mov_b32_e32 v52, 0
	v_mul_lo_u32 v42, v48, s4
	v_ashrrev_i32_e32 v32, 5, v15
	v_lshrrev_b32_e32 v33, 29, v50
	v_min_i32_e32 v50, s0, v16
	v_lshlrev_b32_e32 v94, 5, v37
	v_dual_mov_b32 v49, 0 :: v_dual_lshlrev_b32 v24, 4, v54
	v_mov_b32_e32 v37, 0
	v_cvt_i32_f64_e32 v34, v[34:35]
	v_lshlrev_b32_e32 v35, 2, v47
	v_mul_lo_u32 v99, s14, v20
	v_or_b32_e32 v20, v100, v36
	v_mul_lo_u32 v102, s14, v21
	v_mul_lo_u32 v106, s14, v23
	v_add_nc_u32_e32 v23, 64, v43
	s_delay_alu instid0(VALU_DEP_4)
	v_lshl_add_u32 v107, v20, 2, 0x8200
	v_cvt_i32_f64_e32 v26, v[26:27]
	v_lshlrev_b32_e32 v27, 2, v43
	v_mul_lo_u32 v111, s14, v28
	v_lshrrev_b32_e32 v28, 1, v43
	v_cvt_i32_f64_e32 v30, v[30:31]
	v_mad_u64_u32 v[15:16], null, 0x104, v48, v[17:18]
	v_mov_b32_e32 v48, 0
	v_mul_lo_u32 v16, v47, s4
	scratch_store_b32 off, v42, off offset:60 ; 4-byte Folded Spill
	v_ashrrev_i32_e32 v17, 31, v50
	v_dual_mov_b32 v47, 0 :: v_dual_and_b32 v28, 0x7c, v28
	s_delay_alu instid0(VALU_DEP_2)
	v_lshrrev_b32_e32 v17, 29, v17
	scratch_store_b32 off, v16, off offset:64 ; 4-byte Folded Spill
	v_add_nc_u32_e32 v16, v54, v33
	v_lshlrev_b32_e32 v33, 2, v32
	v_and_b32_e32 v32, 3, v43
	v_add_nc_u32_e32 v17, v50, v17
	v_mul_lo_u32 v96, s14, v34
	v_ashrrev_i32_e32 v16, 3, v16
	v_add3_u32 v22, v33, v35, 0xae40
	v_lshlrev_b32_e32 v90, 2, v32
	v_lshlrev_b32_e32 v33, 4, v50
	v_cvt_i32_f64_e32 v35, v[18:19]
	v_lshlrev_b32_e32 v16, 2, v16
	scratch_store_b32 off, v22, off offset:68 ; 4-byte Folded Spill
	v_mul_lo_u32 v22, v54, s4
	v_mov_b32_e32 v34, 0
	v_mov_b32_e32 v54, 0
	v_mul_lo_u32 v109, s14, v26
	v_add_nc_u32_e32 v26, 0x60, v43
	scratch_store_b32 off, v22, off offset:72 ; 4-byte Folded Spill
	v_add3_u32 v22, v16, v90, 0xa200
	v_ashrrev_i32_e32 v16, 3, v17
	v_mul_lo_u32 v17, v50, s4
	v_dual_mov_b32 v50, 0 :: v_dual_lshlrev_b32 v105, 5, v41
	v_mul_lo_u32 v114, s14, v30
	s_delay_alu instid0(VALU_DEP_4) | instskip(SKIP_1) | instid1(VALU_DEP_4)
	v_lshlrev_b32_e32 v16, 2, v16
	v_dual_mov_b32 v41, 0 :: v_dual_lshlrev_b32 v30, 4, v43
	v_or_b32_e32 v20, v105, v36
	scratch_store_b32 off, v17, off offset:76 ; 4-byte Folded Spill
	v_or_b32_e32 v17, s11, v25
	v_lshl_or_b32 v25, v25, 4, v90
	v_add3_u32 v29, v16, v90, 0xa200
	v_lshl_add_u32 v112, v20, 2, 0x8200
	v_add_nc_u32_e32 v20, 32, v43
	v_min_i32_e32 v31, s1, v17
	v_add_nc_u32_e32 v95, 0xaa40, v25
	v_or_b32_e32 v25, v94, v36
	v_and_b32_e32 v16, 28, v27
	v_lshrrev_b32_e32 v21, 3, v20
	v_mad_u64_u32 v[18:19], null, v31, s14, v[32:33]
	v_or_b32_e32 v19, v81, v36
	v_lshl_add_u32 v101, v25, 2, 0x8200
	v_lshlrev_b32_e32 v25, 2, v51
	v_add_co_u32 v16, s0, s2, v16
	s_delay_alu instid0(VALU_DEP_4) | instskip(SKIP_1) | instid1(VALU_DEP_4)
	v_lshl_add_u32 v98, v19, 2, 0x8200
	v_or_b32_e32 v19, v97, v36
	v_add3_u32 v118, v25, v27, 0xae40
	v_lshrrev_b32_e32 v25, 3, v26
	v_add_co_ci_u32_e64 v17, null, s3, 0, s0
	s_delay_alu instid0(VALU_DEP_4)
	v_lshl_add_u32 v104, v19, 2, 0x8200
	v_or_b32_e32 v19, v103, v36
	s_movk_i32 s0, 0x2080
	v_and_b32_e32 v25, 60, v25
	v_mad_u32_u24 v125, 0x104, v43, s0
	s_movk_i32 s0, 0x4100
	v_lshl_add_u32 v110, v19, 2, 0x8200
	v_or_b32_e32 v19, v108, v36
	v_mul_lo_u32 v116, s14, v35
	v_mad_u32_u24 v127, 0x104, v43, s0
	s_movk_i32 s0, 0x6180
	v_add3_u32 v121, v27, v25, 0xae40
	v_lshl_add_u32 v115, v19, 2, 0x8200
	v_or_b32_e32 v19, v113, v36
	v_add3_u32 v122, v30, v28, 0xa200
	v_mad_u32_u24 v129, 0x104, v43, s0
	v_dual_mov_b32 v36, 0 :: v_dual_mov_b32 v35, 0
	s_delay_alu instid0(VALU_DEP_4) | instskip(SKIP_2) | instid1(VALU_DEP_2)
	v_lshl_add_u32 v117, v19, 2, 0x8200
	v_and_b32_e32 v19, 60, v21
	v_lshrrev_b32_e32 v21, 3, v23
	v_add3_u32 v119, v27, v19, 0xae40
	s_delay_alu instid0(VALU_DEP_2) | instskip(SKIP_2) | instid1(VALU_DEP_3)
	v_and_b32_e32 v19, 60, v21
	v_lshrrev_b32_e32 v21, 1, v20
	v_lshlrev_b32_e32 v20, 4, v20
	v_add3_u32 v120, v27, v19, 0xae40
	s_delay_alu instid0(VALU_DEP_3) | instskip(SKIP_1) | instid1(VALU_DEP_2)
	v_and_b32_e32 v19, 0xfc, v21
	v_lshrrev_b32_e32 v21, 1, v23
	v_add3_u32 v124, v20, v19, 0xa200
	v_lshrrev_b32_e32 v19, 1, v26
	s_delay_alu instid0(VALU_DEP_3) | instskip(SKIP_2) | instid1(VALU_DEP_4)
	v_and_b32_e32 v20, 0xfc, v21
	v_lshlrev_b32_e32 v21, 4, v23
	v_lshlrev_b32_e32 v23, 4, v26
	v_and_b32_e32 v19, 0xfc, v19
	s_delay_alu instid0(VALU_DEP_3) | instskip(NEXT) | instid1(VALU_DEP_2)
	v_add3_u32 v126, v21, v20, 0xa200
	v_add3_u32 v128, v23, v19, 0xa200
	v_add_nc_u32_e32 v19, v22, v24
	scratch_store_b32 off, v19, off offset:80 ; 4-byte Folded Spill
	v_add_nc_u32_e32 v19, v29, v33
	v_mov_b32_e32 v33, 0
	scratch_store_b32 off, v19, off offset:84 ; 4-byte Folded Spill
.LBB136_5:                              ; =>This Loop Header: Depth=1
                                        ;     Child Loop BB136_6 Depth 2
                                        ;       Child Loop BB136_7 Depth 3
	s_clause 0x3
	scratch_load_b32 v23, off, off
	scratch_load_b32 v25, off, off offset:4
	scratch_load_b32 v27, off, off offset:8
	;; [unrolled: 1-line block ×3, first 2 shown]
	s_mul_i32 s0, s5, 0xd2
	v_lshrrev_b32_e32 v21, 5, v43
	s_mul_hi_u32 s1, s5, 0xd2
	s_add_u32 s0, s7, s0
	s_addc_u32 s1, s13, s1
	s_mov_b32 s14, 0
	v_mad_u64_u32 v[19:20], null, 0xd2, v21, s[0:1]
	s_waitcnt vmcnt(3)
	s_delay_alu instid0(VALU_DEP_1)
	v_mad_i64_i32 v[21:22], null, 0xd2, v23, v[19:20]
	s_waitcnt vmcnt(2)
	v_mad_i64_i32 v[23:24], null, 0xd2, v25, v[19:20]
	s_waitcnt vmcnt(0)
	v_mad_i64_i32 v[132:133], null, 0xd2, v42, v[19:20]
	scratch_load_b32 v42, off, off offset:16 ; 4-byte Folded Reload
	v_mad_i64_i32 v[25:26], null, 0xd2, v27, v[19:20]
	v_add_co_u32 v27, vcc_lo, v21, v53
	v_add_co_ci_u32_e32 v28, vcc_lo, 0, v22, vcc_lo
	v_add_co_u32 v21, vcc_lo, v21, v56
	v_add_co_ci_u32_e32 v22, vcc_lo, 0, v22, vcc_lo
	;; [unrolled: 2-line block ×8, first 2 shown]
	s_waitcnt vmcnt(0)
	v_mad_i64_i32 v[139:140], null, 0xd2, v42, v[19:20]
	s_delay_alu instid0(VALU_DEP_1) | instskip(NEXT) | instid1(VALU_DEP_2)
	v_add_co_u32 v145, vcc_lo, v139, v53
	v_add_co_ci_u32_e32 v146, vcc_lo, 0, v140, vcc_lo
	s_clause 0x8
	global_load_b32 v137, v[27:28], off
	global_load_b32 v138, v[21:22], off offset:128
	global_load_b32 v135, v[29:30], off
	global_load_b32 v136, v[23:24], off offset:128
	;; [unrolled: 2-line block ×4, first 2 shown]
	global_load_b32 v134, v[145:146], off
	s_clause 0x1
	scratch_load_b32 v23, off, off offset:20
	scratch_load_b32 v27, off, off offset:24
	s_waitcnt vmcnt(9)
	v_ashrrev_i32_e32 v138, v57, v138
	s_waitcnt vmcnt(7)
	v_ashrrev_i32_e32 v136, v57, v136
	;; [unrolled: 2-line block ×4, first 2 shown]
	s_waitcnt vmcnt(1)
	v_mad_i64_i32 v[21:22], null, 0xd2, v23, v[19:20]
	v_add_co_u32 v23, vcc_lo, v139, v56
	s_waitcnt vmcnt(0)
	v_mad_i64_i32 v[25:26], null, 0xd2, v27, v[19:20]
	v_add_co_ci_u32_e32 v24, vcc_lo, 0, v140, vcc_lo
	s_delay_alu instid0(VALU_DEP_4)
	v_add_co_u32 v27, vcc_lo, v21, v53
	v_add_co_ci_u32_e32 v28, vcc_lo, 0, v22, vcc_lo
	v_add_co_u32 v21, vcc_lo, v21, v56
	v_add_co_ci_u32_e32 v22, vcc_lo, 0, v22, vcc_lo
	;; [unrolled: 2-line block ×3, first 2 shown]
	s_clause 0x3
	global_load_b32 v157, v[23:24], off offset:128
	global_load_b32 v158, v[27:28], off
	global_load_b32 v159, v[21:22], off offset:128
	global_load_b32 v160, v[29:30], off offset:128
	v_add_co_u32 v21, vcc_lo, v25, v53
	v_add_co_ci_u32_e32 v22, vcc_lo, 0, v26, vcc_lo
	global_load_b32 v22, v[21:22], off
	scratch_load_b32 v21, off, off offset:28 ; 4-byte Folded Reload
	s_waitcnt vmcnt(0)
	v_mad_i64_i32 v[23:24], null, 0xd2, v21, v[19:20]
	scratch_load_b32 v21, off, off offset:32 ; 4-byte Folded Reload
	v_add_co_u32 v145, vcc_lo, v23, v53
	v_add_co_ci_u32_e32 v146, vcc_lo, 0, v24, vcc_lo
	v_add_co_u32 v23, vcc_lo, v23, v56
	v_add_co_ci_u32_e32 v24, vcc_lo, 0, v24, vcc_lo
	s_waitcnt vmcnt(0)
	v_mad_i64_i32 v[25:26], null, 0xd2, v21, v[19:20]
	scratch_load_b32 v21, off, off offset:36 ; 4-byte Folded Reload
	v_add_co_u32 v147, vcc_lo, v25, v53
	v_add_co_ci_u32_e32 v148, vcc_lo, 0, v26, vcc_lo
	v_add_co_u32 v25, vcc_lo, v25, v56
	v_add_co_ci_u32_e32 v26, vcc_lo, 0, v26, vcc_lo
	s_waitcnt vmcnt(0)
	v_mad_i64_i32 v[27:28], null, 0xd2, v21, v[19:20]
	scratch_load_b32 v21, off, off offset:40 ; 4-byte Folded Reload
	v_add_co_u32 v149, vcc_lo, v27, v53
	v_add_co_ci_u32_e32 v150, vcc_lo, 0, v28, vcc_lo
	v_add_co_u32 v27, vcc_lo, v27, v56
	v_add_co_ci_u32_e32 v28, vcc_lo, 0, v28, vcc_lo
	s_waitcnt vmcnt(0)
	v_mad_i64_i32 v[29:30], null, 0xd2, v21, v[19:20]
	scratch_load_b32 v21, off, off offset:44 ; 4-byte Folded Reload
	v_add_co_u32 v151, vcc_lo, v29, v53
	v_add_co_ci_u32_e32 v152, vcc_lo, 0, v30, vcc_lo
	v_add_co_u32 v153, vcc_lo, v29, v56
	v_add_co_ci_u32_e32 v154, vcc_lo, 0, v30, vcc_lo
	s_waitcnt vmcnt(0)
	v_mad_i64_i32 v[139:140], null, 0xd2, v21, v[19:20]
	scratch_load_b32 v21, off, off offset:48 ; 4-byte Folded Reload
	s_waitcnt vmcnt(0)
	v_mad_i64_i32 v[141:142], null, 0xd2, v21, v[19:20]
	scratch_load_b32 v21, off, off offset:52 ; 4-byte Folded Reload
	s_clause 0x1
	global_load_b32 v161, v[145:146], off
	global_load_b32 v162, v[23:24], off offset:128
	v_add_co_u32 v23, vcc_lo, v139, v53
	v_add_co_ci_u32_e32 v24, vcc_lo, 0, v140, vcc_lo
	v_add_co_u32 v139, vcc_lo, v139, v56
	v_add_co_ci_u32_e32 v140, vcc_lo, 0, v140, vcc_lo
	;; [unrolled: 2-line block ×4, first 2 shown]
	s_waitcnt vmcnt(2)
	v_mad_i64_i32 v[143:144], null, 0xd2, v21, v[19:20]
	s_delay_alu instid0(VALU_DEP_1) | instskip(NEXT) | instid1(VALU_DEP_2)
	v_add_co_u32 v155, vcc_lo, v143, v53
	v_add_co_ci_u32_e32 v156, vcc_lo, 0, v144, vcc_lo
	v_add_co_u32 v143, vcc_lo, v143, v56
	v_add_co_ci_u32_e32 v144, vcc_lo, 0, v144, vcc_lo
	s_clause 0xb
	global_load_b32 v147, v[147:148], off
	global_load_b32 v148, v[25:26], off offset:128
	global_load_b32 v30, v[149:150], off
	global_load_b32 v149, v[27:28], off offset:128
	;; [unrolled: 2-line block ×6, first 2 shown]
	v_ashrrev_i32_e32 v144, v57, v157
	v_and_b32_e32 v139, 0xf0f0f0f, v137
	v_lshrrev_b32_e32 v137, 4, v137
	v_lshlrev_b32_e32 v152, 4, v138
	v_and_b32_e32 v138, 0x30303030, v138
	v_and_b32_e32 v140, 0xf0f0f0f, v135
	v_lshrrev_b32_e32 v135, 4, v135
	v_ashrrev_i32_e32 v150, v57, v159
	v_lshlrev_b32_e32 v153, 4, v136
	v_and_b32_e32 v136, 0x30303030, v136
	v_and_b32_e32 v141, 0xf0f0f0f, v132
	v_lshrrev_b32_e32 v132, 4, v132
	v_lshlrev_b32_e32 v154, 4, v133
	v_and_b32_e32 v133, 0x30303030, v133
	v_and_b32_e32 v142, 0xf0f0f0f, v31
	v_lshrrev_b32_e32 v31, 4, v31
	;; [unrolled: 4-line block ×3, first 2 shown]
	v_lshlrev_b32_e32 v156, 4, v144
	v_and_b32_e32 v144, 0x30303030, v144
	v_and_or_b32 v139, 0x30303030, v152, v139
	v_and_or_b32 v137, 0xf0f0f0f, v137, v138
	v_and_b32_e32 v145, 0xf0f0f0f, v158
	v_lshrrev_b32_e32 v146, 4, v158
	v_lshlrev_b32_e32 v157, 4, v150
	v_and_b32_e32 v150, 0x30303030, v150
	v_and_or_b32 v138, 0x30303030, v153, v140
	v_and_or_b32 v135, 0xf0f0f0f, v135, v136
	;; [unrolled: 1-line block ×8, first 2 shown]
	v_lshrrev_b32_e32 v142, 16, v139
	v_and_b32_e32 v143, 0x3f00, v139
	v_lshlrev_b16 v139, 8, v139
	v_lshrrev_b32_e32 v144, 16, v137
	v_and_or_b32 v140, 0x30303030, v157, v145
	v_and_or_b32 v141, 0xf0f0f0f, v146, v150
	v_and_b32_e32 v145, 0x3f00, v137
	v_lshlrev_b16 v137, 8, v137
	v_lshrrev_b32_e32 v146, 16, v138
	v_lshrrev_b32_e32 v152, 16, v135
	v_and_b32_e32 v150, 0x3f00, v138
	v_lshlrev_b16 v138, 8, v138
	v_lshrrev_b32_e32 v154, 16, v136
	v_lshrrev_b32_e32 v156, 16, v132
	v_ashrrev_i32_e32 v151, v57, v160
	v_and_b32_e32 v153, 0x3f00, v135
	v_lshlrev_b16 v135, 8, v135
	v_lshrrev_b32_e32 v158, 16, v133
	v_lshrrev_b32_e32 v160, 16, v31
	v_and_b32_e32 v155, 0x3f00, v136
	v_lshlrev_b16 v136, 8, v136
	v_lshrrev_b32_e32 v164, 16, v32
	v_lshrrev_b32_e32 v166, 16, v134
	v_add_nc_u16 v139, v139, 0xe000
	v_and_b32_e32 v172, 0x3f00, v142
	v_lshlrev_b16 v142, 8, v142
	v_and_b32_e32 v173, 0x3f00, v144
	v_lshlrev_b16 v144, 8, v144
	v_add_nc_u16 v137, v137, 0xe000
	v_and_b32_e32 v174, 0x3f00, v146
	v_lshlrev_b16 v146, 8, v146
	v_and_b32_e32 v175, 0x3f00, v152
	v_lshlrev_b16 v152, 8, v152
	v_and_b32_e32 v157, 0x3f00, v132
	v_lshlrev_b16 v132, 8, v132
	v_add_nc_u16 v138, v138, 0xe000
	v_and_b32_e32 v176, 0x3f00, v154
	v_lshlrev_b16 v154, 8, v154
	v_and_b32_e32 v177, 0x3f00, v156
	v_lshlrev_b16 v156, 8, v156
	v_and_b32_e32 v159, 0x3f00, v133
	v_lshlrev_b16 v133, 8, v133
	v_and_b32_e32 v163, 0x3f00, v31
	v_lshlrev_b16 v31, 8, v31
	v_add_nc_u16 v135, v135, 0xe000
	v_and_b32_e32 v178, 0x3f00, v158
	v_lshlrev_b16 v158, 8, v158
	;; [unrolled: 9-line block ×3, first 2 shown]
	v_and_b32_e32 v181, 0x3f00, v166
	v_lshlrev_b16 v166, 8, v166
	v_lshrrev_b16 v139, 8, v139
	v_add_nc_u16 v142, v142, 0xe000
	v_add_nc_u16 v144, v144, 0xe000
	v_lshrrev_b16 v137, 8, v137
	v_add_nc_u16 v146, v146, 0xe000
	v_add_nc_u16 v152, v152, 0xe000
	v_add_nc_u16 v132, v132, 0xe000
	v_lshrrev_b16 v138, 8, v138
	v_add_nc_u16 v154, v154, 0xe000
	v_add_nc_u16 v156, v156, 0xe000
	v_add_nc_u16 v133, v133, 0xe000
	v_add_nc_u16 v31, v31, 0xe000
	v_lshrrev_b16 v135, 8, v135
	v_add_nc_u16 v158, v158, 0xe000
	;; [unrolled: 5-line block ×3, first 2 shown]
	v_add_nc_u16 v166, v166, 0xe000
	v_or_b32_e32 v139, v143, v139
	v_lshrrev_b16 v142, 8, v142
	v_lshrrev_b16 v143, 8, v144
	v_or_b32_e32 v137, v145, v137
	v_lshrrev_b16 v144, 8, v146
	v_lshrrev_b16 v145, 8, v152
	v_lshrrev_b16 v132, 8, v132
	v_or_b32_e32 v138, v150, v138
	v_lshrrev_b16 v146, 8, v154
	v_lshrrev_b16 v150, 8, v156
	v_lshrrev_b16 v133, 8, v133
	v_lshrrev_b16 v31, 8, v31
	v_or_b32_e32 v135, v153, v135
	v_lshrrev_b16 v152, 8, v158
	;; [unrolled: 5-line block ×3, first 2 shown]
	v_lshrrev_b16 v155, 8, v166
	v_or_b32_e32 v142, v172, v142
	v_or_b32_e32 v143, v173, v143
	;; [unrolled: 1-line block ×15, first 2 shown]
	v_add_nc_u16 v139, v139, 0xe000
	v_add_nc_u16 v137, v137, 0xe000
	;; [unrolled: 1-line block ×20, first 2 shown]
	v_and_b32_e32 v139, 0xffff, v139
	v_and_b32_e32 v137, 0xffff, v137
	v_lshlrev_b32_e32 v142, 16, v142
	v_lshlrev_b32_e32 v143, 16, v143
	v_and_b32_e32 v138, 0xffff, v138
	v_and_b32_e32 v135, 0xffff, v135
	v_lshlrev_b32_e32 v144, 16, v144
	v_lshlrev_b32_e32 v145, 16, v145
	v_and_b32_e32 v136, 0xffff, v136
	v_and_b32_e32 v132, 0xffff, v132
	v_lshlrev_b32_e32 v146, 16, v146
	v_lshlrev_b32_e32 v150, 16, v150
	v_and_b32_e32 v133, 0xffff, v133
	v_and_b32_e32 v31, 0xffff, v31
	v_lshlrev_b32_e32 v152, 16, v152
	v_lshlrev_b32_e32 v153, 16, v153
	v_and_b32_e32 v32, 0xffff, v32
	v_and_b32_e32 v134, 0xffff, v134
	v_lshlrev_b32_e32 v154, 16, v154
	v_lshlrev_b32_e32 v155, 16, v155
	v_or_b32_e32 v139, v139, v142
	v_or_b32_e32 v137, v137, v143
	v_or_b32_e32 v138, v138, v144
	v_or_b32_e32 v135, v135, v145
	v_or_b32_e32 v136, v136, v146
	v_or_b32_e32 v132, v132, v150
	v_or_b32_e32 v133, v133, v152
	v_or_b32_e32 v31, v31, v153
	v_or_b32_e32 v32, v32, v154
	v_or_b32_e32 v134, v134, v155
	ds_store_2addr_b32 v0, v139, v137 offset1:16
	ds_store_2addr_b32 v1, v138, v135 offset1:16
	;; [unrolled: 1-line block ×5, first 2 shown]
	scratch_load_b32 v42, off, off offset:56 ; 4-byte Folded Reload
	v_lshrrev_b32_e32 v168, 16, v140
	v_and_b32_e32 v169, 0x3f00, v140
	v_lshlrev_b16 v140, 8, v140
	v_lshrrev_b32_e32 v170, 16, v141
	v_and_b32_e32 v171, 0x3f00, v141
	v_and_b32_e32 v182, 0x3f00, v168
	v_lshlrev_b16 v168, 8, v168
	v_lshlrev_b16 v141, 8, v141
	v_add_nc_u16 v140, v140, 0xe000
	v_lshlrev_b16 v183, 8, v170
	v_and_b32_e32 v32, 0x3f00, v170
	v_add_nc_u16 v168, v168, 0xe000
	v_add_nc_u16 v141, v141, 0xe000
	v_lshrrev_b16 v140, 8, v140
	v_add_nc_u16 v183, v183, 0xe000
	v_and_b32_e32 v133, 0xf0f0f0f, v22
	v_lshrrev_b16 v156, 8, v168
	v_lshrrev_b16 v141, 8, v141
	v_or_b32_e32 v140, v169, v140
	v_lshrrev_b16 v132, 8, v183
	v_lshlrev_b32_e32 v134, 4, v151
	v_or_b32_e32 v156, v182, v156
	v_or_b32_e32 v31, v171, v141
	v_add_nc_u16 v140, v140, 0xe000
	v_or_b32_e32 v132, v32, v132
	v_and_or_b32 v134, 0x30303030, v134, v133
	v_add_nc_u16 v156, v156, 0xe000
	v_add_nc_u16 v137, v31, 0xe000
	v_and_b32_e32 v135, 0xffff, v140
	v_lshrrev_b32_e32 v22, 4, v22
	v_lshrrev_b32_e32 v138, 16, v134
	v_lshlrev_b32_e32 v136, 16, v156
	v_and_b32_e32 v140, 0x30303030, v151
	v_lshlrev_b16 v139, 8, v134
	s_delay_alu instid0(VALU_DEP_4) | instskip(NEXT) | instid1(VALU_DEP_4)
	v_lshlrev_b16 v141, 8, v138
	v_or_b32_e32 v135, v135, v136
	v_and_b32_e32 v136, 0xffff, v137
	v_add_nc_u16 v137, v132, 0xe000
	v_and_or_b32 v22, 0xf0f0f0f, v22, v140
	v_add_nc_u16 v139, v139, 0xe000
	s_waitcnt vmcnt(7)
	v_ashrrev_i32_e32 v29, v57, v29
	s_waitcnt vmcnt(5)
	v_ashrrev_i32_e32 v27, v57, v27
	;; [unrolled: 2-line block ×4, first 2 shown]
	s_waitcnt vmcnt(0)
	v_mad_i64_i32 v[31:32], null, 0xd2, v42, v[19:20]
	s_delay_alu instid0(VALU_DEP_1) | instskip(NEXT) | instid1(VALU_DEP_2)
	v_add_co_u32 v132, vcc_lo, v31, v53
	v_add_co_ci_u32_e32 v133, vcc_lo, 0, v32, vcc_lo
	v_add_co_u32 v31, vcc_lo, v31, v56
	v_add_co_ci_u32_e32 v32, vcc_lo, 0, v32, vcc_lo
	s_clause 0x1
	global_load_b32 v142, v[132:133], off
	global_load_b32 v143, v[31:32], off offset:128
	scratch_load_b32 v42, off, off offset:60 ; 4-byte Folded Reload
	v_lshlrev_b32_e32 v31, 16, v137
	v_add_nc_u16 v32, v141, 0xe000
	v_and_b32_e32 v132, 0x3f00, v134
	v_and_b32_e32 v134, 0x3f00, v138
	v_lshrrev_b16 v133, 8, v139
	v_or_b32_e32 v31, v136, v31
	v_lshrrev_b16 v32, 8, v32
	v_lshlrev_b16 v136, 8, v22
	v_lshrrev_b32_e32 v137, 16, v22
	v_and_b32_e32 v22, 0x3f00, v22
	ds_store_2addr_b32 v5, v135, v31 offset1:16
	v_or_b32_e32 v32, v134, v32
	v_add_nc_u16 v31, v136, 0xe000
	v_ashrrev_i32_e32 v136, v57, v162
	v_or_b32_e32 v132, v132, v133
	v_lshlrev_b16 v133, 8, v137
	v_add_nc_u16 v134, v32, 0xe000
	v_lshrrev_b16 v135, 8, v31
	v_lshlrev_b32_e32 v138, 4, v136
	v_lshrrev_b32_e32 v139, 4, v161
	v_add_nc_u16 v133, v133, 0xe000
	v_add_nc_u16 v132, v132, 0xe000
	v_or_b32_e32 v22, v22, v135
	v_and_b32_e32 v135, 0x3f00, v137
	v_and_b32_e32 v137, 0xf0f0f0f, v161
	v_lshrrev_b16 v133, 8, v133
	v_and_b32_e32 v132, 0xffff, v132
	v_lshlrev_b32_e32 v134, 16, v134
	v_add_nc_u16 v22, v22, 0xe000
	s_delay_alu instid0(VALU_DEP_2) | instskip(NEXT) | instid1(VALU_DEP_2)
	v_or_b32_e32 v134, v132, v134
	v_and_b32_e32 v22, 0xffff, v22
	s_waitcnt vmcnt(0)
	v_mad_i64_i32 v[31:32], null, 0xd2, v42, v[19:20]
	s_delay_alu instid0(VALU_DEP_1) | instskip(NEXT) | instid1(VALU_DEP_2)
	v_add_co_u32 v19, vcc_lo, v31, v53
	v_add_co_ci_u32_e32 v20, vcc_lo, 0, v32, vcc_lo
	v_add_co_u32 v31, vcc_lo, v31, v56
	v_add_co_ci_u32_e32 v32, vcc_lo, 0, v32, vcc_lo
	s_clause 0x1
	global_load_b32 v140, v[19:20], off
	global_load_b32 v141, v[31:32], off offset:128
	v_and_or_b32 v20, 0x30303030, v138, v137
	v_and_b32_e32 v19, 0x30303030, v136
	v_or_b32_e32 v31, v135, v133
	scratch_load_b32 v42, off, off offset:72 ; 4-byte Folded Reload
	v_and_b32_e32 v138, 0xf0f0f0f, v147
	v_lshrrev_b32_e32 v32, 16, v20
	v_and_or_b32 v19, 0xf0f0f0f, v139, v19
	v_lshlrev_b16 v132, 8, v20
	v_add_nc_u16 v31, v31, 0xe000
	v_and_b32_e32 v20, 0x3f00, v20
	v_lshlrev_b16 v135, 8, v32
	v_lshrrev_b32_e32 v133, 16, v19
	v_and_b32_e32 v32, 0x3f00, v32
	v_add_nc_u16 v132, v132, 0xe000
	v_lshlrev_b32_e32 v31, 16, v31
	v_add_nc_u16 v135, v135, 0xe000
	v_lshlrev_b16 v137, 8, v133
	v_and_b32_e32 v133, 0x3f00, v133
	v_lshrrev_b16 v132, 8, v132
	v_or_b32_e32 v22, v22, v31
	v_lshrrev_b16 v135, 8, v135
	v_add_nc_u16 v137, v137, 0xe000
	v_lshlrev_b16 v136, 8, v19
	v_or_b32_e32 v20, v20, v132
	v_and_b32_e32 v19, 0x3f00, v19
	v_or_b32_e32 v32, v32, v135
	v_lshrrev_b16 v137, 8, v137
	v_add_nc_u16 v136, v136, 0xe000
	v_add_nc_u16 v20, v20, 0xe000
	v_ashrrev_i32_e32 v135, v57, v148
	v_add_nc_u16 v31, v32, 0xe000
	v_or_b32_e32 v132, v133, v137
	v_lshrrev_b16 v136, 8, v136
	s_delay_alu instid0(VALU_DEP_4) | instskip(NEXT) | instid1(VALU_DEP_4)
	v_lshlrev_b32_e32 v139, 4, v135
	v_lshlrev_b32_e32 v133, 16, v31
	scratch_load_b32 v31, off, off offset:64 ; 4-byte Folded Reload
	v_or_b32_e32 v19, v19, v136
	v_add_nc_u16 v32, v132, 0xe000
	v_and_b32_e32 v132, 0xffff, v20
	v_and_b32_e32 v135, 0x30303030, v135
	s_delay_alu instid0(VALU_DEP_4) | instskip(NEXT) | instid1(VALU_DEP_4)
	v_add_nc_u16 v19, v19, 0xe000
	v_lshlrev_b32_e32 v137, 16, v32
	s_delay_alu instid0(VALU_DEP_4) | instskip(NEXT) | instid1(VALU_DEP_3)
	v_or_b32_e32 v144, v132, v133
	v_and_b32_e32 v136, 0xffff, v19
	s_delay_alu instid0(VALU_DEP_1) | instskip(SKIP_2) | instid1(VALU_DEP_1)
	v_or_b32_e32 v136, v136, v137
	v_and_or_b32 v137, 0x30303030, v139, v138
	v_lshrrev_b32_e32 v139, 4, v147
	v_and_or_b32 v135, 0xf0f0f0f, v139, v135
	s_waitcnt vmcnt(0)
	v_mad_i64_i32 v[19:20], null, 0xd2, v31, s[0:1]
	v_add_co_u32 v31, s0, s0, v90
	s_delay_alu instid0(VALU_DEP_1) | instskip(SKIP_2) | instid1(VALU_DEP_1)
	v_add_co_ci_u32_e64 v32, null, s1, 0, s0
	s_lshl_b32 s0, s5, 3
	s_mov_b32 s1, -1
	v_mad_i64_i32 v[132:133], null, 0xd2, v42, v[31:32]
	global_load_u16 v138, v[19:20], off offset:208
	scratch_load_b32 v42, off, off offset:76 ; 4-byte Folded Reload
	ds_store_2addr_b32 v6, v134, v22 offset1:16
	ds_store_2addr_b32 v7, v144, v136 offset1:16
	v_ashrrev_i32_e32 v136, v57, v149
	global_load_b32 v133, v[132:133], off offset:192
	s_waitcnt vmcnt(1)
	v_mad_i64_i32 v[19:20], null, 0xd2, v42, v[31:32]
	v_lshlrev_b16 v31, 8, v137
	v_lshrrev_b32_e32 v32, 16, v137
	s_delay_alu instid0(VALU_DEP_2)
	v_add_nc_u16 v31, v31, 0xe000
	global_load_b32 v19, v[19:20], off offset:192
	v_lshlrev_b16 v132, 8, v32
	v_and_b32_e32 v20, 0x3f00, v137
	v_lshlrev_b32_e32 v137, 4, v136
	v_lshrrev_b16 v31, 8, v31
	v_and_b32_e32 v136, 0x30303030, v136
	v_add_nc_u16 v22, v132, 0xe000
	v_lshrrev_b32_e32 v132, 16, v135
	s_delay_alu instid0(VALU_DEP_4) | instskip(SKIP_1) | instid1(VALU_DEP_4)
	v_or_b32_e32 v20, v20, v31
	v_and_b32_e32 v31, 0x3f00, v32
	v_lshrrev_b16 v22, 8, v22
	v_lshlrev_b16 v32, 8, v135
	v_lshlrev_b16 v134, 8, v132
	v_and_b32_e32 v135, 0x3f00, v135
	v_and_b32_e32 v132, 0x3f00, v132
	v_or_b32_e32 v22, v31, v22
	v_add_nc_u16 v31, v32, 0xe000
	v_add_nc_u16 v32, v134, 0xe000
	v_and_b32_e32 v134, 0xf0f0f0f, v30
	v_add_nc_u16 v20, v20, 0xe000
	v_add_nc_u16 v22, v22, 0xe000
	v_lshrrev_b16 v31, 8, v31
	v_lshrrev_b16 v32, 8, v32
	v_and_or_b32 v134, 0x30303030, v137, v134
	v_lshrrev_b32_e32 v30, 4, v30
	v_and_b32_e32 v20, 0xffff, v20
	v_or_b32_e32 v31, v135, v31
	v_or_b32_e32 v32, v132, v32
	v_lshlrev_b16 v132, 8, v134
	v_lshrrev_b32_e32 v135, 16, v134
	v_and_b32_e32 v134, 0x3f00, v134
	v_add_nc_u16 v31, v31, 0xe000
	v_add_nc_u16 v32, v32, 0xe000
	;; [unrolled: 1-line block ×3, first 2 shown]
	v_lshlrev_b16 v137, 8, v135
	v_lshlrev_b32_e32 v22, 16, v22
	v_and_b32_e32 v31, 0xffff, v31
	v_lshlrev_b32_e32 v32, 16, v32
	v_lshrrev_b16 v132, 8, v132
	v_add_nc_u16 v137, v137, 0xe000
	v_and_or_b32 v30, 0xf0f0f0f, v30, v136
	v_or_b32_e32 v20, v20, v22
	v_or_b32_e32 v31, v31, v32
	v_or_b32_e32 v132, v134, v132
	v_and_b32_e32 v134, 0x3f00, v135
	v_lshrrev_b16 v135, 8, v137
	v_lshrrev_b32_e32 v22, 16, v30
	v_and_b32_e32 v136, 0xf0f0f0f, v28
	v_add_nc_u16 v132, v132, 0xe000
	v_lshlrev_b32_e32 v137, 4, v29
	v_or_b32_e32 v32, v134, v135
	v_lshlrev_b16 v134, 8, v30
	v_lshlrev_b16 v135, 8, v22
	v_and_b32_e32 v132, 0xffff, v132
	v_and_b32_e32 v30, 0x3f00, v30
	v_add_nc_u16 v32, v32, 0xe000
	v_add_nc_u16 v134, v134, 0xe000
	;; [unrolled: 1-line block ×3, first 2 shown]
	v_and_or_b32 v136, 0x30303030, v137, v136
	v_and_b32_e32 v22, 0x3f00, v22
	v_lshlrev_b32_e32 v32, 16, v32
	v_lshrrev_b16 v134, 8, v134
	v_lshrrev_b16 v135, 8, v135
	ds_store_2addr_b32 v8, v20, v31 offset1:16
	v_lshrrev_b32_e32 v28, 4, v28
	v_or_b32_e32 v31, v132, v32
	v_or_b32_e32 v20, v30, v134
	v_lshlrev_b16 v30, 8, v136
	v_lshrrev_b32_e32 v32, 16, v136
	v_or_b32_e32 v22, v22, v135
	v_and_b32_e32 v29, 0x30303030, v29
	v_add_nc_u16 v20, v20, 0xe000
	v_add_nc_u16 v30, v30, 0xe000
	v_lshlrev_b16 v132, 8, v32
	v_add_nc_u16 v22, v22, 0xe000
	v_and_b32_e32 v134, 0x3f00, v136
	v_and_or_b32 v28, 0xf0f0f0f, v28, v29
	v_lshrrev_b16 v30, 8, v30
	v_add_nc_u16 v132, v132, 0xe000
	v_and_b32_e32 v20, 0xffff, v20
	v_lshlrev_b32_e32 v22, 16, v22
	s_delay_alu instid0(VALU_DEP_4)
	v_or_b32_e32 v29, v134, v30
	v_and_b32_e32 v30, 0x3f00, v32
	v_lshrrev_b16 v32, 8, v132
	v_lshrrev_b32_e32 v132, 16, v28
	v_or_b32_e32 v20, v20, v22
	v_lshlrev_b16 v22, 8, v28
	v_add_nc_u16 v29, v29, 0xe000
	v_or_b32_e32 v30, v30, v32
	v_lshlrev_b16 v32, 8, v132
	ds_store_2addr_b32 v9, v31, v20 offset1:16
	v_add_nc_u16 v20, v22, 0xe000
	v_and_b32_e32 v22, 0xffff, v29
	v_add_nc_u16 v29, v30, 0xe000
	v_add_nc_u16 v30, v32, 0xe000
	v_and_b32_e32 v28, 0x3f00, v28
	v_lshrrev_b16 v20, 8, v20
	v_and_b32_e32 v31, 0x3f00, v132
	v_and_b32_e32 v32, 0xf0f0f0f, v26
	v_lshrrev_b16 v30, 8, v30
	v_lshlrev_b32_e32 v132, 4, v27
	v_lshrrev_b32_e32 v26, 4, v26
	v_and_b32_e32 v27, 0x30303030, v27
	v_or_b32_e32 v20, v28, v20
	v_or_b32_e32 v28, v31, v30
	v_and_or_b32 v30, 0x30303030, v132, v32
	v_lshlrev_b32_e32 v29, 16, v29
	v_and_or_b32 v26, 0xf0f0f0f, v26, v27
	v_add_nc_u16 v20, v20, 0xe000
	v_add_nc_u16 v28, v28, 0xe000
	v_lshrrev_b32_e32 v27, 16, v30
	v_or_b32_e32 v22, v22, v29
	v_lshrrev_b32_e32 v31, 16, v26
	v_lshlrev_b16 v29, 8, v30
	v_lshlrev_b16 v132, 8, v26
	;; [unrolled: 1-line block ×3, first 2 shown]
	v_and_b32_e32 v30, 0x3f00, v30
	v_lshlrev_b16 v134, 8, v31
	v_add_nc_u16 v29, v29, 0xe000
	v_add_nc_u16 v132, v132, 0xe000
	;; [unrolled: 1-line block ×3, first 2 shown]
	v_and_b32_e32 v27, 0x3f00, v27
	v_add_nc_u16 v134, v134, 0xe000
	v_lshrrev_b16 v29, 8, v29
	v_and_b32_e32 v26, 0x3f00, v26
	v_lshrrev_b16 v32, 8, v32
	v_lshrrev_b16 v132, 8, v132
	v_and_b32_e32 v31, 0x3f00, v31
	v_lshrrev_b16 v134, 8, v134
	v_or_b32_e32 v29, v30, v29
	v_or_b32_e32 v27, v27, v32
	;; [unrolled: 1-line block ×3, first 2 shown]
	v_lshlrev_b32_e32 v32, 4, v25
	v_or_b32_e32 v30, v31, v134
	v_and_b32_e32 v31, 0xf0f0f0f, v24
	v_and_b32_e32 v20, 0xffff, v20
	v_lshlrev_b32_e32 v28, 16, v28
	v_add_nc_u16 v29, v29, 0xe000
	v_add_nc_u16 v27, v27, 0xe000
	;; [unrolled: 1-line block ×4, first 2 shown]
	v_and_or_b32 v31, 0x30303030, v32, v31
	v_and_b32_e32 v29, 0xffff, v29
	v_lshlrev_b32_e32 v27, 16, v27
	v_and_b32_e32 v26, 0xffff, v26
	v_lshlrev_b32_e32 v30, 16, v30
	v_or_b32_e32 v20, v20, v28
	v_lshrrev_b32_e32 v28, 16, v31
	v_lshrrev_b32_e32 v24, 4, v24
	v_and_b32_e32 v25, 0x30303030, v25
	v_lshlrev_b16 v32, 8, v31
	v_or_b32_e32 v27, v29, v27
	v_or_b32_e32 v26, v26, v30
	v_lshlrev_b16 v30, 8, v28
	ds_store_2addr_b32 v10, v22, v20 offset1:16
	v_and_or_b32 v20, 0xf0f0f0f, v24, v25
	v_add_nc_u16 v29, v32, 0xe000
	ds_store_2addr_b32 v11, v27, v26 offset1:16
	v_add_nc_u16 v22, v30, 0xe000
	v_and_b32_e32 v31, 0x3f00, v31
	v_lshrrev_b32_e32 v26, 16, v20
	v_lshrrev_b16 v29, 8, v29
	v_and_b32_e32 v25, 0x3f00, v28
	v_lshrrev_b16 v22, 8, v22
	v_lshlrev_b16 v27, 8, v20
	v_lshlrev_b16 v28, 8, v26
	v_or_b32_e32 v24, v31, v29
	v_lshlrev_b32_e32 v29, 4, v23
	v_or_b32_e32 v22, v25, v22
	v_add_nc_u16 v25, v27, 0xe000
	v_and_b32_e32 v27, 0xf0f0f0f, v21
	v_add_nc_u16 v28, v28, 0xe000
	v_and_b32_e32 v20, 0x3f00, v20
	v_and_b32_e32 v26, 0x3f00, v26
	v_lshrrev_b16 v25, 8, v25
	v_and_or_b32 v27, 0x30303030, v29, v27
	v_lshrrev_b16 v28, 8, v28
	v_lshrrev_b32_e32 v21, 4, v21
	v_and_b32_e32 v23, 0x30303030, v23
	v_or_b32_e32 v20, v20, v25
	v_lshrrev_b32_e32 v25, 16, v27
	v_or_b32_e32 v26, v26, v28
	v_lshlrev_b16 v28, 8, v27
	v_and_b32_e32 v27, 0x3f00, v27
	v_and_or_b32 v21, 0xf0f0f0f, v21, v23
	v_lshlrev_b16 v29, 8, v25
	v_add_nc_u16 v24, v24, 0xe000
	v_add_nc_u16 v28, v28, 0xe000
	;; [unrolled: 1-line block ×3, first 2 shown]
	v_and_b32_e32 v25, 0x3f00, v25
	v_add_nc_u16 v29, v29, 0xe000
	v_and_b32_e32 v24, 0xffff, v24
	v_lshrrev_b16 v28, 8, v28
	v_lshlrev_b32_e32 v22, 16, v22
	v_add_nc_u16 v20, v20, 0xe000
	v_lshrrev_b16 v23, 8, v29
	v_add_nc_u16 v26, v26, 0xe000
	v_or_b32_e32 v27, v27, v28
	v_lshlrev_b16 v28, 8, v21
	v_and_b32_e32 v20, 0xffff, v20
	v_or_b32_e32 v23, v25, v23
	v_lshlrev_b32_e32 v26, 16, v26
	v_or_b32_e32 v22, v24, v22
	v_add_nc_u16 v25, v28, 0xe000
	v_add_nc_u16 v24, v27, 0xe000
	v_lshrrev_b32_e32 v27, 16, v21
	v_and_b32_e32 v21, 0x3f00, v21
	v_or_b32_e32 v20, v20, v26
	v_lshrrev_b16 v25, 8, v25
	v_ashrrev_i32_e32 v26, v57, v143
	v_add_nc_u16 v23, v23, 0xe000
	v_and_b32_e32 v24, 0xffff, v24
	ds_store_2addr_b32 v12, v22, v20 offset1:16
	v_or_b32_e32 v21, v21, v25
	v_lshlrev_b16 v25, 8, v27
	v_lshlrev_b32_e32 v29, 4, v26
	v_lshlrev_b32_e32 v23, 16, v23
	v_and_b32_e32 v28, 0xf0f0f0f, v142
	v_add_nc_u16 v21, v21, 0xe000
	v_add_nc_u16 v22, v25, 0xe000
	v_and_b32_e32 v25, 0x30303030, v26
	v_and_b32_e32 v26, 0x3f00, v27
	v_or_b32_e32 v20, v24, v23
	v_and_b32_e32 v21, 0xffff, v21
	v_lshrrev_b16 v22, 8, v22
	v_and_or_b32 v28, 0x30303030, v29, v28
	v_lshrrev_b32_e32 v24, 4, v142
	v_lshrrev_b32_e32 v31, 4, v140
	s_delay_alu instid0(VALU_DEP_4) | instskip(NEXT) | instid1(VALU_DEP_4)
	v_or_b32_e32 v22, v26, v22
	v_lshlrev_b16 v23, 8, v28
	v_lshrrev_b32_e32 v27, 16, v28
	v_and_or_b32 v24, 0xf0f0f0f, v24, v25
	v_and_b32_e32 v25, 0x3f00, v28
	v_add_nc_u16 v22, v22, 0xe000
	v_add_nc_u16 v23, v23, 0xe000
	v_lshlrev_b16 v28, 8, v27
	v_lshlrev_b16 v26, 8, v24
	s_delay_alu instid0(VALU_DEP_4) | instskip(NEXT) | instid1(VALU_DEP_4)
	v_lshlrev_b32_e32 v22, 16, v22
	v_lshrrev_b16 v23, 8, v23
	s_delay_alu instid0(VALU_DEP_4) | instskip(NEXT) | instid1(VALU_DEP_3)
	v_add_nc_u16 v28, v28, 0xe000
	v_or_b32_e32 v21, v21, v22
	s_delay_alu instid0(VALU_DEP_3)
	v_or_b32_e32 v23, v25, v23
	v_add_nc_u16 v25, v26, 0xe000
	v_and_b32_e32 v26, 0x3f00, v27
	v_lshrrev_b16 v27, 8, v28
	ds_store_2addr_b32 v13, v20, v21 offset1:16
	scratch_load_b32 v21, off, off offset:68 ; 4-byte Folded Reload
	v_cvt_f32_f16_e64 v20, v138
	v_and_b32_e32 v28, 0x3f00, v24
	v_lshrrev_b16 v25, 8, v25
	v_or_b32_e32 v26, v26, v27
	v_ashrrev_i32_e32 v27, v57, v141
	v_lshrrev_b32_e32 v24, 16, v24
	v_add_nc_u16 v23, v23, 0xe000
	v_or_b32_e32 v25, v28, v25
	v_and_b32_e32 v28, 0xf0f0f0f, v140
	v_lshlrev_b32_e32 v29, 4, v27
	v_and_b32_e32 v27, 0x30303030, v27
	v_lshlrev_b16 v30, 8, v24
	v_and_b32_e32 v24, 0x3f00, v24
	v_add_nc_u16 v26, v26, 0xe000
	v_and_or_b32 v28, 0x30303030, v29, v28
	v_and_or_b32 v27, 0xf0f0f0f, v31, v27
	v_add_nc_u16 v29, v30, 0xe000
	v_add_nc_u16 v25, v25, 0xe000
	v_and_b32_e32 v23, 0xffff, v23
	v_lshrrev_b32_e32 v30, 16, v28
	v_lshrrev_b32_e32 v32, 16, v27
	v_lshlrev_b16 v31, 8, v28
	v_lshlrev_b16 v134, 8, v27
	v_lshrrev_b16 v29, 8, v29
	v_lshlrev_b16 v132, 8, v30
	v_lshlrev_b16 v135, 8, v32
	v_add_nc_u16 v31, v31, 0xe000
	v_add_nc_u16 v134, v134, 0xe000
	v_and_b32_e32 v28, 0x3f00, v28
	v_add_nc_u16 v132, v132, 0xe000
	v_add_nc_u16 v135, v135, 0xe000
	v_lshrrev_b16 v31, 8, v31
	v_and_b32_e32 v30, 0x3f00, v30
	v_and_b32_e32 v27, 0x3f00, v27
	v_lshrrev_b16 v132, 8, v132
	v_lshrrev_b16 v134, 8, v134
	v_and_b32_e32 v32, 0x3f00, v32
	v_lshrrev_b16 v135, 8, v135
	v_or_b32_e32 v24, v24, v29
	v_or_b32_e32 v28, v28, v31
	;; [unrolled: 1-line block ×5, first 2 shown]
	v_add_nc_u16 v24, v24, 0xe000
	v_add_nc_u16 v28, v28, 0xe000
	v_add_nc_u16 v29, v29, 0xe000
	v_add_nc_u16 v27, v27, 0xe000
	v_add_nc_u16 v30, v30, 0xe000
	v_lshlrev_b32_e32 v26, 16, v26
	v_and_b32_e32 v25, 0xffff, v25
	v_lshlrev_b32_e32 v24, 16, v24
	v_and_b32_e32 v28, 0xffff, v28
	;; [unrolled: 2-line block ×3, first 2 shown]
	v_lshlrev_b32_e32 v30, 16, v30
	v_or_b32_e32 v22, v23, v26
	v_or_b32_e32 v23, v25, v24
	;; [unrolled: 1-line block ×3, first 2 shown]
	v_add_nc_u32_e32 v132, s0, v18
	v_or_b32_e32 v25, v27, v30
	ds_store_2addr_b32 v14, v22, v23 offset1:16
	ds_store_2addr_b32 v15, v24, v25 offset1:16
	s_waitcnt vmcnt(0)
	ds_store_b32 v21, v20
	scratch_load_b32 v20, off, off offset:80 ; 4-byte Folded Reload
	s_waitcnt vmcnt(0)
	ds_store_b32 v20, v133
	scratch_load_b32 v20, off, off offset:84 ; 4-byte Folded Reload
	s_waitcnt vmcnt(0)
	ds_store_b32 v20, v19
.LBB136_6:                              ;   Parent Loop BB136_5 Depth=1
                                        ; =>  This Loop Header: Depth=2
                                        ;       Child Loop BB136_7 Depth 3
	v_lshl_add_u32 v19, s14, 5, v43
	v_lshl_add_u32 v32, s14, 2, v132
	s_lshl_b32 s14, s14, 4
	s_xor_b32 s1, s1, -1
	s_add_i32 s15, s14, 16
	v_lshrrev_b32_e32 v19, 3, v19
	s_delay_alu instid0(VALU_DEP_1) | instskip(NEXT) | instid1(VALU_DEP_1)
	v_add_nc_u32_e32 v31, s0, v19
	v_add_nc_u32_e32 v21, v31, v96
	;; [unrolled: 1-line block ×7, first 2 shown]
	v_mad_i64_i32 v[19:20], null, v21, 36, v[16:17]
	v_mad_i64_i32 v[21:22], null, v23, 36, v[16:17]
	;; [unrolled: 1-line block ×5, first 2 shown]
	v_mad_u64_u32 v[29:30], null, v32, 36, s[2:3]
	v_add_nc_u32_e32 v135, v31, v114
	v_add_nc_u32_e32 v137, v31, v116
	v_mad_i64_i32 v[31:32], null, v133, 36, v[16:17]
	s_delay_alu instid0(VALU_DEP_3) | instskip(NEXT) | instid1(VALU_DEP_3)
	v_mad_i64_i32 v[133:134], null, v135, 36, v[16:17]
	v_mad_i64_i32 v[135:136], null, v137, 36, v[16:17]
	s_clause 0x8
	global_load_b32 v29, v[29:30], off
	global_load_b32 v21, v[21:22], off offset:4
	global_load_b32 v22, v[23:24], off offset:4
	;; [unrolled: 1-line block ×8, first 2 shown]
	s_waitcnt vmcnt(8)
	v_cvt_f32_f16_e32 v20, v29
	s_waitcnt vmcnt(7)
	ds_store_b32 v101, v21
	s_waitcnt vmcnt(6)
	ds_store_b32 v104, v22
	s_waitcnt vmcnt(5)
	ds_store_b32 v107, v23
	s_waitcnt vmcnt(4)
	ds_store_b32 v110, v24
	s_waitcnt vmcnt(3)
	ds_store_b32 v112, v25
	s_waitcnt vmcnt(2)
	ds_store_b32 v115, v26
	s_waitcnt vmcnt(1)
	ds_store_b32 v117, v27
	s_waitcnt vmcnt(0)
	ds_store_b32 v98, v19
	ds_store_b32 v95, v20
	s_waitcnt lgkmcnt(0)
	s_waitcnt_vscnt null, 0x0
	s_barrier
	buffer_gl0_inv
	ds_load_b32 v133, v118
	ds_load_b32 v134, v119 offset:128
	ds_load_b32 v135, v120 offset:256
	;; [unrolled: 1-line block ×3, first 2 shown]
.LBB136_7:                              ;   Parent Loop BB136_5 Depth=1
                                        ;     Parent Loop BB136_6 Depth=2
                                        ; =>    This Inner Loop Header: Depth=3
	s_lshl_b32 s16, s14, 1
	s_lshl_b32 s17, s14, 3
	s_and_b32 s16, s16, 16
	v_add_nc_u32_e32 v138, s17, v123
	v_or_b32_e32 v137, s16, v81
	v_add_nc_u32_e32 v175, s17, v125
	v_add_nc_u32_e32 v176, s17, v127
	;; [unrolled: 1-line block ×3, first 2 shown]
	s_delay_alu instid0(VALU_DEP_4)
	v_lshlrev_b32_e32 v174, 2, v137
	v_lshrrev_b32_e32 v137, 1, v137
	ds_load_2addr_b32 v[19:20], v138 offset0:14 offset1:15
	ds_load_b128 v[139:142], v174 offset:33328
	ds_load_2addr_b32 v[187:188], v138 offset0:12 offset1:13
	ds_load_2addr_b32 v[31:32], v175 offset0:12 offset1:13
	;; [unrolled: 1-line block ×4, first 2 shown]
	s_waitcnt lgkmcnt(4)
	v_dot4_i32_iu8 v21, v19, v141, 0 neg_lo:[1,1,0]
	s_waitcnt lgkmcnt(3)
	s_delay_alu instid0(VALU_DEP_1) | instskip(SKIP_3) | instid1(VALU_DEP_1)
	v_dot4_i32_iu8 v143, v187, v139, v21 neg_lo:[1,1,0]
	ds_load_2addr_b32 v[21:22], v175 offset0:14 offset1:15
	s_waitcnt lgkmcnt(0)
	v_dot4_i32_iu8 v23, v21, v141, 0 neg_lo:[1,1,0]
	v_dot4_i32_iu8 v144, v31, v139, v23 neg_lo:[1,1,0]
	ds_load_2addr_b32 v[23:24], v176 offset0:14 offset1:15
	s_waitcnt lgkmcnt(0)
	v_dot4_i32_iu8 v25, v23, v141, 0 neg_lo:[1,1,0]
	s_delay_alu instid0(VALU_DEP_1) | instskip(SKIP_3) | instid1(VALU_DEP_1)
	v_dot4_i32_iu8 v145, v29, v139, v25 neg_lo:[1,1,0]
	ds_load_2addr_b32 v[25:26], v177 offset0:14 offset1:15
	s_waitcnt lgkmcnt(0)
	v_dot4_i32_iu8 v141, v25, v141, 0 neg_lo:[1,1,0]
	v_dot4_i32_iu8 v139, v27, v139, v141 neg_lo:[1,1,0]
	;; [unrolled: 1-line block ×5, first 2 shown]
	s_delay_alu instid0(VALU_DEP_4) | instskip(NEXT) | instid1(VALU_DEP_4)
	v_dot4_i32_iu8 v139, v28, v140, v139 neg_lo:[1,1,0]
	v_dot4_i32_iu8 v169, v20, v142, v141 neg_lo:[1,1,0]
	s_delay_alu instid0(VALU_DEP_4) | instskip(NEXT) | instid1(VALU_DEP_4)
	v_dot4_i32_iu8 v165, v22, v142, v143 neg_lo:[1,1,0]
	v_dot4_i32_iu8 v162, v24, v142, v144 neg_lo:[1,1,0]
	s_delay_alu instid0(VALU_DEP_4) | instskip(SKIP_1) | instid1(VALU_DEP_1)
	v_dot4_i32_iu8 v161, v26, v142, v139 neg_lo:[1,1,0]
	v_or_b32_e32 v139, s16, v94
	v_lshlrev_b32_e32 v178, 2, v139
	ds_load_b128 v[143:146], v178 offset:33328
	s_waitcnt lgkmcnt(0)
	v_dot4_i32_iu8 v140, v145, v19, 0 neg_lo:[1,1,0]
	v_dot4_i32_iu8 v141, v145, v21, 0 neg_lo:[1,1,0]
	v_dot4_i32_iu8 v142, v145, v23, 0 neg_lo:[1,1,0]
	v_dot4_i32_iu8 v145, v145, v25, 0 neg_lo:[1,1,0]
	s_delay_alu instid0(VALU_DEP_4) | instskip(NEXT) | instid1(VALU_DEP_4)
	v_dot4_i32_iu8 v140, v143, v187, v140 neg_lo:[1,1,0]
	v_dot4_i32_iu8 v141, v143, v31, v141 neg_lo:[1,1,0]
	s_delay_alu instid0(VALU_DEP_4) | instskip(NEXT) | instid1(VALU_DEP_4)
	v_dot4_i32_iu8 v142, v143, v29, v142 neg_lo:[1,1,0]
	v_dot4_i32_iu8 v143, v143, v27, v145 neg_lo:[1,1,0]
	s_delay_alu instid0(VALU_DEP_4) | instskip(NEXT) | instid1(VALU_DEP_4)
	v_dot4_i32_iu8 v140, v144, v188, v140 neg_lo:[1,1,0]
	v_dot4_i32_iu8 v141, v144, v32, v141 neg_lo:[1,1,0]
	s_delay_alu instid0(VALU_DEP_4) | instskip(NEXT) | instid1(VALU_DEP_4)
	v_dot4_i32_iu8 v142, v144, v30, v142 neg_lo:[1,1,0]
	v_dot4_i32_iu8 v147, v144, v28, v143 neg_lo:[1,1,0]
	s_delay_alu instid0(VALU_DEP_4) | instskip(SKIP_4) | instid1(VALU_DEP_4)
	v_dot4_i32_iu8 v145, v146, v20, v140 neg_lo:[1,1,0]
	v_or_b32_e32 v140, s16, v97
	v_dot4_i32_iu8 v144, v146, v22, v141 neg_lo:[1,1,0]
	v_dot4_i32_iu8 v143, v146, v24, v142 neg_lo:[1,1,0]
	v_dot4_i32_iu8 v142, v146, v26, v147 neg_lo:[1,1,0]
	v_lshlrev_b32_e32 v179, 2, v140
	ds_load_b128 v[148:151], v179 offset:33328
	s_waitcnt lgkmcnt(0)
	v_dot4_i32_iu8 v141, v150, v19, 0 neg_lo:[1,1,0]
	v_dot4_i32_iu8 v146, v150, v21, 0 neg_lo:[1,1,0]
	v_dot4_i32_iu8 v147, v150, v23, 0 neg_lo:[1,1,0]
	v_dot4_i32_iu8 v150, v150, v25, 0 neg_lo:[1,1,0]
	s_delay_alu instid0(VALU_DEP_4) | instskip(NEXT) | instid1(VALU_DEP_4)
	v_dot4_i32_iu8 v141, v148, v187, v141 neg_lo:[1,1,0]
	v_dot4_i32_iu8 v146, v148, v31, v146 neg_lo:[1,1,0]
	s_delay_alu instid0(VALU_DEP_4) | instskip(NEXT) | instid1(VALU_DEP_4)
	v_dot4_i32_iu8 v147, v148, v29, v147 neg_lo:[1,1,0]
	v_dot4_i32_iu8 v148, v148, v27, v150 neg_lo:[1,1,0]
	s_delay_alu instid0(VALU_DEP_4) | instskip(NEXT) | instid1(VALU_DEP_4)
	v_dot4_i32_iu8 v141, v149, v188, v141 neg_lo:[1,1,0]
	v_dot4_i32_iu8 v146, v149, v32, v146 neg_lo:[1,1,0]
	s_delay_alu instid0(VALU_DEP_4) | instskip(NEXT) | instid1(VALU_DEP_4)
	v_dot4_i32_iu8 v147, v149, v30, v147 neg_lo:[1,1,0]
	v_dot4_i32_iu8 v152, v149, v28, v148 neg_lo:[1,1,0]
	s_delay_alu instid0(VALU_DEP_4) | instskip(SKIP_4) | instid1(VALU_DEP_4)
	v_dot4_i32_iu8 v150, v151, v20, v141 neg_lo:[1,1,0]
	v_or_b32_e32 v141, s16, v100
	v_dot4_i32_iu8 v149, v151, v22, v146 neg_lo:[1,1,0]
	v_dot4_i32_iu8 v148, v151, v24, v147 neg_lo:[1,1,0]
	v_dot4_i32_iu8 v147, v151, v26, v152 neg_lo:[1,1,0]
	;; [unrolled: 25-line block ×5, first 2 shown]
	v_lshlrev_b32_e32 v192, 2, v156
	ds_load_b128 v[183:186], v192 offset:33328
	s_waitcnt lgkmcnt(0)
	v_dot4_i32_iu8 v163, v185, v19, 0 neg_lo:[1,1,0]
	v_dot4_i32_iu8 v170, v185, v21, 0 neg_lo:[1,1,0]
	;; [unrolled: 1-line block ×4, first 2 shown]
	s_delay_alu instid0(VALU_DEP_4) | instskip(NEXT) | instid1(VALU_DEP_4)
	v_dot4_i32_iu8 v163, v183, v187, v163 neg_lo:[1,1,0]
	v_dot4_i32_iu8 v170, v183, v31, v170 neg_lo:[1,1,0]
	s_delay_alu instid0(VALU_DEP_4) | instskip(NEXT) | instid1(VALU_DEP_4)
	v_dot4_i32_iu8 v171, v183, v29, v171 neg_lo:[1,1,0]
	v_dot4_i32_iu8 v172, v183, v27, v172 neg_lo:[1,1,0]
	;; [unrolled: 3-line block ×4, first 2 shown]
	s_delay_alu instid0(VALU_DEP_4)
	v_dot4_i32_iu8 v173, v186, v20, v163 neg_lo:[1,1,0]
	v_or_b32_e32 v163, s16, v113
	v_dot4_i32_iu8 v172, v186, v22, v170 neg_lo:[1,1,0]
	v_dot4_i32_iu8 v171, v186, v24, v171 neg_lo:[1,1,0]
	;; [unrolled: 1-line block ×3, first 2 shown]
	s_lshr_b32 s16, s14, 1
	v_lshlrev_b32_e32 v202, 2, v163
	s_add_i32 s14, s14, 8
	s_delay_alu instid0(SALU_CYCLE_1)
	s_cmp_lt_u32 s14, s15
	ds_load_b128 v[183:186], v202 offset:33328
	s_waitcnt lgkmcnt(0)
	v_dot4_i32_iu8 v19, v185, v19, 0 neg_lo:[1,1,0]
	v_dot4_i32_iu8 v21, v185, v21, 0 neg_lo:[1,1,0]
	;; [unrolled: 1-line block ×4, first 2 shown]
	s_delay_alu instid0(VALU_DEP_4) | instskip(NEXT) | instid1(VALU_DEP_4)
	v_dot4_i32_iu8 v19, v183, v187, v19 neg_lo:[1,1,0]
	v_dot4_i32_iu8 v21, v183, v31, v21 neg_lo:[1,1,0]
	s_delay_alu instid0(VALU_DEP_4) | instskip(NEXT) | instid1(VALU_DEP_4)
	v_dot4_i32_iu8 v23, v183, v29, v23 neg_lo:[1,1,0]
	v_dot4_i32_iu8 v25, v183, v27, v25 neg_lo:[1,1,0]
	;; [unrolled: 3-line block ×6, first 2 shown]
	ds_load_2addr_b32 v[207:208], v138 offset0:10 offset1:11
	ds_load_b128 v[23:26], v174 offset:33312
	ds_load_2addr_b32 v[211:212], v175 offset0:10 offset1:11
	ds_load_2addr_b32 v[217:218], v176 offset0:8 offset1:9
	;; [unrolled: 1-line block ×7, first 2 shown]
	ds_load_b128 v[203:206], v202 offset:33312
	s_waitcnt lgkmcnt(8)
	v_dot4_i32_iu8 v27, v207, v25, 0 neg_lo:[1,1,0]
	s_waitcnt lgkmcnt(7)
	v_dot4_i32_iu8 v28, v211, v25, 0 neg_lo:[1,1,0]
	;; [unrolled: 2-line block ×6, first 2 shown]
	v_dot4_i32_iu8 v29, v217, v23, v29 neg_lo:[1,1,0]
	v_dot4_i32_iu8 v23, v221, v23, v25 neg_lo:[1,1,0]
	;; [unrolled: 1-line block ×3, first 2 shown]
	s_delay_alu instid0(VALU_DEP_4) | instskip(NEXT) | instid1(VALU_DEP_4)
	v_dot4_i32_iu8 v27, v214, v24, v28 neg_lo:[1,1,0]
	v_dot4_i32_iu8 v28, v218, v24, v29 neg_lo:[1,1,0]
	s_delay_alu instid0(VALU_DEP_4) | instskip(NEXT) | instid1(VALU_DEP_4)
	v_dot4_i32_iu8 v23, v222, v24, v23 neg_lo:[1,1,0]
	v_dot4_i32_iu8 v251, v208, v26, v25 neg_lo:[1,1,0]
	;; [unrolled: 3-line block ×3, first 2 shown]
	s_delay_alu instid0(VALU_DEP_4)
	v_dot4_i32_iu8 v254, v220, v26, v23 neg_lo:[1,1,0]
	ds_load_b128 v[23:26], v178 offset:33312
	s_waitcnt lgkmcnt(0)
	v_dot4_i32_iu8 v27, v25, v207, 0 neg_lo:[1,1,0]
	v_dot4_i32_iu8 v28, v25, v211, 0 neg_lo:[1,1,0]
	v_dot4_i32_iu8 v29, v25, v215, 0 neg_lo:[1,1,0]
	v_dot4_i32_iu8 v25, v25, v219, 0 neg_lo:[1,1,0]
	s_delay_alu instid0(VALU_DEP_4) | instskip(NEXT) | instid1(VALU_DEP_4)
	v_dot4_i32_iu8 v27, v23, v209, v27 neg_lo:[1,1,0]
	v_dot4_i32_iu8 v28, v23, v213, v28 neg_lo:[1,1,0]
	s_delay_alu instid0(VALU_DEP_4) | instskip(NEXT) | instid1(VALU_DEP_4)
	v_dot4_i32_iu8 v29, v23, v217, v29 neg_lo:[1,1,0]
	v_dot4_i32_iu8 v23, v23, v221, v25 neg_lo:[1,1,0]
	s_delay_alu instid0(VALU_DEP_4) | instskip(NEXT) | instid1(VALU_DEP_4)
	v_dot4_i32_iu8 v25, v24, v210, v27 neg_lo:[1,1,0]
	v_dot4_i32_iu8 v27, v24, v214, v28 neg_lo:[1,1,0]
	s_delay_alu instid0(VALU_DEP_4) | instskip(NEXT) | instid1(VALU_DEP_4)
	v_dot4_i32_iu8 v28, v24, v218, v29 neg_lo:[1,1,0]
	v_dot4_i32_iu8 v23, v24, v222, v23 neg_lo:[1,1,0]
	s_delay_alu instid0(VALU_DEP_4) | instskip(NEXT) | instid1(VALU_DEP_4)
	v_dot4_i32_iu8 v201, v26, v208, v25 neg_lo:[1,1,0]
	v_dot4_i32_iu8 v200, v26, v212, v27 neg_lo:[1,1,0]
	s_delay_alu instid0(VALU_DEP_4) | instskip(NEXT) | instid1(VALU_DEP_4)
	v_dot4_i32_iu8 v199, v26, v216, v28 neg_lo:[1,1,0]
	v_dot4_i32_iu8 v198, v26, v220, v23 neg_lo:[1,1,0]
	ds_load_b128 v[23:26], v179 offset:33312
	s_waitcnt lgkmcnt(0)
	v_dot4_i32_iu8 v27, v25, v207, 0 neg_lo:[1,1,0]
	v_dot4_i32_iu8 v28, v25, v211, 0 neg_lo:[1,1,0]
	v_dot4_i32_iu8 v29, v25, v215, 0 neg_lo:[1,1,0]
	v_dot4_i32_iu8 v25, v25, v219, 0 neg_lo:[1,1,0]
	s_delay_alu instid0(VALU_DEP_4) | instskip(NEXT) | instid1(VALU_DEP_4)
	v_dot4_i32_iu8 v27, v23, v209, v27 neg_lo:[1,1,0]
	v_dot4_i32_iu8 v28, v23, v213, v28 neg_lo:[1,1,0]
	s_delay_alu instid0(VALU_DEP_4) | instskip(NEXT) | instid1(VALU_DEP_4)
	v_dot4_i32_iu8 v29, v23, v217, v29 neg_lo:[1,1,0]
	v_dot4_i32_iu8 v23, v23, v221, v25 neg_lo:[1,1,0]
	s_delay_alu instid0(VALU_DEP_4) | instskip(NEXT) | instid1(VALU_DEP_4)
	v_dot4_i32_iu8 v25, v24, v210, v27 neg_lo:[1,1,0]
	v_dot4_i32_iu8 v27, v24, v214, v28 neg_lo:[1,1,0]
	s_delay_alu instid0(VALU_DEP_4) | instskip(NEXT) | instid1(VALU_DEP_4)
	v_dot4_i32_iu8 v28, v24, v218, v29 neg_lo:[1,1,0]
	v_dot4_i32_iu8 v23, v24, v222, v23 neg_lo:[1,1,0]
	s_delay_alu instid0(VALU_DEP_4) | instskip(NEXT) | instid1(VALU_DEP_4)
	v_dot4_i32_iu8 v197, v26, v208, v25 neg_lo:[1,1,0]
	v_dot4_i32_iu8 v196, v26, v212, v27 neg_lo:[1,1,0]
	s_delay_alu instid0(VALU_DEP_4) | instskip(NEXT) | instid1(VALU_DEP_4)
	v_dot4_i32_iu8 v195, v26, v216, v28 neg_lo:[1,1,0]
	;; [unrolled: 24-line block ×5, first 2 shown]
	v_dot4_i32_iu8 v31, v26, v220, v23 neg_lo:[1,1,0]
	ds_load_b128 v[23:26], v192 offset:33312
	s_waitcnt lgkmcnt(0)
	v_dot4_i32_iu8 v27, v25, v207, 0 neg_lo:[1,1,0]
	v_dot4_i32_iu8 v28, v25, v211, 0 neg_lo:[1,1,0]
	;; [unrolled: 1-line block ×4, first 2 shown]
	s_delay_alu instid0(VALU_DEP_4) | instskip(NEXT) | instid1(VALU_DEP_4)
	v_dot4_i32_iu8 v27, v23, v209, v27 neg_lo:[1,1,0]
	v_dot4_i32_iu8 v28, v23, v213, v28 neg_lo:[1,1,0]
	s_delay_alu instid0(VALU_DEP_4) | instskip(NEXT) | instid1(VALU_DEP_4)
	v_dot4_i32_iu8 v29, v23, v217, v29 neg_lo:[1,1,0]
	v_dot4_i32_iu8 v23, v23, v221, v25 neg_lo:[1,1,0]
	;; [unrolled: 3-line block ×4, first 2 shown]
	v_dot4_i32_iu8 v24, v205, v211, 0 neg_lo:[1,1,0]
	v_dot4_i32_iu8 v30, v26, v208, v25 neg_lo:[1,1,0]
	;; [unrolled: 1-line block ×9, first 2 shown]
	s_delay_alu instid0(VALU_DEP_4) | instskip(NEXT) | instid1(VALU_DEP_4)
	v_dot4_i32_iu8 v23, v203, v209, v23 neg_lo:[1,1,0]
	v_dot4_i32_iu8 v24, v204, v214, v24 neg_lo:[1,1,0]
	s_delay_alu instid0(VALU_DEP_4) | instskip(SKIP_1) | instid1(VALU_DEP_4)
	v_dot4_i32_iu8 v207, v204, v218, v25 neg_lo:[1,1,0]
	v_dot4_i32_iu8 v25, v205, v219, 0 neg_lo:[1,1,0]
	;; [unrolled: 1-line block ×3, first 2 shown]
	s_delay_alu instid0(VALU_DEP_2) | instskip(NEXT) | instid1(VALU_DEP_2)
	v_dot4_i32_iu8 v25, v203, v221, v25 neg_lo:[1,1,0]
	v_dot4_i32_iu8 v26, v206, v208, v23 neg_lo:[1,1,0]
	s_delay_alu instid0(VALU_DEP_2) | instskip(SKIP_2) | instid1(VALU_DEP_3)
	v_dot4_i32_iu8 v203, v204, v222, v25 neg_lo:[1,1,0]
	v_dot4_i32_iu8 v25, v206, v212, v24 neg_lo:[1,1,0]
	;; [unrolled: 1-line block ×4, first 2 shown]
	ds_load_2addr_b32 v[235:236], v138 offset0:6 offset1:7
	ds_load_b128 v[203:206], v174 offset:33296
	ds_load_2addr_b32 v[239:240], v175 offset0:6 offset1:7
	ds_load_2addr_b32 v[245:246], v176 offset0:4 offset1:5
	;; [unrolled: 1-line block ×7, first 2 shown]
	ds_load_b128 v[231:234], v202 offset:33296
	s_waitcnt lgkmcnt(8)
	v_dot4_i32_iu8 v207, v235, v205, 0 neg_lo:[1,1,0]
	s_waitcnt lgkmcnt(7)
	v_dot4_i32_iu8 v208, v239, v205, 0 neg_lo:[1,1,0]
	;; [unrolled: 2-line block ×6, first 2 shown]
	v_dot4_i32_iu8 v209, v245, v203, v209 neg_lo:[1,1,0]
	v_dot4_i32_iu8 v203, v249, v203, v205 neg_lo:[1,1,0]
	;; [unrolled: 1-line block ×3, first 2 shown]
	s_delay_alu instid0(VALU_DEP_4) | instskip(NEXT) | instid1(VALU_DEP_4)
	v_dot4_i32_iu8 v207, v242, v204, v208 neg_lo:[1,1,0]
	v_dot4_i32_iu8 v208, v246, v204, v209 neg_lo:[1,1,0]
	s_delay_alu instid0(VALU_DEP_4) | instskip(NEXT) | instid1(VALU_DEP_4)
	v_dot4_i32_iu8 v203, v250, v204, v203 neg_lo:[1,1,0]
	v_dot4_i32_iu8 v255, v236, v206, v205 neg_lo:[1,1,0]
	;; [unrolled: 3-line block ×3, first 2 shown]
	s_delay_alu instid0(VALU_DEP_4)
	v_dot4_i32_iu8 v59, v248, v206, v203 neg_lo:[1,1,0]
	ds_load_b128 v[203:206], v178 offset:33296
	s_waitcnt lgkmcnt(0)
	v_dot4_i32_iu8 v207, v205, v235, 0 neg_lo:[1,1,0]
	v_dot4_i32_iu8 v208, v205, v239, 0 neg_lo:[1,1,0]
	v_dot4_i32_iu8 v209, v205, v243, 0 neg_lo:[1,1,0]
	v_dot4_i32_iu8 v205, v205, v247, 0 neg_lo:[1,1,0]
	s_delay_alu instid0(VALU_DEP_4) | instskip(NEXT) | instid1(VALU_DEP_4)
	v_dot4_i32_iu8 v207, v203, v237, v207 neg_lo:[1,1,0]
	v_dot4_i32_iu8 v208, v203, v241, v208 neg_lo:[1,1,0]
	s_delay_alu instid0(VALU_DEP_4) | instskip(NEXT) | instid1(VALU_DEP_4)
	v_dot4_i32_iu8 v209, v203, v245, v209 neg_lo:[1,1,0]
	v_dot4_i32_iu8 v203, v203, v249, v205 neg_lo:[1,1,0]
	s_delay_alu instid0(VALU_DEP_4) | instskip(NEXT) | instid1(VALU_DEP_4)
	v_dot4_i32_iu8 v205, v204, v238, v207 neg_lo:[1,1,0]
	v_dot4_i32_iu8 v207, v204, v242, v208 neg_lo:[1,1,0]
	s_delay_alu instid0(VALU_DEP_4) | instskip(NEXT) | instid1(VALU_DEP_4)
	v_dot4_i32_iu8 v208, v204, v246, v209 neg_lo:[1,1,0]
	v_dot4_i32_iu8 v203, v204, v250, v203 neg_lo:[1,1,0]
	s_delay_alu instid0(VALU_DEP_4) | instskip(NEXT) | instid1(VALU_DEP_4)
	v_dot4_i32_iu8 v230, v206, v236, v205 neg_lo:[1,1,0]
	v_dot4_i32_iu8 v229, v206, v240, v207 neg_lo:[1,1,0]
	s_delay_alu instid0(VALU_DEP_4) | instskip(NEXT) | instid1(VALU_DEP_4)
	v_dot4_i32_iu8 v228, v206, v244, v208 neg_lo:[1,1,0]
	v_dot4_i32_iu8 v227, v206, v248, v203 neg_lo:[1,1,0]
	ds_load_b128 v[203:206], v179 offset:33296
	s_waitcnt lgkmcnt(0)
	v_dot4_i32_iu8 v207, v205, v235, 0 neg_lo:[1,1,0]
	v_dot4_i32_iu8 v208, v205, v239, 0 neg_lo:[1,1,0]
	v_dot4_i32_iu8 v209, v205, v243, 0 neg_lo:[1,1,0]
	v_dot4_i32_iu8 v205, v205, v247, 0 neg_lo:[1,1,0]
	s_delay_alu instid0(VALU_DEP_4) | instskip(NEXT) | instid1(VALU_DEP_4)
	v_dot4_i32_iu8 v207, v203, v237, v207 neg_lo:[1,1,0]
	v_dot4_i32_iu8 v208, v203, v241, v208 neg_lo:[1,1,0]
	s_delay_alu instid0(VALU_DEP_4) | instskip(NEXT) | instid1(VALU_DEP_4)
	v_dot4_i32_iu8 v209, v203, v245, v209 neg_lo:[1,1,0]
	v_dot4_i32_iu8 v203, v203, v249, v205 neg_lo:[1,1,0]
	s_delay_alu instid0(VALU_DEP_4) | instskip(NEXT) | instid1(VALU_DEP_4)
	v_dot4_i32_iu8 v205, v204, v238, v207 neg_lo:[1,1,0]
	v_dot4_i32_iu8 v207, v204, v242, v208 neg_lo:[1,1,0]
	s_delay_alu instid0(VALU_DEP_4) | instskip(NEXT) | instid1(VALU_DEP_4)
	v_dot4_i32_iu8 v208, v204, v246, v209 neg_lo:[1,1,0]
	v_dot4_i32_iu8 v203, v204, v250, v203 neg_lo:[1,1,0]
	s_delay_alu instid0(VALU_DEP_4) | instskip(NEXT) | instid1(VALU_DEP_4)
	v_dot4_i32_iu8 v226, v206, v236, v205 neg_lo:[1,1,0]
	v_dot4_i32_iu8 v225, v206, v240, v207 neg_lo:[1,1,0]
	s_delay_alu instid0(VALU_DEP_4) | instskip(NEXT) | instid1(VALU_DEP_4)
	v_dot4_i32_iu8 v224, v206, v244, v208 neg_lo:[1,1,0]
	;; [unrolled: 24-line block ×5, first 2 shown]
	v_dot4_i32_iu8 v211, v206, v248, v203 neg_lo:[1,1,0]
	ds_load_b128 v[203:206], v192 offset:33296
	s_waitcnt lgkmcnt(0)
	v_dot4_i32_iu8 v207, v205, v235, 0 neg_lo:[1,1,0]
	v_dot4_i32_iu8 v208, v205, v239, 0 neg_lo:[1,1,0]
	;; [unrolled: 1-line block ×4, first 2 shown]
	s_delay_alu instid0(VALU_DEP_4) | instskip(NEXT) | instid1(VALU_DEP_4)
	v_dot4_i32_iu8 v207, v203, v237, v207 neg_lo:[1,1,0]
	v_dot4_i32_iu8 v208, v203, v241, v208 neg_lo:[1,1,0]
	s_delay_alu instid0(VALU_DEP_4) | instskip(NEXT) | instid1(VALU_DEP_4)
	v_dot4_i32_iu8 v209, v203, v245, v209 neg_lo:[1,1,0]
	v_dot4_i32_iu8 v203, v203, v249, v205 neg_lo:[1,1,0]
	;; [unrolled: 3-line block ×4, first 2 shown]
	v_dot4_i32_iu8 v204, v233, v239, 0 neg_lo:[1,1,0]
	v_dot4_i32_iu8 v210, v206, v236, v205 neg_lo:[1,1,0]
	;; [unrolled: 1-line block ×9, first 2 shown]
	s_delay_alu instid0(VALU_DEP_4) | instskip(NEXT) | instid1(VALU_DEP_4)
	v_dot4_i32_iu8 v203, v231, v237, v203 neg_lo:[1,1,0]
	v_dot4_i32_iu8 v204, v232, v242, v204 neg_lo:[1,1,0]
	s_delay_alu instid0(VALU_DEP_4) | instskip(SKIP_1) | instid1(VALU_DEP_4)
	v_dot4_i32_iu8 v235, v232, v246, v205 neg_lo:[1,1,0]
	v_dot4_i32_iu8 v205, v233, v247, 0 neg_lo:[1,1,0]
	;; [unrolled: 1-line block ×3, first 2 shown]
	s_delay_alu instid0(VALU_DEP_2) | instskip(NEXT) | instid1(VALU_DEP_2)
	v_dot4_i32_iu8 v205, v231, v249, v205 neg_lo:[1,1,0]
	v_dot4_i32_iu8 v206, v234, v236, v203 neg_lo:[1,1,0]
	s_delay_alu instid0(VALU_DEP_2) | instskip(SKIP_2) | instid1(VALU_DEP_3)
	v_dot4_i32_iu8 v231, v232, v250, v205 neg_lo:[1,1,0]
	v_dot4_i32_iu8 v205, v234, v240, v204 neg_lo:[1,1,0]
	;; [unrolled: 1-line block ×4, first 2 shown]
	ds_load_2addr_b32 v[235:236], v138 offset0:2 offset1:3
	ds_load_2addr_b32 v[237:238], v138 offset1:1
	ds_load_b128 v[231:234], v174 offset:33280
	ds_load_2addr_b32 v[239:240], v175 offset0:2 offset1:3
	ds_load_2addr_b32 v[241:242], v175 offset1:1
	ds_load_2addr_b32 v[243:244], v176 offset0:2 offset1:3
	ds_load_2addr_b32 v[245:246], v176 offset1:1
	;; [unrolled: 2-line block ×3, first 2 shown]
	s_waitcnt lgkmcnt(6)
	v_dot4_i32_iu8 v138, v235, v233, 0 neg_lo:[1,1,0]
	s_waitcnt lgkmcnt(5)
	v_dot4_i32_iu8 v174, v239, v233, 0 neg_lo:[1,1,0]
	;; [unrolled: 2-line block ×4, first 2 shown]
	v_dot4_i32_iu8 v138, v237, v231, v138 neg_lo:[1,1,0]
	v_dot4_i32_iu8 v174, v241, v231, v174 neg_lo:[1,1,0]
	;; [unrolled: 1-line block ×3, first 2 shown]
	s_waitcnt lgkmcnt(0)
	v_dot4_i32_iu8 v176, v249, v231, v176 neg_lo:[1,1,0]
	v_dot4_i32_iu8 v138, v238, v232, v138 neg_lo:[1,1,0]
	;; [unrolled: 1-line block ×4, first 2 shown]
	s_delay_alu instid0(VALU_DEP_4) | instskip(NEXT) | instid1(VALU_DEP_4)
	v_dot4_i32_iu8 v176, v250, v232, v176 neg_lo:[1,1,0]
	v_dot4_i32_iu8 v231, v236, v234, v138 neg_lo:[1,1,0]
	s_delay_alu instid0(VALU_DEP_4) | instskip(NEXT) | instid1(VALU_DEP_4)
	v_dot4_i32_iu8 v232, v240, v234, v174 neg_lo:[1,1,0]
	v_dot4_i32_iu8 v233, v244, v234, v175 neg_lo:[1,1,0]
	s_delay_alu instid0(VALU_DEP_4)
	v_dot4_i32_iu8 v234, v248, v234, v176 neg_lo:[1,1,0]
	ds_load_b128 v[174:177], v178 offset:33280
	s_waitcnt lgkmcnt(0)
	v_dot4_i32_iu8 v138, v176, v235, 0 neg_lo:[1,1,0]
	v_dot4_i32_iu8 v178, v176, v239, 0 neg_lo:[1,1,0]
	v_dot4_i32_iu8 v60, v176, v243, 0 neg_lo:[1,1,0]
	v_dot4_i32_iu8 v176, v176, v247, 0 neg_lo:[1,1,0]
	s_delay_alu instid0(VALU_DEP_4) | instskip(NEXT) | instid1(VALU_DEP_4)
	v_dot4_i32_iu8 v138, v174, v237, v138 neg_lo:[1,1,0]
	v_dot4_i32_iu8 v178, v174, v241, v178 neg_lo:[1,1,0]
	s_delay_alu instid0(VALU_DEP_4) | instskip(NEXT) | instid1(VALU_DEP_4)
	v_dot4_i32_iu8 v60, v174, v245, v60 neg_lo:[1,1,0]
	v_dot4_i32_iu8 v174, v174, v249, v176 neg_lo:[1,1,0]
	s_delay_alu instid0(VALU_DEP_4) | instskip(NEXT) | instid1(VALU_DEP_4)
	v_dot4_i32_iu8 v138, v175, v238, v138 neg_lo:[1,1,0]
	v_dot4_i32_iu8 v176, v175, v242, v178 neg_lo:[1,1,0]
	s_delay_alu instid0(VALU_DEP_4) | instskip(NEXT) | instid1(VALU_DEP_4)
	v_dot4_i32_iu8 v60, v175, v246, v60 neg_lo:[1,1,0]
	v_dot4_i32_iu8 v174, v175, v250, v174 neg_lo:[1,1,0]
	s_delay_alu instid0(VALU_DEP_4) | instskip(NEXT) | instid1(VALU_DEP_4)
	v_dot4_i32_iu8 v62, v177, v236, v138 neg_lo:[1,1,0]
	v_dot4_i32_iu8 v63, v177, v240, v176 neg_lo:[1,1,0]
	s_delay_alu instid0(VALU_DEP_4) | instskip(NEXT) | instid1(VALU_DEP_4)
	v_dot4_i32_iu8 v60, v177, v244, v60 neg_lo:[1,1,0]
	v_dot4_i32_iu8 v64, v177, v248, v174 neg_lo:[1,1,0]
	ds_load_b128 v[174:177], v179 offset:33280
	s_waitcnt lgkmcnt(0)
	v_dot4_i32_iu8 v138, v176, v235, 0 neg_lo:[1,1,0]
	v_dot4_i32_iu8 v178, v176, v239, 0 neg_lo:[1,1,0]
	v_dot4_i32_iu8 v179, v176, v243, 0 neg_lo:[1,1,0]
	v_dot4_i32_iu8 v176, v176, v247, 0 neg_lo:[1,1,0]
	s_delay_alu instid0(VALU_DEP_4) | instskip(NEXT) | instid1(VALU_DEP_4)
	v_dot4_i32_iu8 v138, v174, v237, v138 neg_lo:[1,1,0]
	v_dot4_i32_iu8 v178, v174, v241, v178 neg_lo:[1,1,0]
	s_delay_alu instid0(VALU_DEP_4) | instskip(NEXT) | instid1(VALU_DEP_4)
	v_dot4_i32_iu8 v179, v174, v245, v179 neg_lo:[1,1,0]
	v_dot4_i32_iu8 v174, v174, v249, v176 neg_lo:[1,1,0]
	s_delay_alu instid0(VALU_DEP_4) | instskip(NEXT) | instid1(VALU_DEP_4)
	v_dot4_i32_iu8 v138, v175, v238, v138 neg_lo:[1,1,0]
	v_dot4_i32_iu8 v176, v175, v242, v178 neg_lo:[1,1,0]
	s_delay_alu instid0(VALU_DEP_4) | instskip(NEXT) | instid1(VALU_DEP_4)
	v_dot4_i32_iu8 v178, v175, v246, v179 neg_lo:[1,1,0]
	v_dot4_i32_iu8 v174, v175, v250, v174 neg_lo:[1,1,0]
	s_delay_alu instid0(VALU_DEP_4) | instskip(NEXT) | instid1(VALU_DEP_4)
	v_dot4_i32_iu8 v66, v177, v236, v138 neg_lo:[1,1,0]
	v_dot4_i32_iu8 v67, v177, v240, v176 neg_lo:[1,1,0]
	s_delay_alu instid0(VALU_DEP_4) | instskip(NEXT) | instid1(VALU_DEP_4)
	v_dot4_i32_iu8 v68, v177, v244, v178 neg_lo:[1,1,0]
	;; [unrolled: 24-line block ×6, first 2 shown]
	v_dot4_i32_iu8 v131, v177, v248, v174 neg_lo:[1,1,0]
	ds_load_b128 v[174:177], v202 offset:33280
	s_waitcnt lgkmcnt(0)
	v_dot4_i32_iu8 v138, v176, v235, 0 neg_lo:[1,1,0]
	v_dot4_i32_iu8 v178, v176, v239, 0 neg_lo:[1,1,0]
	;; [unrolled: 1-line block ×4, first 2 shown]
	s_delay_alu instid0(VALU_DEP_4) | instskip(NEXT) | instid1(VALU_DEP_4)
	v_dot4_i32_iu8 v138, v174, v237, v138 neg_lo:[1,1,0]
	v_dot4_i32_iu8 v178, v174, v241, v178 neg_lo:[1,1,0]
	s_delay_alu instid0(VALU_DEP_4) | instskip(NEXT) | instid1(VALU_DEP_4)
	v_dot4_i32_iu8 v179, v174, v245, v179 neg_lo:[1,1,0]
	v_dot4_i32_iu8 v174, v174, v249, v176 neg_lo:[1,1,0]
	;; [unrolled: 3-line block ×4, first 2 shown]
	s_delay_alu instid0(VALU_DEP_4) | instskip(SKIP_2) | instid1(VALU_DEP_4)
	v_dot4_i32_iu8 v202, v177, v236, v138 neg_lo:[1,1,0]
	v_add_nc_u32_e32 v138, s16, v122
	v_dot4_i32_iu8 v235, v177, v240, v178 neg_lo:[1,1,0]
	v_dot4_i32_iu8 v237, v177, v248, v174 neg_lo:[1,1,0]
	;; [unrolled: 1-line block ×3, first 2 shown]
	ds_load_b32 v176, v138
	s_waitcnt lgkmcnt(0)
	v_bfe_i32 v238, v176, 8, 8
	v_bfe_i32 v239, v176, 0, 8
	;; [unrolled: 1-line block ×3, first 2 shown]
	s_delay_alu instid0(VALU_DEP_3) | instskip(NEXT) | instid1(VALU_DEP_1)
	v_mul_lo_u32 v138, v255, v238
	v_mad_u64_u32 v[174:175], null, v231, v239, v[138:139]
	v_ashrrev_i32_e32 v231, 24, v176
	s_delay_alu instid0(VALU_DEP_1) | instskip(SKIP_1) | instid1(VALU_DEP_2)
	v_mul_lo_u32 v138, v169, v231
	v_mul_lo_u32 v19, v19, v231
	v_mad_u64_u32 v[175:176], null, v251, v240, v[138:139]
	v_add_nc_u32_e32 v138, s16, v124
	ds_load_b32 v169, v138
	s_waitcnt lgkmcnt(0)
	v_bfe_i32 v241, v169, 8, 8
	v_bfe_i32 v242, v169, 0, 8
	s_delay_alu instid0(VALU_DEP_2) | instskip(SKIP_2) | instid1(VALU_DEP_3)
	v_mul_lo_u32 v138, v42, v241
	v_ashrrev_i32_e32 v42, 24, v169
	v_bfe_i32 v169, v169, 16, 8
	v_mad_u64_u32 v[176:177], null, v232, v242, v[138:139]
	s_delay_alu instid0(VALU_DEP_3) | instskip(NEXT) | instid1(VALU_DEP_1)
	v_mul_lo_u32 v138, v165, v42
	v_mad_u64_u32 v[177:178], null, v252, v169, v[138:139]
	v_add_nc_u32_e32 v138, s16, v126
	ds_load_b32 v165, v138
	s_waitcnt lgkmcnt(0)
	v_bfe_i32 v232, v165, 8, 8
	v_bfe_i32 v243, v165, 0, 8
	s_delay_alu instid0(VALU_DEP_2) | instskip(SKIP_2) | instid1(VALU_DEP_3)
	v_mul_lo_u32 v138, v55, v232
	v_ashrrev_i32_e32 v55, 24, v165
	v_bfe_i32 v165, v165, 16, 8
	v_mad_u64_u32 v[178:179], null, v233, v243, v[138:139]
	s_delay_alu instid0(VALU_DEP_3) | instskip(NEXT) | instid1(VALU_DEP_1)
	v_mul_lo_u32 v138, v162, v55
	v_mad_u64_u32 v[179:180], null, v253, v165, v[138:139]
	v_add_nc_u32_e32 v138, s16, v128
	ds_load_b32 v162, v138
	s_waitcnt lgkmcnt(0)
	v_bfe_i32 v233, v162, 8, 8
	v_bfe_i32 v244, v162, 0, 8
	s_delay_alu instid0(VALU_DEP_2) | instskip(SKIP_1) | instid1(VALU_DEP_2)
	v_mul_lo_u32 v138, v59, v233
	v_ashrrev_i32_e32 v59, 24, v162
	v_mad_u64_u32 v[180:181], null, v234, v244, v[138:139]
	s_delay_alu instid0(VALU_DEP_2) | instskip(SKIP_1) | instid1(VALU_DEP_1)
	v_mul_lo_u32 v138, v161, v59
	v_bfe_i32 v181, v162, 16, 8
	v_mad_u64_u32 v[161:162], null, v254, v181, v[138:139]
	ds_load_b64 v[137:138], v137 offset:43584
	v_cvt_f32_i32_e32 v162, v174
	v_cvt_f32_i32_e32 v174, v175
	;; [unrolled: 1-line block ×8, first 2 shown]
	s_waitcnt lgkmcnt(0)
	v_fma_f32 v180, v137, v162, 0
	v_fma_f32 v234, v137, v175, 0
	;; [unrolled: 1-line block ×4, first 2 shown]
	v_mul_lo_u32 v137, v230, v238
	v_fmac_f32_e32 v180, v138, v174
	v_fmac_f32_e32 v234, v138, v176
	;; [unrolled: 1-line block ×3, first 2 shown]
	s_delay_alu instid0(VALU_DEP_3) | instskip(NEXT) | instid1(VALU_DEP_3)
	v_dual_fmac_f32 v246, v138, v161 :: v_dual_fmac_f32 v45, v133, v180
	v_fmac_f32_e32 v89, v134, v234
	v_mad_u64_u32 v[161:162], null, v62, v239, v[137:138]
	v_mul_lo_u32 v137, v145, v231
	s_delay_alu instid0(VALU_DEP_4) | instskip(NEXT) | instid1(VALU_DEP_2)
	v_fmac_f32_e32 v83, v136, v246
	v_mad_u64_u32 v[174:175], null, v201, v240, v[137:138]
	v_mul_lo_u32 v137, v229, v241
	s_delay_alu instid0(VALU_DEP_2) | instskip(NEXT) | instid1(VALU_DEP_2)
	v_cvt_f32_i32_e32 v62, v174
	v_mad_u64_u32 v[175:176], null, v63, v242, v[137:138]
	v_mul_lo_u32 v137, v144, v42
	s_delay_alu instid0(VALU_DEP_2) | instskip(NEXT) | instid1(VALU_DEP_2)
	v_cvt_f32_i32_e32 v63, v175
	v_mad_u64_u32 v[144:145], null, v200, v169, v[137:138]
	v_mul_lo_u32 v137, v228, v232
	s_delay_alu instid0(VALU_DEP_1) | instskip(SKIP_2) | instid1(VALU_DEP_2)
	v_mad_u64_u32 v[176:177], null, v60, v243, v[137:138]
	v_mul_lo_u32 v137, v143, v55
	v_cvt_f32_i32_e32 v60, v161
	v_mad_u64_u32 v[177:178], null, v199, v165, v[137:138]
	v_mul_lo_u32 v137, v227, v233
	s_delay_alu instid0(VALU_DEP_1) | instskip(SKIP_3) | instid1(VALU_DEP_4)
	v_mad_u64_u32 v[178:179], null, v64, v244, v[137:138]
	v_mul_lo_u32 v137, v142, v59
	v_cvt_f32_i32_e32 v64, v144
	v_cvt_f32_i32_e32 v144, v177
	v_cvt_f32_i32_e32 v145, v178
	s_delay_alu instid0(VALU_DEP_4)
	v_mad_u64_u32 v[142:143], null, v198, v181, v[137:138]
	v_lshrrev_b32_e32 v137, 1, v139
	v_cvt_f32_i32_e32 v143, v176
	ds_load_b64 v[137:138], v137 offset:43584
	v_cvt_f32_i32_e32 v142, v142
	s_waitcnt lgkmcnt(0)
	v_fma_f32 v60, v137, v60, 0
	s_delay_alu instid0(VALU_DEP_1) | instskip(SKIP_2) | instid1(VALU_DEP_2)
	v_fmac_f32_e32 v60, v138, v62
	v_fma_f32 v62, v137, v63, 0
	v_fma_f32 v63, v137, v143, 0
	v_fmac_f32_e32 v62, v138, v64
	v_fma_f32 v64, v137, v145, 0
	v_mul_lo_u32 v137, v226, v238
	s_delay_alu instid0(VALU_DEP_4) | instskip(NEXT) | instid1(VALU_DEP_4)
	v_fmac_f32_e32 v63, v138, v144
	v_fmac_f32_e32 v77, v134, v62
	s_delay_alu instid0(VALU_DEP_2) | instskip(NEXT) | instid1(VALU_DEP_4)
	v_dual_fmac_f32 v64, v138, v142 :: v_dual_fmac_f32 v75, v135, v63
	v_mad_u64_u32 v[138:139], null, v66, v239, v[137:138]
	v_mul_lo_u32 v137, v150, v231
	s_delay_alu instid0(VALU_DEP_1) | instskip(SKIP_1) | instid1(VALU_DEP_2)
	v_mad_u64_u32 v[142:143], null, v197, v240, v[137:138]
	v_mul_lo_u32 v137, v225, v241
	v_cvt_f32_i32_e32 v66, v142
	s_delay_alu instid0(VALU_DEP_2) | instskip(SKIP_1) | instid1(VALU_DEP_2)
	v_mad_u64_u32 v[143:144], null, v67, v242, v[137:138]
	v_mul_lo_u32 v137, v149, v42
	v_cvt_f32_i32_e32 v67, v143
	s_delay_alu instid0(VALU_DEP_2) | instskip(SKIP_1) | instid1(VALU_DEP_1)
	v_mad_u64_u32 v[144:145], null, v196, v169, v[137:138]
	v_mul_lo_u32 v137, v224, v232
	v_mad_u64_u32 v[149:150], null, v68, v243, v[137:138]
	v_mul_lo_u32 v137, v148, v55
	s_delay_alu instid0(VALU_DEP_4) | instskip(NEXT) | instid1(VALU_DEP_3)
	v_cvt_f32_i32_e32 v68, v144
	v_cvt_f32_i32_e32 v139, v149
	s_delay_alu instid0(VALU_DEP_3) | instskip(SKIP_1) | instid1(VALU_DEP_2)
	v_mad_u64_u32 v[161:162], null, v195, v165, v[137:138]
	v_mul_lo_u32 v137, v223, v233
	v_cvt_f32_i32_e32 v142, v161
	s_delay_alu instid0(VALU_DEP_2) | instskip(SKIP_2) | instid1(VALU_DEP_3)
	v_mad_u64_u32 v[174:175], null, v51, v244, v[137:138]
	v_mul_lo_u32 v137, v147, v59
	v_cvt_f32_i32_e32 v51, v138
	v_cvt_f32_i32_e32 v143, v174
	s_delay_alu instid0(VALU_DEP_3)
	v_mad_u64_u32 v[147:148], null, v194, v181, v[137:138]
	v_lshrrev_b32_e32 v137, 1, v140
	ds_load_b64 v[137:138], v137 offset:43584
	v_cvt_f32_i32_e32 v144, v147
	s_waitcnt lgkmcnt(0)
	v_fma_f32 v51, v137, v51, 0
	s_delay_alu instid0(VALU_DEP_1) | instskip(SKIP_2) | instid1(VALU_DEP_3)
	v_fmac_f32_e32 v51, v138, v66
	v_fma_f32 v66, v137, v67, 0
	v_fma_f32 v67, v137, v139, 0
	v_fmac_f32_e32 v72, v133, v51
	s_delay_alu instid0(VALU_DEP_3) | instskip(SKIP_3) | instid1(VALU_DEP_4)
	v_fmac_f32_e32 v66, v138, v68
	v_fma_f32 v68, v137, v143, 0
	v_mul_lo_u32 v137, v222, v238
	v_fmac_f32_e32 v67, v138, v142
	v_fmac_f32_e32 v71, v134, v66
	s_delay_alu instid0(VALU_DEP_4) | instskip(NEXT) | instid1(VALU_DEP_3)
	v_fmac_f32_e32 v68, v138, v144
	v_fmac_f32_e32 v70, v135, v67
	v_mad_u64_u32 v[138:139], null, v73, v239, v[137:138]
	v_mul_lo_u32 v137, v155, v231
	s_delay_alu instid0(VALU_DEP_4) | instskip(NEXT) | instid1(VALU_DEP_3)
	v_fmac_f32_e32 v69, v136, v68
	v_cvt_f32_i32_e32 v73, v138
	s_delay_alu instid0(VALU_DEP_3) | instskip(SKIP_1) | instid1(VALU_DEP_1)
	v_mad_u64_u32 v[139:140], null, v193, v240, v[137:138]
	v_mul_lo_u32 v137, v221, v241
	v_mad_u64_u32 v[142:143], null, v76, v242, v[137:138]
	v_mul_lo_u32 v137, v154, v42
	s_delay_alu instid0(VALU_DEP_4) | instskip(NEXT) | instid1(VALU_DEP_2)
	v_cvt_f32_i32_e32 v76, v139
	v_mad_u64_u32 v[143:144], null, v191, v169, v[137:138]
	v_mul_lo_u32 v137, v220, v232
	s_delay_alu instid0(VALU_DEP_1) | instskip(SKIP_2) | instid1(VALU_DEP_3)
	v_mad_u64_u32 v[144:145], null, v78, v243, v[137:138]
	v_mul_lo_u32 v137, v153, v55
	v_cvt_f32_i32_e32 v78, v142
	v_cvt_f32_i32_e32 v139, v144
	s_delay_alu instid0(VALU_DEP_3) | instskip(SKIP_1) | instid1(VALU_DEP_2)
	v_mad_u64_u32 v[147:148], null, v190, v165, v[137:138]
	v_mul_lo_u32 v137, v219, v233
	v_cvt_f32_i32_e32 v140, v147
	s_delay_alu instid0(VALU_DEP_2) | instskip(SKIP_2) | instid1(VALU_DEP_3)
	v_mad_u64_u32 v[148:149], null, v80, v244, v[137:138]
	v_mul_lo_u32 v137, v152, v59
	v_cvt_f32_i32_e32 v80, v143
	v_cvt_f32_i32_e32 v142, v148
	s_delay_alu instid0(VALU_DEP_3)
	v_mad_u64_u32 v[149:150], null, v189, v181, v[137:138]
	v_lshrrev_b32_e32 v137, 1, v141
	ds_load_b64 v[137:138], v137 offset:43584
	v_cvt_f32_i32_e32 v143, v149
	s_waitcnt lgkmcnt(0)
	v_fma_f32 v73, v137, v73, 0
	s_delay_alu instid0(VALU_DEP_1) | instskip(SKIP_2) | instid1(VALU_DEP_2)
	v_fmac_f32_e32 v73, v138, v76
	v_fma_f32 v76, v137, v78, 0
	v_fma_f32 v78, v137, v139, 0
	v_dual_fmac_f32 v65, v133, v73 :: v_dual_fmac_f32 v76, v138, v80
	v_fma_f32 v80, v137, v142, 0
	v_mul_lo_u32 v137, v218, v238
	s_delay_alu instid0(VALU_DEP_4) | instskip(NEXT) | instid1(VALU_DEP_4)
	v_fmac_f32_e32 v78, v138, v140
	v_fmac_f32_e32 v61, v134, v76
	s_delay_alu instid0(VALU_DEP_4) | instskip(NEXT) | instid1(VALU_DEP_4)
	v_fmac_f32_e32 v80, v138, v143
	v_mad_u64_u32 v[138:139], null, v82, v239, v[137:138]
	v_mul_lo_u32 v137, v160, v231
	s_delay_alu instid0(VALU_DEP_2) | instskip(NEXT) | instid1(VALU_DEP_2)
	v_cvt_f32_i32_e32 v82, v138
	v_mad_u64_u32 v[139:140], null, v188, v240, v[137:138]
	v_mul_lo_u32 v137, v217, v241
	s_delay_alu instid0(VALU_DEP_1) | instskip(SKIP_1) | instid1(VALU_DEP_4)
	v_mad_u64_u32 v[140:141], null, v84, v242, v[137:138]
	v_mul_lo_u32 v137, v159, v42
	v_cvt_f32_i32_e32 v84, v139
	s_delay_alu instid0(VALU_DEP_2) | instskip(SKIP_1) | instid1(VALU_DEP_1)
	v_mad_u64_u32 v[141:142], null, v187, v169, v[137:138]
	v_mul_lo_u32 v137, v216, v232
	v_mad_u64_u32 v[142:143], null, v85, v243, v[137:138]
	v_mul_lo_u32 v137, v158, v55
	v_cvt_f32_i32_e32 v85, v140
	s_delay_alu instid0(VALU_DEP_3) | instskip(NEXT) | instid1(VALU_DEP_3)
	v_cvt_f32_i32_e32 v139, v142
	v_mad_u64_u32 v[143:144], null, v186, v165, v[137:138]
	v_mul_lo_u32 v137, v215, v233
	s_delay_alu instid0(VALU_DEP_2) | instskip(NEXT) | instid1(VALU_DEP_2)
	v_cvt_f32_i32_e32 v140, v143
	v_mad_u64_u32 v[144:145], null, v87, v244, v[137:138]
	v_mul_lo_u32 v137, v157, v59
	v_cvt_f32_i32_e32 v87, v141
	s_delay_alu instid0(VALU_DEP_3) | instskip(NEXT) | instid1(VALU_DEP_3)
	v_cvt_f32_i32_e32 v141, v144
	v_mad_u64_u32 v[147:148], null, v185, v181, v[137:138]
	v_lshrrev_b32_e32 v137, 1, v146
	ds_load_b64 v[137:138], v137 offset:43584
	v_cvt_f32_i32_e32 v142, v147
	s_waitcnt lgkmcnt(0)
	v_fma_f32 v82, v137, v82, 0
	s_delay_alu instid0(VALU_DEP_1) | instskip(SKIP_2) | instid1(VALU_DEP_2)
	v_fmac_f32_e32 v82, v138, v84
	v_fma_f32 v84, v137, v85, 0
	v_fma_f32 v85, v137, v139, 0
	v_fmac_f32_e32 v84, v138, v87
	v_fma_f32 v87, v137, v141, 0
	v_mul_lo_u32 v137, v214, v238
	s_delay_alu instid0(VALU_DEP_4) | instskip(NEXT) | instid1(VALU_DEP_4)
	v_fmac_f32_e32 v85, v138, v140
	v_fmac_f32_e32 v50, v134, v84
	s_delay_alu instid0(VALU_DEP_4) | instskip(NEXT) | instid1(VALU_DEP_3)
	v_fmac_f32_e32 v87, v138, v142
	v_fmac_f32_e32 v49, v135, v85
	v_mad_u64_u32 v[138:139], null, v182, v239, v[137:138]
	v_mul_lo_u32 v137, v168, v231
	s_delay_alu instid0(VALU_DEP_4) | instskip(NEXT) | instid1(VALU_DEP_2)
	v_fmac_f32_e32 v48, v136, v87
	v_mad_u64_u32 v[139:140], null, v184, v240, v[137:138]
	v_mul_lo_u32 v137, v213, v241
	s_delay_alu instid0(VALU_DEP_1) | instskip(SKIP_2) | instid1(VALU_DEP_2)
	v_mad_u64_u32 v[140:141], null, v88, v242, v[137:138]
	v_mul_lo_u32 v137, v167, v42
	v_cvt_f32_i32_e32 v88, v138
	v_mad_u64_u32 v[141:142], null, v183, v169, v[137:138]
	v_mul_lo_u32 v137, v212, v232
	s_delay_alu instid0(VALU_DEP_1) | instskip(SKIP_2) | instid1(VALU_DEP_2)
	v_mad_u64_u32 v[142:143], null, v91, v243, v[137:138]
	v_mul_lo_u32 v137, v166, v55
	v_cvt_f32_i32_e32 v91, v139
	v_mad_u64_u32 v[143:144], null, v32, v165, v[137:138]
	v_mul_lo_u32 v32, v211, v233
	v_cvt_f32_i32_e32 v138, v142
	v_cvt_f32_i32_e32 v137, v141
	s_delay_alu instid0(VALU_DEP_4) | instskip(NEXT) | instid1(VALU_DEP_4)
	v_cvt_f32_i32_e32 v139, v143
	v_mad_u64_u32 v[144:145], null, v92, v244, v[32:33]
	v_mul_lo_u32 v32, v164, v59
	v_cvt_f32_i32_e32 v92, v140
	s_delay_alu instid0(VALU_DEP_3) | instskip(NEXT) | instid1(VALU_DEP_3)
	v_cvt_f32_i32_e32 v140, v144
	v_mad_u64_u32 v[145:146], null, v31, v181, v[32:33]
	v_lshrrev_b32_e32 v31, 1, v151
	ds_load_b64 v[31:32], v31 offset:43584
	v_cvt_f32_i32_e32 v141, v145
	s_waitcnt lgkmcnt(0)
	v_fma_f32 v88, v31, v88, 0
	v_fma_f32 v144, v31, v140, 0
	s_delay_alu instid0(VALU_DEP_2)
	v_fmac_f32_e32 v88, v32, v91
	v_fma_f32 v91, v31, v92, 0
	v_fma_f32 v92, v31, v138, 0
	v_mul_lo_u32 v31, v210, v238
	v_fmac_f32_e32 v144, v32, v141
	v_fmac_f32_e32 v86, v135, v245
	;; [unrolled: 1-line block ×3, first 2 shown]
	v_dual_fmac_f32 v92, v32, v139 :: v_dual_fmac_f32 v47, v133, v88
	s_delay_alu instid0(VALU_DEP_4) | instskip(SKIP_4) | instid1(VALU_DEP_3)
	v_fmac_f32_e32 v41, v136, v144
	v_mad_u64_u32 v[137:138], null, v192, v239, v[31:32]
	v_mul_lo_u32 v31, v173, v231
	v_fmac_f32_e32 v46, v134, v91
	v_fmac_f32_e32 v44, v135, v92
	v_mad_u64_u32 v[138:139], null, v30, v240, v[31:32]
	v_mul_lo_u32 v30, v209, v241
	s_delay_alu instid0(VALU_DEP_1) | instskip(SKIP_1) | instid1(VALU_DEP_4)
	v_mad_u64_u32 v[31:32], null, v93, v242, v[30:31]
	v_mul_lo_u32 v30, v172, v42
	v_cvt_f32_i32_e32 v32, v138
	s_delay_alu instid0(VALU_DEP_2) | instskip(SKIP_2) | instid1(VALU_DEP_3)
	v_mad_u64_u32 v[139:140], null, v29, v169, v[30:31]
	v_mul_lo_u32 v29, v208, v232
	v_cvt_f32_i32_e32 v31, v31
	v_cvt_f32_i32_e32 v93, v139
	s_delay_alu instid0(VALU_DEP_3) | instskip(SKIP_1) | instid1(VALU_DEP_2)
	v_mad_u64_u32 v[140:141], null, v130, v243, v[29:30]
	v_mul_lo_u32 v29, v171, v55
	v_cvt_f32_i32_e32 v130, v140
	s_delay_alu instid0(VALU_DEP_2) | instskip(SKIP_1) | instid1(VALU_DEP_1)
	v_mad_u64_u32 v[141:142], null, v28, v165, v[29:30]
	v_mul_lo_u32 v28, v207, v233
	v_mad_u64_u32 v[29:30], null, v131, v244, v[28:29]
	v_mul_lo_u32 v28, v170, v59
	v_cvt_f32_i32_e32 v30, v137
	v_cvt_f32_i32_e32 v131, v141
	s_delay_alu instid0(VALU_DEP_3)
	v_mad_u64_u32 v[142:143], null, v27, v181, v[28:29]
	v_lshrrev_b32_e32 v27, 1, v156
	v_cvt_f32_i32_e32 v29, v29
	ds_load_b64 v[27:28], v27 offset:43584
	v_cvt_f32_i32_e32 v137, v142
	s_waitcnt lgkmcnt(0)
	v_fma_f32 v139, v27, v31, 0
	v_fma_f32 v138, v27, v30, 0
	s_delay_alu instid0(VALU_DEP_2) | instskip(SKIP_3) | instid1(VALU_DEP_4)
	v_fmac_f32_e32 v139, v28, v93
	v_fma_f32 v93, v27, v130, 0
	v_fma_f32 v130, v27, v29, 0
	v_mul_lo_u32 v27, v206, v238
	v_dual_fmac_f32 v138, v28, v32 :: v_dual_fmac_f32 v39, v134, v139
	s_delay_alu instid0(VALU_DEP_4) | instskip(NEXT) | instid1(VALU_DEP_4)
	v_fmac_f32_e32 v93, v28, v131
	v_fmac_f32_e32 v130, v28, v137
	s_delay_alu instid0(VALU_DEP_3)
	v_fmac_f32_e32 v40, v133, v138
	v_mad_u64_u32 v[28:29], null, v202, v239, v[27:28]
	v_mad_u64_u32 v[29:30], null, v26, v240, v[19:20]
	v_mul_lo_u32 v19, v205, v241
	v_dual_fmac_f32 v38, v135, v93 :: v_dual_fmac_f32 v37, v136, v130
	v_fmac_f32_e32 v52, v133, v82
	s_delay_alu instid0(VALU_DEP_3) | instskip(SKIP_1) | instid1(VALU_DEP_1)
	v_mad_u64_u32 v[26:27], null, v235, v242, v[19:20]
	v_mul_lo_u32 v19, v20, v42
	v_mad_u64_u32 v[30:31], null, v25, v169, v[19:20]
	v_mul_lo_u32 v19, v204, v232
	s_delay_alu instid0(VALU_DEP_1) | instskip(SKIP_1) | instid1(VALU_DEP_2)
	v_mad_u64_u32 v[31:32], null, v236, v243, v[19:20]
	v_mul_lo_u32 v19, v21, v55
	v_cvt_f32_i32_e32 v27, v31
	s_delay_alu instid0(VALU_DEP_2) | instskip(SKIP_1) | instid1(VALU_DEP_1)
	v_mad_u64_u32 v[20:21], null, v24, v165, v[19:20]
	v_mul_lo_u32 v19, v203, v233
	v_mad_u64_u32 v[24:25], null, v237, v244, v[19:20]
	v_mul_lo_u32 v19, v22, v59
	v_cvt_f32_i32_e32 v25, v26
	v_cvt_f32_i32_e32 v26, v30
	s_delay_alu instid0(VALU_DEP_4) | instskip(NEXT) | instid1(VALU_DEP_4)
	v_cvt_f32_i32_e32 v24, v24
	v_mad_u64_u32 v[21:22], null, v23, v181, v[19:20]
	v_lshrrev_b32_e32 v19, 1, v163
	v_cvt_f32_i32_e32 v22, v28
	v_cvt_f32_i32_e32 v28, v20
	;; [unrolled: 1-line block ×3, first 2 shown]
	ds_load_b64 v[19:20], v19 offset:43584
	v_cvt_f32_i32_e32 v21, v21
	s_waitcnt lgkmcnt(0)
	v_fma_f32 v22, v19, v22, 0
	s_delay_alu instid0(VALU_DEP_1) | instskip(SKIP_3) | instid1(VALU_DEP_4)
	v_fmac_f32_e32 v22, v20, v23
	v_fma_f32 v23, v19, v25, 0
	v_fma_f32 v25, v19, v27, 0
	;; [unrolled: 1-line block ×3, first 2 shown]
	v_fmac_f32_e32 v36, v133, v22
	s_delay_alu instid0(VALU_DEP_4) | instskip(NEXT) | instid1(VALU_DEP_4)
	v_fmac_f32_e32 v23, v20, v26
	v_fmac_f32_e32 v25, v20, v28
	s_delay_alu instid0(VALU_DEP_4) | instskip(SKIP_1) | instid1(VALU_DEP_4)
	v_fmac_f32_e32 v19, v20, v21
	v_fmac_f32_e32 v79, v133, v60
	v_dual_fmac_f32 v74, v136, v64 :: v_dual_fmac_f32 v35, v134, v23
	s_delay_alu instid0(VALU_DEP_3)
	v_dual_fmac_f32 v58, v135, v78 :: v_dual_fmac_f32 v33, v136, v19
	v_fmac_f32_e32 v54, v136, v80
	v_fmac_f32_e32 v34, v135, v25
	s_cbranch_scc1 .LBB136_7
; %bb.8:                                ;   in Loop: Header=BB136_6 Depth=2
	s_mov_b32 s14, 1
	s_and_b32 vcc_lo, exec_lo, s1
	s_mov_b32 s1, 0
	s_barrier
	buffer_gl0_inv
	s_cbranch_vccz .LBB136_6
; %bb.9:                                ;   in Loop: Header=BB136_5 Depth=1
	s_add_i32 s5, s5, 1
	s_delay_alu instid0(SALU_CYCLE_1)
	s_cmp_eq_u32 s5, s4
	s_cbranch_scc0 .LBB136_5
; %bb.10:
	s_clause 0x1
	scratch_load_b32 v1, off, off offset:88
	scratch_load_b32 v2, off, off offset:92
	v_mov_b32_e32 v0, v43
.LBB136_11:
	s_mov_b32 s0, exec_lo
	s_waitcnt vmcnt(0)
	v_cmpx_gt_u32_e64 s6, v2
	s_cbranch_execz .LBB136_62
; %bb.12:
	v_add_nc_u32_e32 v0, s12, v0
	v_mul_lo_u32 v5, v2, s10
	s_delay_alu instid0(VALU_DEP_2)
	v_cmp_gt_u32_e32 vcc_lo, s10, v0
	s_and_saveexec_b32 s1, vcc_lo
	s_cbranch_execz .LBB136_14
; %bb.13:
	s_delay_alu instid0(VALU_DEP_2) | instskip(NEXT) | instid1(VALU_DEP_1)
	v_dual_mov_b32 v3, 0 :: v_dual_add_nc_u32 v2, v0, v5
	v_lshlrev_b64 v[2:3], 2, v[2:3]
	s_waitcnt lgkmcnt(0)
	s_delay_alu instid0(VALU_DEP_1) | instskip(NEXT) | instid1(VALU_DEP_1)
	v_add_co_u32 v2, s0, s8, v2
	v_add_co_ci_u32_e64 v3, s0, s9, v3, s0
	global_store_b32 v[2:3], v45, off
.LBB136_14:
	s_or_b32 exec_lo, exec_lo, s1
	v_add_nc_u32_e32 v2, 32, v0
	s_delay_alu instid0(VALU_DEP_1) | instskip(NEXT) | instid1(VALU_DEP_1)
	v_cmp_gt_u32_e64 s0, s10, v2
	s_and_saveexec_b32 s2, s0
	s_cbranch_execz .LBB136_16
; %bb.15:
	v_dual_mov_b32 v4, 0 :: v_dual_add_nc_u32 v3, v2, v5
	s_delay_alu instid0(VALU_DEP_1) | instskip(SKIP_1) | instid1(VALU_DEP_1)
	v_lshlrev_b64 v[3:4], 2, v[3:4]
	s_waitcnt lgkmcnt(0)
	v_add_co_u32 v3, s1, s8, v3
	s_delay_alu instid0(VALU_DEP_1)
	v_add_co_ci_u32_e64 v4, s1, s9, v4, s1
	global_store_b32 v[3:4], v89, off
.LBB136_16:
	s_or_b32 exec_lo, exec_lo, s2
	v_add_nc_u32_e32 v3, 64, v0
	s_delay_alu instid0(VALU_DEP_1) | instskip(NEXT) | instid1(VALU_DEP_1)
	v_cmp_gt_u32_e64 s1, s10, v3
	s_and_saveexec_b32 s3, s1
	s_cbranch_execz .LBB136_18
; %bb.17:
	v_dual_mov_b32 v7, 0 :: v_dual_add_nc_u32 v6, v3, v5
	s_delay_alu instid0(VALU_DEP_1) | instskip(SKIP_1) | instid1(VALU_DEP_1)
	v_lshlrev_b64 v[6:7], 2, v[6:7]
	s_waitcnt lgkmcnt(0)
	v_add_co_u32 v6, s2, s8, v6
	s_delay_alu instid0(VALU_DEP_1)
	v_add_co_ci_u32_e64 v7, s2, s9, v7, s2
	global_store_b32 v[6:7], v86, off
.LBB136_18:
	;; [unrolled: 16-line block ×3, first 2 shown]
	s_or_b32 exec_lo, exec_lo, s4
	v_add3_u32 v5, v1, s11, 8
	s_delay_alu instid0(VALU_DEP_1) | instskip(NEXT) | instid1(VALU_DEP_1)
	v_cmp_gt_u32_e64 s3, s6, v5
	s_and_b32 exec_lo, exec_lo, s3
	s_cbranch_execz .LBB136_62
; %bb.21:
	v_mul_lo_u32 v5, v5, s10
	s_and_saveexec_b32 s4, vcc_lo
	s_cbranch_execnz .LBB136_63
; %bb.22:
	s_or_b32 exec_lo, exec_lo, s4
	s_and_saveexec_b32 s4, s0
	s_cbranch_execnz .LBB136_64
.LBB136_23:
	s_or_b32 exec_lo, exec_lo, s4
	s_and_saveexec_b32 s4, s1
	s_cbranch_execnz .LBB136_65
.LBB136_24:
	s_or_b32 exec_lo, exec_lo, s4
	s_and_saveexec_b32 s4, s2
	s_cbranch_execz .LBB136_26
.LBB136_25:
	v_dual_mov_b32 v6, 0 :: v_dual_add_nc_u32 v5, v5, v4
	s_delay_alu instid0(VALU_DEP_1) | instskip(SKIP_1) | instid1(VALU_DEP_1)
	v_lshlrev_b64 v[5:6], 2, v[5:6]
	s_waitcnt lgkmcnt(0)
	v_add_co_u32 v5, s3, s8, v5
	s_delay_alu instid0(VALU_DEP_1)
	v_add_co_ci_u32_e64 v6, s3, s9, v6, s3
	global_store_b32 v[5:6], v74, off
.LBB136_26:
	s_or_b32 exec_lo, exec_lo, s4
	v_add3_u32 v5, v1, s11, 16
	s_delay_alu instid0(VALU_DEP_1) | instskip(NEXT) | instid1(VALU_DEP_1)
	v_cmp_gt_u32_e64 s3, s6, v5
	s_and_b32 exec_lo, exec_lo, s3
	s_cbranch_execz .LBB136_62
; %bb.27:
	v_mul_lo_u32 v5, v5, s10
	s_and_saveexec_b32 s4, vcc_lo
	s_cbranch_execnz .LBB136_66
; %bb.28:
	s_or_b32 exec_lo, exec_lo, s4
	s_and_saveexec_b32 s4, s0
	s_cbranch_execnz .LBB136_67
.LBB136_29:
	s_or_b32 exec_lo, exec_lo, s4
	s_and_saveexec_b32 s4, s1
	s_cbranch_execnz .LBB136_68
.LBB136_30:
	s_or_b32 exec_lo, exec_lo, s4
	s_and_saveexec_b32 s4, s2
	s_cbranch_execz .LBB136_32
.LBB136_31:
	v_dual_mov_b32 v6, 0 :: v_dual_add_nc_u32 v5, v5, v4
	s_delay_alu instid0(VALU_DEP_1) | instskip(SKIP_1) | instid1(VALU_DEP_1)
	v_lshlrev_b64 v[5:6], 2, v[5:6]
	s_waitcnt lgkmcnt(0)
	v_add_co_u32 v5, s3, s8, v5
	s_delay_alu instid0(VALU_DEP_1)
	v_add_co_ci_u32_e64 v6, s3, s9, v6, s3
	global_store_b32 v[5:6], v69, off
.LBB136_32:
	s_or_b32 exec_lo, exec_lo, s4
	v_add3_u32 v5, v1, s11, 24
	s_delay_alu instid0(VALU_DEP_1) | instskip(NEXT) | instid1(VALU_DEP_1)
	v_cmp_gt_u32_e64 s3, s6, v5
	s_and_b32 exec_lo, exec_lo, s3
	s_cbranch_execz .LBB136_62
; %bb.33:
	v_mul_lo_u32 v5, v5, s10
	s_and_saveexec_b32 s4, vcc_lo
	s_cbranch_execnz .LBB136_69
; %bb.34:
	s_or_b32 exec_lo, exec_lo, s4
	s_and_saveexec_b32 s4, s0
	s_cbranch_execnz .LBB136_70
.LBB136_35:
	s_or_b32 exec_lo, exec_lo, s4
	s_and_saveexec_b32 s4, s1
	s_cbranch_execnz .LBB136_71
.LBB136_36:
	s_or_b32 exec_lo, exec_lo, s4
	s_and_saveexec_b32 s4, s2
	s_cbranch_execz .LBB136_38
.LBB136_37:
	v_dual_mov_b32 v6, 0 :: v_dual_add_nc_u32 v5, v5, v4
	s_delay_alu instid0(VALU_DEP_1) | instskip(SKIP_1) | instid1(VALU_DEP_1)
	v_lshlrev_b64 v[5:6], 2, v[5:6]
	s_waitcnt lgkmcnt(0)
	v_add_co_u32 v5, s3, s8, v5
	s_delay_alu instid0(VALU_DEP_1)
	v_add_co_ci_u32_e64 v6, s3, s9, v6, s3
	global_store_b32 v[5:6], v54, off
.LBB136_38:
	s_or_b32 exec_lo, exec_lo, s4
	v_add3_u32 v5, v1, s11, 32
	s_delay_alu instid0(VALU_DEP_1) | instskip(NEXT) | instid1(VALU_DEP_1)
	v_cmp_gt_u32_e64 s3, s6, v5
	s_and_b32 exec_lo, exec_lo, s3
	s_cbranch_execz .LBB136_62
; %bb.39:
	v_mul_lo_u32 v5, v5, s10
	s_and_saveexec_b32 s4, vcc_lo
	s_cbranch_execnz .LBB136_72
; %bb.40:
	s_or_b32 exec_lo, exec_lo, s4
	s_and_saveexec_b32 s4, s0
	s_cbranch_execnz .LBB136_73
.LBB136_41:
	s_or_b32 exec_lo, exec_lo, s4
	s_and_saveexec_b32 s4, s1
	s_cbranch_execnz .LBB136_74
.LBB136_42:
	s_or_b32 exec_lo, exec_lo, s4
	s_and_saveexec_b32 s4, s2
	s_cbranch_execz .LBB136_44
.LBB136_43:
	v_dual_mov_b32 v6, 0 :: v_dual_add_nc_u32 v5, v5, v4
	s_delay_alu instid0(VALU_DEP_1) | instskip(SKIP_1) | instid1(VALU_DEP_1)
	v_lshlrev_b64 v[5:6], 2, v[5:6]
	s_waitcnt lgkmcnt(0)
	v_add_co_u32 v5, s3, s8, v5
	s_delay_alu instid0(VALU_DEP_1)
	v_add_co_ci_u32_e64 v6, s3, s9, v6, s3
	global_store_b32 v[5:6], v48, off
.LBB136_44:
	s_or_b32 exec_lo, exec_lo, s4
	v_add3_u32 v5, v1, s11, 40
	s_delay_alu instid0(VALU_DEP_1) | instskip(NEXT) | instid1(VALU_DEP_1)
	v_cmp_gt_u32_e64 s3, s6, v5
	s_and_b32 exec_lo, exec_lo, s3
	s_cbranch_execz .LBB136_62
; %bb.45:
	v_mul_lo_u32 v5, v5, s10
	s_and_saveexec_b32 s4, vcc_lo
	s_cbranch_execnz .LBB136_75
; %bb.46:
	s_or_b32 exec_lo, exec_lo, s4
	s_and_saveexec_b32 s4, s0
	s_cbranch_execnz .LBB136_76
.LBB136_47:
	s_or_b32 exec_lo, exec_lo, s4
	s_and_saveexec_b32 s4, s1
	s_cbranch_execnz .LBB136_77
.LBB136_48:
	s_or_b32 exec_lo, exec_lo, s4
	s_and_saveexec_b32 s4, s2
	s_cbranch_execz .LBB136_50
.LBB136_49:
	v_dual_mov_b32 v6, 0 :: v_dual_add_nc_u32 v5, v5, v4
	s_delay_alu instid0(VALU_DEP_1) | instskip(SKIP_1) | instid1(VALU_DEP_1)
	v_lshlrev_b64 v[5:6], 2, v[5:6]
	s_waitcnt lgkmcnt(0)
	v_add_co_u32 v5, s3, s8, v5
	s_delay_alu instid0(VALU_DEP_1)
	v_add_co_ci_u32_e64 v6, s3, s9, v6, s3
	global_store_b32 v[5:6], v41, off
.LBB136_50:
	s_or_b32 exec_lo, exec_lo, s4
	v_add3_u32 v5, v1, s11, 48
	s_delay_alu instid0(VALU_DEP_1) | instskip(NEXT) | instid1(VALU_DEP_1)
	v_cmp_gt_u32_e64 s3, s6, v5
	s_and_b32 exec_lo, exec_lo, s3
	s_cbranch_execz .LBB136_62
; %bb.51:
	v_mul_lo_u32 v5, v5, s10
	s_and_saveexec_b32 s4, vcc_lo
	s_cbranch_execnz .LBB136_78
; %bb.52:
	s_or_b32 exec_lo, exec_lo, s4
	s_and_saveexec_b32 s4, s0
	s_cbranch_execnz .LBB136_79
.LBB136_53:
	s_or_b32 exec_lo, exec_lo, s4
	s_and_saveexec_b32 s4, s1
	s_cbranch_execnz .LBB136_80
.LBB136_54:
	s_or_b32 exec_lo, exec_lo, s4
	s_and_saveexec_b32 s4, s2
	s_cbranch_execz .LBB136_56
.LBB136_55:
	v_dual_mov_b32 v6, 0 :: v_dual_add_nc_u32 v5, v5, v4
	s_delay_alu instid0(VALU_DEP_1) | instskip(SKIP_1) | instid1(VALU_DEP_1)
	v_lshlrev_b64 v[5:6], 2, v[5:6]
	s_waitcnt lgkmcnt(0)
	v_add_co_u32 v5, s3, s8, v5
	s_delay_alu instid0(VALU_DEP_1)
	v_add_co_ci_u32_e64 v6, s3, s9, v6, s3
	global_store_b32 v[5:6], v37, off
.LBB136_56:
	s_or_b32 exec_lo, exec_lo, s4
	v_add3_u32 v1, v1, s11, 56
	s_delay_alu instid0(VALU_DEP_1) | instskip(NEXT) | instid1(VALU_DEP_1)
	v_cmp_gt_u32_e64 s3, s6, v1
	s_and_b32 exec_lo, exec_lo, s3
	s_cbranch_execz .LBB136_62
; %bb.57:
	v_mul_lo_u32 v1, v1, s10
	s_and_saveexec_b32 s3, vcc_lo
	s_cbranch_execnz .LBB136_81
; %bb.58:
	s_or_b32 exec_lo, exec_lo, s3
	s_and_saveexec_b32 s3, s0
	s_cbranch_execnz .LBB136_82
.LBB136_59:
	s_or_b32 exec_lo, exec_lo, s3
	s_and_saveexec_b32 s0, s1
	s_cbranch_execnz .LBB136_83
.LBB136_60:
	s_or_b32 exec_lo, exec_lo, s0
	s_delay_alu instid0(SALU_CYCLE_1)
	s_and_b32 exec_lo, exec_lo, s2
	s_cbranch_execz .LBB136_62
.LBB136_61:
	v_dual_mov_b32 v1, 0 :: v_dual_add_nc_u32 v0, v1, v4
	s_delay_alu instid0(VALU_DEP_1) | instskip(SKIP_1) | instid1(VALU_DEP_1)
	v_lshlrev_b64 v[0:1], 2, v[0:1]
	s_waitcnt lgkmcnt(0)
	v_add_co_u32 v0, vcc_lo, s8, v0
	s_delay_alu instid0(VALU_DEP_2)
	v_add_co_ci_u32_e32 v1, vcc_lo, s9, v1, vcc_lo
	global_store_b32 v[0:1], v33, off
.LBB136_62:
	s_nop 0
	s_sendmsg sendmsg(MSG_DEALLOC_VGPRS)
	s_endpgm
.LBB136_63:
	s_delay_alu instid0(VALU_DEP_1) | instskip(NEXT) | instid1(VALU_DEP_1)
	v_dual_mov_b32 v7, 0 :: v_dual_add_nc_u32 v6, v5, v0
	v_lshlrev_b64 v[6:7], 2, v[6:7]
	s_waitcnt lgkmcnt(0)
	s_delay_alu instid0(VALU_DEP_1) | instskip(NEXT) | instid1(VALU_DEP_1)
	v_add_co_u32 v6, s3, s8, v6
	v_add_co_ci_u32_e64 v7, s3, s9, v7, s3
	global_store_b32 v[6:7], v79, off
	s_or_b32 exec_lo, exec_lo, s4
	s_and_saveexec_b32 s4, s0
	s_cbranch_execz .LBB136_23
.LBB136_64:
	s_delay_alu instid0(VALU_DEP_1) | instskip(NEXT) | instid1(VALU_DEP_1)
	v_dual_mov_b32 v7, 0 :: v_dual_add_nc_u32 v6, v5, v2
	v_lshlrev_b64 v[6:7], 2, v[6:7]
	s_waitcnt lgkmcnt(0)
	s_delay_alu instid0(VALU_DEP_1) | instskip(NEXT) | instid1(VALU_DEP_1)
	v_add_co_u32 v6, s3, s8, v6
	v_add_co_ci_u32_e64 v7, s3, s9, v7, s3
	global_store_b32 v[6:7], v77, off
	s_or_b32 exec_lo, exec_lo, s4
	s_and_saveexec_b32 s4, s1
	s_cbranch_execz .LBB136_24
.LBB136_65:
	v_dual_mov_b32 v7, 0 :: v_dual_add_nc_u32 v6, v5, v3
	s_delay_alu instid0(VALU_DEP_1) | instskip(SKIP_1) | instid1(VALU_DEP_1)
	v_lshlrev_b64 v[6:7], 2, v[6:7]
	s_waitcnt lgkmcnt(0)
	v_add_co_u32 v6, s3, s8, v6
	s_delay_alu instid0(VALU_DEP_1)
	v_add_co_ci_u32_e64 v7, s3, s9, v7, s3
	global_store_b32 v[6:7], v75, off
	s_or_b32 exec_lo, exec_lo, s4
	s_and_saveexec_b32 s4, s2
	s_cbranch_execnz .LBB136_25
	s_branch .LBB136_26
.LBB136_66:
	s_delay_alu instid0(VALU_DEP_1) | instskip(NEXT) | instid1(VALU_DEP_1)
	v_dual_mov_b32 v7, 0 :: v_dual_add_nc_u32 v6, v5, v0
	v_lshlrev_b64 v[6:7], 2, v[6:7]
	s_waitcnt lgkmcnt(0)
	s_delay_alu instid0(VALU_DEP_1) | instskip(NEXT) | instid1(VALU_DEP_1)
	v_add_co_u32 v6, s3, s8, v6
	v_add_co_ci_u32_e64 v7, s3, s9, v7, s3
	global_store_b32 v[6:7], v72, off
	s_or_b32 exec_lo, exec_lo, s4
	s_and_saveexec_b32 s4, s0
	s_cbranch_execz .LBB136_29
.LBB136_67:
	s_delay_alu instid0(VALU_DEP_1) | instskip(NEXT) | instid1(VALU_DEP_1)
	v_dual_mov_b32 v7, 0 :: v_dual_add_nc_u32 v6, v5, v2
	v_lshlrev_b64 v[6:7], 2, v[6:7]
	s_waitcnt lgkmcnt(0)
	s_delay_alu instid0(VALU_DEP_1) | instskip(NEXT) | instid1(VALU_DEP_1)
	v_add_co_u32 v6, s3, s8, v6
	v_add_co_ci_u32_e64 v7, s3, s9, v7, s3
	global_store_b32 v[6:7], v71, off
	s_or_b32 exec_lo, exec_lo, s4
	s_and_saveexec_b32 s4, s1
	s_cbranch_execz .LBB136_30
.LBB136_68:
	v_dual_mov_b32 v7, 0 :: v_dual_add_nc_u32 v6, v5, v3
	s_delay_alu instid0(VALU_DEP_1) | instskip(SKIP_1) | instid1(VALU_DEP_1)
	v_lshlrev_b64 v[6:7], 2, v[6:7]
	s_waitcnt lgkmcnt(0)
	v_add_co_u32 v6, s3, s8, v6
	s_delay_alu instid0(VALU_DEP_1)
	v_add_co_ci_u32_e64 v7, s3, s9, v7, s3
	global_store_b32 v[6:7], v70, off
	s_or_b32 exec_lo, exec_lo, s4
	s_and_saveexec_b32 s4, s2
	s_cbranch_execnz .LBB136_31
	s_branch .LBB136_32
.LBB136_69:
	s_delay_alu instid0(VALU_DEP_1) | instskip(NEXT) | instid1(VALU_DEP_1)
	v_dual_mov_b32 v7, 0 :: v_dual_add_nc_u32 v6, v5, v0
	v_lshlrev_b64 v[6:7], 2, v[6:7]
	s_waitcnt lgkmcnt(0)
	s_delay_alu instid0(VALU_DEP_1) | instskip(NEXT) | instid1(VALU_DEP_1)
	v_add_co_u32 v6, s3, s8, v6
	v_add_co_ci_u32_e64 v7, s3, s9, v7, s3
	global_store_b32 v[6:7], v65, off
	s_or_b32 exec_lo, exec_lo, s4
	s_and_saveexec_b32 s4, s0
	s_cbranch_execz .LBB136_35
.LBB136_70:
	s_delay_alu instid0(VALU_DEP_1) | instskip(NEXT) | instid1(VALU_DEP_1)
	v_dual_mov_b32 v7, 0 :: v_dual_add_nc_u32 v6, v5, v2
	v_lshlrev_b64 v[6:7], 2, v[6:7]
	s_waitcnt lgkmcnt(0)
	s_delay_alu instid0(VALU_DEP_1) | instskip(NEXT) | instid1(VALU_DEP_1)
	v_add_co_u32 v6, s3, s8, v6
	v_add_co_ci_u32_e64 v7, s3, s9, v7, s3
	global_store_b32 v[6:7], v61, off
	s_or_b32 exec_lo, exec_lo, s4
	s_and_saveexec_b32 s4, s1
	s_cbranch_execz .LBB136_36
.LBB136_71:
	v_dual_mov_b32 v7, 0 :: v_dual_add_nc_u32 v6, v5, v3
	s_delay_alu instid0(VALU_DEP_1) | instskip(SKIP_1) | instid1(VALU_DEP_1)
	v_lshlrev_b64 v[6:7], 2, v[6:7]
	s_waitcnt lgkmcnt(0)
	v_add_co_u32 v6, s3, s8, v6
	s_delay_alu instid0(VALU_DEP_1)
	v_add_co_ci_u32_e64 v7, s3, s9, v7, s3
	global_store_b32 v[6:7], v58, off
	s_or_b32 exec_lo, exec_lo, s4
	s_and_saveexec_b32 s4, s2
	s_cbranch_execnz .LBB136_37
	s_branch .LBB136_38
.LBB136_72:
	s_delay_alu instid0(VALU_DEP_1) | instskip(NEXT) | instid1(VALU_DEP_1)
	v_dual_mov_b32 v7, 0 :: v_dual_add_nc_u32 v6, v5, v0
	v_lshlrev_b64 v[6:7], 2, v[6:7]
	s_waitcnt lgkmcnt(0)
	s_delay_alu instid0(VALU_DEP_1) | instskip(NEXT) | instid1(VALU_DEP_1)
	v_add_co_u32 v6, s3, s8, v6
	v_add_co_ci_u32_e64 v7, s3, s9, v7, s3
	global_store_b32 v[6:7], v52, off
	s_or_b32 exec_lo, exec_lo, s4
	s_and_saveexec_b32 s4, s0
	s_cbranch_execz .LBB136_41
.LBB136_73:
	s_delay_alu instid0(VALU_DEP_1) | instskip(NEXT) | instid1(VALU_DEP_1)
	v_dual_mov_b32 v7, 0 :: v_dual_add_nc_u32 v6, v5, v2
	v_lshlrev_b64 v[6:7], 2, v[6:7]
	s_waitcnt lgkmcnt(0)
	s_delay_alu instid0(VALU_DEP_1) | instskip(NEXT) | instid1(VALU_DEP_1)
	v_add_co_u32 v6, s3, s8, v6
	v_add_co_ci_u32_e64 v7, s3, s9, v7, s3
	global_store_b32 v[6:7], v50, off
	s_or_b32 exec_lo, exec_lo, s4
	s_and_saveexec_b32 s4, s1
	s_cbranch_execz .LBB136_42
.LBB136_74:
	v_dual_mov_b32 v7, 0 :: v_dual_add_nc_u32 v6, v5, v3
	s_delay_alu instid0(VALU_DEP_1) | instskip(SKIP_1) | instid1(VALU_DEP_1)
	v_lshlrev_b64 v[6:7], 2, v[6:7]
	s_waitcnt lgkmcnt(0)
	v_add_co_u32 v6, s3, s8, v6
	s_delay_alu instid0(VALU_DEP_1)
	v_add_co_ci_u32_e64 v7, s3, s9, v7, s3
	global_store_b32 v[6:7], v49, off
	s_or_b32 exec_lo, exec_lo, s4
	s_and_saveexec_b32 s4, s2
	s_cbranch_execnz .LBB136_43
	s_branch .LBB136_44
.LBB136_75:
	s_delay_alu instid0(VALU_DEP_1) | instskip(NEXT) | instid1(VALU_DEP_1)
	v_dual_mov_b32 v7, 0 :: v_dual_add_nc_u32 v6, v5, v0
	v_lshlrev_b64 v[6:7], 2, v[6:7]
	s_waitcnt lgkmcnt(0)
	s_delay_alu instid0(VALU_DEP_1) | instskip(NEXT) | instid1(VALU_DEP_1)
	v_add_co_u32 v6, s3, s8, v6
	v_add_co_ci_u32_e64 v7, s3, s9, v7, s3
	global_store_b32 v[6:7], v47, off
	s_or_b32 exec_lo, exec_lo, s4
	s_and_saveexec_b32 s4, s0
	s_cbranch_execz .LBB136_47
.LBB136_76:
	s_delay_alu instid0(VALU_DEP_1) | instskip(NEXT) | instid1(VALU_DEP_1)
	v_dual_mov_b32 v7, 0 :: v_dual_add_nc_u32 v6, v5, v2
	v_lshlrev_b64 v[6:7], 2, v[6:7]
	s_waitcnt lgkmcnt(0)
	s_delay_alu instid0(VALU_DEP_1) | instskip(NEXT) | instid1(VALU_DEP_1)
	v_add_co_u32 v6, s3, s8, v6
	v_add_co_ci_u32_e64 v7, s3, s9, v7, s3
	global_store_b32 v[6:7], v46, off
	s_or_b32 exec_lo, exec_lo, s4
	s_and_saveexec_b32 s4, s1
	s_cbranch_execz .LBB136_48
.LBB136_77:
	v_dual_mov_b32 v7, 0 :: v_dual_add_nc_u32 v6, v5, v3
	s_delay_alu instid0(VALU_DEP_1) | instskip(SKIP_1) | instid1(VALU_DEP_1)
	v_lshlrev_b64 v[6:7], 2, v[6:7]
	s_waitcnt lgkmcnt(0)
	v_add_co_u32 v6, s3, s8, v6
	s_delay_alu instid0(VALU_DEP_1)
	v_add_co_ci_u32_e64 v7, s3, s9, v7, s3
	global_store_b32 v[6:7], v44, off
	s_or_b32 exec_lo, exec_lo, s4
	s_and_saveexec_b32 s4, s2
	s_cbranch_execnz .LBB136_49
	s_branch .LBB136_50
.LBB136_78:
	s_delay_alu instid0(VALU_DEP_1) | instskip(NEXT) | instid1(VALU_DEP_1)
	v_dual_mov_b32 v7, 0 :: v_dual_add_nc_u32 v6, v5, v0
	v_lshlrev_b64 v[6:7], 2, v[6:7]
	s_waitcnt lgkmcnt(0)
	s_delay_alu instid0(VALU_DEP_1) | instskip(NEXT) | instid1(VALU_DEP_1)
	v_add_co_u32 v6, s3, s8, v6
	v_add_co_ci_u32_e64 v7, s3, s9, v7, s3
	global_store_b32 v[6:7], v40, off
	s_or_b32 exec_lo, exec_lo, s4
	s_and_saveexec_b32 s4, s0
	s_cbranch_execz .LBB136_53
.LBB136_79:
	s_delay_alu instid0(VALU_DEP_1) | instskip(NEXT) | instid1(VALU_DEP_1)
	v_dual_mov_b32 v7, 0 :: v_dual_add_nc_u32 v6, v5, v2
	v_lshlrev_b64 v[6:7], 2, v[6:7]
	s_waitcnt lgkmcnt(0)
	s_delay_alu instid0(VALU_DEP_1) | instskip(NEXT) | instid1(VALU_DEP_1)
	v_add_co_u32 v6, s3, s8, v6
	v_add_co_ci_u32_e64 v7, s3, s9, v7, s3
	global_store_b32 v[6:7], v39, off
	s_or_b32 exec_lo, exec_lo, s4
	s_and_saveexec_b32 s4, s1
	s_cbranch_execz .LBB136_54
.LBB136_80:
	v_dual_mov_b32 v7, 0 :: v_dual_add_nc_u32 v6, v5, v3
	s_delay_alu instid0(VALU_DEP_1) | instskip(SKIP_1) | instid1(VALU_DEP_1)
	v_lshlrev_b64 v[6:7], 2, v[6:7]
	s_waitcnt lgkmcnt(0)
	v_add_co_u32 v6, s3, s8, v6
	s_delay_alu instid0(VALU_DEP_1)
	v_add_co_ci_u32_e64 v7, s3, s9, v7, s3
	global_store_b32 v[6:7], v38, off
	s_or_b32 exec_lo, exec_lo, s4
	s_and_saveexec_b32 s4, s2
	s_cbranch_execnz .LBB136_55
	s_branch .LBB136_56
.LBB136_81:
	s_delay_alu instid0(VALU_DEP_1) | instskip(NEXT) | instid1(VALU_DEP_1)
	v_dual_mov_b32 v6, 0 :: v_dual_add_nc_u32 v5, v1, v0
	v_lshlrev_b64 v[5:6], 2, v[5:6]
	s_waitcnt lgkmcnt(0)
	s_delay_alu instid0(VALU_DEP_1) | instskip(NEXT) | instid1(VALU_DEP_2)
	v_add_co_u32 v5, vcc_lo, s8, v5
	v_add_co_ci_u32_e32 v6, vcc_lo, s9, v6, vcc_lo
	global_store_b32 v[5:6], v36, off
	s_or_b32 exec_lo, exec_lo, s3
	s_and_saveexec_b32 s3, s0
	s_cbranch_execz .LBB136_59
.LBB136_82:
	s_delay_alu instid0(VALU_DEP_1) | instskip(NEXT) | instid1(VALU_DEP_1)
	v_dual_mov_b32 v6, 0 :: v_dual_add_nc_u32 v5, v1, v2
	v_lshlrev_b64 v[5:6], 2, v[5:6]
	s_waitcnt lgkmcnt(0)
	s_delay_alu instid0(VALU_DEP_1) | instskip(NEXT) | instid1(VALU_DEP_2)
	v_add_co_u32 v5, vcc_lo, s8, v5
	v_add_co_ci_u32_e32 v6, vcc_lo, s9, v6, vcc_lo
	global_store_b32 v[5:6], v35, off
	s_or_b32 exec_lo, exec_lo, s3
	s_and_saveexec_b32 s0, s1
	s_cbranch_execz .LBB136_60
.LBB136_83:
	v_dual_mov_b32 v3, 0 :: v_dual_add_nc_u32 v2, v1, v3
	s_delay_alu instid0(VALU_DEP_1) | instskip(SKIP_1) | instid1(VALU_DEP_1)
	v_lshlrev_b64 v[2:3], 2, v[2:3]
	s_waitcnt lgkmcnt(0)
	v_add_co_u32 v2, vcc_lo, s8, v2
	s_delay_alu instid0(VALU_DEP_2) | instskip(SKIP_2) | instid1(SALU_CYCLE_1)
	v_add_co_ci_u32_e32 v3, vcc_lo, s9, v3, vcc_lo
	global_store_b32 v[2:3], v34, off
	s_or_b32 exec_lo, exec_lo, s0
	s_and_b32 exec_lo, exec_lo, s2
	s_cbranch_execnz .LBB136_61
	s_branch .LBB136_62
	.section	.rodata,"a",@progbits
	.p2align	6, 0x0
	.amdhsa_kernel _ZL12mul_mat_q6_KIfLb1EEvPKvS1_PT_iiiii
		.amdhsa_group_segment_fixed_size 45136
		.amdhsa_private_segment_fixed_size 100
		.amdhsa_kernarg_size 44
		.amdhsa_user_sgpr_count 14
		.amdhsa_user_sgpr_dispatch_ptr 0
		.amdhsa_user_sgpr_queue_ptr 0
		.amdhsa_user_sgpr_kernarg_segment_ptr 1
		.amdhsa_user_sgpr_dispatch_id 0
		.amdhsa_user_sgpr_private_segment_size 0
		.amdhsa_wavefront_size32 1
		.amdhsa_uses_dynamic_stack 0
		.amdhsa_enable_private_segment 1
		.amdhsa_system_sgpr_workgroup_id_x 1
		.amdhsa_system_sgpr_workgroup_id_y 1
		.amdhsa_system_sgpr_workgroup_id_z 0
		.amdhsa_system_sgpr_workgroup_info 0
		.amdhsa_system_vgpr_workitem_id 1
		.amdhsa_next_free_vgpr 256
		.amdhsa_next_free_sgpr 18
		.amdhsa_reserve_vcc 1
		.amdhsa_float_round_mode_32 0
		.amdhsa_float_round_mode_16_64 0
		.amdhsa_float_denorm_mode_32 3
		.amdhsa_float_denorm_mode_16_64 3
		.amdhsa_dx10_clamp 1
		.amdhsa_ieee_mode 1
		.amdhsa_fp16_overflow 0
		.amdhsa_workgroup_processor_mode 1
		.amdhsa_memory_ordered 1
		.amdhsa_forward_progress 0
		.amdhsa_shared_vgpr_count 0
		.amdhsa_exception_fp_ieee_invalid_op 0
		.amdhsa_exception_fp_denorm_src 0
		.amdhsa_exception_fp_ieee_div_zero 0
		.amdhsa_exception_fp_ieee_overflow 0
		.amdhsa_exception_fp_ieee_underflow 0
		.amdhsa_exception_fp_ieee_inexact 0
		.amdhsa_exception_int_div_zero 0
	.end_amdhsa_kernel
	.section	.text._ZL12mul_mat_q6_KIfLb1EEvPKvS1_PT_iiiii,"axG",@progbits,_ZL12mul_mat_q6_KIfLb1EEvPKvS1_PT_iiiii,comdat
.Lfunc_end136:
	.size	_ZL12mul_mat_q6_KIfLb1EEvPKvS1_PT_iiiii, .Lfunc_end136-_ZL12mul_mat_q6_KIfLb1EEvPKvS1_PT_iiiii
                                        ; -- End function
	.section	.AMDGPU.csdata,"",@progbits
; Kernel info:
; codeLenInByte = 19592
; NumSgprs: 20
; NumVgprs: 256
; ScratchSize: 100
; MemoryBound: 0
; FloatMode: 240
; IeeeMode: 1
; LDSByteSize: 45136 bytes/workgroup (compile time only)
; SGPRBlocks: 2
; VGPRBlocks: 31
; NumSGPRsForWavesPerEU: 20
; NumVGPRsForWavesPerEU: 256
; Occupancy: 4
; WaveLimiterHint : 0
; COMPUTE_PGM_RSRC2:SCRATCH_EN: 1
; COMPUTE_PGM_RSRC2:USER_SGPR: 14
; COMPUTE_PGM_RSRC2:TRAP_HANDLER: 0
; COMPUTE_PGM_RSRC2:TGID_X_EN: 1
; COMPUTE_PGM_RSRC2:TGID_Y_EN: 1
; COMPUTE_PGM_RSRC2:TGID_Z_EN: 0
; COMPUTE_PGM_RSRC2:TIDIG_COMP_CNT: 1
	.section	.text._ZL12mul_mat_q4_0IN3c104HalfELb0EEvPKvS3_PT_iiiii,"axG",@progbits,_ZL12mul_mat_q4_0IN3c104HalfELb0EEvPKvS3_PT_iiiii,comdat
	.globl	_ZL12mul_mat_q4_0IN3c104HalfELb0EEvPKvS3_PT_iiiii ; -- Begin function _ZL12mul_mat_q4_0IN3c104HalfELb0EEvPKvS3_PT_iiiii
	.p2align	8
	.type	_ZL12mul_mat_q4_0IN3c104HalfELb0EEvPKvS3_PT_iiiii,@function
_ZL12mul_mat_q4_0IN3c104HalfELb0EEvPKvS3_PT_iiiii: ; @_ZL12mul_mat_q4_0IN3c104HalfELb0EEvPKvS3_PT_iiiii
; %bb.0:
	s_clause 0x1
	s_load_b32 s11, s[0:1], 0x18
	s_load_b128 s[4:7], s[0:1], 0x20
	v_bfe_u32 v39, v0, 10, 10
	v_and_b32_e32 v40, 0x3ff, v0
	s_waitcnt lgkmcnt(0)
	s_lshl_b32 s7, s15, 6
	s_cmp_gt_i32 s11, 31
	s_cbranch_scc1 .LBB137_2
; %bb.1:
	v_bfe_u32 v1, v0, 10, 10
	v_and_b32_e32 v0, 0x3ff, v0
	s_mov_b32 s2, 0
	s_mov_b32 s3, 0
	s_delay_alu instid0(VALU_DEP_2)
	v_add_nc_u32_e32 v2, s7, v1
	s_branch .LBB137_3
.LBB137_2:
	s_mov_b32 s2, -1
                                        ; implicit-def: $sgpr3
                                        ; implicit-def: $vgpr1
                                        ; implicit-def: $vgpr0
                                        ; implicit-def: $vgpr2
.LBB137_3:
	s_load_b64 s[8:9], s[0:1], 0x10
	v_dual_mov_b32 v5, s3 :: v_dual_mov_b32 v28, s3
	v_dual_mov_b32 v9, s3 :: v_dual_mov_b32 v32, s3
	;; [unrolled: 1-line block ×15, first 2 shown]
	v_mov_b32_e32 v31, s3
	v_mov_b32_e32 v33, s3
	s_and_not1_b32 vcc_lo, exec_lo, s2
	s_lshl_b32 s10, s14, 7
	s_cbranch_vccnz .LBB137_13
; %bb.4:
	s_load_b128 s[0:3], s[0:1], 0x0
	s_ashr_i32 s12, s11, 31
	s_ashr_i32 s13, s5, 31
	s_lshr_b32 s12, s12, 27
	s_lshr_b32 s13, s13, 27
	s_add_i32 s11, s11, s12
	v_dual_mov_b32 v36, 0 :: v_dual_add_nc_u32 v13, s7, v39
	s_add_i32 s12, s5, s13
	s_ashr_i32 s5, s11, 5
	s_ashr_i32 s12, s12, 5
	s_mul_i32 s13, s5, s10
	v_add_nc_u32_e32 v4, 16, v13
	v_add_nc_u32_e32 v8, 24, v13
	v_dual_mov_b32 v45, 0 :: v_dual_add_nc_u32 v10, 32, v13
	s_mul_hi_i32 s14, s13, 18
	s_mul_i32 s13, s13, 18
	v_add_nc_u32_e32 v14, 48, v13
	v_cvt_f64_u32_e32 v[4:5], v4
	s_waitcnt lgkmcnt(0)
	s_add_u32 s0, s0, s13
	s_addc_u32 s1, s1, s14
	s_add_i32 s13, s4, -1
	v_cvt_f64_u32_e32 v[8:9], v8
	v_cvt_f64_i32_e32 v[6:7], s13
	v_cvt_f64_u32_e32 v[10:11], v10
	v_cvt_f64_u32_e32 v[14:15], v14
	v_lshlrev_b32_e32 v19, 2, v40
	v_mul_lo_u32 v27, s5, v39
	v_dual_mov_b32 v33, 0 :: v_dual_add_nc_u32 v2, 8, v13
	v_dual_mov_b32 v35, 0 :: v_dual_add_nc_u32 v12, 40, v13
	v_add_nc_u32_e32 v16, 56, v13
	v_and_b32_e32 v25, 12, v19
	v_mad_u32_u24 v26, 0x84, v39, v19
	v_cvt_f64_u32_e32 v[0:1], v13
	v_cvt_f64_u32_e32 v[2:3], v2
	;; [unrolled: 1-line block ×3, first 2 shown]
	v_lshrrev_b32_e32 v24, 2, v40
	v_and_b32_e32 v23, 7, v40
	v_lshrrev_b32_e32 v22, 3, v40
	scratch_store_b32 off, v25, off offset:28 ; 4-byte Folded Spill
	v_add_nc_u32_e32 v28, 0x420, v26
	s_clause 0x1
	scratch_store_b32 off, v27, off offset:36
	scratch_store_b32 off, v13, off offset:244
	v_cvt_f64_u32_e32 v[12:13], v12
	s_lshl_b32 s14, s5, 3
	scratch_store_b32 off, v28, off offset:44 ; 4-byte Folded Spill
	v_add_nc_u32_e32 v28, 0x840, v26
	v_and_b32_e32 v18, 3, v40
	s_clause 0x3
	scratch_store_b32 off, v22, off offset:24
	scratch_store_b32 off, v23, off offset:20
	;; [unrolled: 1-line block ×4, first 2 shown]
	v_dual_mov_b32 v37, 0 :: v_dual_add_nc_u32 v28, 0xc60, v26
	v_lshl_add_u32 v24, v39, 3, v24
	v_add_nc_u32_e32 v27, s14, v27
	v_dual_mov_b32 v34, 0 :: v_dual_lshlrev_b32 v25, 2, v18
	scratch_store_b32 off, v28, off offset:52 ; 4-byte Folded Spill
	v_min_f64 v[4:5], v[4:5], v[6:7]
	v_min_f64 v[8:9], v[8:9], v[6:7]
	;; [unrolled: 1-line block ×4, first 2 shown]
	v_add_nc_u32_e32 v28, 0x1080, v26
	s_clause 0x1
	scratch_store_b32 off, v28, off offset:56
	scratch_store_b32 off, v27, off offset:40
	v_add_nc_u32_e32 v27, s14, v27
	v_add_nc_u32_e32 v28, 0x14a0, v26
	v_min_f64 v[0:1], v[0:1], v[6:7]
	v_min_f64 v[2:3], v[2:3], v[6:7]
	v_and_b32_e32 v24, 63, v24
	scratch_store_b32 off, v27, off offset:60 ; 4-byte Folded Spill
	v_add_nc_u32_e32 v27, s14, v27
	v_and_b32_e32 v20, 31, v40
	v_lshlrev_b32_e32 v21, 7, v39
	v_lshl_add_u32 v22, v39, 2, v22
	v_lshlrev_b32_e32 v23, 2, v23
	s_and_not1_b32 s11, s11, 31
	v_min_f64 v[12:13], v[12:13], v[6:7]
	v_min_f64 v[6:7], v[16:17], v[6:7]
	v_add_nc_u32_e32 v16, 0x18c0, v26
	scratch_store_b32 off, v28, off offset:68 ; 4-byte Folded Spill
	v_add_nc_u32_e32 v17, 0x2100, v26
	v_lshl_or_b32 v20, v20, 2, v21
	v_mul_lo_u32 v30, s5, v22
	scratch_store_b32 off, v16, off offset:72 ; 4-byte Folded Spill
	v_add_nc_u32_e32 v16, 0x1ce0, v26
	v_lshl_add_u32 v104, v39, 4, 0x7280
	v_add_nc_u32_e32 v29, 0x4200, v20
	v_add_nc_u32_e32 v74, 0x5200, v20
	v_add_nc_u32_e32 v92, 0x5600, v20
	v_add_nc_u32_e32 v94, 0x5a00, v20
	v_add_nc_u32_e32 v96, 0x5e00, v20
	v_mov_b32_e32 v32, 0
	v_cvt_i32_f64_e32 v4, v[4:5]
	v_cvt_i32_f64_e32 v5, v[8:9]
	;; [unrolled: 1-line block ×4, first 2 shown]
	v_lshl_or_b32 v14, v24, 4, v25
	v_dual_mov_b32 v25, 0 :: v_dual_mov_b32 v38, 0
	s_delay_alu instid0(VALU_DEP_2)
	v_dual_mov_b32 v14, 0 :: v_dual_add_nc_u32 v83, 0x7280, v14
	s_clause 0x2
	scratch_store_b32 off, v16, off offset:76
	scratch_store_b32 off, v27, off offset:64
	;; [unrolled: 1-line block ×3, first 2 shown]
	v_add_nc_u32_e32 v17, 0x2520, v26
	v_add_nc_u32_e32 v16, s14, v27
	scratch_store_b32 off, v17, off offset:88 ; 4-byte Folded Spill
	v_add_nc_u32_e32 v17, 0x2940, v26
	v_cvt_i32_f64_e32 v9, v[12:13]
	v_cvt_i32_f64_e32 v6, v[6:7]
	scratch_store_b32 off, v17, off offset:92 ; 4-byte Folded Spill
	v_add_nc_u32_e32 v17, 0x2d60, v26
	s_clause 0x1
	scratch_store_b32 off, v17, off offset:96
	scratch_store_b32 off, v16, off offset:80
	v_add_nc_u32_e32 v17, 0x3180, v26
	v_add_nc_u32_e32 v16, s14, v16
	scratch_store_b32 off, v17, off offset:104 ; 4-byte Folded Spill
	v_add_nc_u32_e32 v17, 0x35a0, v26
	v_add_nc_u32_e32 v27, s14, v16
	v_mul_lo_u32 v88, s12, v4
	v_mul_lo_u32 v89, s12, v5
	;; [unrolled: 1-line block ×3, first 2 shown]
	scratch_store_b32 off, v17, off offset:108 ; 4-byte Folded Spill
	v_add_nc_u32_e32 v17, 0x39c0, v26
	s_clause 0x1
	scratch_store_b32 off, v17, off offset:112
	scratch_store_b32 off, v26, off offset:32
	v_add_nc_u32_e32 v17, 0x3de0, v26
	v_add_nc_u32_e32 v28, s14, v27
	s_clause 0x4
	scratch_store_b32 off, v17, off offset:116
	scratch_store_b32 off, v16, off offset:100
	;; [unrolled: 1-line block ×3, first 2 shown]
	scratch_store_b32 off, v29, off
	scratch_store_b32 off, v28, off offset:128
	v_add_nc_u32_e32 v29, 0x4600, v20
	v_add_nc_u32_e32 v28, s14, v28
	v_and_b32_e32 v16, 0x7fc, v22
	v_lshlrev_b32_e32 v17, 5, v22
	v_add_nc_u32_e32 v26, 32, v22
	s_clause 0x1
	scratch_store_b32 off, v29, off offset:4
	scratch_store_b32 off, v30, off offset:124
	v_add_nc_u32_e32 v29, 0x4a00, v20
	v_add_nc_u32_e32 v27, 64, v22
	;; [unrolled: 1-line block ×4, first 2 shown]
	v_mul_u32_u24_e32 v11, 0x84, v40
	scratch_store_b32 off, v29, off offset:8 ; 4-byte Folded Spill
	v_add_nc_u32_e32 v29, 0x4e00, v20
	v_dual_mov_b32 v20, 0 :: v_dual_lshlrev_b32 v13, 5, v22
	v_and_b32_e32 v19, 28, v19
	v_mul_lo_u32 v95, s12, v6
	scratch_store_b32 off, v29, off offset:12 ; 4-byte Folded Spill
	v_cvt_i32_f64_e32 v29, v[2:3]
	v_add_nc_u32_e32 v3, s14, v31
	v_and_b32_e32 v2, 0xffc, v22
	v_add_nc_u32_e32 v4, 64, v40
	v_add_nc_u32_e32 v5, 32, v40
	v_lshlrev_b32_e32 v6, 5, v40
	v_mul_lo_u32 v90, s12, v8
	v_add3_u32 v22, v2, v23, 0x6200
	v_add_nc_u32_e32 v2, s11, v30
	scratch_store_b32 off, v3, off offset:140 ; 4-byte Folded Spill
	v_mov_b32_e32 v30, 0
	v_add3_u32 v10, v16, v23, 0x6200
	v_add_nc_u32_e32 v16, s14, v3
	s_clause 0x1
	scratch_store_b32 off, v2, off offset:152
	scratch_store_b32 off, v28, off offset:132
	v_cvt_i32_f64_e32 v28, v[0:1]
	v_and_b32_e32 v0, 0xffc, v26
	v_and_b32_e32 v1, 0xffc, v27
	v_or_b32_e32 v3, s7, v24
	v_add_nc_u32_e32 v24, s11, v2
	scratch_store_b32 off, v16, off offset:144 ; 4-byte Folded Spill
	v_add3_u32 v15, v0, v23, 0x6200
	v_add_nc_u32_e32 v0, s14, v16
	scratch_store_b32 off, v31, off offset:136 ; 4-byte Folded Spill
	v_add3_u32 v16, v1, v23, 0x6200
	scratch_store_b32 off, v24, off offset:160 ; 4-byte Folded Spill
	v_and_b32_e32 v4, 0x1fc, v4
	v_add_nc_u32_e32 v23, s14, v0
	scratch_store_b32 off, v0, off offset:148 ; 4-byte Folded Spill
	v_add_co_u32 v0, s15, s2, v19
	v_min_i32_e32 v19, s13, v3
	scratch_store_b32 off, v23, off offset:156 ; 4-byte Folded Spill
	v_add_nc_u32_e32 v23, s14, v23
	v_and_b32_e32 v8, 0x1fc, v5
	v_lshrrev_b32_e32 v5, 3, v5
	v_mad_u64_u32 v[2:3], null, v19, s12, v[18:19]
	v_add_nc_u32_e32 v3, s11, v24
	s_clause 0x1
	scratch_store_b32 off, v3, off offset:168
	scratch_store_b32 off, v23, off offset:164
	v_add_nc_u32_e32 v3, s14, v23
	v_add_nc_u32_e32 v4, v6, v4
	scratch_store_b32 off, v5, off offset:212 ; 4-byte Folded Spill
	v_mul_lo_u32 v91, s12, v9
	v_and_b32_e32 v9, 0xfc, v40
	scratch_store_b32 off, v3, off offset:172 ; 4-byte Folded Spill
	v_add_nc_u32_e32 v3, 0x60, v40
	v_add_nc_u32_e32 v8, v6, v8
	scratch_store_b32 off, v39, off offset:236 ; 4-byte Folded Spill
	v_lshlrev_b32_e32 v7, 5, v26
	v_lshlrev_b32_e32 v12, 5, v27
	v_and_b32_e32 v3, 0x1fc, v3
	v_mul_lo_u32 v86, s12, v28
	v_mul_lo_u32 v87, s12, v29
	v_add_co_ci_u32_e64 v1, null, s3, 0, s15
	s_delay_alu instid0(VALU_DEP_4) | instskip(SKIP_3) | instid1(VALU_DEP_4)
	v_add_nc_u32_e32 v3, v6, v3
	v_dual_mov_b32 v31, 0 :: v_dual_add_nc_u32 v6, v6, v9
	v_mov_b32_e32 v27, 0
	v_mov_b32_e32 v19, 0
	v_add_nc_u32_e32 v5, 0x6e00, v3
	scratch_store_b32 off, v11, off offset:176 ; 4-byte Folded Spill
	v_add_nc_u32_e32 v3, 0x6e10, v3
	v_mov_b32_e32 v11, 0
	v_mov_b32_e32 v29, 0
	scratch_store_b32 off, v5, off offset:180 ; 4-byte Folded Spill
	v_add_nc_u32_e32 v5, 0x6a00, v4
	scratch_store_b32 off, v3, off offset:216 ; 4-byte Folded Spill
	v_dual_mov_b32 v24, 0 :: v_dual_add_nc_u32 v3, 0x6a10, v4
	v_mov_b32_e32 v18, 0
	scratch_store_b32 off, v5, off offset:184 ; 4-byte Folded Spill
	v_add_nc_u32_e32 v5, 0x6600, v8
	scratch_store_b32 off, v3, off offset:220 ; 4-byte Folded Spill
	v_dual_mov_b32 v8, 0 :: v_dual_add_nc_u32 v3, 0x6610, v8
	;; [unrolled: 5-line block ×3, first 2 shown]
	v_mov_b32_e32 v23, 0
	s_clause 0x2
	scratch_store_b32 off, v5, off offset:192
	scratch_store_b32 off, v3, off offset:228
	scratch_store_b32 off, v40, off offset:240
	v_mad_u32_u24 v3, 0x84, v40, 64
	v_mov_b32_e32 v9, 0
	v_mov_b32_e32 v5, 0
	s_mov_b32 s11, 0
	scratch_store_b32 off, v3, off offset:232 ; 4-byte Folded Spill
	v_dual_mov_b32 v10, 0 :: v_dual_add_nc_u32 v3, v10, v17
	v_mov_b32_e32 v17, 0
	scratch_store_b32 off, v3, off offset:196 ; 4-byte Folded Spill
	v_add_nc_u32_e32 v3, v15, v7
	v_mov_b32_e32 v15, 0
	v_mov_b32_e32 v7, 0
	scratch_store_b32 off, v3, off offset:200 ; 4-byte Folded Spill
	v_dual_mov_b32 v16, 0 :: v_dual_add_nc_u32 v3, v16, v12
	v_dual_mov_b32 v12, 0 :: v_dual_add_nc_u32 v103, 0x4200, v21
	scratch_store_b32 off, v3, off offset:204 ; 4-byte Folded Spill
	v_add_nc_u32_e32 v3, v22, v13
	v_mov_b32_e32 v13, 0
	scratch_store_b32 off, v3, off offset:208 ; 4-byte Folded Spill
	s_branch .LBB137_6
.LBB137_5:                              ;   in Loop: Header=BB137_6 Depth=1
	s_add_i32 s11, s11, 8
	s_delay_alu instid0(SALU_CYCLE_1)
	s_cmp_ge_i32 s11, s5
	s_cbranch_scc1 .LBB137_12
.LBB137_6:                              ; =>This Loop Header: Depth=1
                                        ;     Child Loop BB137_7 Depth 2
                                        ;     Child Loop BB137_10 Depth 2
	s_clause 0x1
	scratch_load_b32 v21, off, off offset:16
	scratch_load_b32 v26, off, off offset:36
	s_mul_i32 s12, s11, 18
	s_mul_hi_u32 s13, s11, 18
	s_add_u32 s12, s0, s12
	s_addc_u32 s13, s1, s13
	v_dual_mov_b32 v115, v104 :: v_dual_add_nc_u32 v114, s11, v2
	v_mov_b32_e32 v116, v103
	s_waitcnt vmcnt(1)
	v_mad_u64_u32 v[3:4], null, v21, 18, s[12:13]
	scratch_load_b32 v21, off, off offset:28 ; 4-byte Folded Reload
	s_waitcnt vmcnt(0)
	v_add_co_u32 v3, vcc_lo, v3, v21
	v_add_co_ci_u32_e32 v4, vcc_lo, 0, v4, vcc_lo
	s_delay_alu instid0(VALU_DEP_2) | instskip(NEXT) | instid1(VALU_DEP_2)
	v_add_co_u32 v3, vcc_lo, v3, 2
	v_add_co_ci_u32_e32 v4, vcc_lo, 0, v4, vcc_lo
	s_delay_alu instid0(VALU_DEP_1)
	v_mad_u64_u32 v[21:22], null, v26, 18, v[3:4]
	scratch_load_b32 v26, off, off offset:40 ; 4-byte Folded Reload
	s_waitcnt vmcnt(0)
	v_mad_u64_u32 v[47:48], null, v26, 18, v[3:4]
	scratch_load_b32 v26, off, off offset:60 ; 4-byte Folded Reload
	s_waitcnt vmcnt(0)
	;; [unrolled: 3-line block ×7, first 2 shown]
	v_mad_u64_u32 v[64:65], null, v26, 18, v[3:4]
	s_clause 0x7
	global_load_b32 v26, v[21:22], off
	global_load_b32 v42, v[47:48], off
	;; [unrolled: 1-line block ×8, first 2 shown]
	scratch_load_b32 v39, off, off offset:132 ; 4-byte Folded Reload
	s_waitcnt vmcnt(0)
	v_mad_u64_u32 v[21:22], null, v39, 18, v[3:4]
	scratch_load_b32 v39, off, off offset:136 ; 4-byte Folded Reload
	s_waitcnt vmcnt(0)
	v_mad_u64_u32 v[47:48], null, v39, 18, v[3:4]
	;; [unrolled: 3-line block ×6, first 2 shown]
	scratch_load_b32 v39, off, off offset:156 ; 4-byte Folded Reload
	s_mov_b32 s12, -4
	s_waitcnt vmcnt(0)
	v_mad_u64_u32 v[62:63], null, v39, 18, v[3:4]
	scratch_load_b32 v39, off, off offset:164 ; 4-byte Folded Reload
	s_waitcnt vmcnt(0)
	v_mad_u64_u32 v[64:65], null, v39, 18, v[3:4]
	scratch_load_b32 v39, off, off offset:172 ; 4-byte Folded Reload
	;; [unrolled: 3-line block ×7, first 2 shown]
	s_clause 0xb
	global_load_b32 v111, v[21:22], off
	global_load_b32 v112, v[47:48], off
	;; [unrolled: 1-line block ×8, first 2 shown]
	global_load_u16 v85, v[3:4], off
	global_load_u16 v98, v[98:99], off
	;; [unrolled: 1-line block ×4, first 2 shown]
	s_waitcnt vmcnt(12)
	v_add_nc_u32_e32 v59, s11, v39
	s_delay_alu instid0(VALU_DEP_1)
	v_add_nc_u32_e32 v21, v59, v86
	v_add_nc_u32_e32 v47, v59, v87
	;; [unrolled: 1-line block ×5, first 2 shown]
	v_mad_i64_i32 v[3:4], null, v21, 36, v[0:1]
	v_add_nc_u32_e32 v60, v59, v91
	v_mad_i64_i32 v[21:22], null, v47, 36, v[0:1]
	v_add_nc_u32_e32 v62, v59, v93
	;; [unrolled: 2-line block ×3, first 2 shown]
	v_mad_i64_i32 v[49:50], null, v53, 36, v[0:1]
	v_mad_i64_i32 v[53:54], null, v57, 36, v[0:1]
	;; [unrolled: 1-line block ×5, first 2 shown]
	v_mad_u64_u32 v[64:65], null, v114, 36, s[2:3]
	s_clause 0x8
	global_load_b32 v3, v[3:4], off offset:4
	global_load_b32 v4, v[21:22], off offset:4
	;; [unrolled: 1-line block ×8, first 2 shown]
	global_load_b32 v53, v[64:65], off
	s_clause 0x5
	scratch_load_b32 v117, off, off offset:176
	scratch_load_b32 v118, off, off offset:192
	;; [unrolled: 1-line block ×6, first 2 shown]
	s_waitcnt vmcnt(18)
	v_cvt_f32_f16_e32 v54, v85
	s_waitcnt vmcnt(17)
	v_cvt_f32_f16_e32 v57, v98
	;; [unrolled: 2-line block ×4, first 2 shown]
	s_waitcnt vmcnt(0)
	ds_store_b32 v39, v26
	scratch_load_b32 v26, off, off offset:44 ; 4-byte Folded Reload
	s_waitcnt vmcnt(0)
	ds_store_b32 v26, v42
	scratch_load_b32 v26, off, off offset:48 ; 4-byte Folded Reload
	;; [unrolled: 3-line block ×19, first 2 shown]
	s_waitcnt vmcnt(0)
	ds_store_b32 v26, v59
	scratch_load_b32 v26, off, off          ; 4-byte Folded Reload
	s_waitcnt vmcnt(0)
	ds_store_b32 v26, v3
	scratch_load_b32 v3, off, off offset:4  ; 4-byte Folded Reload
	s_waitcnt vmcnt(0)
	ds_store_b32 v3, v4
	scratch_load_b32 v3, off, off offset:8  ; 4-byte Folded Reload
	s_waitcnt vmcnt(0)
	ds_store_b32 v3, v21
	scratch_load_b32 v3, off, off offset:12 ; 4-byte Folded Reload
	s_waitcnt vmcnt(0)
	ds_store_b32 v3, v22
	ds_store_b32 v74, v47
	;; [unrolled: 1-line block ×6, first 2 shown]
	s_waitcnt lgkmcnt(0)
	s_waitcnt_vscnt null, 0x0
	s_barrier
	buffer_gl0_inv
.LBB137_7:                              ;   Parent Loop BB137_6 Depth=1
                                        ; =>  This Inner Loop Header: Depth=2
	ds_load_b128 v[47:50], v116
	ds_load_b128 v[57:60], v116 offset:16
	ds_load_2addr_b32 v[3:4], v115 offset1:32
	s_add_i32 s12, s12, 4
	s_delay_alu instid0(SALU_CYCLE_1)
	s_cmp_lt_u32 s12, 12
	s_waitcnt lgkmcnt(2)
	v_bfe_i32 v26, v47, 0, 8
	s_waitcnt lgkmcnt(1)
	v_bfe_i32 v54, v57, 0, 8
	s_waitcnt lgkmcnt(0)
	v_lshrrev_b32_e32 v21, 16, v3
	v_bfe_i32 v63, v48, 0, 8
	v_bfe_i32 v84, v58, 0, 8
	;; [unrolled: 1-line block ×4, first 2 shown]
	v_cvt_f32_f16_e32 v21, v21
	v_bfe_i32 v53, v47, 16, 8
	v_ashrrev_i32_e32 v47, 24, v47
	v_bfe_i32 v102, v59, 0, 8
	v_bfe_i32 v107, v50, 0, 8
	v_mul_f32_e32 v254, 0x41000000, v21
	ds_load_b32 v197, v118
	ds_load_2addr_b32 v[21:22], v117 offset1:1
	v_bfe_i32 v55, v57, 8, 8
	v_bfe_i32 v62, v57, 16, 8
	v_ashrrev_i32_e32 v57, 24, v57
	v_bfe_i32 v64, v48, 8, 8
	v_bfe_i32 v65, v48, 16, 8
	v_ashrrev_i32_e32 v48, 24, v48
	v_bfe_i32 v85, v58, 8, 8
	v_bfe_i32 v110, v60, 0, 8
	;; [unrolled: 1-line block ×3, first 2 shown]
	v_ashrrev_i32_e32 v58, 24, v58
	v_bfe_i32 v100, v49, 8, 8
	v_bfe_i32 v101, v49, 16, 8
	v_ashrrev_i32_e32 v49, 24, v49
	v_bfe_i32 v105, v59, 8, 8
	v_bfe_i32 v106, v59, 16, 8
	;; [unrolled: 3-line block ×3, first 2 shown]
	v_ashrrev_i32_e32 v50, 24, v50
	s_waitcnt lgkmcnt(0)
	v_and_b32_e32 v231, 15, v22
	v_bfe_u32 v223, v21, 20, 4
	v_and_b32_e32 v224, 15, v21
	v_bfe_u32 v225, v21, 8, 4
	v_bfe_u32 v227, v21, 16, 4
	;; [unrolled: 1-line block ×5, first 2 shown]
	v_lshrrev_b32_e32 v230, 28, v21
	v_bfe_u32 v226, v22, 20, 4
	v_bfe_u32 v232, v22, 8, 4
	;; [unrolled: 1-line block ×6, first 2 shown]
	v_lshrrev_b32_e32 v238, 28, v22
	ds_load_2addr_b32 v[21:22], v117 offset0:2 offset1:3
	v_mul_i32_i24_e32 v122, v224, v26
	v_mul_i32_i24_e32 v129, v231, v63
	;; [unrolled: 1-line block ×5, first 2 shown]
	v_mad_i32_i24 v122, v222, v54, v122
	v_mul_i32_i24_e32 v125, v228, v47
	v_mul_i32_i24_e32 v126, v229, v55
	;; [unrolled: 1-line block ×4, first 2 shown]
	v_add3_u32 v122, v122, v129, v133
	v_mul_i32_i24_e32 v130, v232, v64
	v_mul_i32_i24_e32 v131, v233, v65
	;; [unrolled: 1-line block ×6, first 2 shown]
	v_bfe_i32 v111, v60, 8, 8
	v_bfe_i32 v112, v60, 16, 8
	s_waitcnt lgkmcnt(0)
	v_and_b32_e32 v239, 15, v21
	v_bfe_u32 v244, v21, 4, 4
	v_and_b32_e32 v247, 15, v22
	v_bfe_u32 v251, v22, 4, 4
	v_bfe_u32 v240, v21, 8, 4
	v_mul_i32_i24_e32 v137, v239, v99
	v_mul_i32_i24_e32 v141, v244, v102
	;; [unrolled: 1-line block ×4, first 2 shown]
	v_bfe_u32 v242, v21, 16, 4
	v_add3_u32 v122, v122, v137, v123
	v_mul_i32_i24_e32 v138, v240, v100
	v_bfe_u32 v243, v21, 24, 4
	v_bfe_u32 v245, v21, 12, 4
	v_mul_i32_i24_e32 v139, v242, v101
	v_add3_u32 v122, v122, v124, v125
	v_bfe_u32 v234, v21, 20, 4
	v_mul_i32_i24_e32 v140, v243, v49
	v_mul_i32_i24_e32 v142, v245, v105
	v_lshrrev_b32_e32 v246, 28, v21
	v_add3_u32 v122, v122, v141, v144
	v_mul_i32_i24_e32 v143, v234, v106
	v_bfe_u32 v248, v22, 8, 4
	v_bfe_u32 v249, v22, 16, 4
	v_mul_i32_i24_e32 v21, v246, v59
	v_add3_u32 v122, v122, v126, v127
	v_bfe_u32 v250, v22, 24, 4
	v_mul_i32_i24_e32 v145, v248, v108
	v_mul_i32_i24_e32 v146, v249, v109
	v_bfe_u32 v252, v22, 12, 4
	v_add3_u32 v122, v122, v128, v130
	v_ashrrev_i32_e32 v60, 24, v60
	v_bfe_u32 v241, v22, 20, 4
	v_mul_i32_i24_e32 v147, v250, v50
	v_mul_i32_i24_e32 v149, v252, v111
	v_add3_u32 v122, v122, v131, v132
	v_lshrrev_b32_e32 v253, 28, v22
	v_mul_i32_i24_e32 v150, v241, v112
	v_add_nc_u32_e32 v118, 4, v118
	s_delay_alu instid0(VALU_DEP_4) | instskip(NEXT) | instid1(VALU_DEP_4)
	v_add3_u32 v122, v122, v148, v134
	v_mul_i32_i24_e32 v22, v253, v60
	s_delay_alu instid0(VALU_DEP_2) | instskip(NEXT) | instid1(VALU_DEP_1)
	v_add3_u32 v122, v122, v135, v136
	v_add3_u32 v122, v122, v138, v139
	s_delay_alu instid0(VALU_DEP_1) | instskip(NEXT) | instid1(VALU_DEP_1)
	v_add3_u32 v122, v122, v140, v142
	v_add3_u32 v21, v122, v143, v21
	s_delay_alu instid0(VALU_DEP_1) | instskip(NEXT) | instid1(VALU_DEP_1)
	;; [unrolled: 3-line block ×3, first 2 shown]
	v_add3_u32 v21, v21, v150, v22
	v_cvt_f32_i32_e32 v21, v21
	s_delay_alu instid0(VALU_DEP_1) | instskip(NEXT) | instid1(VALU_DEP_1)
	v_fma_mix_f32 v21, v3, v21, -v254 op_sel_hi:[1,0,0]
	v_fmac_f32_e32 v33, v197, v21
	v_add_nc_u32_e32 v21, 0x1080, v117
	ds_load_b32 v188, v119
	ds_load_2addr_b32 v[21:22], v21 offset1:1
	v_add_nc_u32_e32 v119, 4, v119
	s_waitcnt lgkmcnt(0)
	v_bfe_u32 v190, v21, 20, 4
	v_and_b32_e32 v191, 15, v21
	v_bfe_u32 v192, v21, 8, 4
	v_bfe_u32 v194, v21, 16, 4
	;; [unrolled: 1-line block ×5, first 2 shown]
	v_lshrrev_b32_e32 v198, 28, v21
	v_add_nc_u32_e32 v21, 0x1088, v117
	v_bfe_u32 v193, v22, 20, 4
	v_and_b32_e32 v199, 15, v22
	v_bfe_u32 v200, v22, 8, 4
	v_bfe_u32 v201, v22, 16, 4
	;; [unrolled: 1-line block ×5, first 2 shown]
	v_lshrrev_b32_e32 v206, 28, v22
	ds_load_2addr_b32 v[21:22], v21 offset1:1
	v_mul_i32_i24_e32 v122, v191, v26
	v_mul_i32_i24_e32 v129, v199, v63
	;; [unrolled: 1-line block ×5, first 2 shown]
	v_mad_i32_i24 v122, v189, v54, v122
	v_mul_i32_i24_e32 v125, v195, v47
	v_mul_i32_i24_e32 v126, v196, v55
	;; [unrolled: 1-line block ×4, first 2 shown]
	v_add3_u32 v122, v122, v129, v133
	v_mul_i32_i24_e32 v130, v200, v64
	v_mul_i32_i24_e32 v131, v201, v65
	;; [unrolled: 1-line block ×6, first 2 shown]
	s_waitcnt lgkmcnt(0)
	v_and_b32_e32 v207, 15, v21
	v_bfe_u32 v212, v21, 4, 4
	v_and_b32_e32 v215, 15, v22
	v_bfe_u32 v219, v22, 4, 4
	v_bfe_u32 v208, v21, 8, 4
	v_mul_i32_i24_e32 v137, v207, v99
	v_mul_i32_i24_e32 v141, v212, v102
	;; [unrolled: 1-line block ×4, first 2 shown]
	v_bfe_u32 v210, v21, 16, 4
	v_add3_u32 v122, v122, v137, v123
	v_mul_i32_i24_e32 v138, v208, v100
	v_bfe_u32 v211, v21, 24, 4
	v_bfe_u32 v213, v21, 12, 4
	v_mul_i32_i24_e32 v139, v210, v101
	v_add3_u32 v122, v122, v124, v125
	v_bfe_u32 v203, v21, 20, 4
	v_mul_i32_i24_e32 v140, v211, v49
	v_mul_i32_i24_e32 v142, v213, v105
	v_lshrrev_b32_e32 v214, 28, v21
	v_add3_u32 v122, v122, v141, v144
	v_mul_i32_i24_e32 v143, v203, v106
	v_bfe_u32 v216, v22, 8, 4
	v_bfe_u32 v217, v22, 16, 4
	v_mul_i32_i24_e32 v21, v214, v59
	v_add3_u32 v122, v122, v126, v127
	v_bfe_u32 v218, v22, 24, 4
	v_mul_i32_i24_e32 v145, v216, v108
	v_mul_i32_i24_e32 v146, v217, v109
	v_bfe_u32 v220, v22, 12, 4
	v_add3_u32 v122, v122, v128, v130
	v_bfe_u32 v209, v22, 20, 4
	v_mul_i32_i24_e32 v147, v218, v50
	v_lshrrev_b32_e32 v221, 28, v22
	v_mul_i32_i24_e32 v149, v220, v111
	v_add3_u32 v122, v122, v131, v132
	v_mul_i32_i24_e32 v150, v209, v112
	s_delay_alu instid0(VALU_DEP_4) | instskip(NEXT) | instid1(VALU_DEP_3)
	v_mul_i32_i24_e32 v22, v221, v60
	v_add3_u32 v122, v122, v148, v134
	s_delay_alu instid0(VALU_DEP_1) | instskip(NEXT) | instid1(VALU_DEP_1)
	v_add3_u32 v122, v122, v135, v136
	v_add3_u32 v122, v122, v138, v139
	s_delay_alu instid0(VALU_DEP_1) | instskip(NEXT) | instid1(VALU_DEP_1)
	v_add3_u32 v122, v122, v140, v142
	;; [unrolled: 3-line block ×4, first 2 shown]
	v_cvt_f32_i32_e32 v21, v21
	s_delay_alu instid0(VALU_DEP_1) | instskip(NEXT) | instid1(VALU_DEP_1)
	v_fma_mix_f32 v21, v3, v21, -v254 op_sel_hi:[1,0,0]
	v_fmac_f32_e32 v45, v188, v21
	v_add_nc_u32_e32 v21, 0x2100, v117
	ds_load_b32 v155, v120
	ds_load_2addr_b32 v[21:22], v21 offset1:1
	v_add_nc_u32_e32 v120, 4, v120
	s_waitcnt lgkmcnt(0)
	v_bfe_u32 v157, v21, 20, 4
	v_and_b32_e32 v158, 15, v21
	v_bfe_u32 v159, v21, 8, 4
	v_bfe_u32 v161, v21, 16, 4
	v_bfe_u32 v162, v21, 24, 4
	v_bfe_u32 v156, v21, 4, 4
	v_bfe_u32 v163, v21, 12, 4
	v_lshrrev_b32_e32 v164, 28, v21
	v_add_nc_u32_e32 v21, 0x2108, v117
	v_bfe_u32 v160, v22, 20, 4
	v_and_b32_e32 v165, 15, v22
	v_bfe_u32 v166, v22, 8, 4
	v_bfe_u32 v167, v22, 16, 4
	;; [unrolled: 1-line block ×5, first 2 shown]
	v_lshrrev_b32_e32 v172, 28, v22
	ds_load_2addr_b32 v[21:22], v21 offset1:1
	v_mul_i32_i24_e32 v122, v158, v26
	v_mul_i32_i24_e32 v129, v165, v63
	;; [unrolled: 1-line block ×5, first 2 shown]
	v_mad_i32_i24 v122, v156, v54, v122
	v_mul_i32_i24_e32 v125, v162, v47
	v_mul_i32_i24_e32 v126, v163, v55
	;; [unrolled: 1-line block ×4, first 2 shown]
	v_add3_u32 v122, v122, v129, v133
	v_mul_i32_i24_e32 v130, v166, v64
	v_mul_i32_i24_e32 v131, v167, v65
	;; [unrolled: 1-line block ×6, first 2 shown]
	s_waitcnt lgkmcnt(0)
	v_and_b32_e32 v173, 15, v21
	v_bfe_u32 v178, v21, 4, 4
	v_and_b32_e32 v181, 15, v22
	v_bfe_u32 v185, v22, 4, 4
	v_bfe_u32 v174, v21, 8, 4
	v_mul_i32_i24_e32 v137, v173, v99
	v_mul_i32_i24_e32 v141, v178, v102
	;; [unrolled: 1-line block ×4, first 2 shown]
	v_bfe_u32 v176, v21, 16, 4
	v_add3_u32 v122, v122, v137, v123
	v_mul_i32_i24_e32 v138, v174, v100
	v_bfe_u32 v177, v21, 24, 4
	v_bfe_u32 v179, v21, 12, 4
	v_mul_i32_i24_e32 v139, v176, v101
	v_add3_u32 v122, v122, v124, v125
	v_bfe_u32 v169, v21, 20, 4
	v_mul_i32_i24_e32 v140, v177, v49
	v_mul_i32_i24_e32 v142, v179, v105
	v_lshrrev_b32_e32 v180, 28, v21
	v_add3_u32 v122, v122, v141, v144
	v_mul_i32_i24_e32 v143, v169, v106
	v_bfe_u32 v182, v22, 8, 4
	v_bfe_u32 v183, v22, 16, 4
	v_mul_i32_i24_e32 v21, v180, v59
	v_add3_u32 v122, v122, v126, v127
	v_bfe_u32 v184, v22, 24, 4
	v_mul_i32_i24_e32 v145, v182, v108
	v_mul_i32_i24_e32 v146, v183, v109
	v_bfe_u32 v186, v22, 12, 4
	v_add3_u32 v122, v122, v128, v130
	v_bfe_u32 v175, v22, 20, 4
	v_mul_i32_i24_e32 v147, v184, v50
	v_lshrrev_b32_e32 v187, 28, v22
	v_mul_i32_i24_e32 v149, v186, v111
	v_add3_u32 v122, v122, v131, v132
	v_mul_i32_i24_e32 v150, v175, v112
	s_delay_alu instid0(VALU_DEP_4) | instskip(NEXT) | instid1(VALU_DEP_3)
	v_mul_i32_i24_e32 v22, v187, v60
	v_add3_u32 v122, v122, v148, v134
	s_delay_alu instid0(VALU_DEP_1) | instskip(NEXT) | instid1(VALU_DEP_1)
	v_add3_u32 v122, v122, v135, v136
	v_add3_u32 v122, v122, v138, v139
	s_delay_alu instid0(VALU_DEP_1) | instskip(NEXT) | instid1(VALU_DEP_1)
	v_add3_u32 v122, v122, v140, v142
	;; [unrolled: 3-line block ×4, first 2 shown]
	v_cvt_f32_i32_e32 v21, v21
	s_delay_alu instid0(VALU_DEP_1) | instskip(NEXT) | instid1(VALU_DEP_1)
	v_fma_mix_f32 v21, v3, v21, -v254 op_sel_hi:[1,0,0]
	v_fmac_f32_e32 v38, v155, v21
	v_add_nc_u32_e32 v21, 0x3180, v117
	ds_load_b32 v122, v121
	ds_load_2addr_b32 v[21:22], v21 offset1:1
	v_add_nc_u32_e32 v121, 4, v121
	s_waitcnt lgkmcnt(0)
	v_bfe_u32 v124, v21, 20, 4
	v_and_b32_e32 v125, 15, v21
	v_bfe_u32 v126, v21, 8, 4
	v_bfe_u32 v128, v21, 16, 4
	;; [unrolled: 1-line block ×5, first 2 shown]
	v_lshrrev_b32_e32 v131, 28, v21
	v_add_nc_u32_e32 v21, 0x3188, v117
	v_bfe_u32 v127, v22, 20, 4
	v_and_b32_e32 v132, 15, v22
	v_bfe_u32 v133, v22, 8, 4
	v_bfe_u32 v134, v22, 16, 4
	;; [unrolled: 1-line block ×5, first 2 shown]
	v_lshrrev_b32_e32 v139, 28, v22
	ds_load_2addr_b32 v[21:22], v21 offset1:1
	v_mul_i32_i24_e32 v26, v125, v26
	v_mul_i32_i24_e32 v63, v132, v63
	;; [unrolled: 1-line block ×5, first 2 shown]
	v_mad_i32_i24 v26, v123, v54, v26
	v_mul_i32_i24_e32 v47, v129, v47
	v_mul_i32_i24_e32 v55, v130, v55
	;; [unrolled: 1-line block ×4, first 2 shown]
	v_add3_u32 v26, v26, v63, v84
	v_mul_i32_i24_e32 v64, v133, v64
	v_mul_i32_i24_e32 v65, v134, v65
	;; [unrolled: 1-line block ×6, first 2 shown]
	v_add_nc_u32_e32 v117, 16, v117
	s_waitcnt lgkmcnt(0)
	v_and_b32_e32 v140, 15, v21
	v_bfe_u32 v145, v21, 4, 4
	v_lshrrev_b32_e32 v147, 28, v21
	v_and_b32_e32 v148, 15, v22
	v_bfe_u32 v136, v21, 20, 4
	v_mul_i32_i24_e32 v99, v140, v99
	v_bfe_u32 v141, v21, 8, 4
	v_bfe_u32 v143, v21, 16, 4
	;; [unrolled: 1-line block ×3, first 2 shown]
	v_mul_i32_i24_e32 v102, v145, v102
	v_add3_u32 v26, v26, v99, v42
	v_bfe_u32 v146, v21, 12, 4
	v_mul_i32_i24_e32 v21, v147, v59
	v_mul_i32_i24_e32 v59, v148, v107
	v_bfe_u32 v149, v22, 8, 4
	v_add3_u32 v26, v26, v53, v47
	v_bfe_u32 v150, v22, 16, 4
	v_bfe_u32 v152, v22, 4, 4
	v_mul_i32_i24_e32 v100, v141, v100
	v_mul_i32_i24_e32 v107, v149, v108
	v_add3_u32 v26, v26, v102, v59
	v_mul_i32_i24_e32 v108, v150, v109
	v_mul_i32_i24_e32 v109, v152, v110
	;; [unrolled: 1-line block ×4, first 2 shown]
	v_add3_u32 v26, v26, v55, v62
	v_mul_i32_i24_e32 v105, v146, v105
	v_mul_i32_i24_e32 v106, v136, v106
	v_bfe_u32 v151, v22, 24, 4
	v_bfe_u32 v153, v22, 12, 4
	v_add3_u32 v26, v26, v57, v64
	v_bfe_u32 v142, v22, 20, 4
	v_lshrrev_b32_e32 v154, 28, v22
	v_mul_i32_i24_e32 v50, v151, v50
	v_mul_i32_i24_e32 v110, v153, v111
	v_add3_u32 v26, v26, v65, v48
	v_mul_i32_i24_e32 v111, v142, v112
	v_mul_i32_i24_e32 v22, v154, v60
	s_delay_alu instid0(VALU_DEP_3) | instskip(NEXT) | instid1(VALU_DEP_1)
	v_add3_u32 v26, v26, v109, v85
	v_add3_u32 v26, v26, v98, v58
	s_delay_alu instid0(VALU_DEP_1) | instskip(NEXT) | instid1(VALU_DEP_1)
	v_add3_u32 v26, v26, v100, v101
	v_add3_u32 v26, v26, v49, v105
	s_delay_alu instid0(VALU_DEP_1) | instskip(NEXT) | instid1(VALU_DEP_1)
	v_add3_u32 v21, v26, v106, v21
	v_add3_u32 v21, v21, v107, v108
	s_delay_alu instid0(VALU_DEP_1) | instskip(SKIP_4) | instid1(VALU_DEP_2)
	v_add3_u32 v21, v21, v50, v110
	ds_load_b128 v[47:50], v116 offset:1024
	ds_load_b128 v[57:60], v116 offset:1040
	v_lshrrev_b32_e32 v110, 16, v4
	v_add3_u32 v21, v21, v111, v22
	v_cvt_f32_f16_e32 v110, v110
	s_delay_alu instid0(VALU_DEP_2) | instskip(NEXT) | instid1(VALU_DEP_2)
	v_cvt_f32_i32_e32 v21, v21
	v_mul_f32_e32 v110, 0x41000000, v110
	s_delay_alu instid0(VALU_DEP_2) | instskip(NEXT) | instid1(VALU_DEP_1)
	v_fma_mix_f32 v3, v3, v21, -v254 op_sel_hi:[1,0,0]
	v_fmac_f32_e32 v37, v122, v3
	s_waitcnt lgkmcnt(1)
	v_bfe_i32 v3, v47, 0, 8
	v_bfe_i32 v21, v47, 8, 8
	;; [unrolled: 1-line block ×3, first 2 shown]
	s_waitcnt lgkmcnt(0)
	v_bfe_i32 v42, v57, 0, 8
	v_ashrrev_i32_e32 v26, 24, v47
	v_mul_i32_i24_e32 v111, v3, v224
	v_bfe_i32 v55, v48, 0, 8
	v_mul_i32_i24_e32 v112, v21, v225
	v_mul_i32_i24_e32 v254, v22, v227
	v_bfe_i32 v47, v57, 8, 8
	v_mad_i32_i24 v111, v42, v222, v111
	v_bfe_i32 v53, v57, 16, 8
	v_mul_i32_i24_e32 v255, v26, v228
	v_mul_i32_i24_e32 v40, v55, v231
	v_ashrrev_i32_e32 v54, 24, v57
	v_add3_u32 v111, v111, v112, v254
	v_bfe_i32 v63, v58, 0, 8
	v_mul_i32_i24_e32 v113, v47, v229
	v_mul_i32_i24_e32 v97, v53, v223
	v_bfe_i32 v57, v48, 8, 8
	v_add3_u32 v40, v111, v255, v40
	v_bfe_i32 v62, v48, 16, 8
	v_mul_i32_i24_e32 v39, v54, v230
	v_mul_i32_i24_e32 v51, v63, v236
	v_ashrrev_i32_e32 v48, 24, v48
	v_add3_u32 v40, v40, v113, v97
	v_bfe_i32 v84, v49, 0, 8
	v_mul_i32_i24_e32 v41, v57, v232
	v_mul_i32_i24_e32 v44, v62, v233
	v_bfe_i32 v64, v58, 8, 8
	v_add3_u32 v39, v40, v39, v51
	;; [unrolled: 10-line block ×6, first 2 shown]
	v_ashrrev_i32_e32 v60, 24, v60
	v_mul_i32_i24_e32 v82, v50, v250
	v_mul_i32_i24_e32 v69, v108, v252
	v_mul_i32_i24_e32 v71, v109, v241
	v_add3_u32 v39, v39, v80, v81
	v_mul_i32_i24_e32 v72, v60, v253
	v_mul_i32_i24_e32 v40, v21, v192
	v_mul_i32_i24_e32 v41, v22, v194
	v_mul_i32_i24_e32 v43, v26, v195
	v_add3_u32 v39, v39, v82, v69
	v_mul_i32_i24_e32 v52, v55, v199
	v_mul_i32_i24_e32 v44, v47, v196
	v_mul_i32_i24_e32 v46, v53, v190
	v_mul_i32_i24_e32 v51, v54, v198
	v_add3_u32 v39, v39, v71, v72
	v_mul_i32_i24_e32 v67, v63, v204
	v_mul_i32_i24_e32 v56, v57, v200
	v_mul_i32_i24_e32 v61, v62, v201
	v_mul_i32_i24_e32 v66, v48, v202
	v_cvt_f32_i32_e32 v39, v39
	v_mul_i32_i24_e32 v71, v84, v207
	v_mul_i32_i24_e32 v68, v64, v205
	v_mul_i32_i24_e32 v69, v65, v193
	v_mul_i32_i24_e32 v70, v58, v206
	v_fma_mix_f32 v39, v4, v39, -v110 op_sel_hi:[1,0,0]
	v_mul_i32_i24_e32 v77, v99, v212
	v_mul_i32_i24_e32 v72, v85, v208
	;; [unrolled: 1-line block ×4, first 2 shown]
	v_fmac_f32_e32 v36, v197, v39
	v_mul_i32_i24_e32 v39, v3, v191
	v_mul_i32_i24_e32 v81, v102, v215
	;; [unrolled: 1-line block ×5, first 2 shown]
	v_mad_i32_i24 v39, v42, v189, v39
	v_mul_i32_i24_e32 v112, v107, v219
	v_mul_i32_i24_e32 v82, v105, v216
	v_mul_i32_i24_e32 v97, v106, v217
	v_mul_i32_i24_e32 v111, v50, v218
	v_add3_u32 v39, v39, v40, v41
	v_mul_i32_i24_e32 v113, v108, v220
	v_mul_i32_i24_e32 v254, v109, v209
	v_mul_i32_i24_e32 v255, v60, v221
	v_mul_i32_i24_e32 v40, v21, v159
	v_add3_u32 v39, v39, v43, v52
	;; [unrolled: 5-line block ×4, first 2 shown]
	v_mul_i32_i24_e32 v51, v54, v164
	v_mul_i32_i24_e32 v67, v63, v170
	s_delay_alu instid0(VALU_DEP_3) | instskip(SKIP_2) | instid1(VALU_DEP_3)
	v_add3_u32 v39, v39, v56, v61
	v_mul_i32_i24_e32 v56, v57, v166
	v_mul_i32_i24_e32 v61, v62, v167
	v_add3_u32 v39, v39, v66, v71
	v_mul_i32_i24_e32 v66, v48, v168
	v_mul_i32_i24_e32 v71, v84, v173
	s_delay_alu instid0(VALU_DEP_3) | instskip(SKIP_2) | instid1(VALU_DEP_3)
	v_add3_u32 v39, v39, v68, v69
	v_mul_i32_i24_e32 v68, v64, v171
	v_mul_i32_i24_e32 v69, v65, v160
	v_add3_u32 v39, v39, v70, v77
	;; [unrolled: 7-line block ×3, first 2 shown]
	v_mul_i32_i24_e32 v76, v49, v177
	v_mul_i32_i24_e32 v81, v102, v181
	;; [unrolled: 1-line block ×3, first 2 shown]
	s_delay_alu instid0(VALU_DEP_4) | instskip(SKIP_2) | instid1(VALU_DEP_3)
	v_add3_u32 v39, v39, v78, v79
	v_mul_i32_i24_e32 v78, v100, v179
	v_mul_i32_i24_e32 v79, v101, v169
	v_add3_u32 v39, v39, v80, v112
	v_mul_i32_i24_e32 v80, v59, v180
	v_mul_i32_i24_e32 v112, v107, v185
	v_mul_i32_i24_e32 v59, v59, v147
	s_delay_alu instid0(VALU_DEP_4) | instskip(SKIP_2) | instid1(VALU_DEP_3)
	v_add3_u32 v39, v39, v82, v97
	v_mul_i32_i24_e32 v82, v105, v182
	v_mul_i32_i24_e32 v97, v106, v183
	v_add3_u32 v39, v39, v111, v113
	v_mul_i32_i24_e32 v111, v50, v184
	v_mul_i32_i24_e32 v113, v108, v186
	;; [unrolled: 1-line block ×3, first 2 shown]
	s_delay_alu instid0(VALU_DEP_4) | instskip(SKIP_3) | instid1(VALU_DEP_4)
	v_add3_u32 v39, v39, v254, v255
	v_mul_i32_i24_e32 v254, v109, v175
	v_mul_i32_i24_e32 v255, v60, v187
	;; [unrolled: 1-line block ×3, first 2 shown]
	v_cvt_f32_i32_e32 v39, v39
	s_delay_alu instid0(VALU_DEP_1) | instskip(NEXT) | instid1(VALU_DEP_1)
	v_fma_mix_f32 v39, v4, v39, -v110 op_sel_hi:[1,0,0]
	v_fmac_f32_e32 v35, v188, v39
	v_mul_i32_i24_e32 v39, v3, v158
	v_mul_i32_i24_e32 v3, v3, v125
	s_delay_alu instid0(VALU_DEP_2) | instskip(NEXT) | instid1(VALU_DEP_2)
	v_mad_i32_i24 v39, v42, v156, v39
	v_mad_i32_i24 v3, v42, v123, v3
	s_delay_alu instid0(VALU_DEP_2) | instskip(NEXT) | instid1(VALU_DEP_2)
	v_add3_u32 v39, v39, v40, v41
	v_add3_u32 v3, v3, v21, v22
	v_mul_i32_i24_e32 v40, v53, v124
	v_mul_i32_i24_e32 v41, v54, v131
	;; [unrolled: 1-line block ×3, first 2 shown]
	v_add3_u32 v39, v39, v43, v52
	v_mul_i32_i24_e32 v43, v55, v132
	v_mul_i32_i24_e32 v52, v65, v127
	;; [unrolled: 1-line block ×4, first 2 shown]
	v_add3_u32 v39, v39, v44, v46
	v_add3_u32 v3, v3, v26, v43
	v_mul_i32_i24_e32 v44, v57, v133
	v_mul_i32_i24_e32 v46, v62, v134
	v_mul_i32_i24_e32 v57, v99, v145
	v_add3_u32 v39, v39, v51, v67
	v_mul_i32_i24_e32 v51, v64, v138
	v_mul_i32_i24_e32 v62, v102, v148
	v_mul_i32_i24_e32 v58, v100, v146
	v_mul_i32_i24_e32 v65, v107, v152
	v_add3_u32 v39, v39, v56, v61
	v_mul_i32_i24_e32 v56, v98, v143
	;; [unrolled: 5-line block ×3, first 2 shown]
	s_delay_alu instid0(VALU_DEP_2) | instskip(NEXT) | instid1(VALU_DEP_1)
	v_add3_u32 v39, v39, v68, v69
	v_add3_u32 v39, v39, v70, v77
	s_delay_alu instid0(VALU_DEP_1) | instskip(NEXT) | instid1(VALU_DEP_1)
	v_add3_u32 v39, v39, v72, v75
	v_add3_u32 v39, v39, v76, v81
	s_delay_alu instid0(VALU_DEP_1) | instskip(NEXT) | instid1(VALU_DEP_1)
	;; [unrolled: 3-line block ×4, first 2 shown]
	v_add3_u32 v39, v39, v254, v255
	v_cvt_f32_i32_e32 v39, v39
	s_delay_alu instid0(VALU_DEP_1) | instskip(NEXT) | instid1(VALU_DEP_1)
	v_fma_mix_f32 v39, v4, v39, -v110 op_sel_hi:[1,0,0]
	v_fmac_f32_e32 v34, v155, v39
	v_mul_i32_i24_e32 v39, v47, v130
	v_mul_i32_i24_e32 v47, v48, v135
	;; [unrolled: 1-line block ×4, first 2 shown]
	s_delay_alu instid0(VALU_DEP_4) | instskip(NEXT) | instid1(VALU_DEP_1)
	v_add3_u32 v3, v3, v39, v40
	v_add3_u32 v3, v3, v41, v48
	s_delay_alu instid0(VALU_DEP_1) | instskip(NEXT) | instid1(VALU_DEP_1)
	v_add3_u32 v3, v3, v44, v46
	v_add3_u32 v3, v3, v47, v54
	s_delay_alu instid0(VALU_DEP_1) | instskip(NEXT) | instid1(VALU_DEP_1)
	;; [unrolled: 3-line block ×6, first 2 shown]
	v_add3_u32 v3, v3, v67, v60
	v_cvt_f32_i32_e32 v3, v3
	s_delay_alu instid0(VALU_DEP_1) | instskip(NEXT) | instid1(VALU_DEP_1)
	v_fma_mix_f32 v3, v4, v3, -v110 op_sel_hi:[1,0,0]
	v_fmac_f32_e32 v32, v122, v3
	ds_load_b128 v[47:50], v116 offset:2048
	ds_load_b128 v[57:60], v116 offset:2064
	ds_load_2addr_b32 v[3:4], v115 offset0:64 offset1:96
	s_waitcnt lgkmcnt(2)
	v_bfe_i32 v21, v47, 0, 8
	v_bfe_i32 v22, v47, 8, 8
	;; [unrolled: 1-line block ×3, first 2 shown]
	s_waitcnt lgkmcnt(1)
	v_bfe_i32 v40, v57, 0, 8
	v_ashrrev_i32_e32 v39, 24, v47
	v_mul_i32_i24_e32 v70, v21, v224
	v_bfe_i32 v44, v48, 0, 8
	v_mul_i32_i24_e32 v71, v22, v225
	v_mul_i32_i24_e32 v72, v26, v227
	v_bfe_i32 v41, v57, 8, 8
	v_mad_i32_i24 v70, v40, v222, v70
	v_bfe_i32 v42, v57, 16, 8
	v_mul_i32_i24_e32 v75, v39, v228
	v_mul_i32_i24_e32 v79, v44, v231
	v_ashrrev_i32_e32 v43, 24, v57
	v_add3_u32 v70, v70, v71, v72
	v_bfe_i32 v51, v58, 0, 8
	v_mul_i32_i24_e32 v76, v41, v229
	v_mul_i32_i24_e32 v77, v42, v223
	v_bfe_i32 v46, v48, 8, 8
	v_add3_u32 v70, v70, v75, v79
	v_bfe_i32 v47, v48, 16, 8
	v_mul_i32_i24_e32 v78, v43, v230
	v_mul_i32_i24_e32 v84, v51, v236
	v_ashrrev_i32_e32 v48, 24, v48
	v_add3_u32 v70, v70, v76, v77
	v_bfe_i32 v55, v49, 0, 8
	v_mul_i32_i24_e32 v80, v46, v232
	v_mul_i32_i24_e32 v81, v47, v233
	v_bfe_i32 v52, v58, 8, 8
	v_add3_u32 v70, v70, v78, v84
	v_bfe_i32 v53, v58, 16, 8
	v_mul_i32_i24_e32 v82, v48, v235
	v_mul_i32_i24_e32 v99, v55, v239
	v_ashrrev_i32_e32 v54, 24, v58
	v_add3_u32 v70, v70, v80, v81
	v_bfe_i32 v58, v59, 0, 8
	v_mul_i32_i24_e32 v85, v52, v237
	v_mul_i32_i24_e32 v97, v53, v226
	v_bfe_i32 v56, v49, 8, 8
	v_add3_u32 v70, v70, v82, v99
	v_bfe_i32 v57, v49, 16, 8
	v_mul_i32_i24_e32 v98, v54, v238
	v_mul_i32_i24_e32 v105, v58, v244
	v_ashrrev_i32_e32 v49, 24, v49
	v_add3_u32 v70, v70, v85, v97
	v_bfe_i32 v63, v50, 0, 8
	v_mul_i32_i24_e32 v100, v56, v240
	v_mul_i32_i24_e32 v101, v57, v242
	v_bfe_i32 v61, v59, 8, 8
	v_add3_u32 v70, v70, v98, v105
	v_bfe_i32 v62, v59, 16, 8
	v_mul_i32_i24_e32 v102, v49, v243
	v_mul_i32_i24_e32 v109, v63, v247
	v_ashrrev_i32_e32 v59, 24, v59
	v_add3_u32 v70, v70, v100, v101
	v_bfe_i32 v66, v60, 0, 8
	v_mul_i32_i24_e32 v106, v61, v245
	v_mul_i32_i24_e32 v107, v62, v234
	v_bfe_i32 v64, v50, 8, 8
	v_add3_u32 v70, v70, v102, v109
	v_bfe_i32 v65, v50, 16, 8
	v_mul_i32_i24_e32 v108, v59, v246
	v_mul_i32_i24_e32 v113, v66, v251
	v_ashrrev_i32_e32 v50, 24, v50
	v_add3_u32 v70, v70, v106, v107
	v_bfe_i32 v67, v60, 8, 8
	v_mul_i32_i24_e32 v110, v64, v248
	v_mul_i32_i24_e32 v111, v65, v249
	v_bfe_i32 v68, v60, 16, 8
	v_add3_u32 v70, v70, v108, v113
	v_ashrrev_i32_e32 v60, 24, v60
	v_mul_i32_i24_e32 v112, v50, v250
	v_mul_i32_i24_e32 v254, v67, v252
	s_waitcnt lgkmcnt(0)
	v_lshrrev_b32_e32 v69, 16, v3
	v_add3_u32 v70, v70, v110, v111
	v_mul_i32_i24_e32 v255, v68, v241
	v_mul_i32_i24_e32 v73, v60, v253
	;; [unrolled: 1-line block ×3, first 2 shown]
	v_cvt_f32_f16_e32 v69, v69
	v_add3_u32 v70, v70, v112, v254
	v_mul_i32_i24_e32 v72, v26, v194
	v_mul_i32_i24_e32 v78, v44, v199
	;; [unrolled: 1-line block ×3, first 2 shown]
	v_mul_f32_e32 v69, 0x41000000, v69
	v_add3_u32 v70, v70, v255, v73
	v_mul_i32_i24_e32 v73, v39, v195
	v_mul_i32_i24_e32 v76, v42, v190
	;; [unrolled: 1-line block ×4, first 2 shown]
	v_cvt_f32_i32_e32 v70, v70
	v_mul_i32_i24_e32 v79, v46, v200
	v_mul_i32_i24_e32 v80, v47, v201
	;; [unrolled: 1-line block ×4, first 2 shown]
	v_fma_mix_f32 v70, v3, v70, -v69 op_sel_hi:[1,0,0]
	v_mul_i32_i24_e32 v84, v52, v205
	v_mul_i32_i24_e32 v85, v53, v193
	;; [unrolled: 1-line block ×4, first 2 shown]
	v_fmac_f32_e32 v31, v197, v70
	v_mul_i32_i24_e32 v70, v21, v191
	v_mul_i32_i24_e32 v99, v56, v208
	;; [unrolled: 1-line block ×5, first 2 shown]
	v_mad_i32_i24 v70, v40, v189, v70
	v_mul_i32_i24_e32 v105, v61, v213
	v_mul_i32_i24_e32 v106, v62, v203
	v_mul_i32_i24_e32 v107, v59, v214
	v_mul_i32_i24_e32 v112, v66, v219
	v_add3_u32 v70, v70, v71, v72
	v_mul_i32_i24_e32 v109, v64, v216
	v_mul_i32_i24_e32 v110, v65, v217
	v_mul_i32_i24_e32 v111, v50, v218
	v_mul_i32_i24_e32 v113, v67, v220
	v_add3_u32 v70, v70, v73, v78
	;; [unrolled: 5-line block ×15, first 2 shown]
	v_mul_i32_i24_e32 v64, v64, v149
	v_mul_i32_i24_e32 v65, v65, v150
	;; [unrolled: 1-line block ×4, first 2 shown]
	v_cvt_f32_i32_e32 v70, v70
	v_mul_i32_i24_e32 v50, v50, v151
	v_mul_i32_i24_e32 v67, v67, v153
	;; [unrolled: 1-line block ×4, first 2 shown]
	v_fma_mix_f32 v70, v3, v70, -v69 op_sel_hi:[1,0,0]
	v_mul_i32_i24_e32 v68, v68, v142
	v_mul_i32_i24_e32 v60, v60, v154
	s_delay_alu instid0(VALU_DEP_3) | instskip(SKIP_2) | instid1(VALU_DEP_2)
	v_fmac_f32_e32 v30, v188, v70
	v_mul_i32_i24_e32 v70, v21, v158
	v_mul_i32_i24_e32 v21, v21, v125
	v_mad_i32_i24 v70, v40, v156, v70
	s_delay_alu instid0(VALU_DEP_2) | instskip(NEXT) | instid1(VALU_DEP_2)
	v_mad_i32_i24 v21, v40, v123, v21
	v_add3_u32 v70, v70, v71, v72
	s_delay_alu instid0(VALU_DEP_2) | instskip(NEXT) | instid1(VALU_DEP_2)
	v_add3_u32 v21, v21, v22, v26
	v_add3_u32 v70, v70, v73, v78
	s_delay_alu instid0(VALU_DEP_2) | instskip(NEXT) | instid1(VALU_DEP_2)
	v_add3_u32 v21, v21, v39, v44
	;; [unrolled: 3-line block ×14, first 2 shown]
	v_add3_u32 v70, v70, v254, v255
	s_delay_alu instid0(VALU_DEP_2)
	v_add3_u32 v21, v21, v68, v60
	ds_load_b128 v[47:50], v116 offset:3072
	ds_load_b128 v[57:60], v116 offset:3088
	v_lshrrev_b32_e32 v68, 16, v4
	v_cvt_f32_i32_e32 v70, v70
	v_cvt_f32_i32_e32 v21, v21
	s_delay_alu instid0(VALU_DEP_3) | instskip(NEXT) | instid1(VALU_DEP_3)
	v_cvt_f32_f16_e32 v68, v68
	v_fma_mix_f32 v70, v3, v70, -v69 op_sel_hi:[1,0,0]
	s_delay_alu instid0(VALU_DEP_3) | instskip(NEXT) | instid1(VALU_DEP_2)
	v_fma_mix_f32 v3, v3, v21, -v69 op_sel_hi:[1,0,0]
	v_dual_mul_f32 v68, 0x41000000, v68 :: v_dual_fmac_f32 v29, v155, v70
	s_delay_alu instid0(VALU_DEP_2)
	v_fmac_f32_e32 v28, v122, v3
	s_waitcnt lgkmcnt(1)
	v_bfe_i32 v3, v47, 0, 8
	v_bfe_i32 v21, v47, 8, 8
	;; [unrolled: 1-line block ×3, first 2 shown]
	s_waitcnt lgkmcnt(0)
	v_bfe_i32 v39, v57, 0, 8
	v_ashrrev_i32_e32 v26, 24, v47
	v_mul_i32_i24_e32 v69, v3, v224
	v_bfe_i32 v43, v48, 0, 8
	v_mul_i32_i24_e32 v70, v21, v225
	v_mul_i32_i24_e32 v71, v22, v227
	v_bfe_i32 v40, v57, 8, 8
	v_mad_i32_i24 v69, v39, v222, v69
	v_bfe_i32 v41, v57, 16, 8
	v_mul_i32_i24_e32 v72, v26, v228
	v_mul_i32_i24_e32 v77, v43, v231
	v_ashrrev_i32_e32 v42, 24, v57
	v_add3_u32 v69, v69, v70, v71
	v_bfe_i32 v44, v48, 8, 8
	v_bfe_i32 v46, v48, 16, 8
	v_ashrrev_i32_e32 v47, 24, v48
	v_bfe_i32 v48, v58, 0, 8
	v_mul_i32_i24_e32 v73, v40, v229
	v_mul_i32_i24_e32 v75, v41, v223
	v_add3_u32 v69, v69, v72, v77
	v_mul_i32_i24_e32 v76, v42, v230
	v_mul_i32_i24_e32 v81, v48, v236
	v_bfe_i32 v54, v49, 0, 8
	v_mul_i32_i24_e32 v78, v44, v232
	v_add3_u32 v69, v69, v73, v75
	v_mul_i32_i24_e32 v79, v46, v233
	v_bfe_i32 v51, v58, 8, 8
	v_bfe_i32 v52, v58, 16, 8
	v_mul_i32_i24_e32 v80, v47, v235
	v_add3_u32 v69, v69, v76, v81
	v_mul_i32_i24_e32 v97, v54, v239
	v_ashrrev_i32_e32 v53, 24, v58
	v_bfe_i32 v57, v59, 0, 8
	v_mul_i32_i24_e32 v82, v51, v237
	v_add3_u32 v69, v69, v78, v79
	v_mul_i32_i24_e32 v84, v52, v226
	v_bfe_i32 v55, v49, 8, 8
	v_bfe_i32 v56, v49, 16, 8
	v_mul_i32_i24_e32 v85, v53, v238
	v_add3_u32 v69, v69, v80, v97
	v_mul_i32_i24_e32 v101, v57, v244
	v_ashrrev_i32_e32 v49, 24, v49
	;; [unrolled: 10-line block ×4, first 2 shown]
	v_bfe_i32 v66, v60, 8, 8
	v_mul_i32_i24_e32 v108, v63, v248
	v_add3_u32 v69, v69, v102, v105
	v_mul_i32_i24_e32 v109, v64, v249
	v_bfe_i32 v67, v60, 16, 8
	v_ashrrev_i32_e32 v60, 24, v60
	v_mul_i32_i24_e32 v110, v50, v250
	v_add3_u32 v69, v69, v106, v111
	v_mul_i32_i24_e32 v112, v66, v252
	v_mul_i32_i24_e32 v113, v67, v241
	v_mul_i32_i24_e32 v254, v60, v253
	v_mul_i32_i24_e32 v70, v21, v192
	v_add3_u32 v69, v69, v108, v109
	v_mul_i32_i24_e32 v71, v22, v194
	v_mul_i32_i24_e32 v72, v26, v195
	v_mul_i32_i24_e32 v77, v43, v199
	;; [unrolled: 5-line block ×4, first 2 shown]
	v_mul_i32_i24_e32 v82, v51, v205
	v_cvt_f32_i32_e32 v69, v69
	v_mul_i32_i24_e32 v84, v52, v193
	v_mul_i32_i24_e32 v85, v53, v206
	;; [unrolled: 1-line block ×4, first 2 shown]
	v_fma_mix_f32 v69, v4, v69, -v68 op_sel_hi:[1,0,0]
	v_mul_i32_i24_e32 v99, v56, v210
	v_mul_i32_i24_e32 v100, v49, v211
	;; [unrolled: 1-line block ×4, first 2 shown]
	v_fmac_f32_e32 v27, v197, v69
	v_mul_i32_i24_e32 v69, v3, v191
	v_mul_i32_i24_e32 v105, v61, v203
	v_mul_i32_i24_e32 v106, v59, v214
	v_mul_i32_i24_e32 v111, v65, v219
	v_mul_i32_i24_e32 v108, v63, v216
	v_mad_i32_i24 v69, v39, v189, v69
	v_mul_i32_i24_e32 v109, v64, v217
	v_mul_i32_i24_e32 v110, v50, v218
	v_mul_i32_i24_e32 v112, v66, v220
	v_mul_i32_i24_e32 v113, v67, v209
	v_add3_u32 v69, v69, v70, v71
	v_mul_i32_i24_e32 v254, v60, v221
	v_mul_i32_i24_e32 v70, v21, v159
	v_mul_i32_i24_e32 v71, v22, v161
	v_mul_i32_i24_e32 v21, v21, v126
	v_add3_u32 v69, v69, v72, v77
	;; [unrolled: 5-line block ×15, first 2 shown]
	v_mul_i32_i24_e32 v66, v66, v153
	v_mul_i32_i24_e32 v113, v67, v175
	;; [unrolled: 1-line block ×4, first 2 shown]
	v_cvt_f32_i32_e32 v69, v69
	v_mul_i32_i24_e32 v60, v60, v154
	s_delay_alu instid0(VALU_DEP_2) | instskip(NEXT) | instid1(VALU_DEP_1)
	v_fma_mix_f32 v69, v4, v69, -v68 op_sel_hi:[1,0,0]
	v_fmac_f32_e32 v25, v188, v69
	v_mul_i32_i24_e32 v69, v3, v158
	v_mul_i32_i24_e32 v3, v3, v125
	s_delay_alu instid0(VALU_DEP_2) | instskip(NEXT) | instid1(VALU_DEP_2)
	v_mad_i32_i24 v69, v39, v156, v69
	v_mad_i32_i24 v3, v39, v123, v3
	s_delay_alu instid0(VALU_DEP_2) | instskip(NEXT) | instid1(VALU_DEP_2)
	v_add3_u32 v69, v69, v70, v71
	v_add3_u32 v3, v3, v21, v22
	s_delay_alu instid0(VALU_DEP_2) | instskip(NEXT) | instid1(VALU_DEP_2)
	v_add3_u32 v69, v69, v72, v77
	v_add3_u32 v3, v3, v26, v43
	;; [unrolled: 3-line block ×15, first 2 shown]
	s_delay_alu instid0(VALU_DEP_2) | instskip(NEXT) | instid1(VALU_DEP_2)
	v_cvt_f32_i32_e32 v69, v69
	v_cvt_f32_i32_e32 v3, v3
	s_delay_alu instid0(VALU_DEP_2) | instskip(NEXT) | instid1(VALU_DEP_2)
	v_fma_mix_f32 v69, v4, v69, -v68 op_sel_hi:[1,0,0]
	v_fma_mix_f32 v3, v4, v3, -v68 op_sel_hi:[1,0,0]
	s_delay_alu instid0(VALU_DEP_1)
	v_dual_fmac_f32 v24, v155, v69 :: v_dual_fmac_f32 v23, v122, v3
	ds_load_b128 v[47:50], v116 offset:4096
	ds_load_b128 v[57:60], v116 offset:4112
	ds_load_2addr_b32 v[3:4], v115 offset0:128 offset1:160
	s_waitcnt lgkmcnt(2)
	v_bfe_i32 v21, v47, 0, 8
	v_bfe_i32 v22, v47, 8, 8
	v_bfe_i32 v26, v47, 16, 8
	s_waitcnt lgkmcnt(1)
	v_bfe_i32 v40, v57, 0, 8
	v_ashrrev_i32_e32 v39, 24, v47
	v_mul_i32_i24_e32 v70, v21, v224
	v_bfe_i32 v44, v48, 0, 8
	v_mul_i32_i24_e32 v71, v22, v225
	v_mul_i32_i24_e32 v72, v26, v227
	v_bfe_i32 v41, v57, 8, 8
	v_mad_i32_i24 v70, v40, v222, v70
	v_bfe_i32 v42, v57, 16, 8
	v_mul_i32_i24_e32 v73, v39, v228
	v_mul_i32_i24_e32 v78, v44, v231
	v_ashrrev_i32_e32 v43, 24, v57
	v_add3_u32 v70, v70, v71, v72
	v_bfe_i32 v51, v58, 0, 8
	v_mul_i32_i24_e32 v75, v41, v229
	v_mul_i32_i24_e32 v76, v42, v223
	v_bfe_i32 v46, v48, 8, 8
	v_add3_u32 v70, v70, v73, v78
	v_bfe_i32 v47, v48, 16, 8
	v_mul_i32_i24_e32 v77, v43, v230
	v_mul_i32_i24_e32 v82, v51, v236
	v_ashrrev_i32_e32 v48, 24, v48
	v_add3_u32 v70, v70, v75, v76
	v_bfe_i32 v55, v49, 0, 8
	v_mul_i32_i24_e32 v79, v46, v232
	v_mul_i32_i24_e32 v80, v47, v233
	v_bfe_i32 v52, v58, 8, 8
	v_add3_u32 v70, v70, v77, v82
	;; [unrolled: 10-line block ×6, first 2 shown]
	v_ashrrev_i32_e32 v60, 24, v60
	v_mul_i32_i24_e32 v111, v50, v250
	v_mul_i32_i24_e32 v113, v67, v252
	s_waitcnt lgkmcnt(0)
	v_lshrrev_b32_e32 v69, 16, v3
	v_add3_u32 v70, v70, v109, v110
	v_mul_i32_i24_e32 v254, v68, v241
	v_mul_i32_i24_e32 v255, v60, v253
	;; [unrolled: 1-line block ×3, first 2 shown]
	v_cvt_f32_f16_e32 v69, v69
	v_add3_u32 v70, v70, v111, v113
	v_mul_i32_i24_e32 v72, v26, v194
	v_mul_i32_i24_e32 v73, v39, v195
	;; [unrolled: 1-line block ×3, first 2 shown]
	v_mul_f32_e32 v69, 0x41000000, v69
	v_add3_u32 v70, v70, v254, v255
	v_mul_i32_i24_e32 v75, v41, v196
	v_mul_i32_i24_e32 v76, v42, v190
	;; [unrolled: 1-line block ×4, first 2 shown]
	v_cvt_f32_i32_e32 v70, v70
	v_mul_i32_i24_e32 v79, v46, v200
	v_mul_i32_i24_e32 v80, v47, v201
	v_mul_i32_i24_e32 v81, v48, v202
	v_mul_i32_i24_e32 v98, v55, v207
	v_fma_mix_f32 v70, v3, v70, -v69 op_sel_hi:[1,0,0]
	v_mul_i32_i24_e32 v84, v52, v205
	v_mul_i32_i24_e32 v85, v53, v193
	;; [unrolled: 1-line block ×4, first 2 shown]
	v_fmac_f32_e32 v20, v197, v70
	v_mul_i32_i24_e32 v70, v21, v191
	v_mul_i32_i24_e32 v99, v56, v208
	;; [unrolled: 1-line block ×5, first 2 shown]
	v_mad_i32_i24 v70, v40, v189, v70
	v_mul_i32_i24_e32 v105, v61, v213
	v_mul_i32_i24_e32 v106, v62, v203
	v_mul_i32_i24_e32 v107, v59, v214
	v_mul_i32_i24_e32 v112, v66, v219
	v_add3_u32 v70, v70, v71, v72
	v_mul_i32_i24_e32 v109, v64, v216
	v_mul_i32_i24_e32 v110, v65, v217
	v_mul_i32_i24_e32 v111, v50, v218
	v_mul_i32_i24_e32 v113, v67, v220
	v_add3_u32 v70, v70, v73, v78
	;; [unrolled: 5-line block ×15, first 2 shown]
	v_mul_i32_i24_e32 v64, v64, v149
	v_mul_i32_i24_e32 v65, v65, v150
	;; [unrolled: 1-line block ×4, first 2 shown]
	v_cvt_f32_i32_e32 v70, v70
	v_mul_i32_i24_e32 v50, v50, v151
	v_mul_i32_i24_e32 v67, v67, v153
	;; [unrolled: 1-line block ×4, first 2 shown]
	v_fma_mix_f32 v70, v3, v70, -v69 op_sel_hi:[1,0,0]
	v_mul_i32_i24_e32 v68, v68, v142
	v_mul_i32_i24_e32 v60, v60, v154
	s_delay_alu instid0(VALU_DEP_3) | instskip(SKIP_2) | instid1(VALU_DEP_2)
	v_fmac_f32_e32 v19, v188, v70
	v_mul_i32_i24_e32 v70, v21, v158
	v_mul_i32_i24_e32 v21, v21, v125
	v_mad_i32_i24 v70, v40, v156, v70
	s_delay_alu instid0(VALU_DEP_2) | instskip(NEXT) | instid1(VALU_DEP_2)
	v_mad_i32_i24 v21, v40, v123, v21
	v_add3_u32 v70, v70, v71, v72
	s_delay_alu instid0(VALU_DEP_2) | instskip(NEXT) | instid1(VALU_DEP_2)
	v_add3_u32 v21, v21, v22, v26
	v_add3_u32 v70, v70, v73, v78
	s_delay_alu instid0(VALU_DEP_2) | instskip(NEXT) | instid1(VALU_DEP_2)
	v_add3_u32 v21, v21, v39, v44
	;; [unrolled: 3-line block ×14, first 2 shown]
	v_add3_u32 v70, v70, v254, v255
	s_delay_alu instid0(VALU_DEP_2)
	v_add3_u32 v21, v21, v68, v60
	ds_load_b128 v[47:50], v116 offset:5120
	ds_load_b128 v[57:60], v116 offset:5136
	v_lshrrev_b32_e32 v68, 16, v4
	v_cvt_f32_i32_e32 v70, v70
	v_cvt_f32_i32_e32 v21, v21
	s_delay_alu instid0(VALU_DEP_3) | instskip(NEXT) | instid1(VALU_DEP_3)
	v_cvt_f32_f16_e32 v68, v68
	v_fma_mix_f32 v70, v3, v70, -v69 op_sel_hi:[1,0,0]
	s_delay_alu instid0(VALU_DEP_3) | instskip(NEXT) | instid1(VALU_DEP_3)
	v_fma_mix_f32 v3, v3, v21, -v69 op_sel_hi:[1,0,0]
	v_mul_f32_e32 v68, 0x41000000, v68
	s_delay_alu instid0(VALU_DEP_2)
	v_dual_fmac_f32 v18, v155, v70 :: v_dual_fmac_f32 v17, v122, v3
	s_waitcnt lgkmcnt(1)
	v_bfe_i32 v3, v47, 0, 8
	v_bfe_i32 v21, v47, 8, 8
	;; [unrolled: 1-line block ×3, first 2 shown]
	s_waitcnt lgkmcnt(0)
	v_bfe_i32 v39, v57, 0, 8
	v_ashrrev_i32_e32 v26, 24, v47
	v_mul_i32_i24_e32 v69, v3, v224
	v_bfe_i32 v43, v48, 0, 8
	v_mul_i32_i24_e32 v70, v21, v225
	v_mul_i32_i24_e32 v71, v22, v227
	v_bfe_i32 v40, v57, 8, 8
	v_mad_i32_i24 v69, v39, v222, v69
	v_bfe_i32 v41, v57, 16, 8
	v_mul_i32_i24_e32 v72, v26, v228
	v_mul_i32_i24_e32 v77, v43, v231
	v_ashrrev_i32_e32 v42, 24, v57
	v_add3_u32 v69, v69, v70, v71
	v_bfe_i32 v44, v48, 8, 8
	v_bfe_i32 v46, v48, 16, 8
	v_ashrrev_i32_e32 v47, 24, v48
	v_bfe_i32 v48, v58, 0, 8
	v_mul_i32_i24_e32 v73, v40, v229
	v_mul_i32_i24_e32 v75, v41, v223
	v_add3_u32 v69, v69, v72, v77
	v_mul_i32_i24_e32 v76, v42, v230
	v_mul_i32_i24_e32 v81, v48, v236
	v_bfe_i32 v54, v49, 0, 8
	v_mul_i32_i24_e32 v78, v44, v232
	v_add3_u32 v69, v69, v73, v75
	v_mul_i32_i24_e32 v79, v46, v233
	v_bfe_i32 v51, v58, 8, 8
	v_bfe_i32 v52, v58, 16, 8
	v_mul_i32_i24_e32 v80, v47, v235
	v_add3_u32 v69, v69, v76, v81
	v_mul_i32_i24_e32 v97, v54, v239
	v_ashrrev_i32_e32 v53, 24, v58
	v_bfe_i32 v57, v59, 0, 8
	v_mul_i32_i24_e32 v82, v51, v237
	v_add3_u32 v69, v69, v78, v79
	v_mul_i32_i24_e32 v84, v52, v226
	v_bfe_i32 v55, v49, 8, 8
	v_bfe_i32 v56, v49, 16, 8
	v_mul_i32_i24_e32 v85, v53, v238
	v_add3_u32 v69, v69, v80, v97
	v_mul_i32_i24_e32 v101, v57, v244
	v_ashrrev_i32_e32 v49, 24, v49
	;; [unrolled: 10-line block ×4, first 2 shown]
	v_bfe_i32 v66, v60, 8, 8
	v_mul_i32_i24_e32 v108, v63, v248
	v_add3_u32 v69, v69, v102, v105
	v_mul_i32_i24_e32 v109, v64, v249
	v_bfe_i32 v67, v60, 16, 8
	v_ashrrev_i32_e32 v60, 24, v60
	v_mul_i32_i24_e32 v110, v50, v250
	v_add3_u32 v69, v69, v106, v111
	v_mul_i32_i24_e32 v112, v66, v252
	v_mul_i32_i24_e32 v113, v67, v241
	v_mul_i32_i24_e32 v254, v60, v253
	v_mul_i32_i24_e32 v70, v21, v192
	v_add3_u32 v69, v69, v108, v109
	v_mul_i32_i24_e32 v71, v22, v194
	v_mul_i32_i24_e32 v72, v26, v195
	v_mul_i32_i24_e32 v77, v43, v199
	;; [unrolled: 5-line block ×4, first 2 shown]
	v_mul_i32_i24_e32 v82, v51, v205
	v_cvt_f32_i32_e32 v69, v69
	v_mul_i32_i24_e32 v84, v52, v193
	v_mul_i32_i24_e32 v85, v53, v206
	;; [unrolled: 1-line block ×4, first 2 shown]
	v_fma_mix_f32 v69, v4, v69, -v68 op_sel_hi:[1,0,0]
	v_mul_i32_i24_e32 v99, v56, v210
	v_mul_i32_i24_e32 v100, v49, v211
	;; [unrolled: 1-line block ×4, first 2 shown]
	v_fmac_f32_e32 v16, v197, v69
	v_mul_i32_i24_e32 v69, v3, v191
	v_mul_i32_i24_e32 v105, v61, v203
	;; [unrolled: 1-line block ×5, first 2 shown]
	v_mad_i32_i24 v69, v39, v189, v69
	v_mul_i32_i24_e32 v109, v64, v217
	v_mul_i32_i24_e32 v110, v50, v218
	v_mul_i32_i24_e32 v112, v66, v220
	v_mul_i32_i24_e32 v113, v67, v209
	v_add3_u32 v69, v69, v70, v71
	v_mul_i32_i24_e32 v254, v60, v221
	v_mul_i32_i24_e32 v70, v21, v159
	v_mul_i32_i24_e32 v71, v22, v161
	v_mul_i32_i24_e32 v21, v21, v126
	v_add3_u32 v69, v69, v72, v77
	;; [unrolled: 5-line block ×15, first 2 shown]
	v_mul_i32_i24_e32 v66, v66, v153
	v_mul_i32_i24_e32 v113, v67, v175
	;; [unrolled: 1-line block ×4, first 2 shown]
	v_cvt_f32_i32_e32 v69, v69
	v_mul_i32_i24_e32 v60, v60, v154
	s_delay_alu instid0(VALU_DEP_2) | instskip(NEXT) | instid1(VALU_DEP_1)
	v_fma_mix_f32 v69, v4, v69, -v68 op_sel_hi:[1,0,0]
	v_fmac_f32_e32 v15, v188, v69
	v_mul_i32_i24_e32 v69, v3, v158
	v_mul_i32_i24_e32 v3, v3, v125
	s_delay_alu instid0(VALU_DEP_2) | instskip(NEXT) | instid1(VALU_DEP_2)
	v_mad_i32_i24 v69, v39, v156, v69
	v_mad_i32_i24 v3, v39, v123, v3
	s_delay_alu instid0(VALU_DEP_2) | instskip(NEXT) | instid1(VALU_DEP_2)
	v_add3_u32 v69, v69, v70, v71
	v_add3_u32 v3, v3, v21, v22
	s_delay_alu instid0(VALU_DEP_2) | instskip(NEXT) | instid1(VALU_DEP_2)
	v_add3_u32 v69, v69, v72, v77
	v_add3_u32 v3, v3, v26, v43
	;; [unrolled: 3-line block ×15, first 2 shown]
	s_delay_alu instid0(VALU_DEP_2) | instskip(NEXT) | instid1(VALU_DEP_2)
	v_cvt_f32_i32_e32 v69, v69
	v_cvt_f32_i32_e32 v3, v3
	s_delay_alu instid0(VALU_DEP_2) | instskip(NEXT) | instid1(VALU_DEP_2)
	v_fma_mix_f32 v69, v4, v69, -v68 op_sel_hi:[1,0,0]
	v_fma_mix_f32 v3, v4, v3, -v68 op_sel_hi:[1,0,0]
	s_delay_alu instid0(VALU_DEP_1)
	v_dual_fmac_f32 v14, v155, v69 :: v_dual_fmac_f32 v13, v122, v3
	ds_load_b128 v[47:50], v116 offset:6144
	ds_load_b128 v[57:60], v116 offset:6160
	ds_load_2addr_b32 v[3:4], v115 offset0:192 offset1:224
	v_add_nc_u32_e32 v115, 4, v115
	s_waitcnt lgkmcnt(2)
	v_bfe_i32 v21, v47, 0, 8
	v_bfe_i32 v22, v47, 8, 8
	;; [unrolled: 1-line block ×3, first 2 shown]
	s_waitcnt lgkmcnt(1)
	v_bfe_i32 v40, v57, 0, 8
	v_ashrrev_i32_e32 v39, 24, v47
	v_mul_i32_i24_e32 v70, v21, v224
	v_bfe_i32 v44, v48, 0, 8
	v_mul_i32_i24_e32 v71, v22, v225
	v_mul_i32_i24_e32 v72, v26, v227
	v_bfe_i32 v41, v57, 8, 8
	v_mad_i32_i24 v70, v40, v222, v70
	v_bfe_i32 v42, v57, 16, 8
	v_mul_i32_i24_e32 v73, v39, v228
	v_mul_i32_i24_e32 v78, v44, v231
	v_ashrrev_i32_e32 v43, 24, v57
	v_add3_u32 v70, v70, v71, v72
	v_bfe_i32 v51, v58, 0, 8
	v_mul_i32_i24_e32 v75, v41, v229
	v_mul_i32_i24_e32 v76, v42, v223
	v_bfe_i32 v46, v48, 8, 8
	v_add3_u32 v70, v70, v73, v78
	v_bfe_i32 v47, v48, 16, 8
	v_mul_i32_i24_e32 v77, v43, v230
	v_mul_i32_i24_e32 v82, v51, v236
	v_ashrrev_i32_e32 v48, 24, v48
	v_add3_u32 v70, v70, v75, v76
	v_bfe_i32 v55, v49, 0, 8
	v_mul_i32_i24_e32 v79, v46, v232
	v_mul_i32_i24_e32 v80, v47, v233
	v_bfe_i32 v52, v58, 8, 8
	v_add3_u32 v70, v70, v77, v82
	;; [unrolled: 10-line block ×6, first 2 shown]
	v_ashrrev_i32_e32 v60, 24, v60
	v_mul_i32_i24_e32 v111, v50, v250
	v_mul_i32_i24_e32 v113, v67, v252
	s_waitcnt lgkmcnt(0)
	v_lshrrev_b32_e32 v69, 16, v3
	v_add3_u32 v70, v70, v109, v110
	v_mul_i32_i24_e32 v254, v68, v241
	v_mul_i32_i24_e32 v255, v60, v253
	;; [unrolled: 1-line block ×3, first 2 shown]
	v_cvt_f32_f16_e32 v69, v69
	v_add3_u32 v70, v70, v111, v113
	v_mul_i32_i24_e32 v72, v26, v194
	v_mul_i32_i24_e32 v73, v39, v195
	;; [unrolled: 1-line block ×3, first 2 shown]
	v_mul_f32_e32 v69, 0x41000000, v69
	v_add3_u32 v70, v70, v254, v255
	v_mul_i32_i24_e32 v75, v41, v196
	v_mul_i32_i24_e32 v76, v42, v190
	v_mul_i32_i24_e32 v77, v43, v198
	v_mul_i32_i24_e32 v82, v51, v204
	v_cvt_f32_i32_e32 v70, v70
	v_mul_i32_i24_e32 v79, v46, v200
	v_mul_i32_i24_e32 v80, v47, v201
	;; [unrolled: 1-line block ×4, first 2 shown]
	v_fma_mix_f32 v70, v3, v70, -v69 op_sel_hi:[1,0,0]
	v_mul_i32_i24_e32 v84, v52, v205
	v_mul_i32_i24_e32 v85, v53, v193
	;; [unrolled: 1-line block ×4, first 2 shown]
	v_fmac_f32_e32 v12, v197, v70
	v_mul_i32_i24_e32 v70, v21, v191
	v_mul_i32_i24_e32 v99, v56, v208
	v_mul_i32_i24_e32 v100, v57, v210
	v_mul_i32_i24_e32 v101, v49, v211
	v_mul_i32_i24_e32 v108, v63, v215
	v_mad_i32_i24 v70, v40, v189, v70
	v_mul_i32_i24_e32 v105, v61, v213
	v_mul_i32_i24_e32 v106, v62, v203
	v_mul_i32_i24_e32 v107, v59, v214
	v_mul_i32_i24_e32 v112, v66, v219
	v_add3_u32 v70, v70, v71, v72
	v_mul_i32_i24_e32 v109, v64, v216
	v_mul_i32_i24_e32 v110, v65, v217
	v_mul_i32_i24_e32 v111, v50, v218
	v_mul_i32_i24_e32 v113, v67, v220
	v_add3_u32 v70, v70, v73, v78
	;; [unrolled: 5-line block ×15, first 2 shown]
	v_mul_i32_i24_e32 v254, v68, v175
	v_mul_i32_i24_e32 v255, v60, v187
	;; [unrolled: 1-line block ×4, first 2 shown]
	v_cvt_f32_i32_e32 v70, v70
	v_mul_i32_i24_e32 v64, v64, v149
	v_mul_i32_i24_e32 v65, v65, v150
	;; [unrolled: 1-line block ×4, first 2 shown]
	v_fma_mix_f32 v70, v3, v70, -v69 op_sel_hi:[1,0,0]
	v_mul_i32_i24_e32 v68, v68, v142
	v_mul_i32_i24_e32 v60, v60, v154
	s_delay_alu instid0(VALU_DEP_3) | instskip(SKIP_1) | instid1(VALU_DEP_1)
	v_fmac_f32_e32 v11, v188, v70
	v_mul_i32_i24_e32 v70, v21, v158
	v_mad_i32_i24 v70, v40, v156, v70
	s_delay_alu instid0(VALU_DEP_1) | instskip(NEXT) | instid1(VALU_DEP_1)
	v_add3_u32 v70, v70, v71, v72
	v_add3_u32 v70, v70, v73, v78
	s_delay_alu instid0(VALU_DEP_1) | instskip(NEXT) | instid1(VALU_DEP_1)
	v_add3_u32 v70, v70, v75, v76
	v_add3_u32 v70, v70, v77, v82
	;; [unrolled: 3-line block ×7, first 2 shown]
	ds_load_b128 v[109:112], v116 offset:7168
	ds_load_b128 v[99:102], v116 offset:7184
	v_add_nc_u32_e32 v116, 32, v116
	v_add3_u32 v70, v70, v254, v255
	s_delay_alu instid0(VALU_DEP_1) | instskip(NEXT) | instid1(VALU_DEP_1)
	v_cvt_f32_i32_e32 v70, v70
	v_fma_mix_f32 v70, v3, v70, -v69 op_sel_hi:[1,0,0]
	s_delay_alu instid0(VALU_DEP_1)
	v_fmac_f32_e32 v10, v155, v70
	v_mul_i32_i24_e32 v21, v21, v125
	s_waitcnt lgkmcnt(1)
	v_bfe_i32 v255, v109, 0, 8
	s_waitcnt lgkmcnt(0)
	v_bfe_i32 v254, v99, 0, 8
	v_ashrrev_i32_e32 v98, 24, v109
	v_bfe_i32 v108, v110, 0, 8
	v_mad_i32_i24 v21, v40, v123, v21
	v_bfe_i32 v105, v99, 8, 8
	v_bfe_i32 v106, v99, 16, 8
	v_ashrrev_i32_e32 v107, 24, v99
	v_bfe_i32 v85, v102, 0, 8
	v_add3_u32 v21, v21, v22, v26
	v_bfe_i32 v22, v109, 16, 8
	v_bfe_i32 v26, v110, 16, 8
	v_ashrrev_i32_e32 v84, 24, v112
	v_mul_i32_i24_e32 v99, v85, v251
	v_add3_u32 v21, v21, v39, v44
	v_mul_i32_i24_e32 v39, v255, v224
	v_mul_i32_i24_e32 v44, v105, v229
	;; [unrolled: 1-line block ×4, first 2 shown]
	v_add3_u32 v21, v21, v41, v42
	v_mul_i32_i24_e32 v41, v22, v227
	v_mad_i32_i24 v39, v254, v222, v39
	v_ashrrev_i32_e32 v42, 24, v110
	s_delay_alu instid0(VALU_DEP_4) | instskip(SKIP_2) | instid1(VALU_DEP_3)
	v_add3_u32 v21, v21, v43, v51
	v_mul_i32_i24_e32 v43, v98, v228
	v_mul_i32_i24_e32 v51, v107, v230
	v_add3_u32 v21, v21, v46, v47
	v_bfe_i32 v47, v100, 0, 8
	v_mul_i32_i24_e32 v46, v106, v223
	s_delay_alu instid0(VALU_DEP_3) | instskip(SKIP_2) | instid1(VALU_DEP_3)
	v_add3_u32 v21, v21, v48, v55
	v_bfe_i32 v48, v100, 8, 8
	v_bfe_i32 v55, v111, 16, 8
	v_add3_u32 v21, v21, v52, v53
	v_mul_i32_i24_e32 v52, v108, v231
	v_bfe_i32 v53, v111, 0, 8
	s_delay_alu instid0(VALU_DEP_4) | instskip(NEXT) | instid1(VALU_DEP_4)
	v_mul_i32_i24_e32 v73, v55, v242
	v_add3_u32 v21, v21, v54, v58
	v_bfe_i32 v58, v101, 0, 8
	s_delay_alu instid0(VALU_DEP_4) | instskip(SKIP_1) | instid1(VALU_DEP_4)
	v_mul_i32_i24_e32 v71, v53, v239
	v_bfe_i32 v54, v111, 8, 8
	v_add3_u32 v21, v21, v56, v57
	s_delay_alu instid0(VALU_DEP_4) | instskip(SKIP_1) | instid1(VALU_DEP_4)
	v_mul_i32_i24_e32 v76, v58, v244
	v_ashrrev_i32_e32 v57, 24, v111
	v_mul_i32_i24_e32 v72, v54, v240
	v_bfe_i32 v111, v102, 16, 8
	v_add3_u32 v21, v21, v49, v63
	v_bfe_i32 v49, v100, 16, 8
	v_bfe_i32 v63, v112, 0, 8
	v_mul_i32_i24_e32 v75, v57, v243
	s_delay_alu instid0(VALU_DEP_4) | instskip(SKIP_1) | instid1(VALU_DEP_4)
	v_add3_u32 v21, v21, v61, v62
	v_mul_i32_i24_e32 v61, v26, v233
	v_mul_i32_i24_e32 v80, v63, v247
	v_ashrrev_i32_e32 v62, 24, v101
	s_delay_alu instid0(VALU_DEP_4) | instskip(SKIP_2) | instid1(VALU_DEP_4)
	v_add3_u32 v21, v21, v59, v66
	v_mul_i32_i24_e32 v66, v42, v235
	v_bfe_i32 v59, v101, 8, 8
	v_mul_i32_i24_e32 v79, v62, v246
	s_delay_alu instid0(VALU_DEP_4) | instskip(SKIP_1) | instid1(VALU_DEP_4)
	v_add3_u32 v21, v21, v64, v65
	v_bfe_i32 v64, v112, 8, 8
	v_mul_i32_i24_e32 v77, v59, v245
	v_bfe_i32 v65, v112, 16, 8
	v_ashrrev_i32_e32 v112, 24, v102
	v_add3_u32 v21, v21, v50, v67
	v_mul_i32_i24_e32 v67, v47, v236
	v_ashrrev_i32_e32 v50, 24, v100
	v_mul_i32_i24_e32 v81, v64, v248
	v_mul_i32_i24_e32 v82, v65, v249
	v_add3_u32 v21, v21, v68, v60
	v_mul_i32_i24_e32 v68, v48, v237
	v_mul_i32_i24_e32 v70, v50, v238
	v_bfe_i32 v60, v101, 16, 8
	v_mul_i32_i24_e32 v101, v111, v241
	v_cvt_f32_i32_e32 v21, v21
	s_delay_alu instid0(VALU_DEP_3) | instskip(NEXT) | instid1(VALU_DEP_2)
	v_mul_i32_i24_e32 v78, v60, v234
	v_fma_mix_f32 v3, v3, v21, -v69 op_sel_hi:[1,0,0]
	v_bfe_i32 v21, v109, 8, 8
	v_bfe_i32 v109, v110, 8, 8
	v_mul_i32_i24_e32 v69, v49, v226
	v_bfe_i32 v110, v102, 8, 8
	v_fmac_f32_e32 v9, v122, v3
	v_mul_i32_i24_e32 v40, v21, v225
	v_mul_i32_i24_e32 v56, v109, v232
	v_lshrrev_b32_e32 v3, 16, v4
	v_mul_i32_i24_e32 v100, v110, v252
	v_mul_i32_i24_e32 v102, v112, v253
	v_add3_u32 v39, v39, v40, v41
	v_mul_i32_i24_e32 v40, v21, v192
	v_cvt_f32_f16_e32 v3, v3
	v_mul_i32_i24_e32 v41, v22, v194
	s_delay_alu instid0(VALU_DEP_4) | instskip(SKIP_1) | instid1(VALU_DEP_4)
	v_add3_u32 v39, v39, v43, v52
	v_mul_i32_i24_e32 v43, v98, v195
	v_mul_f32_e32 v3, 0x41000000, v3
	v_mul_i32_i24_e32 v52, v108, v199
	s_delay_alu instid0(VALU_DEP_4) | instskip(SKIP_2) | instid1(VALU_DEP_3)
	v_add3_u32 v39, v39, v44, v46
	v_mul_i32_i24_e32 v44, v105, v196
	v_mul_i32_i24_e32 v46, v106, v190
	v_add3_u32 v39, v39, v51, v67
	v_mul_i32_i24_e32 v51, v107, v198
	v_mul_i32_i24_e32 v67, v47, v204
	s_delay_alu instid0(VALU_DEP_3) | instskip(SKIP_2) | instid1(VALU_DEP_3)
	v_add3_u32 v39, v39, v56, v61
	v_mul_i32_i24_e32 v56, v109, v200
	v_mul_i32_i24_e32 v61, v26, v201
	v_add3_u32 v39, v39, v66, v71
	v_mul_i32_i24_e32 v66, v42, v202
	v_mul_i32_i24_e32 v71, v53, v207
	s_delay_alu instid0(VALU_DEP_3) | instskip(SKIP_2) | instid1(VALU_DEP_3)
	;; [unrolled: 7-line block ×6, first 2 shown]
	v_add3_u32 v39, v39, v101, v102
	v_mul_i32_i24_e32 v101, v111, v209
	v_mul_i32_i24_e32 v102, v112, v221
	v_cvt_f32_i32_e32 v39, v39
	s_delay_alu instid0(VALU_DEP_1) | instskip(NEXT) | instid1(VALU_DEP_1)
	v_fma_mix_f32 v39, v4, v39, -v3 op_sel_hi:[1,0,0]
	v_fmac_f32_e32 v8, v197, v39
	v_mul_i32_i24_e32 v39, v255, v191
	s_delay_alu instid0(VALU_DEP_1) | instskip(NEXT) | instid1(VALU_DEP_1)
	v_mad_i32_i24 v39, v254, v189, v39
	v_add3_u32 v39, v39, v40, v41
	v_mul_i32_i24_e32 v40, v21, v159
	v_mul_i32_i24_e32 v41, v22, v161
	s_delay_alu instid0(VALU_DEP_3) | instskip(SKIP_2) | instid1(VALU_DEP_3)
	v_add3_u32 v39, v39, v43, v52
	v_mul_i32_i24_e32 v43, v98, v162
	v_mul_i32_i24_e32 v52, v108, v165
	v_add3_u32 v39, v39, v44, v46
	v_mul_i32_i24_e32 v44, v105, v163
	v_mul_i32_i24_e32 v46, v106, v157
	;; [unrolled: 1-line block ×3, first 2 shown]
	s_delay_alu instid0(VALU_DEP_4) | instskip(SKIP_2) | instid1(VALU_DEP_3)
	v_add3_u32 v39, v39, v51, v67
	v_mul_i32_i24_e32 v51, v107, v164
	v_mul_i32_i24_e32 v67, v47, v170
	v_add3_u32 v39, v39, v56, v61
	v_mul_i32_i24_e32 v56, v109, v166
	v_mul_i32_i24_e32 v61, v26, v167
	s_delay_alu instid0(VALU_DEP_3) | instskip(SKIP_2) | instid1(VALU_DEP_3)
	v_add3_u32 v39, v39, v66, v71
	v_mul_i32_i24_e32 v66, v42, v168
	v_mul_i32_i24_e32 v71, v53, v173
	v_add3_u32 v39, v39, v68, v69
	v_mul_i32_i24_e32 v68, v48, v171
	v_mul_i32_i24_e32 v69, v49, v160
	s_delay_alu instid0(VALU_DEP_3) | instskip(SKIP_3) | instid1(VALU_DEP_4)
	v_add3_u32 v39, v39, v70, v76
	v_mul_i32_i24_e32 v70, v50, v172
	v_mul_i32_i24_e32 v76, v58, v178
	;; [unrolled: 1-line block ×3, first 2 shown]
	v_add3_u32 v39, v39, v72, v73
	v_mul_i32_i24_e32 v72, v54, v174
	v_mul_i32_i24_e32 v73, v55, v176
	;; [unrolled: 1-line block ×3, first 2 shown]
	s_delay_alu instid0(VALU_DEP_4) | instskip(SKIP_3) | instid1(VALU_DEP_4)
	v_add3_u32 v39, v39, v75, v80
	v_mul_i32_i24_e32 v75, v57, v177
	v_mul_i32_i24_e32 v80, v63, v181
	;; [unrolled: 1-line block ×3, first 2 shown]
	v_add3_u32 v39, v39, v77, v78
	v_mul_i32_i24_e32 v77, v59, v179
	v_mul_i32_i24_e32 v78, v60, v169
	s_delay_alu instid0(VALU_DEP_3) | instskip(SKIP_2) | instid1(VALU_DEP_3)
	v_add3_u32 v39, v39, v79, v99
	v_mul_i32_i24_e32 v79, v62, v180
	v_mul_i32_i24_e32 v99, v85, v185
	v_add3_u32 v39, v39, v81, v82
	v_mul_i32_i24_e32 v81, v64, v182
	v_mul_i32_i24_e32 v82, v65, v183
	s_delay_alu instid0(VALU_DEP_3) | instskip(SKIP_2) | instid1(VALU_DEP_3)
	v_add3_u32 v39, v39, v97, v100
	v_mul_i32_i24_e32 v97, v84, v184
	v_mul_i32_i24_e32 v100, v110, v186
	v_add3_u32 v39, v39, v101, v102
	v_mul_i32_i24_e32 v101, v111, v175
	v_mul_i32_i24_e32 v102, v112, v187
	s_delay_alu instid0(VALU_DEP_3) | instskip(NEXT) | instid1(VALU_DEP_1)
	v_cvt_f32_i32_e32 v39, v39
	v_fma_mix_f32 v39, v4, v39, -v3 op_sel_hi:[1,0,0]
	s_delay_alu instid0(VALU_DEP_1) | instskip(SKIP_1) | instid1(VALU_DEP_1)
	v_fmac_f32_e32 v7, v188, v39
	v_mul_i32_i24_e32 v39, v255, v158
	v_mad_i32_i24 v39, v254, v156, v39
	s_delay_alu instid0(VALU_DEP_1)
	v_add3_u32 v39, v39, v40, v41
	v_mul_i32_i24_e32 v40, v21, v126
	v_mul_i32_i24_e32 v41, v22, v128
	v_mul_i32_i24_e32 v128, v107, v131
	v_mul_i32_i24_e32 v126, v26, v134
	v_add3_u32 v39, v39, v43, v52
	v_mul_i32_i24_e32 v43, v98, v129
	v_mul_i32_i24_e32 v129, v47, v137
	v_mul_i32_i24_e32 v107, v48, v138
	v_mul_i32_i24_e32 v98, v54, v141
	v_add3_u32 v39, v39, v44, v46
	v_mul_i32_i24_e32 v44, v108, v132
	v_mul_i32_i24_e32 v108, v49, v127
	v_mul_i32_i24_e32 v54, v60, v136
	v_mul_i32_i24_e32 v49, v62, v147
	v_add3_u32 v39, v39, v51, v67
	v_mul_i32_i24_e32 v47, v64, v149
	v_mul_i32_i24_e32 v48, v65, v150
	v_mul_i32_i24_e32 v26, v84, v151
	v_mul_i32_i24_e32 v21, v111, v142
	v_add3_u32 v39, v39, v56, v61
	v_mul_i32_i24_e32 v22, v112, v154
	s_delay_alu instid0(VALU_DEP_2) | instskip(NEXT) | instid1(VALU_DEP_1)
	v_add3_u32 v39, v39, v66, v71
	v_add3_u32 v39, v39, v68, v69
	s_delay_alu instid0(VALU_DEP_1) | instskip(NEXT) | instid1(VALU_DEP_1)
	v_add3_u32 v39, v39, v70, v76
	v_add3_u32 v39, v39, v72, v73
	s_delay_alu instid0(VALU_DEP_1) | instskip(NEXT) | instid1(VALU_DEP_1)
	;; [unrolled: 3-line block ×5, first 2 shown]
	v_cvt_f32_i32_e32 v39, v39
	v_fma_mix_f32 v39, v4, v39, -v3 op_sel_hi:[1,0,0]
	s_delay_alu instid0(VALU_DEP_1)
	v_fmac_f32_e32 v6, v155, v39
	v_mul_i32_i24_e32 v39, v255, v125
	v_mul_i32_i24_e32 v155, v106, v124
	;; [unrolled: 1-line block ×5, first 2 shown]
	v_mad_i32_i24 v39, v254, v123, v39
	v_mul_i32_i24_e32 v106, v50, v139
	v_mul_i32_i24_e32 v53, v59, v146
	;; [unrolled: 1-line block ×4, first 2 shown]
	v_add3_u32 v39, v39, v40, v41
	s_delay_alu instid0(VALU_DEP_1) | instskip(NEXT) | instid1(VALU_DEP_1)
	v_add3_u32 v39, v39, v43, v44
	v_add3_u32 v39, v39, v130, v155
	s_delay_alu instid0(VALU_DEP_1) | instskip(NEXT) | instid1(VALU_DEP_1)
	v_add3_u32 v39, v39, v128, v129
	;; [unrolled: 3-line block ×7, first 2 shown]
	v_add3_u32 v21, v26, v21, v22
	s_delay_alu instid0(VALU_DEP_1) | instskip(NEXT) | instid1(VALU_DEP_1)
	v_cvt_f32_i32_e32 v21, v21
	v_fma_mix_f32 v3, v4, v21, -v3 op_sel_hi:[1,0,0]
	s_delay_alu instid0(VALU_DEP_1)
	v_fmac_f32_e32 v5, v122, v3
	s_cbranch_scc1 .LBB137_7
; %bb.8:                                ;   in Loop: Header=BB137_6 Depth=1
	s_or_b32 s12, s11, 4
	s_delay_alu instid0(SALU_CYCLE_1)
	s_cmp_ge_i32 s12, s5
	s_barrier
	buffer_gl0_inv
	s_cbranch_scc1 .LBB137_5
; %bb.9:                                ;   in Loop: Header=BB137_6 Depth=1
	scratch_load_b32 v3, off, off offset:212 ; 4-byte Folded Reload
	s_mov_b32 s12, 12
	s_waitcnt vmcnt(0)
	v_dual_mov_b32 v115, v103 :: v_dual_add_nc_u32 v26, s11, v3
	s_delay_alu instid0(VALU_DEP_1) | instskip(SKIP_3) | instid1(VALU_DEP_4)
	v_add_nc_u32_e32 v40, v26, v88
	v_add_nc_u32_e32 v21, v26, v86
	;; [unrolled: 1-line block ×4, first 2 shown]
	v_mad_i64_i32 v[47:48], null, v40, 36, v[0:1]
	v_add_nc_u32_e32 v40, v26, v91
	s_delay_alu instid0(VALU_DEP_3) | instskip(NEXT) | instid1(VALU_DEP_2)
	v_mad_i64_i32 v[49:50], null, v41, 36, v[0:1]
	v_mad_i64_i32 v[57:58], null, v40, 36, v[0:1]
	v_add_nc_u32_e32 v40, 4, v114
	v_mov_b32_e32 v114, v104
	v_mad_i64_i32 v[3:4], null, v21, 36, v[0:1]
	v_mad_i64_i32 v[21:22], null, v39, 36, v[0:1]
	v_add_nc_u32_e32 v39, v26, v90
	v_mad_u64_u32 v[64:65], null, v40, 36, s[2:3]
	s_delay_alu instid0(VALU_DEP_2) | instskip(SKIP_2) | instid1(VALU_DEP_2)
	v_mad_i64_i32 v[53:54], null, v39, 36, v[0:1]
	v_add_nc_u32_e32 v39, v26, v93
	v_add_nc_u32_e32 v26, v26, v95
	v_mad_i64_i32 v[59:60], null, v39, 36, v[0:1]
	s_delay_alu instid0(VALU_DEP_2)
	v_mad_i64_i32 v[62:63], null, v26, 36, v[0:1]
	s_clause 0x8
	global_load_b32 v3, v[3:4], off offset:4
	global_load_b32 v4, v[21:22], off offset:4
	;; [unrolled: 1-line block ×8, first 2 shown]
	global_load_b32 v42, v[64:65], off
	s_clause 0x5
	scratch_load_b32 v116, off, off offset:232
	scratch_load_b32 v117, off, off offset:228
	;; [unrolled: 1-line block ×5, first 2 shown]
	scratch_load_b32 v43, off, off
	s_waitcnt vmcnt(0)
	ds_store_b32 v43, v3
	scratch_load_b32 v3, off, off offset:4  ; 4-byte Folded Reload
	s_waitcnt vmcnt(0)
	ds_store_b32 v3, v4
	scratch_load_b32 v3, off, off offset:8  ; 4-byte Folded Reload
	s_waitcnt vmcnt(0)
	ds_store_b32 v3, v21
	scratch_load_b32 v3, off, off offset:12 ; 4-byte Folded Reload
	s_waitcnt vmcnt(0)
	ds_store_b32 v3, v22
	ds_store_b32 v74, v26
	;; [unrolled: 1-line block ×6, first 2 shown]
	s_waitcnt lgkmcnt(0)
	s_barrier
	buffer_gl0_inv
.LBB137_10:                             ;   Parent Loop BB137_6 Depth=1
                                        ; =>  This Inner Loop Header: Depth=2
	ds_load_b128 v[47:50], v115
	ds_load_b128 v[57:60], v115 offset:16
	ds_load_2addr_b32 v[3:4], v114 offset1:32
	s_add_i32 s12, s12, 4
	s_delay_alu instid0(SALU_CYCLE_1)
	s_cmp_lt_u32 s12, 28
	s_waitcnt lgkmcnt(2)
	v_bfe_i32 v26, v47, 0, 8
	v_bfe_i32 v39, v47, 8, 8
	s_waitcnt lgkmcnt(0)
	v_lshrrev_b32_e32 v21, 16, v3
	v_bfe_i32 v40, v47, 16, 8
	v_ashrrev_i32_e32 v41, 24, v47
	v_bfe_i32 v42, v57, 0, 8
	v_bfe_i32 v47, v48, 0, 8
	v_cvt_f32_f16_e32 v21, v21
	v_bfe_i32 v53, v58, 0, 8
	v_bfe_i32 v43, v57, 8, 8
	;; [unrolled: 1-line block ×3, first 2 shown]
	v_ashrrev_i32_e32 v46, 24, v57
	v_mul_f32_e32 v71, 0x41000000, v21
	ds_load_b32 v196, v117
	ds_load_2addr_b32 v[21:22], v116 offset1:1
	v_bfe_i32 v57, v49, 0, 8
	v_bfe_i32 v62, v59, 0, 8
	;; [unrolled: 1-line block ×5, first 2 shown]
	v_ashrrev_i32_e32 v48, 24, v48
	v_bfe_i32 v54, v58, 8, 8
	v_bfe_i32 v68, v60, 0, 8
	;; [unrolled: 1-line block ×3, first 2 shown]
	v_ashrrev_i32_e32 v56, 24, v58
	v_bfe_i32 v58, v49, 8, 8
	v_bfe_i32 v61, v49, 16, 8
	v_ashrrev_i32_e32 v49, 24, v49
	v_bfe_i32 v63, v59, 8, 8
	v_bfe_i32 v64, v59, 16, 8
	;; [unrolled: 3-line block ×3, first 2 shown]
	v_ashrrev_i32_e32 v50, 24, v50
	s_waitcnt lgkmcnt(0)
	v_and_b32_e32 v230, 15, v22
	v_bfe_u32 v222, v21, 20, 4
	v_and_b32_e32 v223, 15, v21
	v_bfe_u32 v224, v21, 8, 4
	v_bfe_u32 v226, v21, 16, 4
	;; [unrolled: 1-line block ×5, first 2 shown]
	v_lshrrev_b32_e32 v229, 28, v21
	v_bfe_u32 v225, v22, 20, 4
	v_bfe_u32 v231, v22, 8, 4
	;; [unrolled: 1-line block ×6, first 2 shown]
	v_lshrrev_b32_e32 v237, 28, v22
	ds_load_2addr_b32 v[21:22], v116 offset0:2 offset1:3
	v_mul_i32_i24_e32 v72, v223, v26
	v_mul_i32_i24_e32 v80, v230, v47
	;; [unrolled: 1-line block ×5, first 2 shown]
	v_mad_i32_i24 v72, v221, v42, v72
	v_mul_i32_i24_e32 v76, v227, v41
	v_mul_i32_i24_e32 v77, v228, v43
	;; [unrolled: 1-line block ×4, first 2 shown]
	v_add3_u32 v72, v72, v80, v85
	v_mul_i32_i24_e32 v81, v231, v51
	v_mul_i32_i24_e32 v82, v232, v52
	;; [unrolled: 1-line block ×6, first 2 shown]
	v_bfe_i32 v69, v60, 8, 8
	v_bfe_i32 v70, v60, 16, 8
	s_waitcnt lgkmcnt(0)
	v_and_b32_e32 v238, 15, v21
	v_bfe_u32 v243, v21, 4, 4
	v_and_b32_e32 v246, 15, v22
	v_bfe_u32 v250, v22, 4, 4
	v_bfe_u32 v239, v21, 8, 4
	v_mul_i32_i24_e32 v100, v238, v57
	v_mul_i32_i24_e32 v106, v243, v62
	;; [unrolled: 1-line block ×4, first 2 shown]
	v_bfe_u32 v241, v21, 16, 4
	v_add3_u32 v72, v72, v100, v73
	v_mul_i32_i24_e32 v101, v239, v58
	v_bfe_u32 v242, v21, 24, 4
	v_bfe_u32 v244, v21, 12, 4
	v_mul_i32_i24_e32 v102, v241, v61
	v_add3_u32 v72, v72, v75, v76
	v_bfe_u32 v233, v21, 20, 4
	v_mul_i32_i24_e32 v105, v242, v49
	v_mul_i32_i24_e32 v107, v244, v63
	v_lshrrev_b32_e32 v245, 28, v21
	v_add3_u32 v72, v72, v106, v109
	v_mul_i32_i24_e32 v108, v233, v64
	v_bfe_u32 v247, v22, 8, 4
	v_bfe_u32 v248, v22, 16, 4
	v_mul_i32_i24_e32 v21, v245, v59
	v_add3_u32 v72, v72, v77, v78
	v_bfe_u32 v249, v22, 24, 4
	v_mul_i32_i24_e32 v110, v247, v66
	v_mul_i32_i24_e32 v111, v248, v67
	v_bfe_u32 v251, v22, 12, 4
	v_add3_u32 v72, v72, v79, v81
	v_ashrrev_i32_e32 v60, 24, v60
	v_bfe_u32 v240, v22, 20, 4
	v_mul_i32_i24_e32 v112, v249, v50
	v_mul_i32_i24_e32 v121, v251, v69
	v_add3_u32 v72, v72, v82, v84
	v_lshrrev_b32_e32 v252, 28, v22
	v_mul_i32_i24_e32 v122, v240, v70
	v_add_nc_u32_e32 v117, 4, v117
	s_delay_alu instid0(VALU_DEP_4) | instskip(NEXT) | instid1(VALU_DEP_4)
	v_add3_u32 v72, v72, v113, v97
	v_mul_i32_i24_e32 v22, v252, v60
	s_delay_alu instid0(VALU_DEP_2) | instskip(NEXT) | instid1(VALU_DEP_1)
	v_add3_u32 v72, v72, v98, v99
	v_add3_u32 v72, v72, v101, v102
	s_delay_alu instid0(VALU_DEP_1) | instskip(NEXT) | instid1(VALU_DEP_1)
	v_add3_u32 v72, v72, v105, v107
	v_add3_u32 v21, v72, v108, v21
	s_delay_alu instid0(VALU_DEP_1) | instskip(NEXT) | instid1(VALU_DEP_1)
	;; [unrolled: 3-line block ×3, first 2 shown]
	v_add3_u32 v21, v21, v122, v22
	v_cvt_f32_i32_e32 v21, v21
	s_delay_alu instid0(VALU_DEP_1) | instskip(NEXT) | instid1(VALU_DEP_1)
	v_fma_mix_f32 v21, v3, v21, -v71 op_sel_hi:[1,0,0]
	v_fmac_f32_e32 v33, v196, v21
	v_add_nc_u32_e32 v21, 0x1080, v116
	ds_load_b32 v187, v118
	ds_load_2addr_b32 v[21:22], v21 offset1:1
	v_add_nc_u32_e32 v118, 4, v118
	s_waitcnt lgkmcnt(0)
	v_bfe_u32 v189, v21, 20, 4
	v_and_b32_e32 v190, 15, v21
	v_bfe_u32 v191, v21, 8, 4
	v_bfe_u32 v193, v21, 16, 4
	;; [unrolled: 1-line block ×5, first 2 shown]
	v_lshrrev_b32_e32 v197, 28, v21
	v_add_nc_u32_e32 v21, 0x1088, v116
	v_bfe_u32 v192, v22, 20, 4
	v_and_b32_e32 v198, 15, v22
	v_bfe_u32 v199, v22, 8, 4
	v_bfe_u32 v200, v22, 16, 4
	;; [unrolled: 1-line block ×5, first 2 shown]
	v_lshrrev_b32_e32 v205, 28, v22
	ds_load_2addr_b32 v[21:22], v21 offset1:1
	v_mul_i32_i24_e32 v72, v190, v26
	v_mul_i32_i24_e32 v80, v198, v47
	;; [unrolled: 1-line block ×5, first 2 shown]
	v_mad_i32_i24 v72, v188, v42, v72
	v_mul_i32_i24_e32 v76, v194, v41
	v_mul_i32_i24_e32 v77, v195, v43
	;; [unrolled: 1-line block ×4, first 2 shown]
	v_add3_u32 v72, v72, v80, v85
	v_mul_i32_i24_e32 v81, v199, v51
	v_mul_i32_i24_e32 v82, v200, v52
	;; [unrolled: 1-line block ×6, first 2 shown]
	s_waitcnt lgkmcnt(0)
	v_and_b32_e32 v206, 15, v21
	v_bfe_u32 v211, v21, 4, 4
	v_and_b32_e32 v214, 15, v22
	v_bfe_u32 v218, v22, 4, 4
	v_bfe_u32 v207, v21, 8, 4
	v_mul_i32_i24_e32 v100, v206, v57
	v_mul_i32_i24_e32 v106, v211, v62
	;; [unrolled: 1-line block ×4, first 2 shown]
	v_bfe_u32 v209, v21, 16, 4
	v_add3_u32 v72, v72, v100, v73
	v_mul_i32_i24_e32 v101, v207, v58
	v_bfe_u32 v210, v21, 24, 4
	v_bfe_u32 v212, v21, 12, 4
	v_mul_i32_i24_e32 v102, v209, v61
	v_add3_u32 v72, v72, v75, v76
	v_bfe_u32 v202, v21, 20, 4
	v_mul_i32_i24_e32 v105, v210, v49
	v_mul_i32_i24_e32 v107, v212, v63
	v_lshrrev_b32_e32 v213, 28, v21
	v_add3_u32 v72, v72, v106, v109
	v_mul_i32_i24_e32 v108, v202, v64
	v_bfe_u32 v215, v22, 8, 4
	v_bfe_u32 v216, v22, 16, 4
	v_mul_i32_i24_e32 v21, v213, v59
	v_add3_u32 v72, v72, v77, v78
	v_bfe_u32 v217, v22, 24, 4
	v_mul_i32_i24_e32 v110, v215, v66
	v_mul_i32_i24_e32 v111, v216, v67
	v_bfe_u32 v219, v22, 12, 4
	v_add3_u32 v72, v72, v79, v81
	v_bfe_u32 v208, v22, 20, 4
	v_mul_i32_i24_e32 v112, v217, v50
	v_lshrrev_b32_e32 v220, 28, v22
	v_mul_i32_i24_e32 v121, v219, v69
	v_add3_u32 v72, v72, v82, v84
	v_mul_i32_i24_e32 v122, v208, v70
	s_delay_alu instid0(VALU_DEP_4) | instskip(NEXT) | instid1(VALU_DEP_3)
	v_mul_i32_i24_e32 v22, v220, v60
	v_add3_u32 v72, v72, v113, v97
	s_delay_alu instid0(VALU_DEP_1) | instskip(NEXT) | instid1(VALU_DEP_1)
	v_add3_u32 v72, v72, v98, v99
	v_add3_u32 v72, v72, v101, v102
	s_delay_alu instid0(VALU_DEP_1) | instskip(NEXT) | instid1(VALU_DEP_1)
	v_add3_u32 v72, v72, v105, v107
	;; [unrolled: 3-line block ×4, first 2 shown]
	v_cvt_f32_i32_e32 v21, v21
	s_delay_alu instid0(VALU_DEP_1) | instskip(NEXT) | instid1(VALU_DEP_1)
	v_fma_mix_f32 v21, v3, v21, -v71 op_sel_hi:[1,0,0]
	v_fmac_f32_e32 v45, v187, v21
	v_add_nc_u32_e32 v21, 0x2100, v116
	ds_load_b32 v154, v119
	ds_load_2addr_b32 v[21:22], v21 offset1:1
	v_add_nc_u32_e32 v119, 4, v119
	s_waitcnt lgkmcnt(0)
	v_bfe_u32 v156, v21, 20, 4
	v_and_b32_e32 v157, 15, v21
	v_bfe_u32 v158, v21, 8, 4
	v_bfe_u32 v160, v21, 16, 4
	;; [unrolled: 1-line block ×5, first 2 shown]
	v_lshrrev_b32_e32 v163, 28, v21
	v_add_nc_u32_e32 v21, 0x2108, v116
	v_bfe_u32 v159, v22, 20, 4
	v_and_b32_e32 v164, 15, v22
	v_bfe_u32 v165, v22, 8, 4
	v_bfe_u32 v166, v22, 16, 4
	;; [unrolled: 1-line block ×5, first 2 shown]
	v_lshrrev_b32_e32 v171, 28, v22
	ds_load_2addr_b32 v[21:22], v21 offset1:1
	v_mul_i32_i24_e32 v72, v157, v26
	v_mul_i32_i24_e32 v80, v164, v47
	v_mul_i32_i24_e32 v85, v169, v53
	v_mul_i32_i24_e32 v73, v158, v39
	v_mul_i32_i24_e32 v75, v160, v40
	v_mad_i32_i24 v72, v155, v42, v72
	v_mul_i32_i24_e32 v76, v161, v41
	v_mul_i32_i24_e32 v77, v162, v43
	;; [unrolled: 1-line block ×4, first 2 shown]
	v_add3_u32 v72, v72, v80, v85
	v_mul_i32_i24_e32 v81, v165, v51
	v_mul_i32_i24_e32 v82, v166, v52
	;; [unrolled: 1-line block ×6, first 2 shown]
	s_waitcnt lgkmcnt(0)
	v_and_b32_e32 v172, 15, v21
	v_bfe_u32 v177, v21, 4, 4
	v_and_b32_e32 v180, 15, v22
	v_bfe_u32 v184, v22, 4, 4
	v_bfe_u32 v173, v21, 8, 4
	v_mul_i32_i24_e32 v100, v172, v57
	v_mul_i32_i24_e32 v106, v177, v62
	;; [unrolled: 1-line block ×4, first 2 shown]
	v_bfe_u32 v175, v21, 16, 4
	v_add3_u32 v72, v72, v100, v73
	v_mul_i32_i24_e32 v101, v173, v58
	v_bfe_u32 v176, v21, 24, 4
	v_bfe_u32 v178, v21, 12, 4
	v_mul_i32_i24_e32 v102, v175, v61
	v_add3_u32 v72, v72, v75, v76
	v_bfe_u32 v168, v21, 20, 4
	v_mul_i32_i24_e32 v105, v176, v49
	v_mul_i32_i24_e32 v107, v178, v63
	v_lshrrev_b32_e32 v179, 28, v21
	v_add3_u32 v72, v72, v106, v109
	v_mul_i32_i24_e32 v108, v168, v64
	v_bfe_u32 v181, v22, 8, 4
	v_bfe_u32 v182, v22, 16, 4
	v_mul_i32_i24_e32 v21, v179, v59
	v_add3_u32 v72, v72, v77, v78
	v_bfe_u32 v183, v22, 24, 4
	v_mul_i32_i24_e32 v110, v181, v66
	v_mul_i32_i24_e32 v111, v182, v67
	v_bfe_u32 v185, v22, 12, 4
	v_add3_u32 v72, v72, v79, v81
	v_bfe_u32 v174, v22, 20, 4
	v_mul_i32_i24_e32 v112, v183, v50
	v_lshrrev_b32_e32 v186, 28, v22
	v_mul_i32_i24_e32 v121, v185, v69
	v_add3_u32 v72, v72, v82, v84
	v_mul_i32_i24_e32 v122, v174, v70
	s_delay_alu instid0(VALU_DEP_4) | instskip(NEXT) | instid1(VALU_DEP_3)
	v_mul_i32_i24_e32 v22, v186, v60
	v_add3_u32 v72, v72, v113, v97
	s_delay_alu instid0(VALU_DEP_1) | instskip(NEXT) | instid1(VALU_DEP_1)
	v_add3_u32 v72, v72, v98, v99
	v_add3_u32 v72, v72, v101, v102
	s_delay_alu instid0(VALU_DEP_1) | instskip(NEXT) | instid1(VALU_DEP_1)
	v_add3_u32 v72, v72, v105, v107
	;; [unrolled: 3-line block ×4, first 2 shown]
	v_cvt_f32_i32_e32 v21, v21
	s_delay_alu instid0(VALU_DEP_1) | instskip(NEXT) | instid1(VALU_DEP_1)
	v_fma_mix_f32 v21, v3, v21, -v71 op_sel_hi:[1,0,0]
	v_dual_fmac_f32 v38, v154, v21 :: v_dual_add_nc_u32 v21, 0x3180, v116
	ds_load_b32 v121, v120
	ds_load_2addr_b32 v[21:22], v21 offset1:1
	v_add_nc_u32_e32 v120, 4, v120
	s_waitcnt lgkmcnt(0)
	v_bfe_u32 v123, v21, 20, 4
	v_and_b32_e32 v124, 15, v21
	v_bfe_u32 v125, v21, 8, 4
	v_bfe_u32 v127, v21, 16, 4
	;; [unrolled: 1-line block ×5, first 2 shown]
	v_lshrrev_b32_e32 v130, 28, v21
	v_add_nc_u32_e32 v21, 0x3188, v116
	v_bfe_u32 v126, v22, 20, 4
	v_and_b32_e32 v131, 15, v22
	v_bfe_u32 v132, v22, 8, 4
	v_bfe_u32 v133, v22, 16, 4
	;; [unrolled: 1-line block ×5, first 2 shown]
	v_lshrrev_b32_e32 v138, 28, v22
	ds_load_2addr_b32 v[21:22], v21 offset1:1
	v_mul_i32_i24_e32 v26, v124, v26
	v_mul_i32_i24_e32 v47, v131, v47
	;; [unrolled: 1-line block ×5, first 2 shown]
	v_mad_i32_i24 v26, v122, v42, v26
	v_mul_i32_i24_e32 v41, v128, v41
	v_mul_i32_i24_e32 v43, v129, v43
	;; [unrolled: 1-line block ×4, first 2 shown]
	v_add3_u32 v26, v26, v47, v53
	v_mul_i32_i24_e32 v51, v132, v51
	v_mul_i32_i24_e32 v52, v133, v52
	;; [unrolled: 1-line block ×6, first 2 shown]
	v_add_nc_u32_e32 v116, 16, v116
	s_waitcnt lgkmcnt(0)
	v_and_b32_e32 v139, 15, v21
	v_bfe_u32 v144, v21, 4, 4
	v_lshrrev_b32_e32 v146, 28, v21
	v_and_b32_e32 v147, 15, v22
	v_bfe_u32 v135, v21, 20, 4
	v_mul_i32_i24_e32 v57, v139, v57
	v_bfe_u32 v140, v21, 8, 4
	v_bfe_u32 v142, v21, 16, 4
	;; [unrolled: 1-line block ×3, first 2 shown]
	v_mul_i32_i24_e32 v62, v144, v62
	v_add3_u32 v26, v26, v57, v39
	v_bfe_u32 v145, v21, 12, 4
	v_mul_i32_i24_e32 v21, v146, v59
	v_mul_i32_i24_e32 v59, v147, v65
	v_bfe_u32 v148, v22, 8, 4
	v_add3_u32 v26, v26, v40, v41
	v_bfe_u32 v149, v22, 16, 4
	v_bfe_u32 v151, v22, 4, 4
	v_mul_i32_i24_e32 v58, v140, v58
	v_mul_i32_i24_e32 v65, v148, v66
	v_add3_u32 v26, v26, v62, v59
	v_mul_i32_i24_e32 v66, v149, v67
	v_mul_i32_i24_e32 v67, v151, v68
	;; [unrolled: 1-line block ×4, first 2 shown]
	v_add3_u32 v26, v26, v43, v44
	v_mul_i32_i24_e32 v63, v145, v63
	v_mul_i32_i24_e32 v64, v135, v64
	v_bfe_u32 v150, v22, 24, 4
	v_bfe_u32 v152, v22, 12, 4
	v_add3_u32 v26, v26, v46, v51
	v_bfe_u32 v141, v22, 20, 4
	v_lshrrev_b32_e32 v153, 28, v22
	v_mul_i32_i24_e32 v50, v150, v50
	v_mul_i32_i24_e32 v68, v152, v69
	v_add3_u32 v26, v26, v52, v48
	v_mul_i32_i24_e32 v69, v141, v70
	v_mul_i32_i24_e32 v22, v153, v60
	s_delay_alu instid0(VALU_DEP_3) | instskip(NEXT) | instid1(VALU_DEP_1)
	v_add3_u32 v26, v26, v67, v54
	v_add3_u32 v26, v26, v55, v56
	s_delay_alu instid0(VALU_DEP_1) | instskip(NEXT) | instid1(VALU_DEP_1)
	v_add3_u32 v26, v26, v58, v61
	v_add3_u32 v26, v26, v49, v63
	s_delay_alu instid0(VALU_DEP_1) | instskip(NEXT) | instid1(VALU_DEP_1)
	v_add3_u32 v21, v26, v64, v21
	v_add3_u32 v21, v21, v65, v66
	s_delay_alu instid0(VALU_DEP_1) | instskip(SKIP_4) | instid1(VALU_DEP_2)
	v_add3_u32 v21, v21, v50, v68
	ds_load_b128 v[47:50], v115 offset:1024
	ds_load_b128 v[57:60], v115 offset:1040
	v_lshrrev_b32_e32 v68, 16, v4
	v_add3_u32 v21, v21, v69, v22
	v_cvt_f32_f16_e32 v68, v68
	s_delay_alu instid0(VALU_DEP_2) | instskip(NEXT) | instid1(VALU_DEP_2)
	v_cvt_f32_i32_e32 v21, v21
	v_mul_f32_e32 v68, 0x41000000, v68
	s_delay_alu instid0(VALU_DEP_2) | instskip(NEXT) | instid1(VALU_DEP_1)
	v_fma_mix_f32 v3, v3, v21, -v71 op_sel_hi:[1,0,0]
	v_fmac_f32_e32 v37, v121, v3
	s_waitcnt lgkmcnt(1)
	v_bfe_i32 v3, v47, 0, 8
	v_bfe_i32 v21, v47, 8, 8
	;; [unrolled: 1-line block ×3, first 2 shown]
	s_waitcnt lgkmcnt(0)
	v_bfe_i32 v39, v57, 0, 8
	v_ashrrev_i32_e32 v26, 24, v47
	v_mul_i32_i24_e32 v69, v3, v223
	v_bfe_i32 v43, v48, 0, 8
	v_mul_i32_i24_e32 v70, v21, v224
	v_mul_i32_i24_e32 v71, v22, v226
	v_bfe_i32 v40, v57, 8, 8
	v_mad_i32_i24 v69, v39, v221, v69
	v_bfe_i32 v41, v57, 16, 8
	v_mul_i32_i24_e32 v72, v26, v227
	v_mul_i32_i24_e32 v77, v43, v230
	v_ashrrev_i32_e32 v42, 24, v57
	v_add3_u32 v69, v69, v70, v71
	v_bfe_i32 v44, v48, 8, 8
	v_bfe_i32 v46, v48, 16, 8
	v_ashrrev_i32_e32 v47, 24, v48
	v_bfe_i32 v48, v58, 0, 8
	v_mul_i32_i24_e32 v73, v40, v228
	v_mul_i32_i24_e32 v75, v41, v222
	v_add3_u32 v69, v69, v72, v77
	v_mul_i32_i24_e32 v76, v42, v229
	v_mul_i32_i24_e32 v81, v48, v235
	v_bfe_i32 v54, v49, 0, 8
	v_mul_i32_i24_e32 v78, v44, v231
	v_add3_u32 v69, v69, v73, v75
	v_mul_i32_i24_e32 v79, v46, v232
	v_bfe_i32 v51, v58, 8, 8
	v_bfe_i32 v52, v58, 16, 8
	v_mul_i32_i24_e32 v80, v47, v234
	v_add3_u32 v69, v69, v76, v81
	v_mul_i32_i24_e32 v97, v54, v238
	v_ashrrev_i32_e32 v53, 24, v58
	v_bfe_i32 v57, v59, 0, 8
	v_mul_i32_i24_e32 v82, v51, v236
	v_add3_u32 v69, v69, v78, v79
	v_mul_i32_i24_e32 v84, v52, v225
	v_bfe_i32 v55, v49, 8, 8
	v_bfe_i32 v56, v49, 16, 8
	v_mul_i32_i24_e32 v85, v53, v237
	v_add3_u32 v69, v69, v80, v97
	v_mul_i32_i24_e32 v101, v57, v243
	v_ashrrev_i32_e32 v49, 24, v49
	;; [unrolled: 10-line block ×4, first 2 shown]
	v_bfe_i32 v66, v60, 8, 8
	v_mul_i32_i24_e32 v108, v63, v247
	v_add3_u32 v69, v69, v102, v105
	v_mul_i32_i24_e32 v109, v64, v248
	v_bfe_i32 v67, v60, 16, 8
	v_ashrrev_i32_e32 v60, 24, v60
	v_mul_i32_i24_e32 v110, v50, v249
	v_add3_u32 v69, v69, v106, v111
	v_mul_i32_i24_e32 v112, v66, v251
	v_mul_i32_i24_e32 v113, v67, v240
	v_mul_i32_i24_e32 v253, v60, v252
	v_mul_i32_i24_e32 v70, v21, v191
	v_add3_u32 v69, v69, v108, v109
	v_mul_i32_i24_e32 v71, v22, v193
	v_mul_i32_i24_e32 v72, v26, v194
	v_mul_i32_i24_e32 v77, v43, v198
	;; [unrolled: 5-line block ×4, first 2 shown]
	v_mul_i32_i24_e32 v82, v51, v204
	v_cvt_f32_i32_e32 v69, v69
	v_mul_i32_i24_e32 v84, v52, v192
	v_mul_i32_i24_e32 v85, v53, v205
	;; [unrolled: 1-line block ×4, first 2 shown]
	v_fma_mix_f32 v69, v4, v69, -v68 op_sel_hi:[1,0,0]
	v_mul_i32_i24_e32 v99, v56, v209
	v_mul_i32_i24_e32 v100, v49, v210
	;; [unrolled: 1-line block ×4, first 2 shown]
	v_fmac_f32_e32 v36, v196, v69
	v_mul_i32_i24_e32 v69, v3, v190
	v_mul_i32_i24_e32 v105, v61, v202
	;; [unrolled: 1-line block ×5, first 2 shown]
	v_mad_i32_i24 v69, v39, v188, v69
	v_mul_i32_i24_e32 v109, v64, v216
	v_mul_i32_i24_e32 v110, v50, v217
	v_mul_i32_i24_e32 v112, v66, v219
	v_mul_i32_i24_e32 v113, v67, v208
	v_add3_u32 v69, v69, v70, v71
	v_mul_i32_i24_e32 v253, v60, v220
	v_mul_i32_i24_e32 v70, v21, v158
	v_mul_i32_i24_e32 v71, v22, v160
	v_mul_i32_i24_e32 v21, v21, v125
	v_add3_u32 v69, v69, v72, v77
	;; [unrolled: 5-line block ×15, first 2 shown]
	v_mul_i32_i24_e32 v66, v66, v152
	v_mul_i32_i24_e32 v113, v67, v174
	;; [unrolled: 1-line block ×4, first 2 shown]
	v_cvt_f32_i32_e32 v69, v69
	v_mul_i32_i24_e32 v60, v60, v153
	s_delay_alu instid0(VALU_DEP_2) | instskip(NEXT) | instid1(VALU_DEP_1)
	v_fma_mix_f32 v69, v4, v69, -v68 op_sel_hi:[1,0,0]
	v_fmac_f32_e32 v35, v187, v69
	v_mul_i32_i24_e32 v69, v3, v157
	v_mul_i32_i24_e32 v3, v3, v124
	s_delay_alu instid0(VALU_DEP_2) | instskip(NEXT) | instid1(VALU_DEP_2)
	v_mad_i32_i24 v69, v39, v155, v69
	v_mad_i32_i24 v3, v39, v122, v3
	s_delay_alu instid0(VALU_DEP_2) | instskip(NEXT) | instid1(VALU_DEP_2)
	v_add3_u32 v69, v69, v70, v71
	v_add3_u32 v3, v3, v21, v22
	s_delay_alu instid0(VALU_DEP_2) | instskip(NEXT) | instid1(VALU_DEP_2)
	v_add3_u32 v69, v69, v72, v77
	v_add3_u32 v3, v3, v26, v43
	;; [unrolled: 3-line block ×15, first 2 shown]
	s_delay_alu instid0(VALU_DEP_2) | instskip(NEXT) | instid1(VALU_DEP_2)
	v_cvt_f32_i32_e32 v69, v69
	v_cvt_f32_i32_e32 v3, v3
	s_delay_alu instid0(VALU_DEP_2) | instskip(NEXT) | instid1(VALU_DEP_2)
	v_fma_mix_f32 v69, v4, v69, -v68 op_sel_hi:[1,0,0]
	v_fma_mix_f32 v3, v4, v3, -v68 op_sel_hi:[1,0,0]
	s_delay_alu instid0(VALU_DEP_2) | instskip(NEXT) | instid1(VALU_DEP_2)
	v_fmac_f32_e32 v34, v154, v69
	v_fmac_f32_e32 v32, v121, v3
	ds_load_b128 v[47:50], v115 offset:2048
	ds_load_b128 v[57:60], v115 offset:2064
	ds_load_2addr_b32 v[3:4], v114 offset0:64 offset1:96
	s_waitcnt lgkmcnt(2)
	v_bfe_i32 v21, v47, 0, 8
	v_bfe_i32 v22, v47, 8, 8
	;; [unrolled: 1-line block ×3, first 2 shown]
	s_waitcnt lgkmcnt(1)
	v_bfe_i32 v40, v57, 0, 8
	v_ashrrev_i32_e32 v39, 24, v47
	v_mul_i32_i24_e32 v70, v21, v223
	v_bfe_i32 v44, v48, 0, 8
	v_mul_i32_i24_e32 v71, v22, v224
	v_mul_i32_i24_e32 v72, v26, v226
	v_bfe_i32 v41, v57, 8, 8
	v_mad_i32_i24 v70, v40, v221, v70
	v_bfe_i32 v42, v57, 16, 8
	v_mul_i32_i24_e32 v73, v39, v227
	v_mul_i32_i24_e32 v78, v44, v230
	v_ashrrev_i32_e32 v43, 24, v57
	v_add3_u32 v70, v70, v71, v72
	v_bfe_i32 v51, v58, 0, 8
	v_mul_i32_i24_e32 v75, v41, v228
	v_mul_i32_i24_e32 v76, v42, v222
	v_bfe_i32 v46, v48, 8, 8
	v_add3_u32 v70, v70, v73, v78
	v_bfe_i32 v47, v48, 16, 8
	v_mul_i32_i24_e32 v77, v43, v229
	v_mul_i32_i24_e32 v82, v51, v235
	v_ashrrev_i32_e32 v48, 24, v48
	v_add3_u32 v70, v70, v75, v76
	v_bfe_i32 v55, v49, 0, 8
	v_mul_i32_i24_e32 v79, v46, v231
	v_mul_i32_i24_e32 v80, v47, v232
	v_bfe_i32 v52, v58, 8, 8
	v_add3_u32 v70, v70, v77, v82
	v_bfe_i32 v53, v58, 16, 8
	v_mul_i32_i24_e32 v81, v48, v234
	v_mul_i32_i24_e32 v98, v55, v238
	v_ashrrev_i32_e32 v54, 24, v58
	v_add3_u32 v70, v70, v79, v80
	v_bfe_i32 v58, v59, 0, 8
	v_mul_i32_i24_e32 v84, v52, v236
	v_mul_i32_i24_e32 v85, v53, v225
	v_bfe_i32 v56, v49, 8, 8
	v_add3_u32 v70, v70, v81, v98
	v_bfe_i32 v57, v49, 16, 8
	v_mul_i32_i24_e32 v97, v54, v237
	v_mul_i32_i24_e32 v102, v58, v243
	v_ashrrev_i32_e32 v49, 24, v49
	v_add3_u32 v70, v70, v84, v85
	v_bfe_i32 v63, v50, 0, 8
	v_mul_i32_i24_e32 v99, v56, v239
	v_mul_i32_i24_e32 v100, v57, v241
	v_bfe_i32 v61, v59, 8, 8
	v_add3_u32 v70, v70, v97, v102
	v_bfe_i32 v62, v59, 16, 8
	v_mul_i32_i24_e32 v101, v49, v242
	v_mul_i32_i24_e32 v108, v63, v246
	v_ashrrev_i32_e32 v59, 24, v59
	v_add3_u32 v70, v70, v99, v100
	v_bfe_i32 v66, v60, 0, 8
	v_mul_i32_i24_e32 v105, v61, v244
	v_mul_i32_i24_e32 v106, v62, v233
	v_bfe_i32 v64, v50, 8, 8
	v_add3_u32 v70, v70, v101, v108
	v_bfe_i32 v65, v50, 16, 8
	v_mul_i32_i24_e32 v107, v59, v245
	v_mul_i32_i24_e32 v112, v66, v250
	v_ashrrev_i32_e32 v50, 24, v50
	v_add3_u32 v70, v70, v105, v106
	v_bfe_i32 v67, v60, 8, 8
	v_mul_i32_i24_e32 v109, v64, v247
	v_mul_i32_i24_e32 v110, v65, v248
	v_bfe_i32 v68, v60, 16, 8
	v_add3_u32 v70, v70, v107, v112
	v_ashrrev_i32_e32 v60, 24, v60
	v_mul_i32_i24_e32 v111, v50, v249
	v_mul_i32_i24_e32 v113, v67, v251
	s_waitcnt lgkmcnt(0)
	v_lshrrev_b32_e32 v69, 16, v3
	v_add3_u32 v70, v70, v109, v110
	v_mul_i32_i24_e32 v253, v68, v240
	v_mul_i32_i24_e32 v254, v60, v252
	;; [unrolled: 1-line block ×3, first 2 shown]
	v_cvt_f32_f16_e32 v69, v69
	v_add3_u32 v70, v70, v111, v113
	v_mul_i32_i24_e32 v72, v26, v193
	v_mul_i32_i24_e32 v73, v39, v194
	v_mul_i32_i24_e32 v78, v44, v198
	v_mul_f32_e32 v69, 0x41000000, v69
	v_add3_u32 v70, v70, v253, v254
	v_mul_i32_i24_e32 v75, v41, v195
	v_mul_i32_i24_e32 v76, v42, v189
	;; [unrolled: 1-line block ×4, first 2 shown]
	v_cvt_f32_i32_e32 v70, v70
	v_mul_i32_i24_e32 v79, v46, v199
	v_mul_i32_i24_e32 v80, v47, v200
	;; [unrolled: 1-line block ×4, first 2 shown]
	v_fma_mix_f32 v70, v3, v70, -v69 op_sel_hi:[1,0,0]
	v_mul_i32_i24_e32 v84, v52, v204
	v_mul_i32_i24_e32 v85, v53, v192
	v_mul_i32_i24_e32 v97, v54, v205
	v_mul_i32_i24_e32 v102, v58, v211
	v_fmac_f32_e32 v31, v196, v70
	v_mul_i32_i24_e32 v70, v21, v190
	v_mul_i32_i24_e32 v99, v56, v207
	v_mul_i32_i24_e32 v100, v57, v209
	v_mul_i32_i24_e32 v101, v49, v210
	v_mul_i32_i24_e32 v108, v63, v214
	v_mad_i32_i24 v70, v40, v188, v70
	v_mul_i32_i24_e32 v105, v61, v212
	v_mul_i32_i24_e32 v106, v62, v202
	v_mul_i32_i24_e32 v107, v59, v213
	v_mul_i32_i24_e32 v112, v66, v218
	v_add3_u32 v70, v70, v71, v72
	v_mul_i32_i24_e32 v109, v64, v215
	v_mul_i32_i24_e32 v110, v65, v216
	v_mul_i32_i24_e32 v111, v50, v217
	v_mul_i32_i24_e32 v113, v67, v219
	v_add3_u32 v70, v70, v73, v78
	;; [unrolled: 5-line block ×15, first 2 shown]
	v_mul_i32_i24_e32 v64, v64, v148
	v_mul_i32_i24_e32 v65, v65, v149
	v_mul_i32_i24_e32 v111, v50, v183
	v_mul_i32_i24_e32 v113, v67, v185
	v_cvt_f32_i32_e32 v70, v70
	v_mul_i32_i24_e32 v50, v50, v150
	v_mul_i32_i24_e32 v67, v67, v152
	;; [unrolled: 1-line block ×4, first 2 shown]
	v_fma_mix_f32 v70, v3, v70, -v69 op_sel_hi:[1,0,0]
	v_mul_i32_i24_e32 v68, v68, v141
	v_mul_i32_i24_e32 v60, v60, v153
	s_delay_alu instid0(VALU_DEP_3) | instskip(SKIP_2) | instid1(VALU_DEP_2)
	v_fmac_f32_e32 v30, v187, v70
	v_mul_i32_i24_e32 v70, v21, v157
	v_mul_i32_i24_e32 v21, v21, v124
	v_mad_i32_i24 v70, v40, v155, v70
	s_delay_alu instid0(VALU_DEP_2) | instskip(NEXT) | instid1(VALU_DEP_2)
	v_mad_i32_i24 v21, v40, v122, v21
	v_add3_u32 v70, v70, v71, v72
	s_delay_alu instid0(VALU_DEP_2) | instskip(NEXT) | instid1(VALU_DEP_2)
	v_add3_u32 v21, v21, v22, v26
	v_add3_u32 v70, v70, v73, v78
	s_delay_alu instid0(VALU_DEP_2) | instskip(NEXT) | instid1(VALU_DEP_2)
	v_add3_u32 v21, v21, v39, v44
	;; [unrolled: 3-line block ×14, first 2 shown]
	v_add3_u32 v70, v70, v253, v254
	s_delay_alu instid0(VALU_DEP_2)
	v_add3_u32 v21, v21, v68, v60
	ds_load_b128 v[47:50], v115 offset:3072
	ds_load_b128 v[57:60], v115 offset:3088
	v_lshrrev_b32_e32 v68, 16, v4
	v_cvt_f32_i32_e32 v70, v70
	v_cvt_f32_i32_e32 v21, v21
	s_delay_alu instid0(VALU_DEP_3) | instskip(NEXT) | instid1(VALU_DEP_3)
	v_cvt_f32_f16_e32 v68, v68
	v_fma_mix_f32 v70, v3, v70, -v69 op_sel_hi:[1,0,0]
	s_delay_alu instid0(VALU_DEP_3) | instskip(NEXT) | instid1(VALU_DEP_2)
	v_fma_mix_f32 v3, v3, v21, -v69 op_sel_hi:[1,0,0]
	v_dual_mul_f32 v68, 0x41000000, v68 :: v_dual_fmac_f32 v29, v154, v70
	s_delay_alu instid0(VALU_DEP_2)
	v_fmac_f32_e32 v28, v121, v3
	s_waitcnt lgkmcnt(1)
	v_bfe_i32 v3, v47, 0, 8
	v_bfe_i32 v21, v47, 8, 8
	;; [unrolled: 1-line block ×3, first 2 shown]
	s_waitcnt lgkmcnt(0)
	v_bfe_i32 v39, v57, 0, 8
	v_ashrrev_i32_e32 v26, 24, v47
	v_mul_i32_i24_e32 v69, v3, v223
	v_bfe_i32 v43, v48, 0, 8
	v_mul_i32_i24_e32 v70, v21, v224
	v_mul_i32_i24_e32 v71, v22, v226
	v_bfe_i32 v40, v57, 8, 8
	v_mad_i32_i24 v69, v39, v221, v69
	v_bfe_i32 v41, v57, 16, 8
	v_mul_i32_i24_e32 v72, v26, v227
	v_mul_i32_i24_e32 v77, v43, v230
	v_ashrrev_i32_e32 v42, 24, v57
	v_add3_u32 v69, v69, v70, v71
	v_bfe_i32 v44, v48, 8, 8
	v_bfe_i32 v46, v48, 16, 8
	v_ashrrev_i32_e32 v47, 24, v48
	v_bfe_i32 v48, v58, 0, 8
	v_mul_i32_i24_e32 v73, v40, v228
	v_mul_i32_i24_e32 v75, v41, v222
	v_add3_u32 v69, v69, v72, v77
	v_mul_i32_i24_e32 v76, v42, v229
	v_mul_i32_i24_e32 v81, v48, v235
	v_bfe_i32 v54, v49, 0, 8
	v_mul_i32_i24_e32 v78, v44, v231
	v_add3_u32 v69, v69, v73, v75
	v_mul_i32_i24_e32 v79, v46, v232
	v_bfe_i32 v51, v58, 8, 8
	v_bfe_i32 v52, v58, 16, 8
	v_mul_i32_i24_e32 v80, v47, v234
	v_add3_u32 v69, v69, v76, v81
	v_mul_i32_i24_e32 v97, v54, v238
	v_ashrrev_i32_e32 v53, 24, v58
	v_bfe_i32 v57, v59, 0, 8
	v_mul_i32_i24_e32 v82, v51, v236
	v_add3_u32 v69, v69, v78, v79
	v_mul_i32_i24_e32 v84, v52, v225
	v_bfe_i32 v55, v49, 8, 8
	v_bfe_i32 v56, v49, 16, 8
	v_mul_i32_i24_e32 v85, v53, v237
	v_add3_u32 v69, v69, v80, v97
	v_mul_i32_i24_e32 v101, v57, v243
	v_ashrrev_i32_e32 v49, 24, v49
	;; [unrolled: 10-line block ×4, first 2 shown]
	v_bfe_i32 v66, v60, 8, 8
	v_mul_i32_i24_e32 v108, v63, v247
	v_add3_u32 v69, v69, v102, v105
	v_mul_i32_i24_e32 v109, v64, v248
	v_bfe_i32 v67, v60, 16, 8
	v_ashrrev_i32_e32 v60, 24, v60
	v_mul_i32_i24_e32 v110, v50, v249
	v_add3_u32 v69, v69, v106, v111
	v_mul_i32_i24_e32 v112, v66, v251
	v_mul_i32_i24_e32 v113, v67, v240
	v_mul_i32_i24_e32 v253, v60, v252
	v_mul_i32_i24_e32 v70, v21, v191
	v_add3_u32 v69, v69, v108, v109
	v_mul_i32_i24_e32 v71, v22, v193
	v_mul_i32_i24_e32 v72, v26, v194
	v_mul_i32_i24_e32 v77, v43, v198
	;; [unrolled: 5-line block ×4, first 2 shown]
	v_mul_i32_i24_e32 v82, v51, v204
	v_cvt_f32_i32_e32 v69, v69
	v_mul_i32_i24_e32 v84, v52, v192
	v_mul_i32_i24_e32 v85, v53, v205
	;; [unrolled: 1-line block ×4, first 2 shown]
	v_fma_mix_f32 v69, v4, v69, -v68 op_sel_hi:[1,0,0]
	v_mul_i32_i24_e32 v99, v56, v209
	v_mul_i32_i24_e32 v100, v49, v210
	;; [unrolled: 1-line block ×4, first 2 shown]
	v_fmac_f32_e32 v27, v196, v69
	v_mul_i32_i24_e32 v69, v3, v190
	v_mul_i32_i24_e32 v105, v61, v202
	;; [unrolled: 1-line block ×5, first 2 shown]
	v_mad_i32_i24 v69, v39, v188, v69
	v_mul_i32_i24_e32 v109, v64, v216
	v_mul_i32_i24_e32 v110, v50, v217
	v_mul_i32_i24_e32 v112, v66, v219
	v_mul_i32_i24_e32 v113, v67, v208
	v_add3_u32 v69, v69, v70, v71
	v_mul_i32_i24_e32 v253, v60, v220
	v_mul_i32_i24_e32 v70, v21, v158
	v_mul_i32_i24_e32 v71, v22, v160
	v_mul_i32_i24_e32 v21, v21, v125
	v_add3_u32 v69, v69, v72, v77
	;; [unrolled: 5-line block ×15, first 2 shown]
	v_mul_i32_i24_e32 v66, v66, v152
	v_mul_i32_i24_e32 v113, v67, v174
	;; [unrolled: 1-line block ×4, first 2 shown]
	v_cvt_f32_i32_e32 v69, v69
	v_mul_i32_i24_e32 v60, v60, v153
	s_delay_alu instid0(VALU_DEP_2) | instskip(NEXT) | instid1(VALU_DEP_1)
	v_fma_mix_f32 v69, v4, v69, -v68 op_sel_hi:[1,0,0]
	v_fmac_f32_e32 v25, v187, v69
	v_mul_i32_i24_e32 v69, v3, v157
	v_mul_i32_i24_e32 v3, v3, v124
	s_delay_alu instid0(VALU_DEP_2) | instskip(NEXT) | instid1(VALU_DEP_2)
	v_mad_i32_i24 v69, v39, v155, v69
	v_mad_i32_i24 v3, v39, v122, v3
	s_delay_alu instid0(VALU_DEP_2) | instskip(NEXT) | instid1(VALU_DEP_2)
	v_add3_u32 v69, v69, v70, v71
	v_add3_u32 v3, v3, v21, v22
	s_delay_alu instid0(VALU_DEP_2) | instskip(NEXT) | instid1(VALU_DEP_2)
	v_add3_u32 v69, v69, v72, v77
	v_add3_u32 v3, v3, v26, v43
	;; [unrolled: 3-line block ×15, first 2 shown]
	s_delay_alu instid0(VALU_DEP_2) | instskip(NEXT) | instid1(VALU_DEP_2)
	v_cvt_f32_i32_e32 v69, v69
	v_cvt_f32_i32_e32 v3, v3
	s_delay_alu instid0(VALU_DEP_2) | instskip(NEXT) | instid1(VALU_DEP_2)
	v_fma_mix_f32 v69, v4, v69, -v68 op_sel_hi:[1,0,0]
	v_fma_mix_f32 v3, v4, v3, -v68 op_sel_hi:[1,0,0]
	s_delay_alu instid0(VALU_DEP_1)
	v_dual_fmac_f32 v24, v154, v69 :: v_dual_fmac_f32 v23, v121, v3
	ds_load_b128 v[47:50], v115 offset:4096
	ds_load_b128 v[57:60], v115 offset:4112
	ds_load_2addr_b32 v[3:4], v114 offset0:128 offset1:160
	s_waitcnt lgkmcnt(2)
	v_bfe_i32 v21, v47, 0, 8
	v_bfe_i32 v22, v47, 8, 8
	;; [unrolled: 1-line block ×3, first 2 shown]
	s_waitcnt lgkmcnt(1)
	v_bfe_i32 v40, v57, 0, 8
	v_ashrrev_i32_e32 v39, 24, v47
	v_mul_i32_i24_e32 v70, v21, v223
	v_bfe_i32 v44, v48, 0, 8
	v_mul_i32_i24_e32 v71, v22, v224
	v_mul_i32_i24_e32 v72, v26, v226
	v_bfe_i32 v41, v57, 8, 8
	v_mad_i32_i24 v70, v40, v221, v70
	v_bfe_i32 v42, v57, 16, 8
	v_mul_i32_i24_e32 v73, v39, v227
	v_mul_i32_i24_e32 v78, v44, v230
	v_ashrrev_i32_e32 v43, 24, v57
	v_add3_u32 v70, v70, v71, v72
	v_bfe_i32 v51, v58, 0, 8
	v_mul_i32_i24_e32 v75, v41, v228
	v_mul_i32_i24_e32 v76, v42, v222
	v_bfe_i32 v46, v48, 8, 8
	v_add3_u32 v70, v70, v73, v78
	v_bfe_i32 v47, v48, 16, 8
	v_mul_i32_i24_e32 v77, v43, v229
	v_mul_i32_i24_e32 v82, v51, v235
	v_ashrrev_i32_e32 v48, 24, v48
	v_add3_u32 v70, v70, v75, v76
	v_bfe_i32 v55, v49, 0, 8
	v_mul_i32_i24_e32 v79, v46, v231
	v_mul_i32_i24_e32 v80, v47, v232
	v_bfe_i32 v52, v58, 8, 8
	v_add3_u32 v70, v70, v77, v82
	;; [unrolled: 10-line block ×6, first 2 shown]
	v_ashrrev_i32_e32 v60, 24, v60
	v_mul_i32_i24_e32 v111, v50, v249
	v_mul_i32_i24_e32 v113, v67, v251
	s_waitcnt lgkmcnt(0)
	v_lshrrev_b32_e32 v69, 16, v3
	v_add3_u32 v70, v70, v109, v110
	v_mul_i32_i24_e32 v253, v68, v240
	v_mul_i32_i24_e32 v254, v60, v252
	;; [unrolled: 1-line block ×3, first 2 shown]
	v_cvt_f32_f16_e32 v69, v69
	v_add3_u32 v70, v70, v111, v113
	v_mul_i32_i24_e32 v72, v26, v193
	v_mul_i32_i24_e32 v73, v39, v194
	;; [unrolled: 1-line block ×3, first 2 shown]
	v_mul_f32_e32 v69, 0x41000000, v69
	v_add3_u32 v70, v70, v253, v254
	v_mul_i32_i24_e32 v75, v41, v195
	v_mul_i32_i24_e32 v76, v42, v189
	;; [unrolled: 1-line block ×4, first 2 shown]
	v_cvt_f32_i32_e32 v70, v70
	v_mul_i32_i24_e32 v79, v46, v199
	v_mul_i32_i24_e32 v80, v47, v200
	;; [unrolled: 1-line block ×4, first 2 shown]
	v_fma_mix_f32 v70, v3, v70, -v69 op_sel_hi:[1,0,0]
	v_mul_i32_i24_e32 v84, v52, v204
	v_mul_i32_i24_e32 v85, v53, v192
	;; [unrolled: 1-line block ×4, first 2 shown]
	v_fmac_f32_e32 v20, v196, v70
	v_mul_i32_i24_e32 v70, v21, v190
	v_mul_i32_i24_e32 v99, v56, v207
	;; [unrolled: 1-line block ×5, first 2 shown]
	v_mad_i32_i24 v70, v40, v188, v70
	v_mul_i32_i24_e32 v105, v61, v212
	v_mul_i32_i24_e32 v106, v62, v202
	v_mul_i32_i24_e32 v107, v59, v213
	v_mul_i32_i24_e32 v112, v66, v218
	v_add3_u32 v70, v70, v71, v72
	v_mul_i32_i24_e32 v109, v64, v215
	v_mul_i32_i24_e32 v110, v65, v216
	v_mul_i32_i24_e32 v111, v50, v217
	v_mul_i32_i24_e32 v113, v67, v219
	v_add3_u32 v70, v70, v73, v78
	;; [unrolled: 5-line block ×15, first 2 shown]
	v_mul_i32_i24_e32 v64, v64, v148
	v_mul_i32_i24_e32 v65, v65, v149
	v_mul_i32_i24_e32 v111, v50, v183
	v_mul_i32_i24_e32 v113, v67, v185
	v_cvt_f32_i32_e32 v70, v70
	v_mul_i32_i24_e32 v50, v50, v150
	v_mul_i32_i24_e32 v67, v67, v152
	;; [unrolled: 1-line block ×4, first 2 shown]
	v_fma_mix_f32 v70, v3, v70, -v69 op_sel_hi:[1,0,0]
	v_mul_i32_i24_e32 v68, v68, v141
	v_mul_i32_i24_e32 v60, v60, v153
	s_delay_alu instid0(VALU_DEP_3) | instskip(SKIP_2) | instid1(VALU_DEP_2)
	v_fmac_f32_e32 v19, v187, v70
	v_mul_i32_i24_e32 v70, v21, v157
	v_mul_i32_i24_e32 v21, v21, v124
	v_mad_i32_i24 v70, v40, v155, v70
	s_delay_alu instid0(VALU_DEP_2) | instskip(NEXT) | instid1(VALU_DEP_2)
	v_mad_i32_i24 v21, v40, v122, v21
	v_add3_u32 v70, v70, v71, v72
	s_delay_alu instid0(VALU_DEP_2) | instskip(NEXT) | instid1(VALU_DEP_2)
	v_add3_u32 v21, v21, v22, v26
	v_add3_u32 v70, v70, v73, v78
	s_delay_alu instid0(VALU_DEP_2) | instskip(NEXT) | instid1(VALU_DEP_2)
	v_add3_u32 v21, v21, v39, v44
	;; [unrolled: 3-line block ×14, first 2 shown]
	v_add3_u32 v70, v70, v253, v254
	s_delay_alu instid0(VALU_DEP_2)
	v_add3_u32 v21, v21, v68, v60
	ds_load_b128 v[47:50], v115 offset:5120
	ds_load_b128 v[57:60], v115 offset:5136
	v_lshrrev_b32_e32 v68, 16, v4
	v_cvt_f32_i32_e32 v70, v70
	v_cvt_f32_i32_e32 v21, v21
	s_delay_alu instid0(VALU_DEP_3) | instskip(NEXT) | instid1(VALU_DEP_3)
	v_cvt_f32_f16_e32 v68, v68
	v_fma_mix_f32 v70, v3, v70, -v69 op_sel_hi:[1,0,0]
	s_delay_alu instid0(VALU_DEP_3) | instskip(NEXT) | instid1(VALU_DEP_3)
	v_fma_mix_f32 v3, v3, v21, -v69 op_sel_hi:[1,0,0]
	v_mul_f32_e32 v68, 0x41000000, v68
	s_delay_alu instid0(VALU_DEP_2)
	v_dual_fmac_f32 v18, v154, v70 :: v_dual_fmac_f32 v17, v121, v3
	s_waitcnt lgkmcnt(1)
	v_bfe_i32 v3, v47, 0, 8
	v_bfe_i32 v21, v47, 8, 8
	;; [unrolled: 1-line block ×3, first 2 shown]
	s_waitcnt lgkmcnt(0)
	v_bfe_i32 v39, v57, 0, 8
	v_ashrrev_i32_e32 v26, 24, v47
	v_mul_i32_i24_e32 v69, v3, v223
	v_bfe_i32 v43, v48, 0, 8
	v_mul_i32_i24_e32 v70, v21, v224
	v_mul_i32_i24_e32 v71, v22, v226
	v_bfe_i32 v40, v57, 8, 8
	v_mad_i32_i24 v69, v39, v221, v69
	v_bfe_i32 v41, v57, 16, 8
	v_mul_i32_i24_e32 v72, v26, v227
	v_mul_i32_i24_e32 v77, v43, v230
	v_ashrrev_i32_e32 v42, 24, v57
	v_add3_u32 v69, v69, v70, v71
	v_bfe_i32 v44, v48, 8, 8
	v_bfe_i32 v46, v48, 16, 8
	v_ashrrev_i32_e32 v47, 24, v48
	v_bfe_i32 v48, v58, 0, 8
	v_mul_i32_i24_e32 v73, v40, v228
	v_mul_i32_i24_e32 v75, v41, v222
	v_add3_u32 v69, v69, v72, v77
	v_mul_i32_i24_e32 v76, v42, v229
	v_mul_i32_i24_e32 v81, v48, v235
	v_bfe_i32 v54, v49, 0, 8
	v_mul_i32_i24_e32 v78, v44, v231
	v_add3_u32 v69, v69, v73, v75
	v_mul_i32_i24_e32 v79, v46, v232
	v_bfe_i32 v51, v58, 8, 8
	v_bfe_i32 v52, v58, 16, 8
	v_mul_i32_i24_e32 v80, v47, v234
	v_add3_u32 v69, v69, v76, v81
	v_mul_i32_i24_e32 v97, v54, v238
	v_ashrrev_i32_e32 v53, 24, v58
	v_bfe_i32 v57, v59, 0, 8
	v_mul_i32_i24_e32 v82, v51, v236
	v_add3_u32 v69, v69, v78, v79
	v_mul_i32_i24_e32 v84, v52, v225
	v_bfe_i32 v55, v49, 8, 8
	v_bfe_i32 v56, v49, 16, 8
	v_mul_i32_i24_e32 v85, v53, v237
	v_add3_u32 v69, v69, v80, v97
	v_mul_i32_i24_e32 v101, v57, v243
	v_ashrrev_i32_e32 v49, 24, v49
	;; [unrolled: 10-line block ×4, first 2 shown]
	v_bfe_i32 v66, v60, 8, 8
	v_mul_i32_i24_e32 v108, v63, v247
	v_add3_u32 v69, v69, v102, v105
	v_mul_i32_i24_e32 v109, v64, v248
	v_bfe_i32 v67, v60, 16, 8
	v_ashrrev_i32_e32 v60, 24, v60
	v_mul_i32_i24_e32 v110, v50, v249
	v_add3_u32 v69, v69, v106, v111
	v_mul_i32_i24_e32 v112, v66, v251
	v_mul_i32_i24_e32 v113, v67, v240
	v_mul_i32_i24_e32 v253, v60, v252
	v_mul_i32_i24_e32 v70, v21, v191
	v_add3_u32 v69, v69, v108, v109
	v_mul_i32_i24_e32 v71, v22, v193
	v_mul_i32_i24_e32 v72, v26, v194
	v_mul_i32_i24_e32 v77, v43, v198
	;; [unrolled: 5-line block ×4, first 2 shown]
	v_mul_i32_i24_e32 v82, v51, v204
	v_cvt_f32_i32_e32 v69, v69
	v_mul_i32_i24_e32 v84, v52, v192
	v_mul_i32_i24_e32 v85, v53, v205
	;; [unrolled: 1-line block ×4, first 2 shown]
	v_fma_mix_f32 v69, v4, v69, -v68 op_sel_hi:[1,0,0]
	v_mul_i32_i24_e32 v99, v56, v209
	v_mul_i32_i24_e32 v100, v49, v210
	;; [unrolled: 1-line block ×4, first 2 shown]
	v_fmac_f32_e32 v16, v196, v69
	v_mul_i32_i24_e32 v69, v3, v190
	v_mul_i32_i24_e32 v105, v61, v202
	;; [unrolled: 1-line block ×5, first 2 shown]
	v_mad_i32_i24 v69, v39, v188, v69
	v_mul_i32_i24_e32 v109, v64, v216
	v_mul_i32_i24_e32 v110, v50, v217
	v_mul_i32_i24_e32 v112, v66, v219
	v_mul_i32_i24_e32 v113, v67, v208
	v_add3_u32 v69, v69, v70, v71
	v_mul_i32_i24_e32 v253, v60, v220
	v_mul_i32_i24_e32 v70, v21, v158
	v_mul_i32_i24_e32 v71, v22, v160
	v_mul_i32_i24_e32 v21, v21, v125
	v_add3_u32 v69, v69, v72, v77
	;; [unrolled: 5-line block ×15, first 2 shown]
	v_mul_i32_i24_e32 v66, v66, v152
	v_mul_i32_i24_e32 v113, v67, v174
	;; [unrolled: 1-line block ×4, first 2 shown]
	v_cvt_f32_i32_e32 v69, v69
	v_mul_i32_i24_e32 v60, v60, v153
	s_delay_alu instid0(VALU_DEP_2) | instskip(NEXT) | instid1(VALU_DEP_1)
	v_fma_mix_f32 v69, v4, v69, -v68 op_sel_hi:[1,0,0]
	v_fmac_f32_e32 v15, v187, v69
	v_mul_i32_i24_e32 v69, v3, v157
	v_mul_i32_i24_e32 v3, v3, v124
	s_delay_alu instid0(VALU_DEP_2) | instskip(NEXT) | instid1(VALU_DEP_2)
	v_mad_i32_i24 v69, v39, v155, v69
	v_mad_i32_i24 v3, v39, v122, v3
	s_delay_alu instid0(VALU_DEP_2) | instskip(NEXT) | instid1(VALU_DEP_2)
	v_add3_u32 v69, v69, v70, v71
	v_add3_u32 v3, v3, v21, v22
	s_delay_alu instid0(VALU_DEP_2) | instskip(NEXT) | instid1(VALU_DEP_2)
	v_add3_u32 v69, v69, v72, v77
	v_add3_u32 v3, v3, v26, v43
	;; [unrolled: 3-line block ×15, first 2 shown]
	s_delay_alu instid0(VALU_DEP_2) | instskip(NEXT) | instid1(VALU_DEP_2)
	v_cvt_f32_i32_e32 v69, v69
	v_cvt_f32_i32_e32 v3, v3
	s_delay_alu instid0(VALU_DEP_2) | instskip(NEXT) | instid1(VALU_DEP_2)
	v_fma_mix_f32 v69, v4, v69, -v68 op_sel_hi:[1,0,0]
	v_fma_mix_f32 v3, v4, v3, -v68 op_sel_hi:[1,0,0]
	s_delay_alu instid0(VALU_DEP_1)
	v_dual_fmac_f32 v14, v154, v69 :: v_dual_fmac_f32 v13, v121, v3
	ds_load_b128 v[47:50], v115 offset:6144
	ds_load_b128 v[57:60], v115 offset:6160
	ds_load_2addr_b32 v[3:4], v114 offset0:192 offset1:224
	v_add_nc_u32_e32 v114, 4, v114
	s_waitcnt lgkmcnt(2)
	v_bfe_i32 v21, v47, 0, 8
	v_bfe_i32 v22, v47, 8, 8
	;; [unrolled: 1-line block ×3, first 2 shown]
	s_waitcnt lgkmcnt(1)
	v_bfe_i32 v40, v57, 0, 8
	v_ashrrev_i32_e32 v39, 24, v47
	v_mul_i32_i24_e32 v70, v21, v223
	v_bfe_i32 v44, v48, 0, 8
	v_mul_i32_i24_e32 v71, v22, v224
	v_mul_i32_i24_e32 v72, v26, v226
	v_bfe_i32 v41, v57, 8, 8
	v_mad_i32_i24 v70, v40, v221, v70
	v_bfe_i32 v42, v57, 16, 8
	v_mul_i32_i24_e32 v73, v39, v227
	v_mul_i32_i24_e32 v78, v44, v230
	v_ashrrev_i32_e32 v43, 24, v57
	v_add3_u32 v70, v70, v71, v72
	v_bfe_i32 v51, v58, 0, 8
	v_mul_i32_i24_e32 v75, v41, v228
	v_mul_i32_i24_e32 v76, v42, v222
	v_bfe_i32 v46, v48, 8, 8
	v_add3_u32 v70, v70, v73, v78
	v_bfe_i32 v47, v48, 16, 8
	v_mul_i32_i24_e32 v77, v43, v229
	v_mul_i32_i24_e32 v82, v51, v235
	v_ashrrev_i32_e32 v48, 24, v48
	v_add3_u32 v70, v70, v75, v76
	v_bfe_i32 v55, v49, 0, 8
	v_mul_i32_i24_e32 v79, v46, v231
	v_mul_i32_i24_e32 v80, v47, v232
	v_bfe_i32 v52, v58, 8, 8
	v_add3_u32 v70, v70, v77, v82
	;; [unrolled: 10-line block ×6, first 2 shown]
	v_ashrrev_i32_e32 v60, 24, v60
	v_mul_i32_i24_e32 v111, v50, v249
	v_mul_i32_i24_e32 v113, v67, v251
	s_waitcnt lgkmcnt(0)
	v_lshrrev_b32_e32 v69, 16, v3
	v_add3_u32 v70, v70, v109, v110
	v_mul_i32_i24_e32 v253, v68, v240
	v_mul_i32_i24_e32 v254, v60, v252
	;; [unrolled: 1-line block ×3, first 2 shown]
	v_cvt_f32_f16_e32 v69, v69
	v_add3_u32 v70, v70, v111, v113
	v_mul_i32_i24_e32 v72, v26, v193
	v_mul_i32_i24_e32 v73, v39, v194
	;; [unrolled: 1-line block ×3, first 2 shown]
	v_mul_f32_e32 v69, 0x41000000, v69
	v_add3_u32 v70, v70, v253, v254
	v_mul_i32_i24_e32 v75, v41, v195
	v_mul_i32_i24_e32 v76, v42, v189
	;; [unrolled: 1-line block ×4, first 2 shown]
	v_cvt_f32_i32_e32 v70, v70
	v_mul_i32_i24_e32 v79, v46, v199
	v_mul_i32_i24_e32 v80, v47, v200
	;; [unrolled: 1-line block ×4, first 2 shown]
	v_fma_mix_f32 v70, v3, v70, -v69 op_sel_hi:[1,0,0]
	v_mul_i32_i24_e32 v84, v52, v204
	v_mul_i32_i24_e32 v85, v53, v192
	v_mul_i32_i24_e32 v97, v54, v205
	v_mul_i32_i24_e32 v102, v58, v211
	v_fmac_f32_e32 v12, v196, v70
	v_mul_i32_i24_e32 v70, v21, v190
	v_mul_i32_i24_e32 v99, v56, v207
	;; [unrolled: 1-line block ×5, first 2 shown]
	v_mad_i32_i24 v70, v40, v188, v70
	v_mul_i32_i24_e32 v105, v61, v212
	v_mul_i32_i24_e32 v106, v62, v202
	v_mul_i32_i24_e32 v107, v59, v213
	v_mul_i32_i24_e32 v112, v66, v218
	v_add3_u32 v70, v70, v71, v72
	v_mul_i32_i24_e32 v109, v64, v215
	v_mul_i32_i24_e32 v110, v65, v216
	v_mul_i32_i24_e32 v111, v50, v217
	v_mul_i32_i24_e32 v113, v67, v219
	v_add3_u32 v70, v70, v73, v78
	;; [unrolled: 5-line block ×15, first 2 shown]
	v_mul_i32_i24_e32 v64, v64, v148
	v_mul_i32_i24_e32 v65, v65, v149
	;; [unrolled: 1-line block ×4, first 2 shown]
	v_cvt_f32_i32_e32 v70, v70
	v_mul_i32_i24_e32 v50, v50, v150
	v_mul_i32_i24_e32 v67, v67, v152
	;; [unrolled: 1-line block ×4, first 2 shown]
	v_fma_mix_f32 v70, v3, v70, -v69 op_sel_hi:[1,0,0]
	v_mul_i32_i24_e32 v68, v68, v141
	v_mul_i32_i24_e32 v60, v60, v153
	s_delay_alu instid0(VALU_DEP_3) | instskip(SKIP_2) | instid1(VALU_DEP_2)
	v_fmac_f32_e32 v11, v187, v70
	v_mul_i32_i24_e32 v70, v21, v157
	v_mul_i32_i24_e32 v21, v21, v124
	v_mad_i32_i24 v70, v40, v155, v70
	s_delay_alu instid0(VALU_DEP_2) | instskip(NEXT) | instid1(VALU_DEP_2)
	v_mad_i32_i24 v21, v40, v122, v21
	v_add3_u32 v70, v70, v71, v72
	s_delay_alu instid0(VALU_DEP_2) | instskip(NEXT) | instid1(VALU_DEP_2)
	v_add3_u32 v21, v21, v22, v26
	v_add3_u32 v70, v70, v73, v78
	s_delay_alu instid0(VALU_DEP_2) | instskip(NEXT) | instid1(VALU_DEP_2)
	v_add3_u32 v21, v21, v39, v44
	;; [unrolled: 3-line block ×13, first 2 shown]
	v_add3_u32 v70, v70, v111, v113
	ds_load_b128 v[99:102], v115 offset:7168
	ds_load_b128 v[109:112], v115 offset:7184
	v_add3_u32 v21, v21, v50, v67
	v_add_nc_u32_e32 v115, 32, v115
	v_add3_u32 v70, v70, v253, v254
	s_delay_alu instid0(VALU_DEP_3) | instskip(NEXT) | instid1(VALU_DEP_2)
	v_add3_u32 v21, v21, v68, v60
	v_cvt_f32_i32_e32 v70, v70
	s_delay_alu instid0(VALU_DEP_2) | instskip(NEXT) | instid1(VALU_DEP_2)
	v_cvt_f32_i32_e32 v21, v21
	v_fma_mix_f32 v70, v3, v70, -v69 op_sel_hi:[1,0,0]
	s_delay_alu instid0(VALU_DEP_2)
	v_fma_mix_f32 v3, v3, v21, -v69 op_sel_hi:[1,0,0]
	s_waitcnt lgkmcnt(1)
	v_bfe_i32 v21, v99, 0, 8
	v_bfe_i32 v22, v99, 8, 8
	;; [unrolled: 1-line block ×3, first 2 shown]
	s_waitcnt lgkmcnt(0)
	v_bfe_i32 v253, v109, 0, 8
	v_ashrrev_i32_e32 v254, 24, v99
	v_mul_i32_i24_e32 v39, v21, v223
	v_bfe_i32 v26, v100, 0, 8
	v_mul_i32_i24_e32 v40, v22, v224
	v_mul_i32_i24_e32 v41, v98, v226
	v_bfe_i32 v105, v109, 8, 8
	v_mad_i32_i24 v39, v253, v221, v39
	v_bfe_i32 v106, v109, 16, 8
	v_mul_i32_i24_e32 v43, v254, v227
	v_mul_i32_i24_e32 v52, v26, v230
	v_ashrrev_i32_e32 v107, 24, v109
	v_add3_u32 v39, v39, v40, v41
	v_bfe_i32 v49, v110, 0, 8
	v_mul_i32_i24_e32 v44, v105, v228
	v_mul_i32_i24_e32 v46, v106, v222
	v_bfe_i32 v42, v100, 8, 8
	v_add3_u32 v39, v39, v43, v52
	v_bfe_i32 v47, v100, 16, 8
	v_mul_i32_i24_e32 v51, v107, v229
	v_mul_i32_i24_e32 v67, v49, v235
	v_ashrrev_i32_e32 v48, 24, v100
	v_add3_u32 v39, v39, v44, v46
	v_bfe_i32 v53, v101, 0, 8
	v_mul_i32_i24_e32 v56, v42, v231
	v_mul_i32_i24_e32 v61, v47, v232
	v_bfe_i32 v50, v110, 8, 8
	v_add3_u32 v39, v39, v51, v67
	v_bfe_i32 v108, v110, 16, 8
	v_mul_i32_i24_e32 v66, v48, v234
	v_mul_i32_i24_e32 v71, v53, v238
	v_ashrrev_i32_e32 v109, 24, v110
	v_add3_u32 v39, v39, v56, v61
	v_bfe_i32 v58, v111, 0, 8
	v_mul_i32_i24_e32 v68, v50, v236
	v_mul_i32_i24_e32 v69, v108, v225
	v_fmac_f32_e32 v10, v154, v70
	v_add3_u32 v39, v39, v66, v71
	v_bfe_i32 v54, v101, 8, 8
	v_bfe_i32 v55, v101, 16, 8
	v_mul_i32_i24_e32 v70, v109, v237
	v_mul_i32_i24_e32 v76, v58, v243
	v_add3_u32 v39, v39, v68, v69
	v_ashrrev_i32_e32 v57, 24, v101
	v_bfe_i32 v63, v102, 0, 8
	v_mul_i32_i24_e32 v72, v54, v239
	v_mul_i32_i24_e32 v73, v55, v241
	v_add3_u32 v39, v39, v70, v76
	v_bfe_i32 v59, v111, 8, 8
	v_bfe_i32 v60, v111, 16, 8
	v_mul_i32_i24_e32 v75, v57, v242
	v_mul_i32_i24_e32 v80, v63, v246
	v_add3_u32 v39, v39, v72, v73
	v_ashrrev_i32_e32 v62, 24, v111
	v_bfe_i32 v85, v112, 0, 8
	v_mul_i32_i24_e32 v77, v59, v244
	v_mul_i32_i24_e32 v78, v60, v233
	;; [unrolled: 10-line block ×3, first 2 shown]
	v_add3_u32 v39, v39, v79, v99
	v_bfe_i32 v111, v112, 16, 8
	v_ashrrev_i32_e32 v112, 24, v112
	v_mul_i32_i24_e32 v97, v84, v249
	v_mul_i32_i24_e32 v100, v110, v251
	v_add3_u32 v39, v39, v81, v82
	v_fmac_f32_e32 v9, v121, v3
	v_lshrrev_b32_e32 v3, 16, v4
	v_mul_i32_i24_e32 v101, v111, v240
	v_mul_i32_i24_e32 v102, v112, v252
	v_add3_u32 v39, v39, v97, v100
	v_mul_i32_i24_e32 v40, v22, v191
	v_cvt_f32_f16_e32 v3, v3
	v_mul_i32_i24_e32 v41, v98, v193
	v_mul_i32_i24_e32 v43, v254, v194
	v_add3_u32 v39, v39, v101, v102
	v_mul_i32_i24_e32 v52, v26, v198
	v_mul_f32_e32 v3, 0x41000000, v3
	v_mul_i32_i24_e32 v44, v105, v195
	v_mul_i32_i24_e32 v46, v106, v189
	v_cvt_f32_i32_e32 v39, v39
	v_mul_i32_i24_e32 v51, v107, v197
	v_mul_i32_i24_e32 v67, v49, v203
	;; [unrolled: 1-line block ×4, first 2 shown]
	v_fma_mix_f32 v39, v4, v39, -v3 op_sel_hi:[1,0,0]
	v_mul_i32_i24_e32 v66, v48, v201
	v_mul_i32_i24_e32 v71, v53, v206
	v_mul_i32_i24_e32 v68, v50, v204
	v_mul_i32_i24_e32 v69, v108, v192
	v_fmac_f32_e32 v8, v196, v39
	v_mul_i32_i24_e32 v39, v21, v190
	v_mul_i32_i24_e32 v70, v109, v205
	;; [unrolled: 1-line block ×5, first 2 shown]
	v_mad_i32_i24 v39, v253, v188, v39
	v_mul_i32_i24_e32 v75, v57, v210
	v_mul_i32_i24_e32 v80, v63, v214
	v_mul_i32_i24_e32 v77, v59, v212
	v_mul_i32_i24_e32 v78, v60, v202
	v_add3_u32 v39, v39, v40, v41
	v_mul_i32_i24_e32 v79, v62, v213
	v_mul_i32_i24_e32 v99, v85, v218
	v_mul_i32_i24_e32 v81, v64, v215
	v_mul_i32_i24_e32 v82, v65, v216
	v_add3_u32 v39, v39, v43, v52
	;; [unrolled: 5-line block ×6, first 2 shown]
	v_mul_i32_i24_e32 v66, v48, v167
	v_mul_i32_i24_e32 v71, v53, v172
	s_delay_alu instid0(VALU_DEP_3) | instskip(SKIP_3) | instid1(VALU_DEP_4)
	v_add3_u32 v39, v39, v68, v69
	v_mul_i32_i24_e32 v68, v50, v170
	v_mul_i32_i24_e32 v69, v108, v159
	;; [unrolled: 1-line block ×3, first 2 shown]
	v_add3_u32 v39, v39, v70, v76
	v_mul_i32_i24_e32 v70, v109, v171
	v_mul_i32_i24_e32 v76, v58, v177
	;; [unrolled: 1-line block ×3, first 2 shown]
	s_delay_alu instid0(VALU_DEP_4) | instskip(SKIP_3) | instid1(VALU_DEP_4)
	v_add3_u32 v39, v39, v72, v73
	v_mul_i32_i24_e32 v72, v54, v173
	v_mul_i32_i24_e32 v73, v55, v175
	;; [unrolled: 1-line block ×3, first 2 shown]
	v_add3_u32 v39, v39, v75, v80
	v_mul_i32_i24_e32 v75, v57, v176
	v_mul_i32_i24_e32 v80, v63, v180
	;; [unrolled: 1-line block ×3, first 2 shown]
	s_delay_alu instid0(VALU_DEP_4) | instskip(SKIP_2) | instid1(VALU_DEP_3)
	v_add3_u32 v39, v39, v77, v78
	v_mul_i32_i24_e32 v77, v59, v178
	v_mul_i32_i24_e32 v78, v60, v168
	v_add3_u32 v39, v39, v79, v99
	v_mul_i32_i24_e32 v79, v62, v179
	v_mul_i32_i24_e32 v99, v85, v184
	s_delay_alu instid0(VALU_DEP_3) | instskip(SKIP_2) | instid1(VALU_DEP_3)
	v_add3_u32 v39, v39, v81, v82
	v_mul_i32_i24_e32 v81, v64, v181
	v_mul_i32_i24_e32 v82, v65, v182
	v_add3_u32 v39, v39, v97, v100
	v_mul_i32_i24_e32 v97, v84, v183
	v_mul_i32_i24_e32 v100, v110, v185
	s_delay_alu instid0(VALU_DEP_3) | instskip(SKIP_2) | instid1(VALU_DEP_3)
	v_add3_u32 v39, v39, v101, v102
	v_mul_i32_i24_e32 v101, v111, v174
	v_mul_i32_i24_e32 v102, v112, v186
	v_cvt_f32_i32_e32 v39, v39
	s_delay_alu instid0(VALU_DEP_1) | instskip(NEXT) | instid1(VALU_DEP_1)
	v_fma_mix_f32 v39, v4, v39, -v3 op_sel_hi:[1,0,0]
	v_fmac_f32_e32 v7, v187, v39
	v_mul_i32_i24_e32 v39, v21, v157
	s_delay_alu instid0(VALU_DEP_1) | instskip(NEXT) | instid1(VALU_DEP_1)
	v_mad_i32_i24 v39, v253, v155, v39
	v_add3_u32 v39, v39, v40, v41
	v_mul_i32_i24_e32 v40, v22, v125
	v_mul_i32_i24_e32 v41, v98, v127
	v_mul_i32_i24_e32 v127, v107, v130
	v_mul_i32_i24_e32 v125, v47, v133
	v_add3_u32 v39, v39, v43, v52
	v_mul_i32_i24_e32 v43, v254, v128
	v_mul_i32_i24_e32 v128, v49, v136
	v_mul_i32_i24_e32 v107, v50, v137
	v_mul_i32_i24_e32 v98, v54, v140
	v_add3_u32 v39, v39, v44, v46
	v_mul_i32_i24_e32 v44, v26, v131
	v_mul_i32_i24_e32 v54, v60, v135
	v_mul_i32_i24_e32 v49, v62, v146
	v_mul_i32_i24_e32 v50, v85, v151
	v_add3_u32 v39, v39, v51, v67
	v_mul_i32_i24_e32 v47, v64, v148
	v_mul_i32_i24_e32 v26, v84, v150
	;; [unrolled: 1-line block ×3, first 2 shown]
	s_delay_alu instid0(VALU_DEP_4) | instskip(NEXT) | instid1(VALU_DEP_1)
	v_add3_u32 v39, v39, v56, v61
	v_add3_u32 v39, v39, v66, v71
	s_delay_alu instid0(VALU_DEP_1) | instskip(NEXT) | instid1(VALU_DEP_1)
	v_add3_u32 v39, v39, v68, v69
	v_add3_u32 v39, v39, v70, v76
	s_delay_alu instid0(VALU_DEP_1) | instskip(NEXT) | instid1(VALU_DEP_1)
	;; [unrolled: 3-line block ×5, first 2 shown]
	v_add3_u32 v39, v39, v101, v102
	v_cvt_f32_i32_e32 v39, v39
	s_delay_alu instid0(VALU_DEP_1) | instskip(NEXT) | instid1(VALU_DEP_1)
	v_fma_mix_f32 v39, v4, v39, -v3 op_sel_hi:[1,0,0]
	v_fmac_f32_e32 v6, v154, v39
	v_mul_i32_i24_e32 v39, v21, v124
	v_mul_i32_i24_e32 v154, v106, v123
	;; [unrolled: 1-line block ×5, first 2 shown]
	v_mad_i32_i24 v39, v253, v122, v39
	v_mul_i32_i24_e32 v109, v53, v139
	v_mul_i32_i24_e32 v53, v59, v145
	;; [unrolled: 1-line block ×4, first 2 shown]
	v_add3_u32 v39, v39, v40, v41
	v_mul_i32_i24_e32 v21, v111, v141
	s_delay_alu instid0(VALU_DEP_2) | instskip(NEXT) | instid1(VALU_DEP_1)
	v_add3_u32 v39, v39, v43, v44
	v_add3_u32 v39, v39, v129, v154
	s_delay_alu instid0(VALU_DEP_1) | instskip(NEXT) | instid1(VALU_DEP_1)
	v_add3_u32 v39, v39, v127, v128
	v_add3_u32 v39, v39, v124, v125
	s_delay_alu instid0(VALU_DEP_1) | instskip(NEXT) | instid1(VALU_DEP_1)
	;; [unrolled: 3-line block ×7, first 2 shown]
	v_cvt_f32_i32_e32 v21, v21
	v_fma_mix_f32 v3, v4, v21, -v3 op_sel_hi:[1,0,0]
	s_delay_alu instid0(VALU_DEP_1)
	v_fmac_f32_e32 v5, v121, v3
	s_cbranch_scc1 .LBB137_10
; %bb.11:                               ;   in Loop: Header=BB137_6 Depth=1
	s_barrier
	buffer_gl0_inv
	s_branch .LBB137_5
.LBB137_12:
	s_clause 0x2
	scratch_load_b32 v1, off, off offset:236
	scratch_load_b32 v0, off, off offset:240
	;; [unrolled: 1-line block ×3, first 2 shown]
.LBB137_13:
	s_mov_b32 s0, exec_lo
	s_waitcnt vmcnt(0)
	v_cmpx_gt_u32_e64 s4, v2
	s_cbranch_execz .LBB137_64
; %bb.14:
	v_add_nc_u32_e32 v0, s10, v0
	v_mul_lo_u32 v21, v2, s6
	s_delay_alu instid0(VALU_DEP_2)
	v_cmp_gt_u32_e32 vcc_lo, s6, v0
	s_and_saveexec_b32 s1, vcc_lo
	s_cbranch_execz .LBB137_16
; %bb.15:
	s_delay_alu instid0(VALU_DEP_2) | instskip(SKIP_1) | instid1(VALU_DEP_2)
	v_dual_mov_b32 v3, 0 :: v_dual_add_nc_u32 v2, v0, v21
	v_cvt_f16_f32_e32 v4, v33
	v_lshlrev_b64 v[2:3], 1, v[2:3]
	s_waitcnt lgkmcnt(0)
	s_delay_alu instid0(VALU_DEP_1) | instskip(NEXT) | instid1(VALU_DEP_1)
	v_add_co_u32 v2, s0, s8, v2
	v_add_co_ci_u32_e64 v3, s0, s9, v3, s0
	global_store_b16 v[2:3], v4, off
.LBB137_16:
	s_or_b32 exec_lo, exec_lo, s1
	v_add_nc_u32_e32 v2, 32, v0
	s_delay_alu instid0(VALU_DEP_1) | instskip(NEXT) | instid1(VALU_DEP_1)
	v_cmp_gt_u32_e64 s0, s6, v2
	s_and_saveexec_b32 s2, s0
	s_cbranch_execz .LBB137_18
; %bb.17:
	v_dual_mov_b32 v4, 0 :: v_dual_add_nc_u32 v3, v2, v21
	v_cvt_f16_f32_e32 v22, v45
	s_delay_alu instid0(VALU_DEP_2) | instskip(SKIP_1) | instid1(VALU_DEP_1)
	v_lshlrev_b64 v[3:4], 1, v[3:4]
	s_waitcnt lgkmcnt(0)
	v_add_co_u32 v3, s1, s8, v3
	s_delay_alu instid0(VALU_DEP_1)
	v_add_co_ci_u32_e64 v4, s1, s9, v4, s1
	global_store_b16 v[3:4], v22, off
.LBB137_18:
	s_or_b32 exec_lo, exec_lo, s2
	v_add_nc_u32_e32 v3, 64, v0
	s_delay_alu instid0(VALU_DEP_1) | instskip(NEXT) | instid1(VALU_DEP_1)
	v_cmp_gt_u32_e64 s1, s6, v3
	s_and_saveexec_b32 s3, s1
	s_cbranch_execz .LBB137_20
; %bb.19:
	v_dual_mov_b32 v40, 0 :: v_dual_add_nc_u32 v39, v3, v21
	v_cvt_f16_f32_e32 v4, v38
	s_delay_alu instid0(VALU_DEP_2) | instskip(SKIP_1) | instid1(VALU_DEP_1)
	v_lshlrev_b64 v[39:40], 1, v[39:40]
	s_waitcnt lgkmcnt(0)
	v_add_co_u32 v39, s2, s8, v39
	s_delay_alu instid0(VALU_DEP_1)
	v_add_co_ci_u32_e64 v40, s2, s9, v40, s2
	global_store_b16 v[39:40], v4, off
.LBB137_20:
	;; [unrolled: 17-line block ×3, first 2 shown]
	s_or_b32 exec_lo, exec_lo, s5
	v_add3_u32 v21, v1, s7, 8
	s_delay_alu instid0(VALU_DEP_1) | instskip(NEXT) | instid1(VALU_DEP_1)
	v_cmp_gt_u32_e64 s3, s4, v21
	s_and_b32 exec_lo, exec_lo, s3
	s_cbranch_execz .LBB137_64
; %bb.23:
	v_mul_lo_u32 v21, v21, s6
	s_and_saveexec_b32 s5, vcc_lo
	s_cbranch_execnz .LBB137_65
; %bb.24:
	s_or_b32 exec_lo, exec_lo, s5
	s_and_saveexec_b32 s5, s0
	s_cbranch_execnz .LBB137_66
.LBB137_25:
	s_or_b32 exec_lo, exec_lo, s5
	s_and_saveexec_b32 s5, s1
	s_cbranch_execnz .LBB137_67
.LBB137_26:
	s_or_b32 exec_lo, exec_lo, s5
	s_and_saveexec_b32 s5, s2
	s_cbranch_execz .LBB137_28
.LBB137_27:
	v_dual_mov_b32 v22, 0 :: v_dual_add_nc_u32 v21, v21, v4
	v_cvt_f16_f32_e32 v26, v32
	s_delay_alu instid0(VALU_DEP_2) | instskip(SKIP_1) | instid1(VALU_DEP_1)
	v_lshlrev_b64 v[21:22], 1, v[21:22]
	s_waitcnt lgkmcnt(0)
	v_add_co_u32 v21, s3, s8, v21
	s_delay_alu instid0(VALU_DEP_1)
	v_add_co_ci_u32_e64 v22, s3, s9, v22, s3
	global_store_b16 v[21:22], v26, off
.LBB137_28:
	s_or_b32 exec_lo, exec_lo, s5
	v_add3_u32 v21, v1, s7, 16
	s_delay_alu instid0(VALU_DEP_1) | instskip(NEXT) | instid1(VALU_DEP_1)
	v_cmp_gt_u32_e64 s3, s4, v21
	s_and_b32 exec_lo, exec_lo, s3
	s_cbranch_execz .LBB137_64
; %bb.29:
	v_mul_lo_u32 v21, v21, s6
	s_and_saveexec_b32 s5, vcc_lo
	s_cbranch_execnz .LBB137_68
; %bb.30:
	s_or_b32 exec_lo, exec_lo, s5
	s_and_saveexec_b32 s5, s0
	s_cbranch_execnz .LBB137_69
.LBB137_31:
	s_or_b32 exec_lo, exec_lo, s5
	s_and_saveexec_b32 s5, s1
	s_cbranch_execnz .LBB137_70
.LBB137_32:
	s_or_b32 exec_lo, exec_lo, s5
	s_and_saveexec_b32 s5, s2
	s_cbranch_execz .LBB137_34
.LBB137_33:
	v_dual_mov_b32 v22, 0 :: v_dual_add_nc_u32 v21, v21, v4
	v_cvt_f16_f32_e32 v26, v28
	s_delay_alu instid0(VALU_DEP_2) | instskip(SKIP_1) | instid1(VALU_DEP_1)
	v_lshlrev_b64 v[21:22], 1, v[21:22]
	s_waitcnt lgkmcnt(0)
	v_add_co_u32 v21, s3, s8, v21
	s_delay_alu instid0(VALU_DEP_1)
	v_add_co_ci_u32_e64 v22, s3, s9, v22, s3
	global_store_b16 v[21:22], v26, off
.LBB137_34:
	s_or_b32 exec_lo, exec_lo, s5
	v_add3_u32 v21, v1, s7, 24
	s_delay_alu instid0(VALU_DEP_1) | instskip(NEXT) | instid1(VALU_DEP_1)
	v_cmp_gt_u32_e64 s3, s4, v21
	s_and_b32 exec_lo, exec_lo, s3
	s_cbranch_execz .LBB137_64
; %bb.35:
	v_mul_lo_u32 v21, v21, s6
	s_and_saveexec_b32 s5, vcc_lo
	s_cbranch_execnz .LBB137_71
; %bb.36:
	s_or_b32 exec_lo, exec_lo, s5
	s_and_saveexec_b32 s5, s0
	s_cbranch_execnz .LBB137_72
.LBB137_37:
	s_or_b32 exec_lo, exec_lo, s5
	s_and_saveexec_b32 s5, s1
	s_cbranch_execnz .LBB137_73
.LBB137_38:
	s_or_b32 exec_lo, exec_lo, s5
	s_and_saveexec_b32 s5, s2
	s_cbranch_execz .LBB137_40
.LBB137_39:
	v_dual_mov_b32 v22, 0 :: v_dual_add_nc_u32 v21, v21, v4
	v_cvt_f16_f32_e32 v23, v23
	s_delay_alu instid0(VALU_DEP_2) | instskip(SKIP_1) | instid1(VALU_DEP_1)
	v_lshlrev_b64 v[21:22], 1, v[21:22]
	s_waitcnt lgkmcnt(0)
	v_add_co_u32 v21, s3, s8, v21
	s_delay_alu instid0(VALU_DEP_1)
	v_add_co_ci_u32_e64 v22, s3, s9, v22, s3
	global_store_b16 v[21:22], v23, off
.LBB137_40:
	s_or_b32 exec_lo, exec_lo, s5
	v_add3_u32 v21, v1, s7, 32
	s_delay_alu instid0(VALU_DEP_1) | instskip(NEXT) | instid1(VALU_DEP_1)
	v_cmp_gt_u32_e64 s3, s4, v21
	s_and_b32 exec_lo, exec_lo, s3
	s_cbranch_execz .LBB137_64
; %bb.41:
	v_mul_lo_u32 v21, v21, s6
	s_and_saveexec_b32 s5, vcc_lo
	s_cbranch_execnz .LBB137_74
; %bb.42:
	s_or_b32 exec_lo, exec_lo, s5
	s_and_saveexec_b32 s5, s0
	s_cbranch_execnz .LBB137_75
.LBB137_43:
	s_or_b32 exec_lo, exec_lo, s5
	s_and_saveexec_b32 s5, s1
	s_cbranch_execnz .LBB137_76
.LBB137_44:
	s_or_b32 exec_lo, exec_lo, s5
	s_and_saveexec_b32 s5, s2
	s_cbranch_execz .LBB137_46
.LBB137_45:
	v_dual_mov_b32 v19, 0 :: v_dual_add_nc_u32 v18, v21, v4
	v_cvt_f16_f32_e32 v17, v17
	s_delay_alu instid0(VALU_DEP_2) | instskip(SKIP_1) | instid1(VALU_DEP_1)
	v_lshlrev_b64 v[18:19], 1, v[18:19]
	s_waitcnt lgkmcnt(0)
	v_add_co_u32 v18, s3, s8, v18
	s_delay_alu instid0(VALU_DEP_1)
	v_add_co_ci_u32_e64 v19, s3, s9, v19, s3
	global_store_b16 v[18:19], v17, off
.LBB137_46:
	s_or_b32 exec_lo, exec_lo, s5
	v_add3_u32 v17, v1, s7, 40
	s_delay_alu instid0(VALU_DEP_1) | instskip(NEXT) | instid1(VALU_DEP_1)
	v_cmp_gt_u32_e64 s3, s4, v17
	s_and_b32 exec_lo, exec_lo, s3
	s_cbranch_execz .LBB137_64
; %bb.47:
	v_mul_lo_u32 v17, v17, s6
	s_and_saveexec_b32 s5, vcc_lo
	s_cbranch_execnz .LBB137_77
; %bb.48:
	s_or_b32 exec_lo, exec_lo, s5
	s_and_saveexec_b32 s5, s0
	s_cbranch_execnz .LBB137_78
.LBB137_49:
	s_or_b32 exec_lo, exec_lo, s5
	s_and_saveexec_b32 s5, s1
	s_cbranch_execnz .LBB137_79
.LBB137_50:
	s_or_b32 exec_lo, exec_lo, s5
	s_and_saveexec_b32 s5, s2
	s_cbranch_execz .LBB137_52
.LBB137_51:
	v_dual_mov_b32 v15, 0 :: v_dual_add_nc_u32 v14, v17, v4
	v_cvt_f16_f32_e32 v13, v13
	s_delay_alu instid0(VALU_DEP_2) | instskip(SKIP_1) | instid1(VALU_DEP_1)
	v_lshlrev_b64 v[14:15], 1, v[14:15]
	s_waitcnt lgkmcnt(0)
	v_add_co_u32 v14, s3, s8, v14
	s_delay_alu instid0(VALU_DEP_1)
	v_add_co_ci_u32_e64 v15, s3, s9, v15, s3
	global_store_b16 v[14:15], v13, off
.LBB137_52:
	s_or_b32 exec_lo, exec_lo, s5
	v_add3_u32 v13, v1, s7, 48
	s_delay_alu instid0(VALU_DEP_1) | instskip(NEXT) | instid1(VALU_DEP_1)
	v_cmp_gt_u32_e64 s3, s4, v13
	s_and_b32 exec_lo, exec_lo, s3
	s_cbranch_execz .LBB137_64
; %bb.53:
	v_mul_lo_u32 v13, v13, s6
	s_and_saveexec_b32 s5, vcc_lo
	s_cbranch_execnz .LBB137_80
; %bb.54:
	s_or_b32 exec_lo, exec_lo, s5
	s_and_saveexec_b32 s5, s0
	s_cbranch_execnz .LBB137_81
.LBB137_55:
	s_or_b32 exec_lo, exec_lo, s5
	s_and_saveexec_b32 s5, s1
	s_cbranch_execnz .LBB137_82
.LBB137_56:
	s_or_b32 exec_lo, exec_lo, s5
	s_and_saveexec_b32 s5, s2
	s_cbranch_execz .LBB137_58
.LBB137_57:
	v_dual_mov_b32 v11, 0 :: v_dual_add_nc_u32 v10, v13, v4
	v_cvt_f16_f32_e32 v9, v9
	s_delay_alu instid0(VALU_DEP_2) | instskip(SKIP_1) | instid1(VALU_DEP_1)
	v_lshlrev_b64 v[10:11], 1, v[10:11]
	s_waitcnt lgkmcnt(0)
	v_add_co_u32 v10, s3, s8, v10
	s_delay_alu instid0(VALU_DEP_1)
	v_add_co_ci_u32_e64 v11, s3, s9, v11, s3
	global_store_b16 v[10:11], v9, off
.LBB137_58:
	s_or_b32 exec_lo, exec_lo, s5
	v_add3_u32 v1, v1, s7, 56
	s_delay_alu instid0(VALU_DEP_1) | instskip(NEXT) | instid1(VALU_DEP_1)
	v_cmp_gt_u32_e64 s3, s4, v1
	s_and_b32 exec_lo, exec_lo, s3
	s_cbranch_execz .LBB137_64
; %bb.59:
	v_mul_lo_u32 v1, v1, s6
	s_and_saveexec_b32 s3, vcc_lo
	s_cbranch_execnz .LBB137_83
; %bb.60:
	s_or_b32 exec_lo, exec_lo, s3
	s_and_saveexec_b32 s3, s0
	s_cbranch_execnz .LBB137_84
.LBB137_61:
	s_or_b32 exec_lo, exec_lo, s3
	s_and_saveexec_b32 s0, s1
	s_cbranch_execnz .LBB137_85
.LBB137_62:
	s_or_b32 exec_lo, exec_lo, s0
	s_delay_alu instid0(SALU_CYCLE_1)
	s_and_b32 exec_lo, exec_lo, s2
	s_cbranch_execz .LBB137_64
.LBB137_63:
	v_dual_mov_b32 v1, 0 :: v_dual_add_nc_u32 v0, v1, v4
	v_cvt_f16_f32_e32 v2, v5
	s_delay_alu instid0(VALU_DEP_2) | instskip(SKIP_1) | instid1(VALU_DEP_1)
	v_lshlrev_b64 v[0:1], 1, v[0:1]
	s_waitcnt lgkmcnt(0)
	v_add_co_u32 v0, vcc_lo, s8, v0
	s_delay_alu instid0(VALU_DEP_2)
	v_add_co_ci_u32_e32 v1, vcc_lo, s9, v1, vcc_lo
	global_store_b16 v[0:1], v2, off
.LBB137_64:
	s_nop 0
	s_sendmsg sendmsg(MSG_DEALLOC_VGPRS)
	s_endpgm
.LBB137_65:
	s_delay_alu instid0(VALU_DEP_1) | instskip(SKIP_1) | instid1(VALU_DEP_2)
	v_dual_mov_b32 v38, 0 :: v_dual_add_nc_u32 v37, v21, v0
	v_cvt_f16_f32_e32 v22, v36
	v_lshlrev_b64 v[37:38], 1, v[37:38]
	s_waitcnt lgkmcnt(0)
	s_delay_alu instid0(VALU_DEP_1) | instskip(NEXT) | instid1(VALU_DEP_1)
	v_add_co_u32 v37, s3, s8, v37
	v_add_co_ci_u32_e64 v38, s3, s9, v38, s3
	global_store_b16 v[37:38], v22, off
	s_or_b32 exec_lo, exec_lo, s5
	s_and_saveexec_b32 s5, s0
	s_cbranch_execz .LBB137_25
.LBB137_66:
	s_delay_alu instid0(VALU_DEP_1) | instskip(SKIP_1) | instid1(VALU_DEP_2)
	v_dual_mov_b32 v37, 0 :: v_dual_add_nc_u32 v36, v21, v2
	v_cvt_f16_f32_e32 v22, v35
	v_lshlrev_b64 v[36:37], 1, v[36:37]
	s_waitcnt lgkmcnt(0)
	s_delay_alu instid0(VALU_DEP_1) | instskip(NEXT) | instid1(VALU_DEP_1)
	v_add_co_u32 v36, s3, s8, v36
	v_add_co_ci_u32_e64 v37, s3, s9, v37, s3
	global_store_b16 v[36:37], v22, off
	s_or_b32 exec_lo, exec_lo, s5
	s_and_saveexec_b32 s5, s1
	s_cbranch_execz .LBB137_26
.LBB137_67:
	v_dual_mov_b32 v36, 0 :: v_dual_add_nc_u32 v35, v21, v3
	v_cvt_f16_f32_e32 v22, v34
	s_delay_alu instid0(VALU_DEP_2) | instskip(SKIP_1) | instid1(VALU_DEP_1)
	v_lshlrev_b64 v[35:36], 1, v[35:36]
	s_waitcnt lgkmcnt(0)
	v_add_co_u32 v35, s3, s8, v35
	s_delay_alu instid0(VALU_DEP_1)
	v_add_co_ci_u32_e64 v36, s3, s9, v36, s3
	global_store_b16 v[35:36], v22, off
	s_or_b32 exec_lo, exec_lo, s5
	s_and_saveexec_b32 s5, s2
	s_cbranch_execnz .LBB137_27
	s_branch .LBB137_28
.LBB137_68:
	s_delay_alu instid0(VALU_DEP_1) | instskip(SKIP_1) | instid1(VALU_DEP_2)
	v_dual_mov_b32 v33, 0 :: v_dual_add_nc_u32 v32, v21, v0
	v_cvt_f16_f32_e32 v22, v31
	v_lshlrev_b64 v[32:33], 1, v[32:33]
	s_waitcnt lgkmcnt(0)
	s_delay_alu instid0(VALU_DEP_1) | instskip(NEXT) | instid1(VALU_DEP_1)
	v_add_co_u32 v32, s3, s8, v32
	v_add_co_ci_u32_e64 v33, s3, s9, v33, s3
	global_store_b16 v[32:33], v22, off
	s_or_b32 exec_lo, exec_lo, s5
	s_and_saveexec_b32 s5, s0
	s_cbranch_execz .LBB137_31
.LBB137_69:
	s_delay_alu instid0(VALU_DEP_1) | instskip(SKIP_1) | instid1(VALU_DEP_2)
	v_dual_mov_b32 v32, 0 :: v_dual_add_nc_u32 v31, v21, v2
	v_cvt_f16_f32_e32 v22, v30
	v_lshlrev_b64 v[31:32], 1, v[31:32]
	s_waitcnt lgkmcnt(0)
	s_delay_alu instid0(VALU_DEP_1) | instskip(NEXT) | instid1(VALU_DEP_1)
	v_add_co_u32 v31, s3, s8, v31
	v_add_co_ci_u32_e64 v32, s3, s9, v32, s3
	global_store_b16 v[31:32], v22, off
	s_or_b32 exec_lo, exec_lo, s5
	s_and_saveexec_b32 s5, s1
	s_cbranch_execz .LBB137_32
.LBB137_70:
	v_dual_mov_b32 v31, 0 :: v_dual_add_nc_u32 v30, v21, v3
	v_cvt_f16_f32_e32 v22, v29
	s_delay_alu instid0(VALU_DEP_2) | instskip(SKIP_1) | instid1(VALU_DEP_1)
	v_lshlrev_b64 v[30:31], 1, v[30:31]
	s_waitcnt lgkmcnt(0)
	v_add_co_u32 v30, s3, s8, v30
	s_delay_alu instid0(VALU_DEP_1)
	v_add_co_ci_u32_e64 v31, s3, s9, v31, s3
	global_store_b16 v[30:31], v22, off
	s_or_b32 exec_lo, exec_lo, s5
	s_and_saveexec_b32 s5, s2
	s_cbranch_execnz .LBB137_33
	s_branch .LBB137_34
.LBB137_71:
	s_delay_alu instid0(VALU_DEP_1) | instskip(SKIP_1) | instid1(VALU_DEP_2)
	v_dual_mov_b32 v29, 0 :: v_dual_add_nc_u32 v28, v21, v0
	v_cvt_f16_f32_e32 v22, v27
	v_lshlrev_b64 v[28:29], 1, v[28:29]
	s_waitcnt lgkmcnt(0)
	s_delay_alu instid0(VALU_DEP_1) | instskip(NEXT) | instid1(VALU_DEP_1)
	v_add_co_u32 v28, s3, s8, v28
	v_add_co_ci_u32_e64 v29, s3, s9, v29, s3
	global_store_b16 v[28:29], v22, off
	s_or_b32 exec_lo, exec_lo, s5
	s_and_saveexec_b32 s5, s0
	s_cbranch_execz .LBB137_37
.LBB137_72:
	s_delay_alu instid0(VALU_DEP_1) | instskip(SKIP_1) | instid1(VALU_DEP_2)
	v_dual_mov_b32 v27, 0 :: v_dual_add_nc_u32 v26, v21, v2
	v_cvt_f16_f32_e32 v22, v25
	v_lshlrev_b64 v[26:27], 1, v[26:27]
	s_waitcnt lgkmcnt(0)
	s_delay_alu instid0(VALU_DEP_1) | instskip(NEXT) | instid1(VALU_DEP_1)
	v_add_co_u32 v26, s3, s8, v26
	v_add_co_ci_u32_e64 v27, s3, s9, v27, s3
	global_store_b16 v[26:27], v22, off
	s_or_b32 exec_lo, exec_lo, s5
	s_and_saveexec_b32 s5, s1
	s_cbranch_execz .LBB137_38
.LBB137_73:
	v_dual_mov_b32 v26, 0 :: v_dual_add_nc_u32 v25, v21, v3
	v_cvt_f16_f32_e32 v22, v24
	s_delay_alu instid0(VALU_DEP_2) | instskip(SKIP_1) | instid1(VALU_DEP_1)
	v_lshlrev_b64 v[25:26], 1, v[25:26]
	s_waitcnt lgkmcnt(0)
	v_add_co_u32 v25, s3, s8, v25
	s_delay_alu instid0(VALU_DEP_1)
	v_add_co_ci_u32_e64 v26, s3, s9, v26, s3
	global_store_b16 v[25:26], v22, off
	s_or_b32 exec_lo, exec_lo, s5
	s_and_saveexec_b32 s5, s2
	s_cbranch_execnz .LBB137_39
	s_branch .LBB137_40
.LBB137_74:
	s_delay_alu instid0(VALU_DEP_1) | instskip(SKIP_1) | instid1(VALU_DEP_2)
	v_dual_mov_b32 v23, 0 :: v_dual_add_nc_u32 v22, v21, v0
	v_cvt_f16_f32_e32 v20, v20
	v_lshlrev_b64 v[22:23], 1, v[22:23]
	s_waitcnt lgkmcnt(0)
	s_delay_alu instid0(VALU_DEP_1) | instskip(NEXT) | instid1(VALU_DEP_1)
	v_add_co_u32 v22, s3, s8, v22
	v_add_co_ci_u32_e64 v23, s3, s9, v23, s3
	global_store_b16 v[22:23], v20, off
	s_or_b32 exec_lo, exec_lo, s5
	s_and_saveexec_b32 s5, s0
	s_cbranch_execz .LBB137_43
.LBB137_75:
	s_delay_alu instid0(VALU_DEP_1) | instskip(SKIP_1) | instid1(VALU_DEP_2)
	v_dual_mov_b32 v23, 0 :: v_dual_add_nc_u32 v22, v21, v2
	v_cvt_f16_f32_e32 v19, v19
	v_lshlrev_b64 v[22:23], 1, v[22:23]
	s_waitcnt lgkmcnt(0)
	s_delay_alu instid0(VALU_DEP_1) | instskip(NEXT) | instid1(VALU_DEP_1)
	v_add_co_u32 v22, s3, s8, v22
	v_add_co_ci_u32_e64 v23, s3, s9, v23, s3
	global_store_b16 v[22:23], v19, off
	s_or_b32 exec_lo, exec_lo, s5
	s_and_saveexec_b32 s5, s1
	s_cbranch_execz .LBB137_44
.LBB137_76:
	v_dual_mov_b32 v20, 0 :: v_dual_add_nc_u32 v19, v21, v3
	v_cvt_f16_f32_e32 v18, v18
	s_delay_alu instid0(VALU_DEP_2) | instskip(SKIP_1) | instid1(VALU_DEP_1)
	v_lshlrev_b64 v[19:20], 1, v[19:20]
	s_waitcnt lgkmcnt(0)
	v_add_co_u32 v19, s3, s8, v19
	s_delay_alu instid0(VALU_DEP_1)
	v_add_co_ci_u32_e64 v20, s3, s9, v20, s3
	global_store_b16 v[19:20], v18, off
	s_or_b32 exec_lo, exec_lo, s5
	s_and_saveexec_b32 s5, s2
	s_cbranch_execnz .LBB137_45
	s_branch .LBB137_46
.LBB137_77:
	s_delay_alu instid0(VALU_DEP_1) | instskip(SKIP_1) | instid1(VALU_DEP_2)
	v_dual_mov_b32 v19, 0 :: v_dual_add_nc_u32 v18, v17, v0
	v_cvt_f16_f32_e32 v16, v16
	v_lshlrev_b64 v[18:19], 1, v[18:19]
	s_waitcnt lgkmcnt(0)
	s_delay_alu instid0(VALU_DEP_1) | instskip(NEXT) | instid1(VALU_DEP_1)
	v_add_co_u32 v18, s3, s8, v18
	v_add_co_ci_u32_e64 v19, s3, s9, v19, s3
	global_store_b16 v[18:19], v16, off
	s_or_b32 exec_lo, exec_lo, s5
	s_and_saveexec_b32 s5, s0
	s_cbranch_execz .LBB137_49
.LBB137_78:
	s_delay_alu instid0(VALU_DEP_1) | instskip(SKIP_1) | instid1(VALU_DEP_2)
	v_dual_mov_b32 v19, 0 :: v_dual_add_nc_u32 v18, v17, v2
	v_cvt_f16_f32_e32 v15, v15
	v_lshlrev_b64 v[18:19], 1, v[18:19]
	s_waitcnt lgkmcnt(0)
	s_delay_alu instid0(VALU_DEP_1) | instskip(NEXT) | instid1(VALU_DEP_1)
	v_add_co_u32 v18, s3, s8, v18
	v_add_co_ci_u32_e64 v19, s3, s9, v19, s3
	global_store_b16 v[18:19], v15, off
	s_or_b32 exec_lo, exec_lo, s5
	s_and_saveexec_b32 s5, s1
	s_cbranch_execz .LBB137_50
.LBB137_79:
	v_dual_mov_b32 v16, 0 :: v_dual_add_nc_u32 v15, v17, v3
	v_cvt_f16_f32_e32 v14, v14
	s_delay_alu instid0(VALU_DEP_2) | instskip(SKIP_1) | instid1(VALU_DEP_1)
	v_lshlrev_b64 v[15:16], 1, v[15:16]
	s_waitcnt lgkmcnt(0)
	v_add_co_u32 v15, s3, s8, v15
	s_delay_alu instid0(VALU_DEP_1)
	v_add_co_ci_u32_e64 v16, s3, s9, v16, s3
	global_store_b16 v[15:16], v14, off
	s_or_b32 exec_lo, exec_lo, s5
	s_and_saveexec_b32 s5, s2
	s_cbranch_execnz .LBB137_51
	s_branch .LBB137_52
.LBB137_80:
	s_delay_alu instid0(VALU_DEP_1) | instskip(SKIP_1) | instid1(VALU_DEP_2)
	v_dual_mov_b32 v15, 0 :: v_dual_add_nc_u32 v14, v13, v0
	v_cvt_f16_f32_e32 v12, v12
	v_lshlrev_b64 v[14:15], 1, v[14:15]
	s_waitcnt lgkmcnt(0)
	s_delay_alu instid0(VALU_DEP_1) | instskip(NEXT) | instid1(VALU_DEP_1)
	v_add_co_u32 v14, s3, s8, v14
	v_add_co_ci_u32_e64 v15, s3, s9, v15, s3
	global_store_b16 v[14:15], v12, off
	s_or_b32 exec_lo, exec_lo, s5
	s_and_saveexec_b32 s5, s0
	s_cbranch_execz .LBB137_55
.LBB137_81:
	s_delay_alu instid0(VALU_DEP_1) | instskip(SKIP_1) | instid1(VALU_DEP_2)
	v_dual_mov_b32 v15, 0 :: v_dual_add_nc_u32 v14, v13, v2
	v_cvt_f16_f32_e32 v11, v11
	v_lshlrev_b64 v[14:15], 1, v[14:15]
	s_waitcnt lgkmcnt(0)
	s_delay_alu instid0(VALU_DEP_1) | instskip(NEXT) | instid1(VALU_DEP_1)
	v_add_co_u32 v14, s3, s8, v14
	v_add_co_ci_u32_e64 v15, s3, s9, v15, s3
	global_store_b16 v[14:15], v11, off
	s_or_b32 exec_lo, exec_lo, s5
	s_and_saveexec_b32 s5, s1
	s_cbranch_execz .LBB137_56
.LBB137_82:
	v_dual_mov_b32 v12, 0 :: v_dual_add_nc_u32 v11, v13, v3
	v_cvt_f16_f32_e32 v10, v10
	s_delay_alu instid0(VALU_DEP_2) | instskip(SKIP_1) | instid1(VALU_DEP_1)
	v_lshlrev_b64 v[11:12], 1, v[11:12]
	s_waitcnt lgkmcnt(0)
	v_add_co_u32 v11, s3, s8, v11
	s_delay_alu instid0(VALU_DEP_1)
	v_add_co_ci_u32_e64 v12, s3, s9, v12, s3
	global_store_b16 v[11:12], v10, off
	s_or_b32 exec_lo, exec_lo, s5
	s_and_saveexec_b32 s5, s2
	s_cbranch_execnz .LBB137_57
	s_branch .LBB137_58
.LBB137_83:
	s_delay_alu instid0(VALU_DEP_1) | instskip(SKIP_1) | instid1(VALU_DEP_2)
	v_dual_mov_b32 v10, 0 :: v_dual_add_nc_u32 v9, v1, v0
	v_cvt_f16_f32_e32 v0, v8
	v_lshlrev_b64 v[9:10], 1, v[9:10]
	s_waitcnt lgkmcnt(0)
	s_delay_alu instid0(VALU_DEP_1) | instskip(NEXT) | instid1(VALU_DEP_2)
	v_add_co_u32 v9, vcc_lo, s8, v9
	v_add_co_ci_u32_e32 v10, vcc_lo, s9, v10, vcc_lo
	global_store_b16 v[9:10], v0, off
	s_or_b32 exec_lo, exec_lo, s3
	s_and_saveexec_b32 s3, s0
	s_cbranch_execz .LBB137_61
.LBB137_84:
	s_delay_alu instid0(VALU_DEP_1) | instskip(SKIP_1) | instid1(VALU_DEP_2)
	v_dual_mov_b32 v9, 0 :: v_dual_add_nc_u32 v8, v1, v2
	v_cvt_f16_f32_e32 v0, v7
	v_lshlrev_b64 v[8:9], 1, v[8:9]
	s_waitcnt lgkmcnt(0)
	s_delay_alu instid0(VALU_DEP_1) | instskip(NEXT) | instid1(VALU_DEP_2)
	v_add_co_u32 v8, vcc_lo, s8, v8
	v_add_co_ci_u32_e32 v9, vcc_lo, s9, v9, vcc_lo
	global_store_b16 v[8:9], v0, off
	s_or_b32 exec_lo, exec_lo, s3
	s_and_saveexec_b32 s0, s1
	s_cbranch_execz .LBB137_62
.LBB137_85:
	v_dual_mov_b32 v3, 0 :: v_dual_add_nc_u32 v2, v1, v3
	v_cvt_f16_f32_e32 v0, v6
	s_delay_alu instid0(VALU_DEP_2) | instskip(SKIP_1) | instid1(VALU_DEP_1)
	v_lshlrev_b64 v[2:3], 1, v[2:3]
	s_waitcnt lgkmcnt(0)
	v_add_co_u32 v2, vcc_lo, s8, v2
	s_delay_alu instid0(VALU_DEP_2) | instskip(SKIP_2) | instid1(SALU_CYCLE_1)
	v_add_co_ci_u32_e32 v3, vcc_lo, s9, v3, vcc_lo
	global_store_b16 v[2:3], v0, off
	s_or_b32 exec_lo, exec_lo, s0
	s_and_b32 exec_lo, exec_lo, s2
	s_cbranch_execnz .LBB137_63
	s_branch .LBB137_64
	.section	.rodata,"a",@progbits
	.p2align	6, 0x0
	.amdhsa_kernel _ZL12mul_mat_q4_0IN3c104HalfELb0EEvPKvS3_PT_iiiii
		.amdhsa_group_segment_fixed_size 30336
		.amdhsa_private_segment_fixed_size 252
		.amdhsa_kernarg_size 44
		.amdhsa_user_sgpr_count 14
		.amdhsa_user_sgpr_dispatch_ptr 0
		.amdhsa_user_sgpr_queue_ptr 0
		.amdhsa_user_sgpr_kernarg_segment_ptr 1
		.amdhsa_user_sgpr_dispatch_id 0
		.amdhsa_user_sgpr_private_segment_size 0
		.amdhsa_wavefront_size32 1
		.amdhsa_uses_dynamic_stack 0
		.amdhsa_enable_private_segment 1
		.amdhsa_system_sgpr_workgroup_id_x 1
		.amdhsa_system_sgpr_workgroup_id_y 1
		.amdhsa_system_sgpr_workgroup_id_z 0
		.amdhsa_system_sgpr_workgroup_info 0
		.amdhsa_system_vgpr_workitem_id 1
		.amdhsa_next_free_vgpr 256
		.amdhsa_next_free_sgpr 16
		.amdhsa_reserve_vcc 1
		.amdhsa_float_round_mode_32 0
		.amdhsa_float_round_mode_16_64 0
		.amdhsa_float_denorm_mode_32 3
		.amdhsa_float_denorm_mode_16_64 3
		.amdhsa_dx10_clamp 1
		.amdhsa_ieee_mode 1
		.amdhsa_fp16_overflow 0
		.amdhsa_workgroup_processor_mode 1
		.amdhsa_memory_ordered 1
		.amdhsa_forward_progress 0
		.amdhsa_shared_vgpr_count 0
		.amdhsa_exception_fp_ieee_invalid_op 0
		.amdhsa_exception_fp_denorm_src 0
		.amdhsa_exception_fp_ieee_div_zero 0
		.amdhsa_exception_fp_ieee_overflow 0
		.amdhsa_exception_fp_ieee_underflow 0
		.amdhsa_exception_fp_ieee_inexact 0
		.amdhsa_exception_int_div_zero 0
	.end_amdhsa_kernel
	.section	.text._ZL12mul_mat_q4_0IN3c104HalfELb0EEvPKvS3_PT_iiiii,"axG",@progbits,_ZL12mul_mat_q4_0IN3c104HalfELb0EEvPKvS3_PT_iiiii,comdat
.Lfunc_end137:
	.size	_ZL12mul_mat_q4_0IN3c104HalfELb0EEvPKvS3_PT_iiiii, .Lfunc_end137-_ZL12mul_mat_q4_0IN3c104HalfELb0EEvPKvS3_PT_iiiii
                                        ; -- End function
	.section	.AMDGPU.csdata,"",@progbits
; Kernel info:
; codeLenInByte = 31816
; NumSgprs: 18
; NumVgprs: 256
; ScratchSize: 252
; MemoryBound: 0
; FloatMode: 240
; IeeeMode: 1
; LDSByteSize: 30336 bytes/workgroup (compile time only)
; SGPRBlocks: 2
; VGPRBlocks: 31
; NumSGPRsForWavesPerEU: 18
; NumVGPRsForWavesPerEU: 256
; Occupancy: 5
; WaveLimiterHint : 0
; COMPUTE_PGM_RSRC2:SCRATCH_EN: 1
; COMPUTE_PGM_RSRC2:USER_SGPR: 14
; COMPUTE_PGM_RSRC2:TRAP_HANDLER: 0
; COMPUTE_PGM_RSRC2:TGID_X_EN: 1
; COMPUTE_PGM_RSRC2:TGID_Y_EN: 1
; COMPUTE_PGM_RSRC2:TGID_Z_EN: 0
; COMPUTE_PGM_RSRC2:TIDIG_COMP_CNT: 1
	.section	.text._ZL12mul_mat_q4_0IN3c104HalfELb1EEvPKvS3_PT_iiiii,"axG",@progbits,_ZL12mul_mat_q4_0IN3c104HalfELb1EEvPKvS3_PT_iiiii,comdat
	.globl	_ZL12mul_mat_q4_0IN3c104HalfELb1EEvPKvS3_PT_iiiii ; -- Begin function _ZL12mul_mat_q4_0IN3c104HalfELb1EEvPKvS3_PT_iiiii
	.p2align	8
	.type	_ZL12mul_mat_q4_0IN3c104HalfELb1EEvPKvS3_PT_iiiii,@function
_ZL12mul_mat_q4_0IN3c104HalfELb1EEvPKvS3_PT_iiiii: ; @_ZL12mul_mat_q4_0IN3c104HalfELb1EEvPKvS3_PT_iiiii
; %bb.0:
	s_clause 0x1
	s_load_b128 s[4:7], s[0:1], 0x18
	s_load_b32 s10, s[0:1], 0x28
	v_bfe_u32 v2, v0, 10, 10
	v_and_b32_e32 v3, 0x3ff, v0
	s_lshl_b32 s11, s15, 6
	s_waitcnt lgkmcnt(0)
	s_cmp_gt_i32 s4, 31
	s_cbranch_scc1 .LBB138_2
; %bb.1:
	v_bfe_u32 v1, v0, 10, 10
	v_and_b32_e32 v0, 0x3ff, v0
	s_mov_b32 s2, 0
	s_mov_b32 s3, 0
	s_delay_alu instid0(VALU_DEP_2)
	v_add_nc_u32_e32 v4, s11, v1
	s_branch .LBB138_3
.LBB138_2:
	s_mov_b32 s2, -1
                                        ; implicit-def: $sgpr3
                                        ; implicit-def: $vgpr1
                                        ; implicit-def: $vgpr0
                                        ; implicit-def: $vgpr4
.LBB138_3:
	s_load_b64 s[8:9], s[0:1], 0x10
	v_dual_mov_b32 v21, s3 :: v_dual_mov_b32 v36, s3
	v_dual_mov_b32 v25, s3 :: v_dual_mov_b32 v40, s3
	;; [unrolled: 1-line block ×14, first 2 shown]
	v_mov_b32_e32 v28, s3
	v_mov_b32_e32 v32, s3
	;; [unrolled: 1-line block ×4, first 2 shown]
	s_and_not1_b32 vcc_lo, exec_lo, s2
	s_lshl_b32 s12, s14, 7
	s_cbranch_vccnz .LBB138_13
; %bb.4:
	s_load_b128 s[0:3], s[0:1], 0x0
	s_ashr_i32 s13, s4, 31
	s_ashr_i32 s14, s7, 31
	s_lshr_b32 s13, s13, 27
	v_dual_mov_b32 v0, v2 :: v_dual_lshlrev_b32 v17, 2, v3
	s_add_i32 s4, s4, s13
	s_lshr_b32 s13, s14, 27
	s_ashr_i32 s4, s4, 5
	s_add_i32 s7, s7, s13
	s_mul_i32 s13, s4, s12
	s_ashr_i32 s7, s7, 5
	s_mul_i32 s14, s13, 18
	s_mul_hi_i32 s13, s13, 18
	v_dual_mov_b32 v35, 0 :: v_dual_add_nc_u32 v34, 8, v2
	v_dual_mov_b32 v65, 0 :: v_dual_add_nc_u32 v38, 16, v2
	v_dual_mov_b32 v60, 0 :: v_dual_and_b32 v1, 12, v17
	s_waitcnt lgkmcnt(0)
	s_add_u32 s0, s0, s14
	s_addc_u32 s1, s1, s13
	s_not_b32 s13, s12
	v_lshrrev_b32_e32 v51, 2, v3
	s_add_i32 s5, s13, s5
	v_dual_mov_b32 v42, v3 :: v_dual_add_nc_u32 v39, 24, v0
	v_min_i32_e32 v2, s5, v0
	v_min_i32_e32 v3, s5, v34
	;; [unrolled: 1-line block ×3, first 2 shown]
	v_add_nc_u32_e32 v40, 32, v0
	v_add_nc_u32_e32 v41, 40, v0
	v_mad_u64_u32 v[5:6], null, 0x84, v2, v[17:18]
	scratch_store_b32 off, v1, off offset:80 ; 4-byte Folded Spill
	v_mul_lo_u32 v1, v2, s4
	v_min_i32_e32 v7, s5, v41
	v_add_nc_u32_e32 v43, 48, v0
	v_dual_mov_b32 v59, 0 :: v_dual_add_nc_u32 v44, 56, v0
	v_add_nc_u32_e32 v10, 64, v0
	v_add_nc_u32_e32 v11, 0x48, v0
	s_delay_alu instid0(VALU_DEP_4)
	v_min_i32_e32 v8, s5, v43
	scratch_store_b32 off, v1, off offset:84 ; 4-byte Folded Spill
	v_mul_lo_u32 v1, v3, s4
	scratch_store_b64 off, v[5:6], off offset:88 ; 8-byte Folded Spill
	v_min_i32_e32 v5, s5, v39
	v_min_i32_e32 v6, s5, v40
	;; [unrolled: 1-line block ×5, first 2 shown]
	v_add_nc_u32_e32 v12, 0x50, v0
	scratch_store_b32 off, v1, off offset:96 ; 4-byte Folded Spill
	v_mad_u64_u32 v[1:2], null, 0x84, v3, v[17:18]
	v_mul_lo_u32 v2, v4, s4
	s_add_i32 s13, s6, -1
	v_min_i32_e32 v12, s5, v12
	v_add_nc_u32_e32 v28, s11, v0
	v_add_nc_u32_e32 v13, 0x58, v0
	;; [unrolled: 1-line block ×4, first 2 shown]
	v_lshrrev_b32_e32 v46, 3, v42
	scratch_store_b32 off, v2, off offset:100 ; 4-byte Folded Spill
	v_mad_u64_u32 v[2:3], null, 0x84, v4, v[17:18]
	v_mul_lo_u32 v3, v5, s4
	v_add_nc_u32_e32 v14, 16, v28
	v_add_nc_u32_e32 v24, 24, v28
	v_cvt_f64_u32_e32 v[15:16], v28
	v_min_i32_e32 v13, s5, v13
	v_add_nc_u32_e32 v32, 56, v28
	v_cvt_f64_u32_e32 v[22:23], v14
	v_cvt_f64_u32_e32 v[24:25], v24
	scratch_store_b32 off, v3, off offset:104 ; 4-byte Folded Spill
	v_mad_u64_u32 v[3:4], null, 0x84, v5, v[17:18]
	v_mul_lo_u32 v4, v6, s4
	v_mul_lo_u32 v29, v13, s4
	v_add_nc_u32_e32 v14, 40, v28
	v_min_i32_e32 v36, s5, v36
	v_cvt_f64_u32_e32 v[32:33], v32
	v_min_i32_e32 v45, s5, v37
	v_dual_mov_b32 v68, 0 :: v_dual_add_nc_u32 v37, 0x78, v0
	scratch_store_b32 off, v4, off offset:108 ; 4-byte Folded Spill
	v_mad_u64_u32 v[4:5], null, 0x84, v6, v[17:18]
	v_mul_lo_u32 v5, v7, s4
	v_min_i32_e32 v47, s5, v37
	v_dual_mov_b32 v61, 0 :: v_dual_and_b32 v50, 7, v42
	v_mov_b32_e32 v74, 0
	v_mov_b32_e32 v64, 0
	;; [unrolled: 1-line block ×4, first 2 shown]
	scratch_store_b32 off, v5, off offset:112 ; 4-byte Folded Spill
	v_mad_u64_u32 v[5:6], null, 0x84, v7, v[17:18]
	v_mul_lo_u32 v6, v8, s4
	v_mov_b32_e32 v52, 0
	v_mov_b32_e32 v66, 0
	scratch_store_b32 off, v6, off offset:116 ; 4-byte Folded Spill
	v_mad_u64_u32 v[6:7], null, 0x84, v8, v[17:18]
	v_mul_lo_u32 v7, v9, s4
	scratch_store_b32 off, v7, off offset:120 ; 4-byte Folded Spill
	v_mad_u64_u32 v[7:8], null, 0x84, v9, v[17:18]
	v_mul_lo_u32 v8, v10, s4
	;; [unrolled: 3-line block ×3, first 2 shown]
	scratch_store_b32 off, v9, off offset:128 ; 4-byte Folded Spill
	v_mad_u64_u32 v[9:10], null, 0x84, v11, v[17:18]
	v_cvt_f64_i32_e32 v[18:19], s13
	v_mul_lo_u32 v10, v12, s4
	scratch_store_b32 off, v10, off offset:132 ; 4-byte Folded Spill
	v_add_nc_u32_e32 v10, 8, v28
	s_clause 0x2
	scratch_store_b32 off, v29, off offset:136
	scratch_store_b32 off, v28, off offset:248
	;; [unrolled: 1-line block ×3, first 2 shown]
	v_lshl_add_u32 v46, v0, 2, v46
	v_cvt_f64_u32_e32 v[20:21], v10
	s_delay_alu instid0(VALU_DEP_2)
	v_min_i32_e32 v48, s5, v46
	v_mad_u64_u32 v[10:11], null, 0x84, v12, v[17:18]
	v_add_nc_u32_e32 v11, 32, v28
	v_add_nc_u32_e32 v12, 0x60, v0
	v_min_f64 v[22:23], v[22:23], v[18:19]
	v_min_f64 v[24:25], v[24:25], v[18:19]
	s_delay_alu instid0(VALU_DEP_4) | instskip(SKIP_3) | instid1(VALU_DEP_3)
	v_cvt_f64_u32_e32 v[26:27], v11
	v_add_nc_u32_e32 v11, 48, v28
	v_cvt_f64_u32_e32 v[28:29], v14
	v_min_i32_e32 v14, s5, v12
	v_cvt_f64_u32_e32 v[30:31], v11
	v_mad_u64_u32 v[11:12], null, 0x84, v13, v[17:18]
	s_delay_alu instid0(VALU_DEP_3)
	v_mul_lo_u32 v12, v14, s4
	v_min_f64 v[20:21], v[20:21], v[18:19]
	scratch_store_b32 off, v12, off offset:140 ; 4-byte Folded Spill
	v_mad_u64_u32 v[12:13], null, 0x84, v14, v[17:18]
	v_mul_lo_u32 v13, v36, s4
	scratch_store_b32 off, v13, off offset:148 ; 4-byte Folded Spill
	v_mad_u64_u32 v[13:14], null, 0x84, v36, v[17:18]
	v_min_f64 v[36:37], v[15:16], v[18:19]
	v_mul_lo_u32 v14, v45, s4
	v_mul_lo_u32 v16, v47, s4
	v_cvt_i32_f64_e32 v22, v[22:23]
	v_cvt_i32_f64_e32 v23, v[24:25]
	v_lshl_add_u32 v24, v0, 3, v51
	v_min_f64 v[26:27], v[26:27], v[18:19]
	s_clause 0x1
	scratch_store_b32 off, v14, off offset:152
	scratch_store_b32 off, v16, off offset:156
	v_mad_u64_u32 v[14:15], null, 0x84, v45, v[17:18]
	v_add_nc_u32_e32 v15, 32, v46
	v_min_f64 v[28:29], v[28:29], v[18:19]
	v_min_f64 v[30:31], v[30:31], v[18:19]
	v_ashrrev_i32_e32 v45, 31, v48
	v_cvt_i32_f64_e32 v21, v[20:21]
	v_min_i32_e32 v49, s5, v15
	v_mad_u64_u32 v[15:16], null, 0x84, v47, v[17:18]
	v_add_nc_u32_e32 v16, 64, v46
	v_min_f64 v[18:19], v[32:33], v[18:19]
	s_delay_alu instid0(VALU_DEP_4)
	v_ashrrev_i32_e32 v47, 31, v49
	v_add_nc_u32_e32 v46, 0x60, v46
	v_lshrrev_b32_e32 v45, 30, v45
	v_min_i32_e32 v16, s5, v16
	v_and_b32_e32 v24, 63, v24
	v_lshrrev_b32_e32 v32, 30, v47
	v_lshlrev_b32_e32 v47, 2, v50
	v_min_i32_e32 v46, s5, v46
	v_ashrrev_i32_e32 v33, 31, v16
	v_mul_lo_u32 v20, v16, s4
	scratch_store_b32 off, v50, off offset:160 ; 4-byte Folded Spill
	v_mul_lo_u32 v50, v48, s4
	v_lshlrev_b32_e32 v25, 5, v16
	v_lshrrev_b32_e32 v33, 30, v33
	v_add_nc_u32_e32 v32, v49, v32
	v_cvt_i32_f64_e32 v36, v[36:37]
	v_lshlrev_b32_e32 v37, 5, v49
	scratch_store_b32 off, v20, off offset:172 ; 4-byte Folded Spill
	v_add_nc_u32_e32 v33, v16, v33
	v_mul_lo_u32 v16, v46, s4
	scratch_store_b32 off, v50, off offset:164 ; 4-byte Folded Spill
	v_mul_lo_u32 v50, v49, s4
	v_add_nc_u32_e32 v45, v48, v45
	v_cvt_i32_f64_e32 v26, v[26:27]
	v_and_b32_e32 v32, -4, v32
	v_and_b32_e32 v33, -4, v33
	v_lshlrev_b32_e32 v48, 5, v48
	scratch_store_b32 off, v16, off offset:176 ; 4-byte Folded Spill
	v_and_b32_e32 v45, -4, v45
	scratch_store_b32 off, v50, off offset:168 ; 4-byte Folded Spill
	v_ashrrev_i32_e32 v50, 31, v46
	v_cvt_i32_f64_e32 v27, v[28:29]
	v_cvt_i32_f64_e32 v28, v[30:31]
	v_lshlrev_b32_e32 v31, 5, v46
	v_add3_u32 v45, v45, v47, 0x6200
	v_lshrrev_b32_e32 v49, 30, v50
	v_add3_u32 v32, v32, v47, 0x6200
	v_cvt_i32_f64_e32 v30, v[18:19]
	v_and_b32_e32 v19, 31, v42
	v_add3_u32 v33, v33, v47, 0x6200
	v_add_nc_u32_e32 v20, v46, v49
	v_lshlrev_b32_e32 v49, 7, v0
	v_and_b32_e32 v17, 28, v17
	s_delay_alu instid0(VALU_DEP_3) | instskip(SKIP_1) | instid1(VALU_DEP_2)
	v_and_b32_e32 v16, -4, v20
	v_and_b32_e32 v20, 3, v42
	v_add3_u32 v29, v16, v47, 0x6200
	v_or_b32_e32 v16, s11, v24
	s_delay_alu instid0(VALU_DEP_3) | instskip(SKIP_1) | instid1(VALU_DEP_3)
	v_lshlrev_b32_e32 v18, 2, v20
	v_lshlrev_b32_e32 v47, 2, v19
	v_min_i32_e32 v46, s13, v16
	s_delay_alu instid0(VALU_DEP_3) | instskip(NEXT) | instid1(VALU_DEP_3)
	v_lshl_or_b32 v24, v24, 4, v18
	v_or_b32_e32 v50, v49, v47
	v_add_co_u32 v16, s5, s2, v17
	s_delay_alu instid0(VALU_DEP_4)
	v_mad_u64_u32 v[18:19], null, v46, s7, v[20:21]
	v_mul_lo_u32 v20, s7, v36
	v_dual_mov_b32 v36, 0 :: v_dual_add_nc_u32 v19, 0x7280, v24
	v_mul_lo_u32 v21, s7, v21
	v_mov_b32_e32 v46, 0
	v_and_b32_e32 v24, 0xfc, v42
	v_add_co_ci_u32_e64 v17, null, s3, 0, s5
	s_clause 0x1
	scratch_store_b32 off, v19, off
	scratch_store_b32 off, v20, off offset:4
	v_lshl_or_b32 v19, v34, 7, v47
	v_add_nc_u32_e32 v20, 0x4200, v50
	s_mov_b32 s5, 0
	s_delay_alu instid0(VALU_DEP_2) | instskip(SKIP_3) | instid1(VALU_DEP_2)
	v_add_nc_u32_e32 v19, 0x4200, v19
	scratch_store_b32 off, v20, off offset:8 ; 4-byte Folded Spill
	v_lshl_or_b32 v20, v38, 7, v47
	v_mov_b32_e32 v38, 0
	v_add_nc_u32_e32 v20, 0x4200, v20
	scratch_store_b32 off, v21, off offset:12 ; 4-byte Folded Spill
	v_mul_lo_u32 v21, s7, v22
	scratch_store_b32 off, v19, off offset:16 ; 4-byte Folded Spill
	v_lshl_or_b32 v19, v39, 7, v47
	v_dual_mov_b32 v39, 0 :: v_dual_add_nc_u32 v22, 32, v42
	s_delay_alu instid0(VALU_DEP_2)
	v_add_nc_u32_e32 v19, 0x4200, v19
	scratch_store_b32 off, v20, off offset:24 ; 4-byte Folded Spill
	v_mul_lo_u32 v20, s7, v23
	scratch_store_b32 off, v21, off offset:20 ; 4-byte Folded Spill
	v_mul_lo_u32 v21, s7, v26
	v_mul_u32_u24_e32 v26, 0x84, v42
	v_and_b32_e32 v23, 0x1fc, v22
	v_lshrrev_b32_e32 v22, 3, v22
	scratch_store_b32 off, v20, off offset:28 ; 4-byte Folded Spill
	v_lshl_or_b32 v20, v40, 7, v47
	scratch_store_b32 off, v22, off offset:216 ; 4-byte Folded Spill
	v_mov_b32_e32 v40, 0
	v_add_nc_u32_e32 v20, 0x4200, v20
	scratch_store_b32 off, v19, off offset:32 ; 4-byte Folded Spill
	v_lshl_or_b32 v19, v41, 7, v47
	v_mov_b32_e32 v41, 0
	s_delay_alu instid0(VALU_DEP_2)
	v_add_nc_u32_e32 v19, 0x4200, v19
	s_clause 0x1
	scratch_store_b32 off, v20, off offset:40
	scratch_store_b32 off, v51, off offset:76
	v_mul_lo_u32 v20, s7, v27
	s_clause 0x1
	scratch_store_b32 off, v21, off offset:36
	scratch_store_b32 off, v19, off offset:48
	v_mul_lo_u32 v19, s7, v28
	v_lshl_or_b32 v21, v43, 7, v47
	v_dual_mov_b32 v28, 0 :: v_dual_mov_b32 v43, 0
	v_mov_b32_e32 v27, 0
	scratch_store_b32 off, v20, off offset:44 ; 4-byte Folded Spill
	v_mul_lo_u32 v20, s7, v30
	v_mov_b32_e32 v30, 0
	scratch_store_b32 off, v19, off offset:52 ; 4-byte Folded Spill
	v_add_nc_u32_e32 v19, 0x4200, v21
	v_add_nc_u32_e32 v21, 64, v42
	s_clause 0x1
	scratch_store_b32 off, v20, off offset:60
	scratch_store_b32 off, v19, off offset:56
	v_lshl_or_b32 v19, v44, 7, v47
	v_add_nc_u32_e32 v20, 0x60, v42
	v_and_b32_e32 v21, 0x1fc, v21
	s_delay_alu instid0(VALU_DEP_3) | instskip(NEXT) | instid1(VALU_DEP_3)
	v_add_nc_u32_e32 v19, 0x4200, v19
	v_and_b32_e32 v20, 0x1fc, v20
	scratch_store_b32 off, v19, off offset:64 ; 4-byte Folded Spill
	v_lshlrev_b32_e32 v19, 5, v42
	s_delay_alu instid0(VALU_DEP_1) | instskip(SKIP_3) | instid1(VALU_DEP_4)
	v_add_nc_u32_e32 v20, v19, v20
	v_add_nc_u32_e32 v21, v19, v21
	;; [unrolled: 1-line block ×3, first 2 shown]
	v_dual_mov_b32 v24, 0 :: v_dual_add_nc_u32 v19, v19, v24
	v_add_nc_u32_e32 v22, 0x6e00, v20
	scratch_store_b32 off, v26, off offset:180 ; 4-byte Folded Spill
	v_mov_b32_e32 v26, 0
	scratch_store_b32 off, v22, off offset:184 ; 4-byte Folded Spill
	v_add_nc_u32_e32 v22, 0x6a00, v21
	scratch_store_b32 off, v22, off offset:188 ; 4-byte Folded Spill
	v_add_nc_u32_e32 v22, 0x6600, v23
	;; [unrolled: 2-line block ×4, first 2 shown]
	s_clause 0x1
	scratch_store_b32 off, v22, off offset:68
	scratch_store_b32 off, v0, off offset:240
	v_lshl_add_u32 v0, v0, 4, 0x7280
	v_mov_b32_e32 v22, 0
	scratch_store_b32 off, v0, off offset:72 ; 4-byte Folded Spill
	v_add_nc_u32_e32 v0, 0x6e10, v20
	scratch_store_b32 off, v0, off offset:220 ; 4-byte Folded Spill
	v_dual_mov_b32 v21, 0 :: v_dual_add_nc_u32 v0, 0x6a10, v21
	scratch_store_b32 off, v0, off offset:224 ; 4-byte Folded Spill
	v_dual_mov_b32 v23, 0 :: v_dual_add_nc_u32 v0, 0x6610, v23
	scratch_store_b32 off, v0, off offset:228 ; 4-byte Folded Spill
	v_add_nc_u32_e32 v0, 0x6210, v19
	s_clause 0x1
	scratch_store_b32 off, v0, off offset:232
	scratch_store_b32 off, v42, off offset:244
	v_mad_u32_u24 v0, 0x84, v42, 64
	scratch_store_b32 off, v0, off offset:236 ; 4-byte Folded Spill
	v_add_nc_u32_e32 v0, v45, v48
	scratch_store_b32 off, v0, off offset:200 ; 4-byte Folded Spill
	v_add_nc_u32_e32 v0, v32, v37
	v_dual_mov_b32 v32, 0 :: v_dual_mov_b32 v37, 0
	scratch_store_b32 off, v0, off offset:204 ; 4-byte Folded Spill
	v_dual_mov_b32 v25, 0 :: v_dual_add_nc_u32 v0, v33, v25
	scratch_store_b32 off, v0, off offset:208 ; 4-byte Folded Spill
	v_dual_mov_b32 v31, 0 :: v_dual_add_nc_u32 v0, v29, v31
	v_mov_b32_e32 v29, 0
	scratch_store_b32 off, v0, off offset:212 ; 4-byte Folded Spill
	s_branch .LBB138_6
.LBB138_5:                              ;   in Loop: Header=BB138_6 Depth=1
	s_add_i32 s5, s5, 8
	s_delay_alu instid0(SALU_CYCLE_1)
	s_cmp_ge_i32 s5, s4
	s_cbranch_scc1 .LBB138_12
.LBB138_6:                              ; =>This Loop Header: Depth=1
                                        ;     Child Loop BB138_7 Depth 2
                                        ;     Child Loop BB138_10 Depth 2
	scratch_load_b32 v0, off, off offset:76 ; 4-byte Folded Reload
	s_mul_i32 s7, s5, 18
	s_mul_hi_u32 s13, s5, 18
	s_add_u32 s14, s0, s7
	s_addc_u32 s15, s1, s13
	v_add_nc_u32_e32 v114, s5, v18
	s_mov_b32 s7, -4
	s_waitcnt vmcnt(0)
	v_mad_u64_u32 v[19:20], null, v0, 18, s[14:15]
	scratch_load_b32 v0, off, off offset:80 ; 4-byte Folded Reload
	s_waitcnt vmcnt(0)
	v_add_co_u32 v19, vcc_lo, v19, v0
	scratch_load_b32 v0, off, off offset:84 ; 4-byte Folded Reload
	v_add_co_ci_u32_e32 v20, vcc_lo, 0, v20, vcc_lo
	v_add_co_u32 v19, vcc_lo, v19, 2
	s_delay_alu instid0(VALU_DEP_2) | instskip(SKIP_1) | instid1(VALU_DEP_1)
	v_add_co_ci_u32_e32 v20, vcc_lo, 0, v20, vcc_lo
	s_waitcnt vmcnt(0)
	v_mad_i64_i32 v[33:34], null, v0, 18, v[19:20]
	scratch_load_b32 v0, off, off offset:96 ; 4-byte Folded Reload
	s_waitcnt vmcnt(0)
	v_mad_i64_i32 v[44:45], null, v0, 18, v[19:20]
	scratch_load_b32 v0, off, off offset:100 ; 4-byte Folded Reload
	;; [unrolled: 3-line block ×7, first 2 shown]
	s_waitcnt vmcnt(0)
	v_mad_i64_i32 v[76:77], null, v0, 18, v[19:20]
	s_clause 0x7
	global_load_b32 v51, v[33:34], off
	global_load_b32 v55, v[44:45], off
	;; [unrolled: 1-line block ×8, first 2 shown]
	scratch_load_b32 v0, off, off offset:124 ; 4-byte Folded Reload
	s_waitcnt vmcnt(0)
	v_mad_i64_i32 v[33:34], null, v0, 18, v[19:20]
	scratch_load_b32 v0, off, off offset:128 ; 4-byte Folded Reload
	s_waitcnt vmcnt(0)
	v_mad_i64_i32 v[44:45], null, v0, 18, v[19:20]
	;; [unrolled: 3-line block ×5, first 2 shown]
	scratch_load_b32 v0, off, off offset:160 ; 4-byte Folded Reload
	s_waitcnt vmcnt(0)
	v_mad_u64_u32 v[57:58], null, v0, 18, s[14:15]
	scratch_load_b32 v0, off, off offset:148 ; 4-byte Folded Reload
	s_waitcnt vmcnt(0)
	v_mad_i64_i32 v[71:72], null, v0, 18, v[19:20]
	scratch_load_b32 v0, off, off offset:152 ; 4-byte Folded Reload
	s_waitcnt vmcnt(0)
	v_mad_i64_i32 v[76:77], null, v0, 18, v[19:20]
	;; [unrolled: 3-line block ×7, first 2 shown]
	scratch_load_b32 v0, off, off offset:144 ; 4-byte Folded Reload
	s_waitcnt vmcnt(0)
	v_add_nc_u32_e32 v57, s5, v0
	s_clause 0x7
	global_load_b32 v112, v[33:34], off
	global_load_b32 v113, v[44:45], off
	global_load_b32 v122, v[47:48], off
	global_load_b32 v123, v[49:50], off
	global_load_b32 v124, v[53:54], off
	global_load_b32 v125, v[71:72], off
	global_load_b32 v126, v[76:77], off
	global_load_b32 v78, v[78:79], off
	scratch_load_b32 v0, off, off offset:4  ; 4-byte Folded Reload
	s_clause 0x3
	global_load_u16 v79, v[19:20], off
	global_load_u16 v105, v[105:106], off
	;; [unrolled: 1-line block ×4, first 2 shown]
	s_waitcnt vmcnt(4)
	v_add_nc_u32_e32 v33, v57, v0
	scratch_load_b32 v0, off, off offset:12 ; 4-byte Folded Reload
	v_mad_i64_i32 v[19:20], null, v33, 36, v[16:17]
	s_waitcnt vmcnt(0)
	v_add_nc_u32_e32 v44, v57, v0
	scratch_load_b32 v0, off, off offset:20 ; 4-byte Folded Reload
	v_mad_i64_i32 v[33:34], null, v44, 36, v[16:17]
	s_waitcnt vmcnt(0)
	v_add_nc_u32_e32 v47, v57, v0
	scratch_load_b32 v0, off, off offset:28 ; 4-byte Folded Reload
	v_mad_i64_i32 v[44:45], null, v47, 36, v[16:17]
	s_waitcnt vmcnt(0)
	v_add_nc_u32_e32 v49, v57, v0
	scratch_load_b32 v0, off, off offset:36 ; 4-byte Folded Reload
	v_mad_i64_i32 v[47:48], null, v49, 36, v[16:17]
	s_waitcnt vmcnt(0)
	v_add_nc_u32_e32 v53, v57, v0
	scratch_load_b32 v0, off, off offset:44 ; 4-byte Folded Reload
	v_mad_i64_i32 v[49:50], null, v53, 36, v[16:17]
	s_waitcnt vmcnt(0)
	v_add_nc_u32_e32 v58, v57, v0
	scratch_load_b32 v0, off, off offset:52 ; 4-byte Folded Reload
	v_mad_i64_i32 v[53:54], null, v58, 36, v[16:17]
	s_waitcnt vmcnt(0)
	v_add_nc_u32_e32 v71, v57, v0
	scratch_load_b32 v0, off, off offset:60 ; 4-byte Folded Reload
	s_waitcnt vmcnt(0)
	v_add_nc_u32_e32 v76, v57, v0
	v_mad_i64_i32 v[57:58], null, v71, 36, v[16:17]
	s_delay_alu instid0(VALU_DEP_2)
	v_mad_i64_i32 v[71:72], null, v76, 36, v[16:17]
	v_mad_u64_u32 v[76:77], null, v114, 36, s[2:3]
	s_clause 0x8
	global_load_b32 v19, v[19:20], off offset:4
	global_load_b32 v20, v[33:34], off offset:4
	;; [unrolled: 1-line block ×8, first 2 shown]
	global_load_b32 v49, v[76:77], off
	s_clause 0x8
	scratch_load_b32 v115, off, off offset:72
	scratch_load_b32 v116, off, off offset:68
	;; [unrolled: 1-line block ×7, first 2 shown]
	scratch_load_b64 v[70:71], off, off offset:88
	scratch_load_b32 v0, off, off offset:200
	v_cvt_f32_f16_e32 v50, v79
	v_cvt_f32_f16_e32 v53, v105
	;; [unrolled: 1-line block ×4, first 2 shown]
	s_waitcnt vmcnt(1)
	ds_store_b32 v70, v51
	s_waitcnt vmcnt(0)
	ds_store_b32 v0, v50
	ds_store_b32 v1, v55
	scratch_load_b32 v0, off, off offset:204 ; 4-byte Folded Reload
	s_waitcnt vmcnt(0)
	ds_store_b32 v0, v53
	ds_store_b32 v2, v63
	scratch_load_b32 v0, off, off offset:208 ; 4-byte Folded Reload
	s_waitcnt vmcnt(0)
	ds_store_b32 v0, v54
	ds_store_b32 v3, v67
	;; [unrolled: 1-line block ×14, first 2 shown]
	scratch_load_b32 v0, off, off offset:212 ; 4-byte Folded Reload
	s_waitcnt vmcnt(0)
	ds_store_b32 v0, v57
	scratch_load_b32 v0, off, off offset:8  ; 4-byte Folded Reload
	s_waitcnt vmcnt(0)
	ds_store_b32 v0, v19
	scratch_load_b32 v0, off, off offset:16 ; 4-byte Folded Reload
	s_waitcnt vmcnt(0)
	ds_store_b32 v0, v20
	scratch_load_b32 v0, off, off offset:24 ; 4-byte Folded Reload
	;; [unrolled: 3-line block ×7, first 2 shown]
	s_waitcnt vmcnt(0)
	ds_store_b32 v0, v48
	scratch_load_b32 v0, off, off           ; 4-byte Folded Reload
	s_waitcnt vmcnt(0)
	ds_store_b32 v0, v49
	s_waitcnt lgkmcnt(0)
	s_waitcnt_vscnt null, 0x0
	s_barrier
	buffer_gl0_inv
.LBB138_7:                              ;   Parent Loop BB138_6 Depth=1
                                        ; =>  This Inner Loop Header: Depth=2
	ds_load_b128 v[47:50], v116
	ds_load_b128 v[76:79], v116 offset:16
	ds_load_2addr_b32 v[19:20], v115 offset1:32
	s_add_i32 s7, s7, 4
	s_delay_alu instid0(SALU_CYCLE_1)
	s_cmp_lt_u32 s7, 12
	s_waitcnt lgkmcnt(2)
	v_bfe_i32 v44, v47, 0, 8
	s_waitcnt lgkmcnt(1)
	v_bfe_i32 v53, v76, 0, 8
	s_waitcnt lgkmcnt(0)
	v_lshrrev_b32_e32 v33, 16, v19
	v_bfe_i32 v58, v48, 0, 8
	v_bfe_i32 v69, v77, 0, 8
	;; [unrolled: 1-line block ×4, first 2 shown]
	v_cvt_f32_f16_e32 v33, v33
	v_bfe_i32 v55, v76, 16, 8
	v_ashrrev_i32_e32 v57, 24, v76
	v_bfe_i32 v76, v49, 0, 8
	v_bfe_i32 v51, v47, 16, 8
	v_mul_f32_e32 v254, 0x41000000, v33
	ds_load_b32 v197, v118
	ds_load_2addr_b32 v[33:34], v117 offset1:1
	v_ashrrev_i32_e32 v47, 24, v47
	v_bfe_i32 v105, v78, 0, 8
	v_bfe_i32 v108, v50, 0, 8
	;; [unrolled: 1-line block ×4, first 2 shown]
	v_ashrrev_i32_e32 v48, 24, v48
	v_bfe_i32 v71, v77, 8, 8
	v_bfe_i32 v111, v79, 0, 8
	;; [unrolled: 1-line block ×3, first 2 shown]
	v_ashrrev_i32_e32 v73, 24, v77
	v_bfe_i32 v77, v49, 8, 8
	v_bfe_i32 v98, v49, 16, 8
	v_ashrrev_i32_e32 v49, 24, v49
	v_bfe_i32 v106, v78, 8, 8
	v_bfe_i32 v107, v78, 16, 8
	;; [unrolled: 3-line block ×3, first 2 shown]
	v_ashrrev_i32_e32 v50, 24, v50
	s_waitcnt lgkmcnt(0)
	v_and_b32_e32 v231, 15, v34
	v_bfe_u32 v223, v33, 20, 4
	v_and_b32_e32 v224, 15, v33
	v_bfe_u32 v225, v33, 8, 4
	v_bfe_u32 v227, v33, 16, 4
	v_bfe_u32 v228, v33, 24, 4
	v_bfe_u32 v222, v33, 4, 4
	v_bfe_u32 v229, v33, 12, 4
	v_lshrrev_b32_e32 v230, 28, v33
	v_bfe_u32 v226, v34, 20, 4
	v_bfe_u32 v232, v34, 8, 4
	;; [unrolled: 1-line block ×6, first 2 shown]
	v_lshrrev_b32_e32 v238, 28, v34
	ds_load_2addr_b32 v[33:34], v117 offset0:2 offset1:3
	v_mul_i32_i24_e32 v122, v224, v44
	v_mul_i32_i24_e32 v129, v231, v58
	;; [unrolled: 1-line block ×5, first 2 shown]
	v_mad_i32_i24 v122, v222, v53, v122
	v_mul_i32_i24_e32 v125, v228, v47
	v_mul_i32_i24_e32 v126, v229, v54
	;; [unrolled: 1-line block ×4, first 2 shown]
	v_add3_u32 v122, v122, v129, v133
	v_mul_i32_i24_e32 v130, v232, v63
	v_mul_i32_i24_e32 v131, v233, v67
	;; [unrolled: 1-line block ×6, first 2 shown]
	v_bfe_i32 v112, v79, 8, 8
	v_bfe_i32 v113, v79, 16, 8
	s_waitcnt lgkmcnt(0)
	v_and_b32_e32 v239, 15, v33
	v_bfe_u32 v244, v33, 4, 4
	v_and_b32_e32 v247, 15, v34
	v_bfe_u32 v251, v34, 4, 4
	v_bfe_u32 v240, v33, 8, 4
	v_mul_i32_i24_e32 v137, v239, v76
	v_mul_i32_i24_e32 v141, v244, v105
	;; [unrolled: 1-line block ×4, first 2 shown]
	v_bfe_u32 v242, v33, 16, 4
	v_add3_u32 v122, v122, v137, v123
	v_mul_i32_i24_e32 v138, v240, v77
	v_bfe_u32 v243, v33, 24, 4
	v_bfe_u32 v245, v33, 12, 4
	v_mul_i32_i24_e32 v139, v242, v98
	v_add3_u32 v122, v122, v124, v125
	v_bfe_u32 v234, v33, 20, 4
	v_mul_i32_i24_e32 v140, v243, v49
	v_mul_i32_i24_e32 v142, v245, v106
	v_lshrrev_b32_e32 v246, 28, v33
	v_add3_u32 v122, v122, v141, v144
	v_mul_i32_i24_e32 v143, v234, v107
	v_bfe_u32 v248, v34, 8, 4
	v_bfe_u32 v249, v34, 16, 4
	v_mul_i32_i24_e32 v33, v246, v78
	v_add3_u32 v122, v122, v126, v127
	v_bfe_u32 v250, v34, 24, 4
	v_mul_i32_i24_e32 v145, v248, v109
	v_mul_i32_i24_e32 v146, v249, v110
	v_bfe_u32 v252, v34, 12, 4
	v_add3_u32 v122, v122, v128, v130
	v_ashrrev_i32_e32 v79, 24, v79
	v_bfe_u32 v241, v34, 20, 4
	v_mul_i32_i24_e32 v147, v250, v50
	v_mul_i32_i24_e32 v149, v252, v112
	v_add3_u32 v122, v122, v131, v132
	v_lshrrev_b32_e32 v253, 28, v34
	v_mul_i32_i24_e32 v150, v241, v113
	v_add_nc_u32_e32 v118, 4, v118
	s_delay_alu instid0(VALU_DEP_4) | instskip(NEXT) | instid1(VALU_DEP_4)
	v_add3_u32 v122, v122, v148, v134
	v_mul_i32_i24_e32 v34, v253, v79
	s_delay_alu instid0(VALU_DEP_2) | instskip(NEXT) | instid1(VALU_DEP_1)
	v_add3_u32 v122, v122, v135, v136
	v_add3_u32 v122, v122, v138, v139
	s_delay_alu instid0(VALU_DEP_1) | instskip(NEXT) | instid1(VALU_DEP_1)
	v_add3_u32 v122, v122, v140, v142
	v_add3_u32 v33, v122, v143, v33
	s_delay_alu instid0(VALU_DEP_1) | instskip(NEXT) | instid1(VALU_DEP_1)
	;; [unrolled: 3-line block ×3, first 2 shown]
	v_add3_u32 v33, v33, v150, v34
	v_cvt_f32_i32_e32 v33, v33
	s_delay_alu instid0(VALU_DEP_1) | instskip(NEXT) | instid1(VALU_DEP_1)
	v_fma_mix_f32 v33, v19, v33, -v254 op_sel_hi:[1,0,0]
	v_fmac_f32_e32 v35, v197, v33
	v_add_nc_u32_e32 v33, 0x1080, v117
	ds_load_b32 v188, v119
	ds_load_2addr_b32 v[33:34], v33 offset1:1
	v_add_nc_u32_e32 v119, 4, v119
	s_waitcnt lgkmcnt(0)
	v_bfe_u32 v190, v33, 20, 4
	v_and_b32_e32 v191, 15, v33
	v_bfe_u32 v192, v33, 8, 4
	v_bfe_u32 v194, v33, 16, 4
	;; [unrolled: 1-line block ×5, first 2 shown]
	v_lshrrev_b32_e32 v198, 28, v33
	v_add_nc_u32_e32 v33, 0x1088, v117
	v_bfe_u32 v193, v34, 20, 4
	v_and_b32_e32 v199, 15, v34
	v_bfe_u32 v200, v34, 8, 4
	v_bfe_u32 v201, v34, 16, 4
	;; [unrolled: 1-line block ×5, first 2 shown]
	v_lshrrev_b32_e32 v206, 28, v34
	ds_load_2addr_b32 v[33:34], v33 offset1:1
	v_mul_i32_i24_e32 v122, v191, v44
	v_mul_i32_i24_e32 v129, v199, v58
	v_mul_i32_i24_e32 v133, v204, v69
	v_mul_i32_i24_e32 v123, v192, v45
	v_mul_i32_i24_e32 v124, v194, v51
	v_mad_i32_i24 v122, v189, v53, v122
	v_mul_i32_i24_e32 v125, v195, v47
	v_mul_i32_i24_e32 v126, v196, v54
	;; [unrolled: 1-line block ×4, first 2 shown]
	v_add3_u32 v122, v122, v129, v133
	v_mul_i32_i24_e32 v130, v200, v63
	v_mul_i32_i24_e32 v131, v201, v67
	;; [unrolled: 1-line block ×6, first 2 shown]
	s_waitcnt lgkmcnt(0)
	v_and_b32_e32 v207, 15, v33
	v_bfe_u32 v212, v33, 4, 4
	v_and_b32_e32 v215, 15, v34
	v_bfe_u32 v219, v34, 4, 4
	v_bfe_u32 v208, v33, 8, 4
	v_mul_i32_i24_e32 v137, v207, v76
	v_mul_i32_i24_e32 v141, v212, v105
	;; [unrolled: 1-line block ×4, first 2 shown]
	v_bfe_u32 v210, v33, 16, 4
	v_add3_u32 v122, v122, v137, v123
	v_mul_i32_i24_e32 v138, v208, v77
	v_bfe_u32 v211, v33, 24, 4
	v_bfe_u32 v213, v33, 12, 4
	v_mul_i32_i24_e32 v139, v210, v98
	v_add3_u32 v122, v122, v124, v125
	v_bfe_u32 v203, v33, 20, 4
	v_mul_i32_i24_e32 v140, v211, v49
	v_mul_i32_i24_e32 v142, v213, v106
	v_lshrrev_b32_e32 v214, 28, v33
	v_add3_u32 v122, v122, v141, v144
	v_mul_i32_i24_e32 v143, v203, v107
	v_bfe_u32 v216, v34, 8, 4
	v_bfe_u32 v217, v34, 16, 4
	v_mul_i32_i24_e32 v33, v214, v78
	v_add3_u32 v122, v122, v126, v127
	v_bfe_u32 v218, v34, 24, 4
	v_mul_i32_i24_e32 v145, v216, v109
	v_mul_i32_i24_e32 v146, v217, v110
	v_bfe_u32 v220, v34, 12, 4
	v_add3_u32 v122, v122, v128, v130
	v_bfe_u32 v209, v34, 20, 4
	v_mul_i32_i24_e32 v147, v218, v50
	v_lshrrev_b32_e32 v221, 28, v34
	v_mul_i32_i24_e32 v149, v220, v112
	v_add3_u32 v122, v122, v131, v132
	v_mul_i32_i24_e32 v150, v209, v113
	s_delay_alu instid0(VALU_DEP_4) | instskip(NEXT) | instid1(VALU_DEP_3)
	v_mul_i32_i24_e32 v34, v221, v79
	v_add3_u32 v122, v122, v148, v134
	s_delay_alu instid0(VALU_DEP_1) | instskip(NEXT) | instid1(VALU_DEP_1)
	v_add3_u32 v122, v122, v135, v136
	v_add3_u32 v122, v122, v138, v139
	s_delay_alu instid0(VALU_DEP_1) | instskip(NEXT) | instid1(VALU_DEP_1)
	v_add3_u32 v122, v122, v140, v142
	;; [unrolled: 3-line block ×4, first 2 shown]
	v_cvt_f32_i32_e32 v33, v33
	s_delay_alu instid0(VALU_DEP_1) | instskip(NEXT) | instid1(VALU_DEP_1)
	v_fma_mix_f32 v33, v19, v33, -v254 op_sel_hi:[1,0,0]
	v_fmac_f32_e32 v74, v188, v33
	v_add_nc_u32_e32 v33, 0x2100, v117
	ds_load_b32 v155, v120
	ds_load_2addr_b32 v[33:34], v33 offset1:1
	v_add_nc_u32_e32 v120, 4, v120
	s_waitcnt lgkmcnt(0)
	v_bfe_u32 v157, v33, 20, 4
	v_and_b32_e32 v158, 15, v33
	v_bfe_u32 v159, v33, 8, 4
	v_bfe_u32 v161, v33, 16, 4
	;; [unrolled: 1-line block ×5, first 2 shown]
	v_lshrrev_b32_e32 v164, 28, v33
	v_add_nc_u32_e32 v33, 0x2108, v117
	v_bfe_u32 v160, v34, 20, 4
	v_and_b32_e32 v165, 15, v34
	v_bfe_u32 v166, v34, 8, 4
	v_bfe_u32 v167, v34, 16, 4
	;; [unrolled: 1-line block ×5, first 2 shown]
	v_lshrrev_b32_e32 v172, 28, v34
	ds_load_2addr_b32 v[33:34], v33 offset1:1
	v_mul_i32_i24_e32 v122, v158, v44
	v_mul_i32_i24_e32 v129, v165, v58
	v_mul_i32_i24_e32 v133, v170, v69
	v_mul_i32_i24_e32 v123, v159, v45
	v_mul_i32_i24_e32 v124, v161, v51
	v_mad_i32_i24 v122, v156, v53, v122
	v_mul_i32_i24_e32 v125, v162, v47
	v_mul_i32_i24_e32 v126, v163, v54
	;; [unrolled: 1-line block ×4, first 2 shown]
	v_add3_u32 v122, v122, v129, v133
	v_mul_i32_i24_e32 v130, v166, v63
	v_mul_i32_i24_e32 v131, v167, v67
	;; [unrolled: 1-line block ×6, first 2 shown]
	s_waitcnt lgkmcnt(0)
	v_and_b32_e32 v173, 15, v33
	v_bfe_u32 v178, v33, 4, 4
	v_and_b32_e32 v181, 15, v34
	v_bfe_u32 v185, v34, 4, 4
	v_bfe_u32 v174, v33, 8, 4
	v_mul_i32_i24_e32 v137, v173, v76
	v_mul_i32_i24_e32 v141, v178, v105
	;; [unrolled: 1-line block ×4, first 2 shown]
	v_bfe_u32 v176, v33, 16, 4
	v_add3_u32 v122, v122, v137, v123
	v_mul_i32_i24_e32 v138, v174, v77
	v_bfe_u32 v177, v33, 24, 4
	v_bfe_u32 v179, v33, 12, 4
	v_mul_i32_i24_e32 v139, v176, v98
	v_add3_u32 v122, v122, v124, v125
	v_bfe_u32 v169, v33, 20, 4
	v_mul_i32_i24_e32 v140, v177, v49
	v_mul_i32_i24_e32 v142, v179, v106
	v_lshrrev_b32_e32 v180, 28, v33
	v_add3_u32 v122, v122, v141, v144
	v_mul_i32_i24_e32 v143, v169, v107
	v_bfe_u32 v182, v34, 8, 4
	v_bfe_u32 v183, v34, 16, 4
	v_mul_i32_i24_e32 v33, v180, v78
	v_add3_u32 v122, v122, v126, v127
	v_bfe_u32 v184, v34, 24, 4
	v_mul_i32_i24_e32 v145, v182, v109
	v_mul_i32_i24_e32 v146, v183, v110
	v_bfe_u32 v186, v34, 12, 4
	v_add3_u32 v122, v122, v128, v130
	v_bfe_u32 v175, v34, 20, 4
	v_mul_i32_i24_e32 v147, v184, v50
	v_lshrrev_b32_e32 v187, 28, v34
	v_mul_i32_i24_e32 v149, v186, v112
	v_add3_u32 v122, v122, v131, v132
	v_mul_i32_i24_e32 v150, v175, v113
	s_delay_alu instid0(VALU_DEP_4) | instskip(NEXT) | instid1(VALU_DEP_3)
	v_mul_i32_i24_e32 v34, v187, v79
	v_add3_u32 v122, v122, v148, v134
	s_delay_alu instid0(VALU_DEP_1) | instskip(NEXT) | instid1(VALU_DEP_1)
	v_add3_u32 v122, v122, v135, v136
	v_add3_u32 v122, v122, v138, v139
	s_delay_alu instid0(VALU_DEP_1) | instskip(NEXT) | instid1(VALU_DEP_1)
	v_add3_u32 v122, v122, v140, v142
	;; [unrolled: 3-line block ×4, first 2 shown]
	v_cvt_f32_i32_e32 v33, v33
	s_delay_alu instid0(VALU_DEP_1) | instskip(NEXT) | instid1(VALU_DEP_1)
	v_fma_mix_f32 v33, v19, v33, -v254 op_sel_hi:[1,0,0]
	v_fmac_f32_e32 v68, v155, v33
	v_add_nc_u32_e32 v33, 0x3180, v117
	ds_load_b32 v122, v121
	ds_load_2addr_b32 v[33:34], v33 offset1:1
	v_add_nc_u32_e32 v121, 4, v121
	s_waitcnt lgkmcnt(0)
	v_bfe_u32 v124, v33, 20, 4
	v_and_b32_e32 v125, 15, v33
	v_bfe_u32 v126, v33, 8, 4
	v_bfe_u32 v128, v33, 16, 4
	;; [unrolled: 1-line block ×5, first 2 shown]
	v_lshrrev_b32_e32 v131, 28, v33
	v_add_nc_u32_e32 v33, 0x3188, v117
	v_bfe_u32 v127, v34, 20, 4
	v_and_b32_e32 v132, 15, v34
	v_bfe_u32 v133, v34, 8, 4
	v_bfe_u32 v134, v34, 16, 4
	;; [unrolled: 1-line block ×5, first 2 shown]
	v_lshrrev_b32_e32 v139, 28, v34
	ds_load_2addr_b32 v[33:34], v33 offset1:1
	v_mul_i32_i24_e32 v44, v125, v44
	v_mul_i32_i24_e32 v58, v132, v58
	;; [unrolled: 1-line block ×5, first 2 shown]
	v_mad_i32_i24 v44, v123, v53, v44
	v_mul_i32_i24_e32 v47, v129, v47
	v_mul_i32_i24_e32 v54, v130, v54
	;; [unrolled: 1-line block ×4, first 2 shown]
	v_add3_u32 v44, v44, v58, v69
	v_mul_i32_i24_e32 v63, v133, v63
	v_mul_i32_i24_e32 v67, v134, v67
	;; [unrolled: 1-line block ×6, first 2 shown]
	v_add_nc_u32_e32 v117, 16, v117
	s_waitcnt lgkmcnt(0)
	v_and_b32_e32 v140, 15, v33
	v_bfe_u32 v145, v33, 4, 4
	v_lshrrev_b32_e32 v147, 28, v33
	v_and_b32_e32 v148, 15, v34
	v_bfe_u32 v136, v33, 20, 4
	v_mul_i32_i24_e32 v76, v140, v76
	v_bfe_u32 v141, v33, 8, 4
	v_bfe_u32 v143, v33, 16, 4
	;; [unrolled: 1-line block ×3, first 2 shown]
	v_mul_i32_i24_e32 v105, v145, v105
	v_add3_u32 v44, v44, v76, v45
	v_bfe_u32 v146, v33, 12, 4
	v_mul_i32_i24_e32 v33, v147, v78
	v_mul_i32_i24_e32 v78, v148, v108
	v_bfe_u32 v149, v34, 8, 4
	v_add3_u32 v44, v44, v51, v47
	v_bfe_u32 v150, v34, 16, 4
	v_bfe_u32 v152, v34, 4, 4
	v_mul_i32_i24_e32 v77, v141, v77
	v_mul_i32_i24_e32 v108, v149, v109
	v_add3_u32 v44, v44, v105, v78
	v_mul_i32_i24_e32 v109, v150, v110
	v_mul_i32_i24_e32 v110, v152, v111
	;; [unrolled: 1-line block ×4, first 2 shown]
	v_add3_u32 v44, v44, v54, v55
	v_mul_i32_i24_e32 v106, v146, v106
	v_mul_i32_i24_e32 v107, v136, v107
	v_bfe_u32 v151, v34, 24, 4
	v_bfe_u32 v153, v34, 12, 4
	v_add3_u32 v44, v44, v57, v63
	v_bfe_u32 v142, v34, 20, 4
	v_lshrrev_b32_e32 v154, 28, v34
	v_mul_i32_i24_e32 v50, v151, v50
	v_mul_i32_i24_e32 v111, v153, v112
	v_add3_u32 v44, v44, v67, v48
	v_mul_i32_i24_e32 v112, v142, v113
	v_mul_i32_i24_e32 v34, v154, v79
	s_delay_alu instid0(VALU_DEP_3) | instskip(NEXT) | instid1(VALU_DEP_1)
	v_add3_u32 v44, v44, v110, v71
	v_add3_u32 v44, v44, v72, v73
	s_delay_alu instid0(VALU_DEP_1) | instskip(NEXT) | instid1(VALU_DEP_1)
	v_add3_u32 v44, v44, v77, v98
	v_add3_u32 v44, v44, v49, v106
	s_delay_alu instid0(VALU_DEP_1) | instskip(NEXT) | instid1(VALU_DEP_1)
	v_add3_u32 v33, v44, v107, v33
	v_add3_u32 v33, v33, v108, v109
	s_delay_alu instid0(VALU_DEP_1) | instskip(SKIP_4) | instid1(VALU_DEP_2)
	v_add3_u32 v33, v33, v50, v111
	ds_load_b128 v[47:50], v116 offset:1024
	ds_load_b128 v[76:79], v116 offset:1040
	v_lshrrev_b32_e32 v111, 16, v20
	v_add3_u32 v33, v33, v112, v34
	v_cvt_f32_f16_e32 v111, v111
	s_delay_alu instid0(VALU_DEP_2) | instskip(NEXT) | instid1(VALU_DEP_2)
	v_cvt_f32_i32_e32 v33, v33
	v_mul_f32_e32 v111, 0x41000000, v111
	s_delay_alu instid0(VALU_DEP_2) | instskip(NEXT) | instid1(VALU_DEP_1)
	v_fma_mix_f32 v19, v19, v33, -v254 op_sel_hi:[1,0,0]
	v_fmac_f32_e32 v66, v122, v19
	s_waitcnt lgkmcnt(1)
	v_bfe_i32 v19, v47, 0, 8
	v_bfe_i32 v33, v47, 8, 8
	;; [unrolled: 1-line block ×3, first 2 shown]
	s_waitcnt lgkmcnt(0)
	v_bfe_i32 v45, v76, 0, 8
	v_ashrrev_i32_e32 v44, 24, v47
	v_mul_i32_i24_e32 v112, v19, v224
	v_bfe_i32 v54, v48, 0, 8
	v_mul_i32_i24_e32 v113, v33, v225
	v_mul_i32_i24_e32 v254, v34, v227
	v_bfe_i32 v47, v76, 8, 8
	v_mad_i32_i24 v112, v45, v222, v112
	v_bfe_i32 v51, v76, 16, 8
	v_mul_i32_i24_e32 v255, v44, v228
	v_mul_i32_i24_e32 v101, v54, v231
	v_ashrrev_i32_e32 v53, 24, v76
	v_add3_u32 v112, v112, v113, v254
	v_bfe_i32 v58, v77, 0, 8
	v_mul_i32_i24_e32 v97, v47, v229
	v_mul_i32_i24_e32 v99, v51, v223
	v_bfe_i32 v55, v48, 8, 8
	v_add3_u32 v101, v112, v255, v101
	v_bfe_i32 v57, v48, 16, 8
	v_mul_i32_i24_e32 v100, v53, v230
	v_mul_i32_i24_e32 v75, v58, v236
	v_ashrrev_i32_e32 v48, 24, v48
	v_add3_u32 v97, v101, v97, v99
	v_bfe_i32 v71, v49, 0, 8
	v_mul_i32_i24_e32 v102, v55, v232
	v_mul_i32_i24_e32 v42, v57, v233
	v_bfe_i32 v63, v77, 8, 8
	v_add3_u32 v75, v97, v100, v75
	;; [unrolled: 10-line block ×6, first 2 shown]
	v_ashrrev_i32_e32 v79, 24, v79
	v_mul_i32_i24_e32 v94, v50, v250
	v_mul_i32_i24_e32 v96, v109, v252
	v_mul_i32_i24_e32 v103, v110, v241
	v_add3_u32 v42, v42, v92, v93
	v_mul_i32_i24_e32 v104, v79, v253
	v_mul_i32_i24_e32 v70, v33, v192
	v_mul_i32_i24_e32 v75, v34, v194
	v_mul_i32_i24_e32 v80, v44, v195
	v_add3_u32 v42, v42, v94, v96
	v_mul_i32_i24_e32 v84, v54, v199
	;; [unrolled: 5-line block ×3, first 2 shown]
	v_mul_i32_i24_e32 v85, v55, v200
	v_mul_i32_i24_e32 v86, v57, v201
	;; [unrolled: 1-line block ×3, first 2 shown]
	v_cvt_f32_i32_e32 v42, v42
	v_mul_i32_i24_e32 v92, v71, v207
	v_mul_i32_i24_e32 v89, v63, v205
	;; [unrolled: 1-line block ×4, first 2 shown]
	v_fma_mix_f32 v42, v20, v42, -v111 op_sel_hi:[1,0,0]
	v_mul_i32_i24_e32 v96, v76, v212
	v_mul_i32_i24_e32 v93, v72, v208
	;; [unrolled: 1-line block ×4, first 2 shown]
	v_fmac_f32_e32 v65, v197, v42
	v_mul_i32_i24_e32 v42, v19, v191
	v_mul_i32_i24_e32 v101, v105, v215
	;; [unrolled: 1-line block ×5, first 2 shown]
	v_mad_i32_i24 v42, v45, v189, v42
	v_mul_i32_i24_e32 v112, v108, v219
	v_mul_i32_i24_e32 v102, v106, v216
	v_mul_i32_i24_e32 v103, v107, v217
	v_mul_i32_i24_e32 v104, v50, v218
	v_add3_u32 v42, v42, v70, v75
	v_mul_i32_i24_e32 v113, v109, v220
	v_mul_i32_i24_e32 v254, v110, v209
	v_mul_i32_i24_e32 v255, v79, v221
	v_mul_i32_i24_e32 v70, v33, v159
	v_add3_u32 v42, v42, v80, v84
	;; [unrolled: 5-line block ×3, first 2 shown]
	v_mul_i32_i24_e32 v81, v47, v163
	v_mul_i32_i24_e32 v82, v51, v157
	;; [unrolled: 1-line block ×3, first 2 shown]
	s_delay_alu instid0(VALU_DEP_4) | instskip(SKIP_2) | instid1(VALU_DEP_3)
	v_add3_u32 v42, v42, v83, v88
	v_mul_i32_i24_e32 v83, v53, v164
	v_mul_i32_i24_e32 v88, v58, v170
	v_add3_u32 v42, v42, v85, v86
	v_mul_i32_i24_e32 v85, v55, v166
	v_mul_i32_i24_e32 v86, v57, v167
	s_delay_alu instid0(VALU_DEP_3) | instskip(SKIP_3) | instid1(VALU_DEP_4)
	v_add3_u32 v42, v42, v87, v92
	v_mul_i32_i24_e32 v87, v48, v168
	v_mul_i32_i24_e32 v92, v71, v173
	v_mul_i32_i24_e32 v48, v48, v135
	v_add3_u32 v42, v42, v89, v90
	v_mul_i32_i24_e32 v89, v63, v171
	v_mul_i32_i24_e32 v90, v67, v160
	s_delay_alu instid0(VALU_DEP_3) | instskip(SKIP_2) | instid1(VALU_DEP_3)
	v_add3_u32 v42, v42, v91, v96
	v_mul_i32_i24_e32 v91, v69, v172
	v_mul_i32_i24_e32 v96, v76, v178
	v_add3_u32 v42, v42, v93, v94
	v_mul_i32_i24_e32 v93, v72, v174
	v_mul_i32_i24_e32 v94, v73, v176
	s_delay_alu instid0(VALU_DEP_3) | instskip(SKIP_3) | instid1(VALU_DEP_4)
	v_add3_u32 v42, v42, v95, v101
	v_mul_i32_i24_e32 v95, v49, v177
	v_mul_i32_i24_e32 v101, v105, v181
	v_mul_i32_i24_e32 v49, v49, v144
	v_add3_u32 v42, v42, v97, v99
	v_mul_i32_i24_e32 v97, v77, v179
	v_mul_i32_i24_e32 v99, v98, v169
	s_delay_alu instid0(VALU_DEP_3) | instskip(SKIP_2) | instid1(VALU_DEP_3)
	v_add3_u32 v42, v42, v100, v112
	v_mul_i32_i24_e32 v100, v78, v180
	v_mul_i32_i24_e32 v112, v108, v185
	v_add3_u32 v42, v42, v102, v103
	v_mul_i32_i24_e32 v102, v106, v182
	v_mul_i32_i24_e32 v103, v107, v183
	s_delay_alu instid0(VALU_DEP_3) | instskip(SKIP_3) | instid1(VALU_DEP_4)
	v_add3_u32 v42, v42, v104, v113
	v_mul_i32_i24_e32 v104, v50, v184
	v_mul_i32_i24_e32 v113, v109, v186
	;; [unrolled: 1-line block ×3, first 2 shown]
	v_add3_u32 v42, v42, v254, v255
	v_mul_i32_i24_e32 v254, v110, v175
	v_mul_i32_i24_e32 v255, v79, v187
	;; [unrolled: 1-line block ×3, first 2 shown]
	s_delay_alu instid0(VALU_DEP_4) | instskip(NEXT) | instid1(VALU_DEP_1)
	v_cvt_f32_i32_e32 v42, v42
	v_fma_mix_f32 v42, v20, v42, -v111 op_sel_hi:[1,0,0]
	s_delay_alu instid0(VALU_DEP_1) | instskip(SKIP_2) | instid1(VALU_DEP_2)
	v_fmac_f32_e32 v64, v188, v42
	v_mul_i32_i24_e32 v42, v19, v158
	v_mul_i32_i24_e32 v19, v19, v125
	v_mad_i32_i24 v42, v45, v156, v42
	s_delay_alu instid0(VALU_DEP_2) | instskip(NEXT) | instid1(VALU_DEP_2)
	v_mad_i32_i24 v19, v45, v123, v19
	v_add3_u32 v42, v42, v70, v75
	s_delay_alu instid0(VALU_DEP_2)
	v_add3_u32 v19, v19, v33, v34
	v_mul_i32_i24_e32 v70, v72, v141
	v_mul_i32_i24_e32 v72, v76, v145
	;; [unrolled: 1-line block ×3, first 2 shown]
	v_add3_u32 v42, v42, v80, v84
	v_mul_i32_i24_e32 v76, v78, v147
	v_mul_i32_i24_e32 v78, v106, v149
	;; [unrolled: 1-line block ×3, first 2 shown]
	s_delay_alu instid0(VALU_DEP_4) | instskip(SKIP_2) | instid1(VALU_DEP_3)
	v_add3_u32 v42, v42, v81, v82
	v_mul_i32_i24_e32 v81, v108, v152
	v_mul_i32_i24_e32 v82, v109, v153
	v_add3_u32 v42, v42, v83, v88
	v_mul_i32_i24_e32 v83, v110, v142
	s_delay_alu instid0(VALU_DEP_2) | instskip(NEXT) | instid1(VALU_DEP_1)
	v_add3_u32 v42, v42, v85, v86
	v_add3_u32 v42, v42, v87, v92
	s_delay_alu instid0(VALU_DEP_1) | instskip(NEXT) | instid1(VALU_DEP_1)
	v_add3_u32 v42, v42, v89, v90
	v_add3_u32 v42, v42, v91, v96
	s_delay_alu instid0(VALU_DEP_1) | instskip(NEXT) | instid1(VALU_DEP_1)
	;; [unrolled: 3-line block ×5, first 2 shown]
	v_add3_u32 v42, v42, v254, v255
	v_cvt_f32_i32_e32 v42, v42
	s_delay_alu instid0(VALU_DEP_1) | instskip(NEXT) | instid1(VALU_DEP_1)
	v_fma_mix_f32 v42, v20, v42, -v111 op_sel_hi:[1,0,0]
	v_fmac_f32_e32 v62, v155, v42
	v_mul_i32_i24_e32 v42, v44, v129
	v_mul_i32_i24_e32 v44, v47, v130
	;; [unrolled: 1-line block ×9, first 2 shown]
	v_add3_u32 v19, v19, v42, v53
	v_mul_i32_i24_e32 v63, v67, v127
	v_mul_i32_i24_e32 v67, v69, v139
	;; [unrolled: 1-line block ×4, first 2 shown]
	v_add3_u32 v19, v19, v44, v47
	v_mul_i32_i24_e32 v73, v77, v146
	v_mul_i32_i24_e32 v77, v105, v148
	s_delay_alu instid0(VALU_DEP_3) | instskip(NEXT) | instid1(VALU_DEP_1)
	v_add3_u32 v19, v19, v51, v57
	v_add3_u32 v19, v19, v54, v55
	s_delay_alu instid0(VALU_DEP_1) | instskip(NEXT) | instid1(VALU_DEP_1)
	v_add3_u32 v19, v19, v48, v69
	v_add3_u32 v19, v19, v58, v63
	s_delay_alu instid0(VALU_DEP_1) | instskip(NEXT) | instid1(VALU_DEP_1)
	;; [unrolled: 3-line block ×6, first 2 shown]
	v_cvt_f32_i32_e32 v19, v19
	v_fma_mix_f32 v19, v20, v19, -v111 op_sel_hi:[1,0,0]
	s_delay_alu instid0(VALU_DEP_1)
	v_fmac_f32_e32 v61, v122, v19
	ds_load_b128 v[47:50], v116 offset:2048
	ds_load_b128 v[76:79], v116 offset:2064
	ds_load_2addr_b32 v[19:20], v115 offset0:64 offset1:96
	s_waitcnt lgkmcnt(2)
	v_bfe_i32 v33, v47, 0, 8
	v_bfe_i32 v34, v47, 8, 8
	;; [unrolled: 1-line block ×3, first 2 shown]
	s_waitcnt lgkmcnt(1)
	v_bfe_i32 v45, v76, 0, 8
	v_ashrrev_i32_e32 v44, 24, v47
	v_mul_i32_i24_e32 v86, v33, v224
	v_bfe_i32 v54, v48, 0, 8
	v_mul_i32_i24_e32 v87, v34, v225
	v_mul_i32_i24_e32 v88, v42, v227
	v_bfe_i32 v47, v76, 8, 8
	v_mad_i32_i24 v86, v45, v222, v86
	v_bfe_i32 v51, v76, 16, 8
	v_mul_i32_i24_e32 v89, v44, v228
	v_mul_i32_i24_e32 v93, v54, v231
	v_ashrrev_i32_e32 v53, 24, v76
	v_add3_u32 v86, v86, v87, v88
	v_bfe_i32 v58, v77, 0, 8
	v_mul_i32_i24_e32 v90, v47, v229
	v_mul_i32_i24_e32 v91, v51, v223
	v_bfe_i32 v55, v48, 8, 8
	v_add3_u32 v86, v86, v89, v93
	v_bfe_i32 v57, v48, 16, 8
	v_mul_i32_i24_e32 v92, v53, v230
	v_mul_i32_i24_e32 v97, v58, v236
	v_ashrrev_i32_e32 v48, 24, v48
	v_add3_u32 v86, v86, v90, v91
	v_bfe_i32 v70, v49, 0, 8
	v_mul_i32_i24_e32 v94, v55, v232
	v_mul_i32_i24_e32 v95, v57, v233
	v_bfe_i32 v63, v77, 8, 8
	v_add3_u32 v86, v86, v92, v97
	;; [unrolled: 10-line block ×3, first 2 shown]
	v_bfe_i32 v72, v49, 16, 8
	v_mul_i32_i24_e32 v100, v69, v238
	v_mul_i32_i24_e32 v105, v73, v244
	v_ashrrev_i32_e32 v49, 24, v49
	v_add3_u32 v86, v86, v98, v99
	v_bfe_i32 v75, v78, 8, 8
	v_bfe_i32 v76, v78, 16, 8
	v_ashrrev_i32_e32 v77, 24, v78
	v_bfe_i32 v78, v50, 0, 8
	v_mul_i32_i24_e32 v102, v71, v240
	v_mul_i32_i24_e32 v103, v72, v242
	v_add3_u32 v86, v86, v100, v105
	v_mul_i32_i24_e32 v104, v49, v243
	v_mul_i32_i24_e32 v109, v78, v247
	v_bfe_i32 v82, v79, 0, 8
	v_mul_i32_i24_e32 v106, v75, v245
	v_add3_u32 v86, v86, v102, v103
	v_mul_i32_i24_e32 v107, v76, v234
	v_bfe_i32 v80, v50, 8, 8
	v_bfe_i32 v81, v50, 16, 8
	v_mul_i32_i24_e32 v108, v77, v246
	v_add3_u32 v86, v86, v104, v109
	v_mul_i32_i24_e32 v113, v82, v251
	v_ashrrev_i32_e32 v50, 24, v50
	v_bfe_i32 v83, v79, 8, 8
	v_mul_i32_i24_e32 v110, v80, v248
	v_add3_u32 v86, v86, v106, v107
	v_mul_i32_i24_e32 v111, v81, v249
	v_bfe_i32 v84, v79, 16, 8
	v_ashrrev_i32_e32 v79, 24, v79
	v_mul_i32_i24_e32 v112, v50, v250
	v_add3_u32 v86, v86, v108, v113
	v_mul_i32_i24_e32 v254, v83, v252
	s_waitcnt lgkmcnt(0)
	v_lshrrev_b32_e32 v85, 16, v19
	v_mul_i32_i24_e32 v255, v84, v241
	v_mul_i32_i24_e32 v0, v79, v253
	v_add3_u32 v86, v86, v110, v111
	v_mul_i32_i24_e32 v87, v42, v194
	v_cvt_f32_f16_e32 v85, v85
	v_mul_i32_i24_e32 v88, v44, v195
	v_mul_i32_i24_e32 v92, v54, v199
	v_add3_u32 v86, v86, v112, v254
	v_mul_i32_i24_e32 v89, v47, v196
	v_mul_f32_e32 v85, 0x41000000, v85
	v_mul_i32_i24_e32 v90, v51, v190
	v_mul_i32_i24_e32 v91, v53, v198
	v_add3_u32 v0, v86, v255, v0
	v_mul_i32_i24_e32 v86, v34, v192
	v_mul_i32_i24_e32 v96, v58, v204
	;; [unrolled: 1-line block ×4, first 2 shown]
	v_cvt_f32_i32_e32 v0, v0
	v_mul_i32_i24_e32 v95, v48, v202
	v_mul_i32_i24_e32 v100, v70, v207
	;; [unrolled: 1-line block ×4, first 2 shown]
	v_fma_mix_f32 v0, v19, v0, -v85 op_sel_hi:[1,0,0]
	v_mul_i32_i24_e32 v99, v69, v206
	v_mul_i32_i24_e32 v104, v73, v212
	;; [unrolled: 1-line block ×4, first 2 shown]
	v_fmac_f32_e32 v60, v197, v0
	v_mul_i32_i24_e32 v0, v33, v191
	v_mul_i32_i24_e32 v103, v49, v211
	;; [unrolled: 1-line block ×5, first 2 shown]
	v_mad_i32_i24 v0, v45, v189, v0
	v_mul_i32_i24_e32 v107, v77, v214
	v_mul_i32_i24_e32 v112, v82, v219
	v_mul_i32_i24_e32 v109, v80, v216
	v_mul_i32_i24_e32 v110, v81, v217
	v_add3_u32 v0, v0, v86, v87
	v_mul_i32_i24_e32 v111, v50, v218
	v_mul_i32_i24_e32 v113, v83, v220
	v_mul_i32_i24_e32 v254, v84, v209
	v_mul_i32_i24_e32 v255, v79, v221
	v_add3_u32 v0, v0, v88, v92
	;; [unrolled: 5-line block ×3, first 2 shown]
	v_mul_i32_i24_e32 v89, v47, v163
	v_mul_i32_i24_e32 v90, v51, v157
	s_delay_alu instid0(VALU_DEP_3) | instskip(SKIP_2) | instid1(VALU_DEP_3)
	v_add3_u32 v0, v0, v91, v96
	v_mul_i32_i24_e32 v91, v53, v164
	v_mul_i32_i24_e32 v96, v58, v170
	v_add3_u32 v0, v0, v93, v94
	v_mul_i32_i24_e32 v93, v55, v166
	v_mul_i32_i24_e32 v94, v57, v167
	s_delay_alu instid0(VALU_DEP_3) | instskip(SKIP_3) | instid1(VALU_DEP_4)
	v_add3_u32 v0, v0, v95, v100
	v_mul_i32_i24_e32 v95, v48, v168
	v_mul_i32_i24_e32 v100, v70, v173
	v_mul_i32_i24_e32 v48, v48, v135
	v_add3_u32 v0, v0, v97, v98
	v_mul_i32_i24_e32 v97, v63, v171
	v_mul_i32_i24_e32 v98, v67, v160
	s_delay_alu instid0(VALU_DEP_3) | instskip(SKIP_2) | instid1(VALU_DEP_3)
	v_add3_u32 v0, v0, v99, v104
	v_mul_i32_i24_e32 v99, v69, v172
	v_mul_i32_i24_e32 v104, v73, v178
	v_add3_u32 v0, v0, v101, v102
	v_mul_i32_i24_e32 v101, v71, v174
	v_mul_i32_i24_e32 v102, v72, v176
	s_delay_alu instid0(VALU_DEP_3) | instskip(SKIP_3) | instid1(VALU_DEP_4)
	v_add3_u32 v0, v0, v103, v108
	v_mul_i32_i24_e32 v103, v49, v177
	v_mul_i32_i24_e32 v108, v78, v181
	v_mul_i32_i24_e32 v49, v49, v144
	v_add3_u32 v0, v0, v105, v106
	;; [unrolled: 15-line block ×3, first 2 shown]
	v_mul_i32_i24_e32 v254, v84, v175
	v_mul_i32_i24_e32 v255, v79, v187
	;; [unrolled: 1-line block ×3, first 2 shown]
	s_delay_alu instid0(VALU_DEP_4) | instskip(NEXT) | instid1(VALU_DEP_1)
	v_cvt_f32_i32_e32 v0, v0
	v_fma_mix_f32 v0, v19, v0, -v85 op_sel_hi:[1,0,0]
	s_delay_alu instid0(VALU_DEP_1) | instskip(SKIP_1) | instid1(VALU_DEP_1)
	v_fmac_f32_e32 v59, v188, v0
	v_mul_i32_i24_e32 v0, v33, v158
	v_mad_i32_i24 v0, v45, v156, v0
	s_delay_alu instid0(VALU_DEP_1) | instskip(NEXT) | instid1(VALU_DEP_1)
	v_add3_u32 v0, v0, v86, v87
	v_add3_u32 v0, v0, v88, v92
	s_delay_alu instid0(VALU_DEP_1) | instskip(NEXT) | instid1(VALU_DEP_1)
	v_add3_u32 v0, v0, v89, v90
	v_add3_u32 v0, v0, v91, v96
	s_delay_alu instid0(VALU_DEP_1) | instskip(NEXT) | instid1(VALU_DEP_1)
	v_add3_u32 v0, v0, v93, v94
	v_add3_u32 v0, v0, v95, v100
	s_delay_alu instid0(VALU_DEP_1) | instskip(NEXT) | instid1(VALU_DEP_1)
	v_add3_u32 v0, v0, v97, v98
	v_add3_u32 v0, v0, v99, v104
	s_delay_alu instid0(VALU_DEP_1) | instskip(NEXT) | instid1(VALU_DEP_1)
	v_add3_u32 v0, v0, v101, v102
	v_add3_u32 v0, v0, v103, v108
	s_delay_alu instid0(VALU_DEP_1) | instskip(NEXT) | instid1(VALU_DEP_1)
	v_add3_u32 v0, v0, v105, v106
	v_add3_u32 v0, v0, v107, v112
	s_delay_alu instid0(VALU_DEP_1) | instskip(NEXT) | instid1(VALU_DEP_1)
	v_add3_u32 v0, v0, v109, v110
	v_add3_u32 v0, v0, v111, v113
	s_delay_alu instid0(VALU_DEP_1) | instskip(NEXT) | instid1(VALU_DEP_1)
	v_add3_u32 v0, v0, v254, v255
	v_cvt_f32_i32_e32 v0, v0
	s_delay_alu instid0(VALU_DEP_1) | instskip(NEXT) | instid1(VALU_DEP_1)
	v_fma_mix_f32 v0, v19, v0, -v85 op_sel_hi:[1,0,0]
	v_fmac_f32_e32 v56, v155, v0
	v_mul_i32_i24_e32 v0, v33, v125
	v_mul_i32_i24_e32 v33, v34, v126
	;; [unrolled: 1-line block ×5, first 2 shown]
	v_mad_i32_i24 v0, v45, v123, v0
	v_mul_i32_i24_e32 v47, v51, v124
	v_mul_i32_i24_e32 v51, v53, v131
	v_mul_i32_i24_e32 v53, v54, v132
	v_mul_i32_i24_e32 v54, v55, v133
	v_add3_u32 v0, v0, v33, v34
	v_mul_i32_i24_e32 v55, v57, v134
	v_mul_i32_i24_e32 v57, v58, v137
	v_mul_i32_i24_e32 v58, v63, v138
	v_mul_i32_i24_e32 v63, v67, v127
	v_add3_u32 v0, v0, v42, v53
	;; [unrolled: 5-line block ×5, first 2 shown]
	v_mul_i32_i24_e32 v82, v83, v153
	v_mul_i32_i24_e32 v83, v84, v142
	s_delay_alu instid0(VALU_DEP_3) | instskip(NEXT) | instid1(VALU_DEP_1)
	v_add3_u32 v0, v0, v48, v69
	v_add3_u32 v0, v0, v58, v63
	s_delay_alu instid0(VALU_DEP_1) | instskip(NEXT) | instid1(VALU_DEP_1)
	v_add3_u32 v0, v0, v67, v72
	v_add3_u32 v0, v0, v70, v71
	s_delay_alu instid0(VALU_DEP_1) | instskip(NEXT) | instid1(VALU_DEP_1)
	;; [unrolled: 3-line block ×4, first 2 shown]
	v_add3_u32 v0, v0, v50, v82
	v_add3_u32 v0, v0, v83, v79
	ds_load_b128 v[47:50], v116 offset:3072
	ds_load_b128 v[76:79], v116 offset:3088
	v_lshrrev_b32_e32 v83, 16, v20
	v_cvt_f32_i32_e32 v0, v0
	s_delay_alu instid0(VALU_DEP_2) | instskip(NEXT) | instid1(VALU_DEP_2)
	v_cvt_f32_f16_e32 v83, v83
	v_fma_mix_f32 v0, v19, v0, -v85 op_sel_hi:[1,0,0]
	s_delay_alu instid0(VALU_DEP_1)
	v_dual_mul_f32 v83, 0x41000000, v83 :: v_dual_fmac_f32 v52, v122, v0
	s_waitcnt lgkmcnt(1)
	v_bfe_i32 v0, v47, 0, 8
	v_bfe_i32 v19, v47, 8, 8
	;; [unrolled: 1-line block ×3, first 2 shown]
	s_waitcnt lgkmcnt(0)
	v_bfe_i32 v42, v76, 0, 8
	v_ashrrev_i32_e32 v34, 24, v47
	v_mul_i32_i24_e32 v84, v0, v224
	v_bfe_i32 v51, v48, 0, 8
	v_mul_i32_i24_e32 v85, v19, v225
	v_mul_i32_i24_e32 v86, v33, v227
	v_bfe_i32 v44, v76, 8, 8
	v_mad_i32_i24 v84, v42, v222, v84
	v_bfe_i32 v45, v76, 16, 8
	v_mul_i32_i24_e32 v87, v34, v228
	v_mul_i32_i24_e32 v91, v51, v231
	v_ashrrev_i32_e32 v47, 24, v76
	v_add3_u32 v84, v84, v85, v86
	v_bfe_i32 v55, v77, 0, 8
	v_mul_i32_i24_e32 v88, v44, v229
	v_mul_i32_i24_e32 v89, v45, v223
	v_bfe_i32 v53, v48, 8, 8
	v_add3_u32 v84, v84, v87, v91
	v_bfe_i32 v54, v48, 16, 8
	v_mul_i32_i24_e32 v90, v47, v230
	v_mul_i32_i24_e32 v95, v55, v236
	v_ashrrev_i32_e32 v48, 24, v48
	v_add3_u32 v84, v84, v88, v89
	v_bfe_i32 v67, v49, 0, 8
	v_mul_i32_i24_e32 v92, v53, v232
	v_mul_i32_i24_e32 v93, v54, v233
	v_bfe_i32 v57, v77, 8, 8
	v_add3_u32 v84, v84, v90, v95
	;; [unrolled: 10-line block ×6, first 2 shown]
	v_ashrrev_i32_e32 v79, 24, v79
	v_mul_i32_i24_e32 v110, v50, v250
	v_mul_i32_i24_e32 v112, v81, v252
	v_mul_i32_i24_e32 v113, v82, v241
	v_add3_u32 v84, v84, v108, v109
	v_mul_i32_i24_e32 v254, v79, v253
	v_mul_i32_i24_e32 v85, v19, v192
	v_mul_i32_i24_e32 v86, v33, v194
	v_mul_i32_i24_e32 v87, v34, v195
	v_add3_u32 v84, v84, v110, v112
	v_mul_i32_i24_e32 v91, v51, v199
	v_mul_i32_i24_e32 v88, v44, v196
	v_mul_i32_i24_e32 v89, v45, v190
	v_mul_i32_i24_e32 v90, v47, v198
	v_add3_u32 v84, v84, v113, v254
	v_mul_i32_i24_e32 v95, v55, v204
	v_mul_i32_i24_e32 v92, v53, v200
	v_mul_i32_i24_e32 v93, v54, v201
	;; [unrolled: 1-line block ×3, first 2 shown]
	v_cvt_f32_i32_e32 v84, v84
	v_mul_i32_i24_e32 v99, v67, v207
	v_mul_i32_i24_e32 v96, v57, v205
	;; [unrolled: 1-line block ×4, first 2 shown]
	v_fma_mix_f32 v84, v20, v84, -v83 op_sel_hi:[1,0,0]
	v_mul_i32_i24_e32 v103, v71, v212
	v_mul_i32_i24_e32 v100, v69, v208
	;; [unrolled: 1-line block ×4, first 2 shown]
	v_fmac_f32_e32 v46, v197, v84
	v_mul_i32_i24_e32 v84, v0, v191
	v_mul_i32_i24_e32 v107, v76, v215
	;; [unrolled: 1-line block ×5, first 2 shown]
	v_mad_i32_i24 v84, v42, v189, v84
	v_mul_i32_i24_e32 v111, v80, v219
	v_mul_i32_i24_e32 v108, v77, v216
	v_mul_i32_i24_e32 v109, v78, v217
	v_mul_i32_i24_e32 v110, v50, v218
	v_add3_u32 v84, v84, v85, v86
	v_mul_i32_i24_e32 v112, v81, v220
	v_mul_i32_i24_e32 v113, v82, v209
	v_mul_i32_i24_e32 v254, v79, v221
	v_mul_i32_i24_e32 v85, v19, v159
	v_add3_u32 v84, v84, v87, v91
	;; [unrolled: 5-line block ×15, first 2 shown]
	v_mul_i32_i24_e32 v112, v81, v186
	v_mul_i32_i24_e32 v50, v50, v151
	;; [unrolled: 1-line block ×4, first 2 shown]
	v_cvt_f32_i32_e32 v84, v84
	v_mul_i32_i24_e32 v254, v79, v187
	v_mul_i32_i24_e32 v82, v82, v142
	v_mul_i32_i24_e32 v79, v79, v154
	s_delay_alu instid0(VALU_DEP_4) | instskip(NEXT) | instid1(VALU_DEP_1)
	v_fma_mix_f32 v84, v20, v84, -v83 op_sel_hi:[1,0,0]
	v_fmac_f32_e32 v43, v188, v84
	v_mul_i32_i24_e32 v84, v0, v158
	v_mul_i32_i24_e32 v0, v0, v125
	s_delay_alu instid0(VALU_DEP_2) | instskip(NEXT) | instid1(VALU_DEP_2)
	v_mad_i32_i24 v84, v42, v156, v84
	v_mad_i32_i24 v0, v42, v123, v0
	s_delay_alu instid0(VALU_DEP_2) | instskip(NEXT) | instid1(VALU_DEP_2)
	v_add3_u32 v84, v84, v85, v86
	v_add3_u32 v0, v0, v19, v33
	s_delay_alu instid0(VALU_DEP_2) | instskip(NEXT) | instid1(VALU_DEP_2)
	v_add3_u32 v84, v84, v87, v91
	v_add3_u32 v0, v0, v34, v51
	;; [unrolled: 3-line block ×15, first 2 shown]
	s_delay_alu instid0(VALU_DEP_2) | instskip(NEXT) | instid1(VALU_DEP_2)
	v_cvt_f32_i32_e32 v84, v84
	v_cvt_f32_i32_e32 v0, v0
	s_delay_alu instid0(VALU_DEP_2) | instskip(NEXT) | instid1(VALU_DEP_2)
	v_fma_mix_f32 v84, v20, v84, -v83 op_sel_hi:[1,0,0]
	v_fma_mix_f32 v0, v20, v0, -v83 op_sel_hi:[1,0,0]
	ds_load_b128 v[47:50], v116 offset:4096
	ds_load_b128 v[76:79], v116 offset:4112
	ds_load_2addr_b32 v[19:20], v115 offset0:128 offset1:160
	v_fmac_f32_e32 v41, v155, v84
	v_fmac_f32_e32 v40, v122, v0
	s_waitcnt lgkmcnt(2)
	v_bfe_i32 v0, v47, 0, 8
	v_bfe_i32 v33, v47, 8, 8
	;; [unrolled: 1-line block ×3, first 2 shown]
	s_waitcnt lgkmcnt(1)
	v_bfe_i32 v44, v76, 0, 8
	v_ashrrev_i32_e32 v42, 24, v47
	v_mul_i32_i24_e32 v85, v0, v224
	v_bfe_i32 v53, v48, 0, 8
	v_mul_i32_i24_e32 v86, v33, v225
	v_mul_i32_i24_e32 v87, v34, v227
	v_bfe_i32 v45, v76, 8, 8
	v_mad_i32_i24 v85, v44, v222, v85
	v_bfe_i32 v47, v76, 16, 8
	v_mul_i32_i24_e32 v88, v42, v228
	v_mul_i32_i24_e32 v92, v53, v231
	v_ashrrev_i32_e32 v51, 24, v76
	v_add3_u32 v85, v85, v86, v87
	v_bfe_i32 v57, v77, 0, 8
	v_mul_i32_i24_e32 v89, v45, v229
	v_mul_i32_i24_e32 v90, v47, v223
	v_bfe_i32 v54, v48, 8, 8
	v_add3_u32 v85, v85, v88, v92
	v_bfe_i32 v55, v48, 16, 8
	v_mul_i32_i24_e32 v91, v51, v230
	v_mul_i32_i24_e32 v96, v57, v236
	v_ashrrev_i32_e32 v48, 24, v48
	v_add3_u32 v85, v85, v89, v90
	v_bfe_i32 v69, v49, 0, 8
	v_mul_i32_i24_e32 v93, v54, v232
	v_mul_i32_i24_e32 v94, v55, v233
	v_bfe_i32 v58, v77, 8, 8
	v_add3_u32 v85, v85, v91, v96
	;; [unrolled: 10-line block ×6, first 2 shown]
	v_ashrrev_i32_e32 v79, 24, v79
	v_mul_i32_i24_e32 v111, v50, v250
	v_mul_i32_i24_e32 v113, v82, v252
	s_waitcnt lgkmcnt(0)
	v_lshrrev_b32_e32 v84, 16, v19
	v_add3_u32 v85, v85, v109, v110
	v_mul_i32_i24_e32 v254, v83, v241
	v_mul_i32_i24_e32 v255, v79, v253
	;; [unrolled: 1-line block ×3, first 2 shown]
	v_cvt_f32_f16_e32 v84, v84
	v_add3_u32 v85, v85, v111, v113
	v_mul_i32_i24_e32 v87, v34, v194
	v_mul_i32_i24_e32 v88, v42, v195
	;; [unrolled: 1-line block ×3, first 2 shown]
	v_mul_f32_e32 v84, 0x41000000, v84
	v_add3_u32 v85, v85, v254, v255
	v_mul_i32_i24_e32 v89, v45, v196
	v_mul_i32_i24_e32 v90, v47, v190
	;; [unrolled: 1-line block ×4, first 2 shown]
	v_cvt_f32_i32_e32 v85, v85
	v_mul_i32_i24_e32 v93, v54, v200
	v_mul_i32_i24_e32 v94, v55, v201
	;; [unrolled: 1-line block ×4, first 2 shown]
	v_fma_mix_f32 v85, v19, v85, -v84 op_sel_hi:[1,0,0]
	v_mul_i32_i24_e32 v97, v58, v205
	v_mul_i32_i24_e32 v98, v63, v193
	;; [unrolled: 1-line block ×4, first 2 shown]
	v_fmac_f32_e32 v39, v197, v85
	v_mul_i32_i24_e32 v85, v0, v191
	v_mul_i32_i24_e32 v101, v70, v208
	;; [unrolled: 1-line block ×5, first 2 shown]
	v_mad_i32_i24 v85, v44, v189, v85
	v_mul_i32_i24_e32 v105, v73, v213
	v_mul_i32_i24_e32 v106, v75, v203
	v_mul_i32_i24_e32 v107, v76, v214
	v_mul_i32_i24_e32 v112, v81, v219
	v_add3_u32 v85, v85, v86, v87
	v_mul_i32_i24_e32 v109, v78, v216
	v_mul_i32_i24_e32 v110, v80, v217
	v_mul_i32_i24_e32 v111, v50, v218
	v_mul_i32_i24_e32 v113, v82, v220
	v_add3_u32 v85, v85, v88, v92
	;; [unrolled: 5-line block ×15, first 2 shown]
	v_mul_i32_i24_e32 v111, v50, v184
	v_mul_i32_i24_e32 v113, v82, v186
	;; [unrolled: 1-line block ×4, first 2 shown]
	v_cvt_f32_i32_e32 v85, v85
	v_mul_i32_i24_e32 v254, v83, v175
	v_mul_i32_i24_e32 v255, v79, v187
	;; [unrolled: 1-line block ×4, first 2 shown]
	v_fma_mix_f32 v85, v19, v85, -v84 op_sel_hi:[1,0,0]
	s_delay_alu instid0(VALU_DEP_1) | instskip(SKIP_4) | instid1(VALU_DEP_4)
	v_fmac_f32_e32 v38, v188, v85
	v_mul_i32_i24_e32 v85, v0, v158
	v_mul_i32_i24_e32 v0, v0, v125
	;; [unrolled: 1-line block ×4, first 2 shown]
	v_mad_i32_i24 v85, v44, v156, v85
	s_delay_alu instid0(VALU_DEP_4) | instskip(NEXT) | instid1(VALU_DEP_2)
	v_mad_i32_i24 v0, v44, v123, v0
	v_add3_u32 v85, v85, v86, v87
	s_delay_alu instid0(VALU_DEP_2) | instskip(NEXT) | instid1(VALU_DEP_2)
	v_add3_u32 v0, v0, v33, v34
	v_add3_u32 v85, v85, v88, v92
	s_delay_alu instid0(VALU_DEP_2) | instskip(NEXT) | instid1(VALU_DEP_2)
	v_add3_u32 v0, v0, v42, v53
	v_add3_u32 v85, v85, v89, v90
	s_delay_alu instid0(VALU_DEP_2) | instskip(NEXT) | instid1(VALU_DEP_2)
	v_add3_u32 v0, v0, v45, v47
	v_add3_u32 v85, v85, v91, v96
	s_delay_alu instid0(VALU_DEP_2) | instskip(NEXT) | instid1(VALU_DEP_2)
	v_add3_u32 v0, v0, v51, v57
	v_add3_u32 v85, v85, v93, v94
	s_delay_alu instid0(VALU_DEP_2) | instskip(NEXT) | instid1(VALU_DEP_2)
	v_add3_u32 v0, v0, v54, v55
	v_add3_u32 v85, v85, v95, v100
	s_delay_alu instid0(VALU_DEP_2) | instskip(NEXT) | instid1(VALU_DEP_2)
	v_add3_u32 v0, v0, v48, v69
	v_add3_u32 v85, v85, v97, v98
	s_delay_alu instid0(VALU_DEP_2) | instskip(NEXT) | instid1(VALU_DEP_2)
	v_add3_u32 v0, v0, v58, v63
	v_add3_u32 v85, v85, v99, v104
	s_delay_alu instid0(VALU_DEP_2) | instskip(NEXT) | instid1(VALU_DEP_2)
	v_add3_u32 v0, v0, v67, v72
	v_add3_u32 v85, v85, v101, v102
	s_delay_alu instid0(VALU_DEP_2) | instskip(NEXT) | instid1(VALU_DEP_2)
	v_add3_u32 v0, v0, v70, v71
	v_add3_u32 v85, v85, v103, v108
	s_delay_alu instid0(VALU_DEP_2) | instskip(NEXT) | instid1(VALU_DEP_2)
	v_add3_u32 v0, v0, v49, v77
	v_add3_u32 v85, v85, v105, v106
	s_delay_alu instid0(VALU_DEP_2) | instskip(NEXT) | instid1(VALU_DEP_2)
	v_add3_u32 v0, v0, v73, v75
	v_add3_u32 v85, v85, v107, v112
	s_delay_alu instid0(VALU_DEP_2) | instskip(NEXT) | instid1(VALU_DEP_2)
	v_add3_u32 v0, v0, v76, v81
	v_add3_u32 v85, v85, v109, v110
	s_delay_alu instid0(VALU_DEP_2) | instskip(NEXT) | instid1(VALU_DEP_2)
	v_add3_u32 v0, v0, v78, v80
	v_add3_u32 v85, v85, v111, v113
	s_delay_alu instid0(VALU_DEP_2) | instskip(NEXT) | instid1(VALU_DEP_2)
	v_add3_u32 v0, v0, v50, v82
	v_add3_u32 v85, v85, v254, v255
	s_delay_alu instid0(VALU_DEP_2)
	v_add3_u32 v0, v0, v83, v79
	ds_load_b128 v[47:50], v116 offset:5120
	ds_load_b128 v[76:79], v116 offset:5136
	v_lshrrev_b32_e32 v83, 16, v20
	v_cvt_f32_i32_e32 v85, v85
	v_cvt_f32_i32_e32 v0, v0
	s_delay_alu instid0(VALU_DEP_3) | instskip(NEXT) | instid1(VALU_DEP_3)
	v_cvt_f32_f16_e32 v83, v83
	v_fma_mix_f32 v85, v19, v85, -v84 op_sel_hi:[1,0,0]
	s_delay_alu instid0(VALU_DEP_3) | instskip(NEXT) | instid1(VALU_DEP_3)
	v_fma_mix_f32 v0, v19, v0, -v84 op_sel_hi:[1,0,0]
	v_mul_f32_e32 v83, 0x41000000, v83
	s_delay_alu instid0(VALU_DEP_2)
	v_dual_fmac_f32 v37, v155, v85 :: v_dual_fmac_f32 v36, v122, v0
	s_waitcnt lgkmcnt(1)
	v_bfe_i32 v0, v47, 0, 8
	v_bfe_i32 v19, v47, 8, 8
	;; [unrolled: 1-line block ×3, first 2 shown]
	s_waitcnt lgkmcnt(0)
	v_bfe_i32 v42, v76, 0, 8
	v_ashrrev_i32_e32 v34, 24, v47
	v_mul_i32_i24_e32 v84, v0, v224
	v_bfe_i32 v51, v48, 0, 8
	v_mul_i32_i24_e32 v85, v19, v225
	v_mul_i32_i24_e32 v86, v33, v227
	v_bfe_i32 v44, v76, 8, 8
	v_mad_i32_i24 v84, v42, v222, v84
	v_bfe_i32 v45, v76, 16, 8
	v_mul_i32_i24_e32 v87, v34, v228
	v_mul_i32_i24_e32 v91, v51, v231
	v_ashrrev_i32_e32 v47, 24, v76
	v_add3_u32 v84, v84, v85, v86
	v_bfe_i32 v55, v77, 0, 8
	v_mul_i32_i24_e32 v88, v44, v229
	v_mul_i32_i24_e32 v89, v45, v223
	v_bfe_i32 v53, v48, 8, 8
	v_add3_u32 v84, v84, v87, v91
	v_bfe_i32 v54, v48, 16, 8
	v_mul_i32_i24_e32 v90, v47, v230
	v_mul_i32_i24_e32 v95, v55, v236
	v_ashrrev_i32_e32 v48, 24, v48
	v_add3_u32 v84, v84, v88, v89
	v_bfe_i32 v67, v49, 0, 8
	v_mul_i32_i24_e32 v92, v53, v232
	v_mul_i32_i24_e32 v93, v54, v233
	v_bfe_i32 v57, v77, 8, 8
	v_add3_u32 v84, v84, v90, v95
	;; [unrolled: 10-line block ×6, first 2 shown]
	v_ashrrev_i32_e32 v79, 24, v79
	v_mul_i32_i24_e32 v110, v50, v250
	v_mul_i32_i24_e32 v112, v81, v252
	v_mul_i32_i24_e32 v113, v82, v241
	v_add3_u32 v84, v84, v108, v109
	v_mul_i32_i24_e32 v254, v79, v253
	v_mul_i32_i24_e32 v85, v19, v192
	v_mul_i32_i24_e32 v86, v33, v194
	v_mul_i32_i24_e32 v87, v34, v195
	v_add3_u32 v84, v84, v110, v112
	v_mul_i32_i24_e32 v91, v51, v199
	;; [unrolled: 5-line block ×3, first 2 shown]
	v_mul_i32_i24_e32 v92, v53, v200
	v_mul_i32_i24_e32 v93, v54, v201
	;; [unrolled: 1-line block ×3, first 2 shown]
	v_cvt_f32_i32_e32 v84, v84
	v_mul_i32_i24_e32 v99, v67, v207
	v_mul_i32_i24_e32 v96, v57, v205
	;; [unrolled: 1-line block ×4, first 2 shown]
	v_fma_mix_f32 v84, v20, v84, -v83 op_sel_hi:[1,0,0]
	v_mul_i32_i24_e32 v103, v71, v212
	v_mul_i32_i24_e32 v100, v69, v208
	;; [unrolled: 1-line block ×4, first 2 shown]
	v_fmac_f32_e32 v32, v197, v84
	v_mul_i32_i24_e32 v84, v0, v191
	v_mul_i32_i24_e32 v107, v76, v215
	;; [unrolled: 1-line block ×5, first 2 shown]
	v_mad_i32_i24 v84, v42, v189, v84
	v_mul_i32_i24_e32 v111, v80, v219
	v_mul_i32_i24_e32 v108, v77, v216
	v_mul_i32_i24_e32 v109, v78, v217
	v_mul_i32_i24_e32 v110, v50, v218
	v_add3_u32 v84, v84, v85, v86
	v_mul_i32_i24_e32 v112, v81, v220
	v_mul_i32_i24_e32 v113, v82, v209
	v_mul_i32_i24_e32 v254, v79, v221
	v_mul_i32_i24_e32 v85, v19, v159
	v_add3_u32 v84, v84, v87, v91
	v_mul_i32_i24_e32 v86, v33, v161
	v_mul_i32_i24_e32 v87, v34, v162
	v_mul_i32_i24_e32 v91, v51, v165
	v_mul_i32_i24_e32 v19, v19, v126
	v_add3_u32 v84, v84, v88, v89
	v_mul_i32_i24_e32 v88, v44, v163
	v_mul_i32_i24_e32 v89, v45, v157
	v_mul_i32_i24_e32 v33, v33, v128
	v_mul_i32_i24_e32 v34, v34, v129
	v_add3_u32 v84, v84, v90, v95
	v_mul_i32_i24_e32 v90, v47, v164
	v_mul_i32_i24_e32 v95, v55, v170
	v_mul_i32_i24_e32 v51, v51, v132
	v_mul_i32_i24_e32 v44, v44, v130
	v_add3_u32 v84, v84, v92, v93
	v_mul_i32_i24_e32 v92, v53, v166
	v_mul_i32_i24_e32 v93, v54, v167
	v_mul_i32_i24_e32 v45, v45, v124
	v_mul_i32_i24_e32 v47, v47, v131
	v_add3_u32 v84, v84, v94, v99
	v_mul_i32_i24_e32 v94, v48, v168
	v_mul_i32_i24_e32 v99, v67, v173
	v_mul_i32_i24_e32 v55, v55, v137
	v_mul_i32_i24_e32 v53, v53, v133
	v_add3_u32 v84, v84, v96, v97
	v_mul_i32_i24_e32 v96, v57, v171
	v_mul_i32_i24_e32 v97, v58, v160
	v_mul_i32_i24_e32 v54, v54, v134
	v_mul_i32_i24_e32 v48, v48, v135
	v_add3_u32 v84, v84, v98, v103
	v_mul_i32_i24_e32 v98, v63, v172
	v_mul_i32_i24_e32 v103, v71, v178
	v_mul_i32_i24_e32 v67, v67, v140
	v_mul_i32_i24_e32 v57, v57, v138
	v_add3_u32 v84, v84, v100, v101
	v_mul_i32_i24_e32 v100, v69, v174
	v_mul_i32_i24_e32 v101, v70, v176
	v_mul_i32_i24_e32 v58, v58, v127
	v_mul_i32_i24_e32 v63, v63, v139
	v_add3_u32 v84, v84, v102, v107
	v_mul_i32_i24_e32 v102, v49, v177
	v_mul_i32_i24_e32 v107, v76, v181
	v_mul_i32_i24_e32 v71, v71, v145
	v_mul_i32_i24_e32 v69, v69, v141
	v_add3_u32 v84, v84, v104, v105
	v_mul_i32_i24_e32 v104, v72, v179
	v_mul_i32_i24_e32 v105, v73, v169
	v_mul_i32_i24_e32 v70, v70, v143
	v_mul_i32_i24_e32 v49, v49, v144
	v_add3_u32 v84, v84, v106, v111
	v_mul_i32_i24_e32 v106, v75, v180
	v_mul_i32_i24_e32 v111, v80, v185
	v_mul_i32_i24_e32 v76, v76, v148
	v_mul_i32_i24_e32 v72, v72, v146
	v_add3_u32 v84, v84, v108, v109
	v_mul_i32_i24_e32 v108, v77, v182
	v_mul_i32_i24_e32 v109, v78, v183
	v_mul_i32_i24_e32 v73, v73, v136
	v_mul_i32_i24_e32 v75, v75, v147
	v_add3_u32 v84, v84, v110, v112
	v_mul_i32_i24_e32 v110, v50, v184
	v_mul_i32_i24_e32 v112, v81, v186
	v_mul_i32_i24_e32 v80, v80, v152
	v_mul_i32_i24_e32 v77, v77, v149
	v_add3_u32 v84, v84, v113, v254
	v_mul_i32_i24_e32 v113, v82, v175
	v_mul_i32_i24_e32 v254, v79, v187
	v_mul_i32_i24_e32 v78, v78, v150
	v_mul_i32_i24_e32 v50, v50, v151
	v_cvt_f32_i32_e32 v84, v84
	v_mul_i32_i24_e32 v81, v81, v153
	v_mul_i32_i24_e32 v82, v82, v142
	;; [unrolled: 1-line block ×3, first 2 shown]
	s_delay_alu instid0(VALU_DEP_4) | instskip(NEXT) | instid1(VALU_DEP_1)
	v_fma_mix_f32 v84, v20, v84, -v83 op_sel_hi:[1,0,0]
	v_fmac_f32_e32 v31, v188, v84
	v_mul_i32_i24_e32 v84, v0, v158
	s_delay_alu instid0(VALU_DEP_1) | instskip(NEXT) | instid1(VALU_DEP_1)
	v_mad_i32_i24 v84, v42, v156, v84
	v_add3_u32 v84, v84, v85, v86
	s_delay_alu instid0(VALU_DEP_1) | instskip(NEXT) | instid1(VALU_DEP_1)
	v_add3_u32 v84, v84, v87, v91
	v_add3_u32 v84, v84, v88, v89
	s_delay_alu instid0(VALU_DEP_1) | instskip(NEXT) | instid1(VALU_DEP_1)
	v_add3_u32 v84, v84, v90, v95
	;; [unrolled: 3-line block ×7, first 2 shown]
	v_add3_u32 v84, v84, v113, v254
	s_delay_alu instid0(VALU_DEP_1) | instskip(NEXT) | instid1(VALU_DEP_1)
	v_cvt_f32_i32_e32 v84, v84
	v_fma_mix_f32 v84, v20, v84, -v83 op_sel_hi:[1,0,0]
	s_delay_alu instid0(VALU_DEP_1) | instskip(SKIP_1) | instid1(VALU_DEP_1)
	v_fmac_f32_e32 v30, v155, v84
	v_mul_i32_i24_e32 v0, v0, v125
	v_mad_i32_i24 v0, v42, v123, v0
	s_delay_alu instid0(VALU_DEP_1) | instskip(NEXT) | instid1(VALU_DEP_1)
	v_add3_u32 v0, v0, v19, v33
	v_add3_u32 v0, v0, v34, v51
	s_delay_alu instid0(VALU_DEP_1) | instskip(NEXT) | instid1(VALU_DEP_1)
	v_add3_u32 v0, v0, v44, v45
	v_add3_u32 v0, v0, v47, v55
	;; [unrolled: 3-line block ×7, first 2 shown]
	s_delay_alu instid0(VALU_DEP_1) | instskip(NEXT) | instid1(VALU_DEP_1)
	v_add3_u32 v0, v0, v82, v79
	v_cvt_f32_i32_e32 v0, v0
	s_delay_alu instid0(VALU_DEP_1)
	v_fma_mix_f32 v0, v20, v0, -v83 op_sel_hi:[1,0,0]
	ds_load_b128 v[47:50], v116 offset:6144
	ds_load_b128 v[76:79], v116 offset:6160
	ds_load_2addr_b32 v[19:20], v115 offset0:192 offset1:224
	v_add_nc_u32_e32 v115, 4, v115
	v_fmac_f32_e32 v29, v122, v0
	s_waitcnt lgkmcnt(2)
	v_bfe_i32 v0, v47, 0, 8
	v_bfe_i32 v33, v47, 8, 8
	;; [unrolled: 1-line block ×3, first 2 shown]
	s_waitcnt lgkmcnt(1)
	v_bfe_i32 v44, v76, 0, 8
	v_ashrrev_i32_e32 v42, 24, v47
	v_mul_i32_i24_e32 v85, v0, v224
	v_bfe_i32 v53, v48, 0, 8
	v_mul_i32_i24_e32 v86, v33, v225
	v_mul_i32_i24_e32 v87, v34, v227
	v_bfe_i32 v45, v76, 8, 8
	v_mad_i32_i24 v85, v44, v222, v85
	v_bfe_i32 v47, v76, 16, 8
	v_mul_i32_i24_e32 v88, v42, v228
	v_mul_i32_i24_e32 v92, v53, v231
	v_ashrrev_i32_e32 v51, 24, v76
	v_add3_u32 v85, v85, v86, v87
	v_bfe_i32 v57, v77, 0, 8
	v_mul_i32_i24_e32 v89, v45, v229
	v_mul_i32_i24_e32 v90, v47, v223
	v_bfe_i32 v54, v48, 8, 8
	v_add3_u32 v85, v85, v88, v92
	v_bfe_i32 v55, v48, 16, 8
	v_mul_i32_i24_e32 v91, v51, v230
	v_mul_i32_i24_e32 v96, v57, v236
	v_ashrrev_i32_e32 v48, 24, v48
	v_add3_u32 v85, v85, v89, v90
	v_bfe_i32 v69, v49, 0, 8
	v_mul_i32_i24_e32 v93, v54, v232
	v_mul_i32_i24_e32 v94, v55, v233
	v_bfe_i32 v58, v77, 8, 8
	v_add3_u32 v85, v85, v91, v96
	;; [unrolled: 10-line block ×6, first 2 shown]
	v_ashrrev_i32_e32 v79, 24, v79
	v_mul_i32_i24_e32 v111, v50, v250
	v_mul_i32_i24_e32 v113, v82, v252
	s_waitcnt lgkmcnt(0)
	v_lshrrev_b32_e32 v84, 16, v19
	v_add3_u32 v85, v85, v109, v110
	v_mul_i32_i24_e32 v254, v83, v241
	v_mul_i32_i24_e32 v255, v79, v253
	;; [unrolled: 1-line block ×3, first 2 shown]
	v_cvt_f32_f16_e32 v84, v84
	v_add3_u32 v85, v85, v111, v113
	v_mul_i32_i24_e32 v87, v34, v194
	v_mul_i32_i24_e32 v88, v42, v195
	v_mul_i32_i24_e32 v92, v53, v199
	v_mul_f32_e32 v84, 0x41000000, v84
	v_add3_u32 v85, v85, v254, v255
	v_mul_i32_i24_e32 v89, v45, v196
	v_mul_i32_i24_e32 v90, v47, v190
	;; [unrolled: 1-line block ×4, first 2 shown]
	v_cvt_f32_i32_e32 v85, v85
	v_mul_i32_i24_e32 v93, v54, v200
	v_mul_i32_i24_e32 v94, v55, v201
	;; [unrolled: 1-line block ×4, first 2 shown]
	v_fma_mix_f32 v85, v19, v85, -v84 op_sel_hi:[1,0,0]
	v_mul_i32_i24_e32 v97, v58, v205
	v_mul_i32_i24_e32 v98, v63, v193
	;; [unrolled: 1-line block ×4, first 2 shown]
	v_fmac_f32_e32 v28, v197, v85
	v_mul_i32_i24_e32 v85, v0, v191
	v_mul_i32_i24_e32 v101, v70, v208
	;; [unrolled: 1-line block ×5, first 2 shown]
	v_mad_i32_i24 v85, v44, v189, v85
	v_mul_i32_i24_e32 v105, v73, v213
	v_mul_i32_i24_e32 v106, v75, v203
	v_mul_i32_i24_e32 v107, v76, v214
	v_mul_i32_i24_e32 v112, v81, v219
	v_add3_u32 v85, v85, v86, v87
	v_mul_i32_i24_e32 v109, v78, v216
	v_mul_i32_i24_e32 v110, v80, v217
	v_mul_i32_i24_e32 v111, v50, v218
	v_mul_i32_i24_e32 v113, v82, v220
	v_add3_u32 v85, v85, v88, v92
	v_mul_i32_i24_e32 v254, v83, v209
	v_mul_i32_i24_e32 v255, v79, v221
	v_mul_i32_i24_e32 v86, v33, v159
	v_mul_i32_i24_e32 v87, v34, v161
	v_add3_u32 v85, v85, v89, v90
	v_mul_i32_i24_e32 v33, v33, v126
	v_mul_i32_i24_e32 v34, v34, v128
	v_mul_i32_i24_e32 v88, v42, v162
	v_mul_i32_i24_e32 v92, v53, v165
	v_add3_u32 v85, v85, v91, v96
	v_mul_i32_i24_e32 v42, v42, v129
	v_mul_i32_i24_e32 v53, v53, v132
	v_mul_i32_i24_e32 v89, v45, v163
	v_mul_i32_i24_e32 v90, v47, v157
	v_add3_u32 v85, v85, v93, v94
	v_mul_i32_i24_e32 v45, v45, v130
	v_mul_i32_i24_e32 v47, v47, v124
	v_mul_i32_i24_e32 v91, v51, v164
	v_mul_i32_i24_e32 v96, v57, v170
	v_add3_u32 v85, v85, v95, v100
	v_mul_i32_i24_e32 v51, v51, v131
	v_mul_i32_i24_e32 v57, v57, v137
	v_mul_i32_i24_e32 v93, v54, v166
	v_mul_i32_i24_e32 v94, v55, v167
	v_add3_u32 v85, v85, v97, v98
	v_mul_i32_i24_e32 v54, v54, v133
	v_mul_i32_i24_e32 v55, v55, v134
	v_mul_i32_i24_e32 v95, v48, v168
	v_mul_i32_i24_e32 v100, v69, v173
	v_add3_u32 v85, v85, v99, v104
	v_mul_i32_i24_e32 v48, v48, v135
	v_mul_i32_i24_e32 v69, v69, v140
	v_mul_i32_i24_e32 v97, v58, v171
	v_mul_i32_i24_e32 v98, v63, v160
	v_add3_u32 v85, v85, v101, v102
	v_mul_i32_i24_e32 v58, v58, v138
	v_mul_i32_i24_e32 v63, v63, v127
	v_mul_i32_i24_e32 v99, v67, v172
	v_mul_i32_i24_e32 v104, v72, v178
	v_add3_u32 v85, v85, v103, v108
	v_mul_i32_i24_e32 v67, v67, v139
	v_mul_i32_i24_e32 v72, v72, v145
	v_mul_i32_i24_e32 v101, v70, v174
	v_mul_i32_i24_e32 v102, v71, v176
	v_add3_u32 v85, v85, v105, v106
	v_mul_i32_i24_e32 v70, v70, v141
	v_mul_i32_i24_e32 v71, v71, v143
	v_mul_i32_i24_e32 v103, v49, v177
	v_mul_i32_i24_e32 v108, v77, v181
	v_add3_u32 v85, v85, v107, v112
	v_mul_i32_i24_e32 v49, v49, v144
	v_mul_i32_i24_e32 v77, v77, v148
	v_mul_i32_i24_e32 v105, v73, v179
	v_mul_i32_i24_e32 v106, v75, v169
	v_add3_u32 v85, v85, v109, v110
	v_mul_i32_i24_e32 v73, v73, v146
	v_mul_i32_i24_e32 v75, v75, v136
	v_mul_i32_i24_e32 v107, v76, v180
	v_mul_i32_i24_e32 v112, v81, v185
	v_add3_u32 v85, v85, v111, v113
	v_mul_i32_i24_e32 v76, v76, v147
	v_mul_i32_i24_e32 v81, v81, v152
	v_mul_i32_i24_e32 v109, v78, v182
	v_mul_i32_i24_e32 v110, v80, v183
	v_add3_u32 v85, v85, v254, v255
	v_mul_i32_i24_e32 v78, v78, v149
	v_mul_i32_i24_e32 v80, v80, v150
	;; [unrolled: 1-line block ×4, first 2 shown]
	v_cvt_f32_i32_e32 v85, v85
	v_mul_i32_i24_e32 v50, v50, v151
	v_mul_i32_i24_e32 v82, v82, v153
	;; [unrolled: 1-line block ×4, first 2 shown]
	v_fma_mix_f32 v85, v19, v85, -v84 op_sel_hi:[1,0,0]
	v_mul_i32_i24_e32 v83, v83, v142
	v_mul_i32_i24_e32 v79, v79, v154
	s_delay_alu instid0(VALU_DEP_3) | instskip(SKIP_2) | instid1(VALU_DEP_2)
	v_fmac_f32_e32 v27, v188, v85
	v_mul_i32_i24_e32 v85, v0, v158
	v_mul_i32_i24_e32 v0, v0, v125
	v_mad_i32_i24 v85, v44, v156, v85
	s_delay_alu instid0(VALU_DEP_2) | instskip(NEXT) | instid1(VALU_DEP_2)
	v_mad_i32_i24 v0, v44, v123, v0
	v_add3_u32 v85, v85, v86, v87
	s_delay_alu instid0(VALU_DEP_2) | instskip(NEXT) | instid1(VALU_DEP_2)
	v_add3_u32 v0, v0, v33, v34
	v_add3_u32 v85, v85, v88, v92
	s_delay_alu instid0(VALU_DEP_2) | instskip(NEXT) | instid1(VALU_DEP_2)
	v_add3_u32 v0, v0, v42, v53
	;; [unrolled: 3-line block ×14, first 2 shown]
	v_add3_u32 v85, v85, v254, v255
	s_delay_alu instid0(VALU_DEP_2)
	v_add3_u32 v0, v0, v83, v79
	ds_load_b128 v[76:79], v116 offset:7168
	ds_load_b128 v[110:113], v116 offset:7184
	v_add_nc_u32_e32 v116, 32, v116
	v_cvt_f32_i32_e32 v85, v85
	v_cvt_f32_i32_e32 v0, v0
	s_delay_alu instid0(VALU_DEP_2) | instskip(NEXT) | instid1(VALU_DEP_2)
	v_fma_mix_f32 v85, v19, v85, -v84 op_sel_hi:[1,0,0]
	v_fma_mix_f32 v0, v19, v0, -v84 op_sel_hi:[1,0,0]
	s_delay_alu instid0(VALU_DEP_1) | instskip(SKIP_3) | instid1(VALU_DEP_2)
	v_dual_fmac_f32 v26, v155, v85 :: v_dual_fmac_f32 v25, v122, v0
	v_lshrrev_b32_e32 v0, 16, v20
	s_waitcnt lgkmcnt(1)
	v_bfe_i32 v255, v76, 0, 8
	v_cvt_f32_f16_e32 v0, v0
	v_bfe_i32 v34, v76, 8, 8
	v_bfe_i32 v98, v76, 16, 8
	s_waitcnt lgkmcnt(0)
	v_bfe_i32 v254, v110, 0, 8
	v_ashrrev_i32_e32 v105, 24, v76
	v_mul_f32_e32 v19, 0x41000000, v0
	v_mul_i32_i24_e32 v0, v255, v224
	v_bfe_i32 v109, v77, 0, 8
	v_mul_i32_i24_e32 v42, v34, v225
	v_mul_i32_i24_e32 v70, v98, v227
	v_bfe_i32 v106, v110, 8, 8
	v_mad_i32_i24 v0, v254, v222, v0
	v_bfe_i32 v107, v110, 16, 8
	v_mul_i32_i24_e32 v75, v105, v228
	v_mul_i32_i24_e32 v83, v109, v231
	v_ashrrev_i32_e32 v108, 24, v110
	v_add3_u32 v0, v0, v42, v70
	v_bfe_i32 v47, v111, 0, 8
	v_mul_i32_i24_e32 v80, v106, v229
	v_mul_i32_i24_e32 v81, v107, v223
	v_bfe_i32 v33, v77, 8, 8
	v_add3_u32 v0, v0, v75, v83
	v_bfe_i32 v44, v77, 16, 8
	v_mul_i32_i24_e32 v82, v108, v230
	v_mul_i32_i24_e32 v87, v47, v236
	v_ashrrev_i32_e32 v45, 24, v77
	v_add3_u32 v0, v0, v80, v81
	v_bfe_i32 v51, v78, 0, 8
	v_mul_i32_i24_e32 v84, v33, v232
	v_mul_i32_i24_e32 v85, v44, v233
	v_bfe_i32 v48, v111, 8, 8
	v_add3_u32 v0, v0, v82, v87
	;; [unrolled: 10-line block ×6, first 2 shown]
	v_ashrrev_i32_e32 v79, 24, v113
	v_mul_i32_i24_e32 v103, v73, v250
	v_mul_i32_i24_e32 v110, v77, v252
	v_mul_i32_i24_e32 v111, v78, v241
	v_add3_u32 v0, v0, v101, v102
	v_mul_i32_i24_e32 v112, v79, v253
	v_mul_i32_i24_e32 v42, v34, v192
	v_mul_i32_i24_e32 v70, v98, v194
	v_mul_i32_i24_e32 v75, v105, v195
	v_add3_u32 v0, v0, v103, v110
	v_mul_i32_i24_e32 v83, v109, v199
	;; [unrolled: 5-line block ×3, first 2 shown]
	v_mul_i32_i24_e32 v84, v33, v200
	v_mul_i32_i24_e32 v85, v44, v201
	;; [unrolled: 1-line block ×3, first 2 shown]
	v_cvt_f32_i32_e32 v0, v0
	v_mul_i32_i24_e32 v91, v51, v207
	v_mul_i32_i24_e32 v88, v48, v205
	v_mul_i32_i24_e32 v89, v49, v193
	v_mul_i32_i24_e32 v90, v50, v206
	v_fma_mix_f32 v0, v20, v0, -v19 op_sel_hi:[1,0,0]
	v_mul_i32_i24_e32 v95, v57, v212
	v_mul_i32_i24_e32 v92, v53, v208
	;; [unrolled: 1-line block ×4, first 2 shown]
	v_fmac_f32_e32 v24, v197, v0
	v_mul_i32_i24_e32 v0, v255, v191
	v_mul_i32_i24_e32 v100, v69, v215
	;; [unrolled: 1-line block ×5, first 2 shown]
	v_mad_i32_i24 v0, v254, v189, v0
	v_mul_i32_i24_e32 v104, v76, v219
	v_mul_i32_i24_e32 v101, v71, v216
	v_mul_i32_i24_e32 v102, v72, v217
	v_mul_i32_i24_e32 v103, v73, v218
	v_add3_u32 v0, v0, v42, v70
	v_mul_i32_i24_e32 v110, v77, v220
	v_mul_i32_i24_e32 v111, v78, v209
	v_mul_i32_i24_e32 v112, v79, v221
	v_mul_i32_i24_e32 v42, v34, v159
	v_add3_u32 v0, v0, v75, v83
	v_mul_i32_i24_e32 v70, v98, v161
	v_mul_i32_i24_e32 v75, v105, v162
	v_mul_i32_i24_e32 v83, v109, v165
	v_mul_i32_i24_e32 v130, v106, v130
	v_add3_u32 v0, v0, v80, v81
	v_mul_i32_i24_e32 v80, v106, v163
	v_mul_i32_i24_e32 v81, v107, v157
	;; [unrolled: 1-line block ×3, first 2 shown]
	s_delay_alu instid0(VALU_DEP_4) | instskip(SKIP_2) | instid1(VALU_DEP_3)
	v_add3_u32 v0, v0, v82, v87
	v_mul_i32_i24_e32 v82, v108, v164
	v_mul_i32_i24_e32 v87, v47, v170
	v_add3_u32 v0, v0, v84, v85
	v_mul_i32_i24_e32 v84, v33, v166
	v_mul_i32_i24_e32 v85, v44, v167
	s_delay_alu instid0(VALU_DEP_3) | instskip(SKIP_2) | instid1(VALU_DEP_3)
	v_add3_u32 v0, v0, v86, v91
	v_mul_i32_i24_e32 v86, v45, v168
	v_mul_i32_i24_e32 v91, v51, v173
	v_add3_u32 v0, v0, v88, v89
	v_mul_i32_i24_e32 v88, v48, v171
	v_mul_i32_i24_e32 v89, v49, v160
	s_delay_alu instid0(VALU_DEP_3)
	v_add3_u32 v0, v0, v90, v95
	v_mul_i32_i24_e32 v90, v50, v172
	v_mul_i32_i24_e32 v95, v57, v178
	v_mul_i32_i24_e32 v57, v57, v145
	v_mul_i32_i24_e32 v50, v76, v152
	v_add3_u32 v0, v0, v92, v93
	v_mul_i32_i24_e32 v92, v53, v174
	v_mul_i32_i24_e32 v93, v54, v176
	s_delay_alu instid0(VALU_DEP_3) | instskip(SKIP_2) | instid1(VALU_DEP_3)
	v_add3_u32 v0, v0, v94, v100
	v_mul_i32_i24_e32 v94, v55, v177
	v_mul_i32_i24_e32 v100, v69, v181
	v_add3_u32 v0, v0, v96, v97
	v_mul_i32_i24_e32 v96, v58, v179
	v_mul_i32_i24_e32 v97, v63, v169
	s_delay_alu instid0(VALU_DEP_3) | instskip(SKIP_2) | instid1(VALU_DEP_3)
	v_add3_u32 v0, v0, v99, v104
	v_mul_i32_i24_e32 v99, v67, v180
	v_mul_i32_i24_e32 v104, v76, v185
	;; [unrolled: 7-line block ×3, first 2 shown]
	v_add3_u32 v0, v0, v111, v112
	v_mul_i32_i24_e32 v111, v78, v175
	v_mul_i32_i24_e32 v112, v79, v187
	s_delay_alu instid0(VALU_DEP_3) | instskip(NEXT) | instid1(VALU_DEP_1)
	v_cvt_f32_i32_e32 v0, v0
	v_fma_mix_f32 v0, v20, v0, -v19 op_sel_hi:[1,0,0]
	s_delay_alu instid0(VALU_DEP_1) | instskip(SKIP_1) | instid1(VALU_DEP_1)
	v_fmac_f32_e32 v23, v188, v0
	v_mul_i32_i24_e32 v0, v255, v158
	v_mad_i32_i24 v0, v254, v156, v0
	s_delay_alu instid0(VALU_DEP_1)
	v_add3_u32 v0, v0, v42, v70
	v_mul_i32_i24_e32 v42, v34, v126
	v_mul_i32_i24_e32 v70, v98, v128
	v_mul_i32_i24_e32 v128, v108, v131
	v_mul_i32_i24_e32 v126, v44, v134
	v_add3_u32 v0, v0, v75, v83
	v_mul_i32_i24_e32 v75, v105, v129
	v_mul_i32_i24_e32 v129, v47, v137
	v_mul_i32_i24_e32 v108, v49, v127
	v_mul_i32_i24_e32 v98, v53, v141
	;; [unrolled: 5-line block ×4, first 2 shown]
	v_add3_u32 v0, v0, v84, v85
	v_mul_i32_i24_e32 v44, v73, v151
	v_mul_i32_i24_e32 v45, v77, v153
	;; [unrolled: 1-line block ×3, first 2 shown]
	s_delay_alu instid0(VALU_DEP_4) | instskip(NEXT) | instid1(VALU_DEP_1)
	v_add3_u32 v0, v0, v86, v91
	v_add3_u32 v0, v0, v88, v89
	s_delay_alu instid0(VALU_DEP_1) | instskip(NEXT) | instid1(VALU_DEP_1)
	v_add3_u32 v0, v0, v90, v95
	v_add3_u32 v0, v0, v92, v93
	s_delay_alu instid0(VALU_DEP_1) | instskip(NEXT) | instid1(VALU_DEP_1)
	;; [unrolled: 3-line block ×5, first 2 shown]
	v_cvt_f32_i32_e32 v0, v0
	v_fma_mix_f32 v0, v20, v0, -v19 op_sel_hi:[1,0,0]
	s_delay_alu instid0(VALU_DEP_1)
	v_fmac_f32_e32 v22, v155, v0
	v_mul_i32_i24_e32 v0, v255, v125
	v_mul_i32_i24_e32 v155, v107, v124
	;; [unrolled: 1-line block ×5, first 2 shown]
	v_mad_i32_i24 v0, v254, v123, v0
	v_mul_i32_i24_e32 v51, v58, v146
	v_mul_i32_i24_e32 v48, v72, v150
	;; [unrolled: 1-line block ×3, first 2 shown]
	s_delay_alu instid0(VALU_DEP_4) | instskip(NEXT) | instid1(VALU_DEP_1)
	v_add3_u32 v0, v0, v42, v70
	v_add3_u32 v0, v0, v75, v80
	s_delay_alu instid0(VALU_DEP_1) | instskip(NEXT) | instid1(VALU_DEP_1)
	v_add3_u32 v0, v0, v130, v155
	v_add3_u32 v0, v0, v128, v129
	s_delay_alu instid0(VALU_DEP_1) | instskip(NEXT) | instid1(VALU_DEP_1)
	;; [unrolled: 3-line block ×7, first 2 shown]
	v_add3_u32 v0, v0, v33, v34
	v_cvt_f32_i32_e32 v0, v0
	s_delay_alu instid0(VALU_DEP_1) | instskip(NEXT) | instid1(VALU_DEP_1)
	v_fma_mix_f32 v0, v20, v0, -v19 op_sel_hi:[1,0,0]
	v_fmac_f32_e32 v21, v122, v0
	s_cbranch_scc1 .LBB138_7
; %bb.8:                                ;   in Loop: Header=BB138_6 Depth=1
	s_or_b32 s7, s5, 4
	s_delay_alu instid0(SALU_CYCLE_1)
	s_cmp_ge_i32 s7, s4
	s_barrier
	buffer_gl0_inv
	s_cbranch_scc1 .LBB138_5
; %bb.9:                                ;   in Loop: Header=BB138_6 Depth=1
	s_clause 0x1
	scratch_load_b32 v0, off, off offset:216
	scratch_load_b32 v19, off, off offset:4
	s_mov_b32 s7, 12
	s_waitcnt vmcnt(1)
	v_add_nc_u32_e32 v0, s5, v0
	s_waitcnt vmcnt(0)
	s_delay_alu instid0(VALU_DEP_1)
	v_add_nc_u32_e32 v33, v0, v19
	scratch_load_b32 v19, off, off offset:12 ; 4-byte Folded Reload
	s_waitcnt vmcnt(0)
	v_add_nc_u32_e32 v42, v0, v19
	scratch_load_b32 v19, off, off offset:20 ; 4-byte Folded Reload
	s_waitcnt vmcnt(0)
	v_add_nc_u32_e32 v47, v0, v19
	scratch_load_b32 v19, off, off offset:28 ; 4-byte Folded Reload
	v_mad_i64_i32 v[44:45], null, v47, 36, v[16:17]
	s_waitcnt vmcnt(0)
	v_add_nc_u32_e32 v49, v0, v19
	v_mad_i64_i32 v[19:20], null, v33, 36, v[16:17]
	v_mad_i64_i32 v[33:34], null, v42, 36, v[16:17]
	scratch_load_b32 v42, off, off offset:36 ; 4-byte Folded Reload
	v_mad_i64_i32 v[47:48], null, v49, 36, v[16:17]
	scratch_load_b32 v49, off, off offset:44 ; 4-byte Folded Reload
	s_waitcnt vmcnt(1)
	v_add_nc_u32_e32 v42, v0, v42
	s_waitcnt vmcnt(0)
	v_add_nc_u32_e32 v51, v0, v49
	s_delay_alu instid0(VALU_DEP_2)
	v_mad_i64_i32 v[49:50], null, v42, 36, v[16:17]
	scratch_load_b32 v42, off, off offset:52 ; 4-byte Folded Reload
	v_mad_i64_i32 v[53:54], null, v51, 36, v[16:17]
	scratch_load_b32 v51, off, off offset:60 ; 4-byte Folded Reload
	s_waitcnt vmcnt(1)
	v_add_nc_u32_e32 v42, v0, v42
	s_waitcnt vmcnt(0)
	v_add_nc_u32_e32 v0, v0, v51
	v_add_nc_u32_e32 v51, 4, v114
	s_delay_alu instid0(VALU_DEP_3) | instskip(NEXT) | instid1(VALU_DEP_3)
	v_mad_i64_i32 v[57:58], null, v42, 36, v[16:17]
	v_mad_i64_i32 v[71:72], null, v0, 36, v[16:17]
	s_delay_alu instid0(VALU_DEP_3)
	v_mad_u64_u32 v[76:77], null, v51, 36, s[2:3]
	s_clause 0x8
	global_load_b32 v0, v[19:20], off offset:4
	global_load_b32 v19, v[33:34], off offset:4
	;; [unrolled: 1-line block ×8, first 2 shown]
	global_load_b32 v47, v[76:77], off
	s_clause 0x7
	scratch_load_b32 v114, off, off offset:72
	scratch_load_b32 v115, off, off offset:68
	;; [unrolled: 1-line block ×8, first 2 shown]
	s_waitcnt vmcnt(0)
	ds_store_b32 v48, v0
	scratch_load_b32 v0, off, off offset:16 ; 4-byte Folded Reload
	s_waitcnt vmcnt(0)
	ds_store_b32 v0, v19
	scratch_load_b32 v0, off, off offset:24 ; 4-byte Folded Reload
	;; [unrolled: 3-line block ×7, first 2 shown]
	s_waitcnt vmcnt(0)
	ds_store_b32 v0, v45
	scratch_load_b32 v0, off, off           ; 4-byte Folded Reload
	s_waitcnt vmcnt(0)
	ds_store_b32 v0, v47
	s_waitcnt lgkmcnt(0)
	s_barrier
	buffer_gl0_inv
.LBB138_10:                             ;   Parent Loop BB138_6 Depth=1
                                        ; =>  This Inner Loop Header: Depth=2
	ds_load_b128 v[47:50], v115
	ds_load_b128 v[76:79], v115 offset:16
	ds_load_2addr_b32 v[19:20], v114 offset1:32
	s_add_i32 s7, s7, 4
	s_delay_alu instid0(SALU_CYCLE_1)
	s_cmp_lt_u32 s7, 28
	s_waitcnt lgkmcnt(2)
	v_bfe_i32 v0, v47, 0, 8
	v_bfe_i32 v42, v47, 8, 8
	s_waitcnt lgkmcnt(0)
	v_lshrrev_b32_e32 v33, 16, v19
	v_bfe_i32 v44, v47, 16, 8
	v_ashrrev_i32_e32 v45, 24, v47
	v_bfe_i32 v47, v76, 0, 8
	v_bfe_i32 v55, v48, 0, 8
	v_cvt_f32_f16_e32 v33, v33
	v_bfe_i32 v63, v77, 0, 8
	v_bfe_i32 v71, v49, 0, 8
	;; [unrolled: 1-line block ×4, first 2 shown]
	v_mul_f32_e32 v86, 0x41000000, v33
	ds_load_b32 v196, v117
	ds_load_2addr_b32 v[33:34], v116 offset1:1
	v_bfe_i32 v51, v76, 8, 8
	v_bfe_i32 v53, v76, 16, 8
	v_ashrrev_i32_e32 v54, 24, v76
	v_bfe_i32 v57, v48, 8, 8
	v_bfe_i32 v58, v48, 16, 8
	v_ashrrev_i32_e32 v48, 24, v48
	v_bfe_i32 v67, v77, 8, 8
	v_bfe_i32 v83, v79, 0, 8
	;; [unrolled: 1-line block ×3, first 2 shown]
	v_ashrrev_i32_e32 v70, 24, v77
	v_bfe_i32 v72, v49, 8, 8
	v_bfe_i32 v73, v49, 16, 8
	v_ashrrev_i32_e32 v49, 24, v49
	v_bfe_i32 v76, v78, 8, 8
	v_bfe_i32 v77, v78, 16, 8
	;; [unrolled: 3-line block ×3, first 2 shown]
	v_ashrrev_i32_e32 v50, 24, v50
	s_waitcnt lgkmcnt(0)
	v_bfe_u32 v222, v33, 20, 4
	v_and_b32_e32 v223, 15, v33
	v_bfe_u32 v224, v33, 8, 4
	v_bfe_u32 v226, v33, 16, 4
	;; [unrolled: 1-line block ×5, first 2 shown]
	v_lshrrev_b32_e32 v229, 28, v33
	v_bfe_u32 v225, v34, 20, 4
	v_and_b32_e32 v230, 15, v34
	v_bfe_u32 v231, v34, 8, 4
	v_bfe_u32 v232, v34, 16, 4
	;; [unrolled: 1-line block ×5, first 2 shown]
	v_lshrrev_b32_e32 v237, 28, v34
	ds_load_2addr_b32 v[33:34], v116 offset0:2 offset1:3
	v_mul_i32_i24_e32 v87, v223, v0
	v_mul_i32_i24_e32 v94, v230, v55
	;; [unrolled: 1-line block ×5, first 2 shown]
	v_mad_i32_i24 v87, v221, v47, v87
	v_mul_i32_i24_e32 v90, v227, v45
	v_mul_i32_i24_e32 v91, v228, v51
	;; [unrolled: 1-line block ×4, first 2 shown]
	v_add3_u32 v87, v87, v94, v98
	v_mul_i32_i24_e32 v95, v231, v57
	v_mul_i32_i24_e32 v96, v232, v58
	;; [unrolled: 1-line block ×6, first 2 shown]
	v_bfe_i32 v84, v79, 8, 8
	v_bfe_i32 v85, v79, 16, 8
	s_waitcnt lgkmcnt(0)
	v_and_b32_e32 v238, 15, v33
	v_bfe_u32 v243, v33, 4, 4
	v_and_b32_e32 v246, 15, v34
	v_bfe_u32 v250, v34, 4, 4
	v_bfe_u32 v239, v33, 8, 4
	v_mul_i32_i24_e32 v102, v238, v71
	v_mul_i32_i24_e32 v106, v243, v75
	;; [unrolled: 1-line block ×4, first 2 shown]
	v_bfe_u32 v241, v33, 16, 4
	v_add3_u32 v87, v87, v102, v88
	v_mul_i32_i24_e32 v103, v239, v72
	v_bfe_u32 v242, v33, 24, 4
	v_bfe_u32 v244, v33, 12, 4
	v_mul_i32_i24_e32 v104, v241, v73
	v_add3_u32 v87, v87, v89, v90
	v_bfe_u32 v233, v33, 20, 4
	v_mul_i32_i24_e32 v105, v242, v49
	v_mul_i32_i24_e32 v107, v244, v76
	v_lshrrev_b32_e32 v245, 28, v33
	v_add3_u32 v87, v87, v106, v109
	v_mul_i32_i24_e32 v108, v233, v77
	v_bfe_u32 v247, v34, 8, 4
	v_bfe_u32 v248, v34, 16, 4
	v_mul_i32_i24_e32 v33, v245, v78
	v_add3_u32 v87, v87, v91, v92
	v_bfe_u32 v249, v34, 24, 4
	v_mul_i32_i24_e32 v110, v247, v81
	v_mul_i32_i24_e32 v111, v248, v82
	v_bfe_u32 v251, v34, 12, 4
	v_add3_u32 v87, v87, v93, v95
	v_ashrrev_i32_e32 v79, 24, v79
	v_bfe_u32 v240, v34, 20, 4
	v_mul_i32_i24_e32 v112, v249, v50
	v_mul_i32_i24_e32 v121, v251, v84
	v_add3_u32 v87, v87, v96, v97
	v_lshrrev_b32_e32 v252, 28, v34
	v_mul_i32_i24_e32 v122, v240, v85
	v_add_nc_u32_e32 v117, 4, v117
	s_delay_alu instid0(VALU_DEP_4) | instskip(NEXT) | instid1(VALU_DEP_4)
	v_add3_u32 v87, v87, v113, v99
	v_mul_i32_i24_e32 v34, v252, v79
	s_delay_alu instid0(VALU_DEP_2) | instskip(NEXT) | instid1(VALU_DEP_1)
	v_add3_u32 v87, v87, v100, v101
	v_add3_u32 v87, v87, v103, v104
	s_delay_alu instid0(VALU_DEP_1) | instskip(NEXT) | instid1(VALU_DEP_1)
	v_add3_u32 v87, v87, v105, v107
	v_add3_u32 v33, v87, v108, v33
	s_delay_alu instid0(VALU_DEP_1) | instskip(NEXT) | instid1(VALU_DEP_1)
	;; [unrolled: 3-line block ×3, first 2 shown]
	v_add3_u32 v33, v33, v122, v34
	v_cvt_f32_i32_e32 v33, v33
	s_delay_alu instid0(VALU_DEP_1) | instskip(NEXT) | instid1(VALU_DEP_1)
	v_fma_mix_f32 v33, v19, v33, -v86 op_sel_hi:[1,0,0]
	v_fmac_f32_e32 v35, v196, v33
	v_add_nc_u32_e32 v33, 0x1080, v116
	ds_load_b32 v187, v118
	ds_load_2addr_b32 v[33:34], v33 offset1:1
	v_add_nc_u32_e32 v118, 4, v118
	s_waitcnt lgkmcnt(0)
	v_bfe_u32 v189, v33, 20, 4
	v_and_b32_e32 v190, 15, v33
	v_bfe_u32 v191, v33, 8, 4
	v_bfe_u32 v193, v33, 16, 4
	;; [unrolled: 1-line block ×5, first 2 shown]
	v_lshrrev_b32_e32 v197, 28, v33
	v_add_nc_u32_e32 v33, 0x1088, v116
	v_bfe_u32 v192, v34, 20, 4
	v_and_b32_e32 v198, 15, v34
	v_bfe_u32 v199, v34, 8, 4
	v_bfe_u32 v200, v34, 16, 4
	;; [unrolled: 1-line block ×5, first 2 shown]
	v_lshrrev_b32_e32 v205, 28, v34
	ds_load_2addr_b32 v[33:34], v33 offset1:1
	v_mul_i32_i24_e32 v87, v190, v0
	v_mul_i32_i24_e32 v94, v198, v55
	;; [unrolled: 1-line block ×5, first 2 shown]
	v_mad_i32_i24 v87, v188, v47, v87
	v_mul_i32_i24_e32 v90, v194, v45
	v_mul_i32_i24_e32 v91, v195, v51
	;; [unrolled: 1-line block ×4, first 2 shown]
	v_add3_u32 v87, v87, v94, v98
	v_mul_i32_i24_e32 v95, v199, v57
	v_mul_i32_i24_e32 v96, v200, v58
	v_mul_i32_i24_e32 v97, v201, v48
	v_mul_i32_i24_e32 v99, v204, v67
	v_mul_i32_i24_e32 v100, v192, v69
	v_mul_i32_i24_e32 v101, v205, v70
	s_waitcnt lgkmcnt(0)
	v_and_b32_e32 v206, 15, v33
	v_bfe_u32 v211, v33, 4, 4
	v_and_b32_e32 v214, 15, v34
	v_bfe_u32 v218, v34, 4, 4
	v_bfe_u32 v207, v33, 8, 4
	v_mul_i32_i24_e32 v102, v206, v71
	v_mul_i32_i24_e32 v106, v211, v75
	;; [unrolled: 1-line block ×4, first 2 shown]
	v_bfe_u32 v209, v33, 16, 4
	v_add3_u32 v87, v87, v102, v88
	v_mul_i32_i24_e32 v103, v207, v72
	v_bfe_u32 v210, v33, 24, 4
	v_bfe_u32 v212, v33, 12, 4
	v_mul_i32_i24_e32 v104, v209, v73
	v_add3_u32 v87, v87, v89, v90
	v_bfe_u32 v202, v33, 20, 4
	v_mul_i32_i24_e32 v105, v210, v49
	v_mul_i32_i24_e32 v107, v212, v76
	v_lshrrev_b32_e32 v213, 28, v33
	v_add3_u32 v87, v87, v106, v109
	v_mul_i32_i24_e32 v108, v202, v77
	v_bfe_u32 v215, v34, 8, 4
	v_bfe_u32 v216, v34, 16, 4
	v_mul_i32_i24_e32 v33, v213, v78
	v_add3_u32 v87, v87, v91, v92
	v_bfe_u32 v217, v34, 24, 4
	v_mul_i32_i24_e32 v110, v215, v81
	v_mul_i32_i24_e32 v111, v216, v82
	v_bfe_u32 v219, v34, 12, 4
	v_add3_u32 v87, v87, v93, v95
	v_bfe_u32 v208, v34, 20, 4
	v_mul_i32_i24_e32 v112, v217, v50
	v_lshrrev_b32_e32 v220, 28, v34
	v_mul_i32_i24_e32 v121, v219, v84
	v_add3_u32 v87, v87, v96, v97
	v_mul_i32_i24_e32 v122, v208, v85
	s_delay_alu instid0(VALU_DEP_4) | instskip(NEXT) | instid1(VALU_DEP_3)
	v_mul_i32_i24_e32 v34, v220, v79
	v_add3_u32 v87, v87, v113, v99
	s_delay_alu instid0(VALU_DEP_1) | instskip(NEXT) | instid1(VALU_DEP_1)
	v_add3_u32 v87, v87, v100, v101
	v_add3_u32 v87, v87, v103, v104
	s_delay_alu instid0(VALU_DEP_1) | instskip(NEXT) | instid1(VALU_DEP_1)
	v_add3_u32 v87, v87, v105, v107
	;; [unrolled: 3-line block ×4, first 2 shown]
	v_cvt_f32_i32_e32 v33, v33
	s_delay_alu instid0(VALU_DEP_1) | instskip(NEXT) | instid1(VALU_DEP_1)
	v_fma_mix_f32 v33, v19, v33, -v86 op_sel_hi:[1,0,0]
	v_dual_fmac_f32 v74, v187, v33 :: v_dual_add_nc_u32 v33, 0x2100, v116
	ds_load_b32 v154, v119
	ds_load_2addr_b32 v[33:34], v33 offset1:1
	v_add_nc_u32_e32 v119, 4, v119
	s_waitcnt lgkmcnt(0)
	v_bfe_u32 v156, v33, 20, 4
	v_and_b32_e32 v157, 15, v33
	v_bfe_u32 v158, v33, 8, 4
	v_bfe_u32 v160, v33, 16, 4
	;; [unrolled: 1-line block ×5, first 2 shown]
	v_lshrrev_b32_e32 v163, 28, v33
	v_add_nc_u32_e32 v33, 0x2108, v116
	v_bfe_u32 v159, v34, 20, 4
	v_and_b32_e32 v164, 15, v34
	v_bfe_u32 v165, v34, 8, 4
	v_bfe_u32 v166, v34, 16, 4
	;; [unrolled: 1-line block ×5, first 2 shown]
	v_lshrrev_b32_e32 v171, 28, v34
	ds_load_2addr_b32 v[33:34], v33 offset1:1
	v_mul_i32_i24_e32 v87, v157, v0
	v_mul_i32_i24_e32 v94, v164, v55
	;; [unrolled: 1-line block ×5, first 2 shown]
	v_mad_i32_i24 v87, v155, v47, v87
	v_mul_i32_i24_e32 v90, v161, v45
	v_mul_i32_i24_e32 v91, v162, v51
	v_mul_i32_i24_e32 v92, v156, v53
	v_mul_i32_i24_e32 v93, v163, v54
	v_add3_u32 v87, v87, v94, v98
	v_mul_i32_i24_e32 v95, v165, v57
	v_mul_i32_i24_e32 v96, v166, v58
	;; [unrolled: 1-line block ×6, first 2 shown]
	s_waitcnt lgkmcnt(0)
	v_and_b32_e32 v172, 15, v33
	v_bfe_u32 v177, v33, 4, 4
	v_and_b32_e32 v180, 15, v34
	v_bfe_u32 v184, v34, 4, 4
	v_bfe_u32 v173, v33, 8, 4
	v_mul_i32_i24_e32 v102, v172, v71
	v_mul_i32_i24_e32 v106, v177, v75
	;; [unrolled: 1-line block ×4, first 2 shown]
	v_bfe_u32 v175, v33, 16, 4
	v_add3_u32 v87, v87, v102, v88
	v_mul_i32_i24_e32 v103, v173, v72
	v_bfe_u32 v176, v33, 24, 4
	v_bfe_u32 v178, v33, 12, 4
	v_mul_i32_i24_e32 v104, v175, v73
	v_add3_u32 v87, v87, v89, v90
	v_bfe_u32 v168, v33, 20, 4
	v_mul_i32_i24_e32 v105, v176, v49
	v_mul_i32_i24_e32 v107, v178, v76
	v_lshrrev_b32_e32 v179, 28, v33
	v_add3_u32 v87, v87, v106, v109
	v_mul_i32_i24_e32 v108, v168, v77
	v_bfe_u32 v181, v34, 8, 4
	v_bfe_u32 v182, v34, 16, 4
	v_mul_i32_i24_e32 v33, v179, v78
	v_add3_u32 v87, v87, v91, v92
	v_bfe_u32 v183, v34, 24, 4
	v_mul_i32_i24_e32 v110, v181, v81
	v_mul_i32_i24_e32 v111, v182, v82
	v_bfe_u32 v185, v34, 12, 4
	v_add3_u32 v87, v87, v93, v95
	v_bfe_u32 v174, v34, 20, 4
	v_mul_i32_i24_e32 v112, v183, v50
	v_lshrrev_b32_e32 v186, 28, v34
	v_mul_i32_i24_e32 v121, v185, v84
	v_add3_u32 v87, v87, v96, v97
	v_mul_i32_i24_e32 v122, v174, v85
	s_delay_alu instid0(VALU_DEP_4) | instskip(NEXT) | instid1(VALU_DEP_3)
	v_mul_i32_i24_e32 v34, v186, v79
	v_add3_u32 v87, v87, v113, v99
	s_delay_alu instid0(VALU_DEP_1) | instskip(NEXT) | instid1(VALU_DEP_1)
	v_add3_u32 v87, v87, v100, v101
	v_add3_u32 v87, v87, v103, v104
	s_delay_alu instid0(VALU_DEP_1) | instskip(NEXT) | instid1(VALU_DEP_1)
	v_add3_u32 v87, v87, v105, v107
	;; [unrolled: 3-line block ×4, first 2 shown]
	v_cvt_f32_i32_e32 v33, v33
	s_delay_alu instid0(VALU_DEP_1) | instskip(NEXT) | instid1(VALU_DEP_1)
	v_fma_mix_f32 v33, v19, v33, -v86 op_sel_hi:[1,0,0]
	v_dual_fmac_f32 v68, v154, v33 :: v_dual_add_nc_u32 v33, 0x3180, v116
	ds_load_b32 v121, v120
	ds_load_2addr_b32 v[33:34], v33 offset1:1
	v_add_nc_u32_e32 v120, 4, v120
	s_waitcnt lgkmcnt(0)
	v_bfe_u32 v123, v33, 20, 4
	v_and_b32_e32 v124, 15, v33
	v_bfe_u32 v125, v33, 8, 4
	v_bfe_u32 v127, v33, 16, 4
	;; [unrolled: 1-line block ×5, first 2 shown]
	v_lshrrev_b32_e32 v130, 28, v33
	v_add_nc_u32_e32 v33, 0x3188, v116
	v_bfe_u32 v126, v34, 20, 4
	v_and_b32_e32 v131, 15, v34
	v_bfe_u32 v132, v34, 8, 4
	v_bfe_u32 v133, v34, 16, 4
	;; [unrolled: 1-line block ×5, first 2 shown]
	v_lshrrev_b32_e32 v138, 28, v34
	ds_load_2addr_b32 v[33:34], v33 offset1:1
	v_mul_i32_i24_e32 v0, v124, v0
	v_mul_i32_i24_e32 v55, v131, v55
	;; [unrolled: 1-line block ×5, first 2 shown]
	v_mad_i32_i24 v0, v122, v47, v0
	v_mul_i32_i24_e32 v45, v128, v45
	v_mul_i32_i24_e32 v51, v129, v51
	;; [unrolled: 1-line block ×4, first 2 shown]
	v_add3_u32 v0, v0, v55, v63
	v_mul_i32_i24_e32 v57, v132, v57
	v_mul_i32_i24_e32 v58, v133, v58
	;; [unrolled: 1-line block ×6, first 2 shown]
	v_add_nc_u32_e32 v116, 16, v116
	s_waitcnt lgkmcnt(0)
	v_and_b32_e32 v139, 15, v33
	v_bfe_u32 v144, v33, 4, 4
	v_lshrrev_b32_e32 v146, 28, v33
	v_and_b32_e32 v147, 15, v34
	v_bfe_u32 v135, v33, 20, 4
	v_mul_i32_i24_e32 v71, v139, v71
	v_bfe_u32 v140, v33, 8, 4
	v_bfe_u32 v142, v33, 16, 4
	;; [unrolled: 1-line block ×3, first 2 shown]
	v_mul_i32_i24_e32 v75, v144, v75
	v_add3_u32 v0, v0, v71, v42
	v_bfe_u32 v145, v33, 12, 4
	v_mul_i32_i24_e32 v33, v146, v78
	v_mul_i32_i24_e32 v78, v147, v80
	v_bfe_u32 v148, v34, 8, 4
	v_add3_u32 v0, v0, v44, v45
	v_bfe_u32 v149, v34, 16, 4
	v_bfe_u32 v151, v34, 4, 4
	v_mul_i32_i24_e32 v72, v140, v72
	v_mul_i32_i24_e32 v80, v148, v81
	v_add3_u32 v0, v0, v75, v78
	v_mul_i32_i24_e32 v81, v149, v82
	v_mul_i32_i24_e32 v82, v151, v83
	;; [unrolled: 1-line block ×4, first 2 shown]
	v_add3_u32 v0, v0, v51, v53
	v_mul_i32_i24_e32 v76, v145, v76
	v_mul_i32_i24_e32 v77, v135, v77
	v_bfe_u32 v150, v34, 24, 4
	v_bfe_u32 v152, v34, 12, 4
	v_add3_u32 v0, v0, v54, v57
	v_bfe_u32 v141, v34, 20, 4
	v_lshrrev_b32_e32 v153, 28, v34
	v_mul_i32_i24_e32 v50, v150, v50
	v_mul_i32_i24_e32 v83, v152, v84
	v_add3_u32 v0, v0, v58, v48
	v_mul_i32_i24_e32 v84, v141, v85
	v_mul_i32_i24_e32 v34, v153, v79
	s_delay_alu instid0(VALU_DEP_3) | instskip(NEXT) | instid1(VALU_DEP_1)
	v_add3_u32 v0, v0, v82, v67
	v_add3_u32 v0, v0, v69, v70
	s_delay_alu instid0(VALU_DEP_1) | instskip(NEXT) | instid1(VALU_DEP_1)
	v_add3_u32 v0, v0, v72, v73
	v_add3_u32 v0, v0, v49, v76
	s_delay_alu instid0(VALU_DEP_1) | instskip(NEXT) | instid1(VALU_DEP_1)
	v_add3_u32 v0, v0, v77, v33
	v_add3_u32 v0, v0, v80, v81
	s_delay_alu instid0(VALU_DEP_1) | instskip(SKIP_4) | instid1(VALU_DEP_2)
	v_add3_u32 v0, v0, v50, v83
	ds_load_b128 v[47:50], v115 offset:1024
	ds_load_b128 v[76:79], v115 offset:1040
	v_lshrrev_b32_e32 v83, 16, v20
	v_add3_u32 v0, v0, v84, v34
	v_cvt_f32_f16_e32 v83, v83
	s_delay_alu instid0(VALU_DEP_2) | instskip(NEXT) | instid1(VALU_DEP_2)
	v_cvt_f32_i32_e32 v0, v0
	v_mul_f32_e32 v83, 0x41000000, v83
	s_delay_alu instid0(VALU_DEP_2) | instskip(NEXT) | instid1(VALU_DEP_1)
	v_fma_mix_f32 v0, v19, v0, -v86 op_sel_hi:[1,0,0]
	v_fmac_f32_e32 v66, v121, v0
	s_waitcnt lgkmcnt(1)
	v_bfe_i32 v0, v47, 0, 8
	v_bfe_i32 v19, v47, 8, 8
	;; [unrolled: 1-line block ×3, first 2 shown]
	s_waitcnt lgkmcnt(0)
	v_bfe_i32 v42, v76, 0, 8
	v_ashrrev_i32_e32 v34, 24, v47
	v_mul_i32_i24_e32 v84, v0, v223
	v_bfe_i32 v51, v48, 0, 8
	v_mul_i32_i24_e32 v85, v19, v224
	v_mul_i32_i24_e32 v86, v33, v226
	v_bfe_i32 v44, v76, 8, 8
	v_mad_i32_i24 v84, v42, v221, v84
	v_bfe_i32 v45, v76, 16, 8
	v_mul_i32_i24_e32 v87, v34, v227
	v_mul_i32_i24_e32 v91, v51, v230
	v_ashrrev_i32_e32 v47, 24, v76
	v_add3_u32 v84, v84, v85, v86
	v_bfe_i32 v55, v77, 0, 8
	v_mul_i32_i24_e32 v88, v44, v228
	v_mul_i32_i24_e32 v89, v45, v222
	v_bfe_i32 v53, v48, 8, 8
	v_add3_u32 v84, v84, v87, v91
	v_bfe_i32 v54, v48, 16, 8
	v_mul_i32_i24_e32 v90, v47, v229
	v_mul_i32_i24_e32 v95, v55, v235
	v_ashrrev_i32_e32 v48, 24, v48
	v_add3_u32 v84, v84, v88, v89
	v_bfe_i32 v67, v49, 0, 8
	v_mul_i32_i24_e32 v92, v53, v231
	v_mul_i32_i24_e32 v93, v54, v232
	v_bfe_i32 v57, v77, 8, 8
	v_add3_u32 v84, v84, v90, v95
	;; [unrolled: 10-line block ×6, first 2 shown]
	v_ashrrev_i32_e32 v79, 24, v79
	v_mul_i32_i24_e32 v110, v50, v249
	v_mul_i32_i24_e32 v112, v81, v251
	v_mul_i32_i24_e32 v113, v82, v240
	v_add3_u32 v84, v84, v108, v109
	v_mul_i32_i24_e32 v253, v79, v252
	v_mul_i32_i24_e32 v85, v19, v191
	v_mul_i32_i24_e32 v86, v33, v193
	v_mul_i32_i24_e32 v87, v34, v194
	v_add3_u32 v84, v84, v110, v112
	v_mul_i32_i24_e32 v91, v51, v198
	;; [unrolled: 5-line block ×3, first 2 shown]
	v_mul_i32_i24_e32 v92, v53, v199
	v_mul_i32_i24_e32 v93, v54, v200
	;; [unrolled: 1-line block ×3, first 2 shown]
	v_cvt_f32_i32_e32 v84, v84
	v_mul_i32_i24_e32 v99, v67, v206
	v_mul_i32_i24_e32 v96, v57, v204
	;; [unrolled: 1-line block ×4, first 2 shown]
	v_fma_mix_f32 v84, v20, v84, -v83 op_sel_hi:[1,0,0]
	v_mul_i32_i24_e32 v103, v71, v211
	v_mul_i32_i24_e32 v100, v69, v207
	;; [unrolled: 1-line block ×4, first 2 shown]
	v_fmac_f32_e32 v65, v196, v84
	v_mul_i32_i24_e32 v84, v0, v190
	v_mul_i32_i24_e32 v107, v76, v214
	;; [unrolled: 1-line block ×5, first 2 shown]
	v_mad_i32_i24 v84, v42, v188, v84
	v_mul_i32_i24_e32 v111, v80, v218
	v_mul_i32_i24_e32 v108, v77, v215
	v_mul_i32_i24_e32 v109, v78, v216
	v_mul_i32_i24_e32 v110, v50, v217
	v_add3_u32 v84, v84, v85, v86
	v_mul_i32_i24_e32 v112, v81, v219
	v_mul_i32_i24_e32 v113, v82, v208
	v_mul_i32_i24_e32 v253, v79, v220
	v_mul_i32_i24_e32 v85, v19, v158
	v_add3_u32 v84, v84, v87, v91
	;; [unrolled: 5-line block ×15, first 2 shown]
	v_mul_i32_i24_e32 v113, v82, v174
	v_mul_i32_i24_e32 v253, v79, v186
	v_mul_i32_i24_e32 v50, v50, v150
	v_mul_i32_i24_e32 v81, v81, v152
	v_cvt_f32_i32_e32 v84, v84
	v_mul_i32_i24_e32 v82, v82, v141
	v_mul_i32_i24_e32 v79, v79, v153
	s_delay_alu instid0(VALU_DEP_3) | instskip(NEXT) | instid1(VALU_DEP_1)
	v_fma_mix_f32 v84, v20, v84, -v83 op_sel_hi:[1,0,0]
	v_fmac_f32_e32 v64, v187, v84
	v_mul_i32_i24_e32 v84, v0, v157
	v_mul_i32_i24_e32 v0, v0, v124
	s_delay_alu instid0(VALU_DEP_2) | instskip(NEXT) | instid1(VALU_DEP_2)
	v_mad_i32_i24 v84, v42, v155, v84
	v_mad_i32_i24 v0, v42, v122, v0
	s_delay_alu instid0(VALU_DEP_2) | instskip(NEXT) | instid1(VALU_DEP_2)
	v_add3_u32 v84, v84, v85, v86
	v_add3_u32 v0, v0, v19, v33
	s_delay_alu instid0(VALU_DEP_2) | instskip(NEXT) | instid1(VALU_DEP_2)
	v_add3_u32 v84, v84, v87, v91
	v_add3_u32 v0, v0, v34, v51
	;; [unrolled: 3-line block ×5, first 2 shown]
	s_delay_alu instid0(VALU_DEP_2) | instskip(NEXT) | instid1(VALU_DEP_1)
	v_add3_u32 v84, v84, v94, v99
	v_add3_u32 v84, v84, v96, v97
	s_delay_alu instid0(VALU_DEP_1) | instskip(NEXT) | instid1(VALU_DEP_1)
	v_add3_u32 v84, v84, v98, v103
	v_add3_u32 v84, v84, v100, v101
	s_delay_alu instid0(VALU_DEP_1) | instskip(NEXT) | instid1(VALU_DEP_1)
	;; [unrolled: 3-line block ×5, first 2 shown]
	v_cvt_f32_i32_e32 v84, v84
	v_fma_mix_f32 v84, v20, v84, -v83 op_sel_hi:[1,0,0]
	s_delay_alu instid0(VALU_DEP_1) | instskip(SKIP_1) | instid1(VALU_DEP_1)
	v_fmac_f32_e32 v62, v154, v84
	v_mul_i32_i24_e32 v67, v67, v139
	v_add3_u32 v0, v0, v48, v67
	s_delay_alu instid0(VALU_DEP_1) | instskip(NEXT) | instid1(VALU_DEP_1)
	v_add3_u32 v0, v0, v57, v58
	v_add3_u32 v0, v0, v63, v71
	s_delay_alu instid0(VALU_DEP_1) | instskip(NEXT) | instid1(VALU_DEP_1)
	v_add3_u32 v0, v0, v69, v70
	;; [unrolled: 3-line block ×5, first 2 shown]
	v_cvt_f32_i32_e32 v0, v0
	s_delay_alu instid0(VALU_DEP_1)
	v_fma_mix_f32 v0, v20, v0, -v83 op_sel_hi:[1,0,0]
	ds_load_b128 v[47:50], v115 offset:2048
	ds_load_b128 v[76:79], v115 offset:2064
	ds_load_2addr_b32 v[19:20], v114 offset0:64 offset1:96
	v_fmac_f32_e32 v61, v121, v0
	s_waitcnt lgkmcnt(2)
	v_bfe_i32 v0, v47, 0, 8
	v_bfe_i32 v33, v47, 8, 8
	;; [unrolled: 1-line block ×3, first 2 shown]
	s_waitcnt lgkmcnt(1)
	v_bfe_i32 v44, v76, 0, 8
	v_ashrrev_i32_e32 v42, 24, v47
	v_mul_i32_i24_e32 v85, v0, v223
	v_bfe_i32 v53, v48, 0, 8
	v_mul_i32_i24_e32 v86, v33, v224
	v_mul_i32_i24_e32 v87, v34, v226
	v_bfe_i32 v45, v76, 8, 8
	v_mad_i32_i24 v85, v44, v221, v85
	v_bfe_i32 v47, v76, 16, 8
	v_mul_i32_i24_e32 v88, v42, v227
	v_mul_i32_i24_e32 v92, v53, v230
	v_ashrrev_i32_e32 v51, 24, v76
	v_add3_u32 v85, v85, v86, v87
	v_bfe_i32 v57, v77, 0, 8
	v_mul_i32_i24_e32 v89, v45, v228
	v_mul_i32_i24_e32 v90, v47, v222
	v_bfe_i32 v54, v48, 8, 8
	v_add3_u32 v85, v85, v88, v92
	v_bfe_i32 v55, v48, 16, 8
	v_mul_i32_i24_e32 v91, v51, v229
	v_mul_i32_i24_e32 v96, v57, v235
	v_ashrrev_i32_e32 v48, 24, v48
	v_add3_u32 v85, v85, v89, v90
	v_bfe_i32 v69, v49, 0, 8
	v_mul_i32_i24_e32 v93, v54, v231
	v_mul_i32_i24_e32 v94, v55, v232
	v_bfe_i32 v58, v77, 8, 8
	v_add3_u32 v85, v85, v91, v96
	;; [unrolled: 10-line block ×6, first 2 shown]
	v_ashrrev_i32_e32 v79, 24, v79
	v_mul_i32_i24_e32 v111, v50, v249
	v_mul_i32_i24_e32 v113, v82, v251
	s_waitcnt lgkmcnt(0)
	v_lshrrev_b32_e32 v84, 16, v19
	v_add3_u32 v85, v85, v109, v110
	v_mul_i32_i24_e32 v253, v83, v240
	v_mul_i32_i24_e32 v254, v79, v252
	;; [unrolled: 1-line block ×3, first 2 shown]
	v_cvt_f32_f16_e32 v84, v84
	v_add3_u32 v85, v85, v111, v113
	v_mul_i32_i24_e32 v87, v34, v193
	v_mul_i32_i24_e32 v88, v42, v194
	;; [unrolled: 1-line block ×3, first 2 shown]
	v_mul_f32_e32 v84, 0x41000000, v84
	v_add3_u32 v85, v85, v253, v254
	v_mul_i32_i24_e32 v89, v45, v195
	v_mul_i32_i24_e32 v90, v47, v189
	;; [unrolled: 1-line block ×4, first 2 shown]
	v_cvt_f32_i32_e32 v85, v85
	v_mul_i32_i24_e32 v93, v54, v199
	v_mul_i32_i24_e32 v94, v55, v200
	;; [unrolled: 1-line block ×4, first 2 shown]
	v_fma_mix_f32 v85, v19, v85, -v84 op_sel_hi:[1,0,0]
	v_mul_i32_i24_e32 v97, v58, v204
	v_mul_i32_i24_e32 v98, v63, v192
	;; [unrolled: 1-line block ×4, first 2 shown]
	v_fmac_f32_e32 v60, v196, v85
	v_mul_i32_i24_e32 v85, v0, v190
	v_mul_i32_i24_e32 v101, v70, v207
	;; [unrolled: 1-line block ×5, first 2 shown]
	v_mad_i32_i24 v85, v44, v188, v85
	v_mul_i32_i24_e32 v105, v73, v212
	v_mul_i32_i24_e32 v106, v75, v202
	v_mul_i32_i24_e32 v107, v76, v213
	v_mul_i32_i24_e32 v112, v81, v218
	v_add3_u32 v85, v85, v86, v87
	v_mul_i32_i24_e32 v109, v78, v215
	v_mul_i32_i24_e32 v110, v80, v216
	v_mul_i32_i24_e32 v111, v50, v217
	v_mul_i32_i24_e32 v113, v82, v219
	v_add3_u32 v85, v85, v88, v92
	;; [unrolled: 5-line block ×15, first 2 shown]
	v_mul_i32_i24_e32 v78, v78, v148
	v_mul_i32_i24_e32 v80, v80, v149
	;; [unrolled: 1-line block ×4, first 2 shown]
	v_cvt_f32_i32_e32 v85, v85
	v_mul_i32_i24_e32 v50, v50, v150
	v_mul_i32_i24_e32 v82, v82, v152
	;; [unrolled: 1-line block ×4, first 2 shown]
	v_fma_mix_f32 v85, v19, v85, -v84 op_sel_hi:[1,0,0]
	v_mul_i32_i24_e32 v83, v83, v141
	v_mul_i32_i24_e32 v79, v79, v153
	s_delay_alu instid0(VALU_DEP_3) | instskip(SKIP_2) | instid1(VALU_DEP_2)
	v_fmac_f32_e32 v59, v187, v85
	v_mul_i32_i24_e32 v85, v0, v157
	v_mul_i32_i24_e32 v0, v0, v124
	v_mad_i32_i24 v85, v44, v155, v85
	s_delay_alu instid0(VALU_DEP_2) | instskip(NEXT) | instid1(VALU_DEP_2)
	v_mad_i32_i24 v0, v44, v122, v0
	v_add3_u32 v85, v85, v86, v87
	s_delay_alu instid0(VALU_DEP_2) | instskip(NEXT) | instid1(VALU_DEP_2)
	v_add3_u32 v0, v0, v33, v34
	v_add3_u32 v85, v85, v88, v92
	s_delay_alu instid0(VALU_DEP_2) | instskip(NEXT) | instid1(VALU_DEP_2)
	v_add3_u32 v0, v0, v42, v53
	;; [unrolled: 3-line block ×14, first 2 shown]
	v_add3_u32 v85, v85, v253, v254
	s_delay_alu instid0(VALU_DEP_2)
	v_add3_u32 v0, v0, v83, v79
	ds_load_b128 v[47:50], v115 offset:3072
	ds_load_b128 v[76:79], v115 offset:3088
	v_lshrrev_b32_e32 v83, 16, v20
	v_cvt_f32_i32_e32 v85, v85
	v_cvt_f32_i32_e32 v0, v0
	s_delay_alu instid0(VALU_DEP_3) | instskip(NEXT) | instid1(VALU_DEP_3)
	v_cvt_f32_f16_e32 v83, v83
	v_fma_mix_f32 v85, v19, v85, -v84 op_sel_hi:[1,0,0]
	s_delay_alu instid0(VALU_DEP_3) | instskip(NEXT) | instid1(VALU_DEP_2)
	v_fma_mix_f32 v0, v19, v0, -v84 op_sel_hi:[1,0,0]
	v_dual_mul_f32 v83, 0x41000000, v83 :: v_dual_fmac_f32 v56, v154, v85
	s_delay_alu instid0(VALU_DEP_2)
	v_fmac_f32_e32 v52, v121, v0
	s_waitcnt lgkmcnt(1)
	v_bfe_i32 v0, v47, 0, 8
	v_bfe_i32 v19, v47, 8, 8
	;; [unrolled: 1-line block ×3, first 2 shown]
	s_waitcnt lgkmcnt(0)
	v_bfe_i32 v42, v76, 0, 8
	v_ashrrev_i32_e32 v34, 24, v47
	v_mul_i32_i24_e32 v84, v0, v223
	v_bfe_i32 v51, v48, 0, 8
	v_mul_i32_i24_e32 v85, v19, v224
	v_mul_i32_i24_e32 v86, v33, v226
	v_bfe_i32 v44, v76, 8, 8
	v_mad_i32_i24 v84, v42, v221, v84
	v_bfe_i32 v45, v76, 16, 8
	v_mul_i32_i24_e32 v87, v34, v227
	v_mul_i32_i24_e32 v91, v51, v230
	v_ashrrev_i32_e32 v47, 24, v76
	v_add3_u32 v84, v84, v85, v86
	v_bfe_i32 v55, v77, 0, 8
	v_mul_i32_i24_e32 v88, v44, v228
	v_mul_i32_i24_e32 v89, v45, v222
	v_bfe_i32 v53, v48, 8, 8
	v_add3_u32 v84, v84, v87, v91
	v_bfe_i32 v54, v48, 16, 8
	v_mul_i32_i24_e32 v90, v47, v229
	v_mul_i32_i24_e32 v95, v55, v235
	v_ashrrev_i32_e32 v48, 24, v48
	v_add3_u32 v84, v84, v88, v89
	v_bfe_i32 v67, v49, 0, 8
	v_mul_i32_i24_e32 v92, v53, v231
	v_mul_i32_i24_e32 v93, v54, v232
	v_bfe_i32 v57, v77, 8, 8
	v_add3_u32 v84, v84, v90, v95
	;; [unrolled: 10-line block ×6, first 2 shown]
	v_ashrrev_i32_e32 v79, 24, v79
	v_mul_i32_i24_e32 v110, v50, v249
	v_mul_i32_i24_e32 v112, v81, v251
	v_mul_i32_i24_e32 v113, v82, v240
	v_add3_u32 v84, v84, v108, v109
	v_mul_i32_i24_e32 v253, v79, v252
	v_mul_i32_i24_e32 v85, v19, v191
	v_mul_i32_i24_e32 v86, v33, v193
	v_mul_i32_i24_e32 v87, v34, v194
	v_add3_u32 v84, v84, v110, v112
	v_mul_i32_i24_e32 v91, v51, v198
	v_mul_i32_i24_e32 v88, v44, v195
	v_mul_i32_i24_e32 v89, v45, v189
	v_mul_i32_i24_e32 v90, v47, v197
	v_add3_u32 v84, v84, v113, v253
	v_mul_i32_i24_e32 v95, v55, v203
	v_mul_i32_i24_e32 v92, v53, v199
	v_mul_i32_i24_e32 v93, v54, v200
	;; [unrolled: 1-line block ×3, first 2 shown]
	v_cvt_f32_i32_e32 v84, v84
	v_mul_i32_i24_e32 v99, v67, v206
	v_mul_i32_i24_e32 v96, v57, v204
	v_mul_i32_i24_e32 v97, v58, v192
	v_mul_i32_i24_e32 v98, v63, v205
	v_fma_mix_f32 v84, v20, v84, -v83 op_sel_hi:[1,0,0]
	v_mul_i32_i24_e32 v103, v71, v211
	v_mul_i32_i24_e32 v100, v69, v207
	;; [unrolled: 1-line block ×4, first 2 shown]
	v_fmac_f32_e32 v46, v196, v84
	v_mul_i32_i24_e32 v84, v0, v190
	v_mul_i32_i24_e32 v107, v76, v214
	;; [unrolled: 1-line block ×5, first 2 shown]
	v_mad_i32_i24 v84, v42, v188, v84
	v_mul_i32_i24_e32 v111, v80, v218
	v_mul_i32_i24_e32 v108, v77, v215
	v_mul_i32_i24_e32 v109, v78, v216
	v_mul_i32_i24_e32 v110, v50, v217
	v_add3_u32 v84, v84, v85, v86
	v_mul_i32_i24_e32 v112, v81, v219
	v_mul_i32_i24_e32 v113, v82, v208
	v_mul_i32_i24_e32 v253, v79, v220
	v_mul_i32_i24_e32 v85, v19, v158
	v_add3_u32 v84, v84, v87, v91
	;; [unrolled: 5-line block ×15, first 2 shown]
	v_mul_i32_i24_e32 v112, v81, v185
	v_mul_i32_i24_e32 v50, v50, v150
	;; [unrolled: 1-line block ×4, first 2 shown]
	v_cvt_f32_i32_e32 v84, v84
	v_mul_i32_i24_e32 v253, v79, v186
	v_mul_i32_i24_e32 v82, v82, v141
	;; [unrolled: 1-line block ×3, first 2 shown]
	s_delay_alu instid0(VALU_DEP_4) | instskip(NEXT) | instid1(VALU_DEP_1)
	v_fma_mix_f32 v84, v20, v84, -v83 op_sel_hi:[1,0,0]
	v_fmac_f32_e32 v43, v187, v84
	v_mul_i32_i24_e32 v84, v0, v157
	v_mul_i32_i24_e32 v0, v0, v124
	s_delay_alu instid0(VALU_DEP_2) | instskip(NEXT) | instid1(VALU_DEP_2)
	v_mad_i32_i24 v84, v42, v155, v84
	v_mad_i32_i24 v0, v42, v122, v0
	s_delay_alu instid0(VALU_DEP_2) | instskip(NEXT) | instid1(VALU_DEP_2)
	v_add3_u32 v84, v84, v85, v86
	v_add3_u32 v0, v0, v19, v33
	s_delay_alu instid0(VALU_DEP_2) | instskip(NEXT) | instid1(VALU_DEP_2)
	v_add3_u32 v84, v84, v87, v91
	v_add3_u32 v0, v0, v34, v51
	;; [unrolled: 3-line block ×15, first 2 shown]
	s_delay_alu instid0(VALU_DEP_2) | instskip(NEXT) | instid1(VALU_DEP_2)
	v_cvt_f32_i32_e32 v84, v84
	v_cvt_f32_i32_e32 v0, v0
	s_delay_alu instid0(VALU_DEP_2) | instskip(NEXT) | instid1(VALU_DEP_2)
	v_fma_mix_f32 v84, v20, v84, -v83 op_sel_hi:[1,0,0]
	v_fma_mix_f32 v0, v20, v0, -v83 op_sel_hi:[1,0,0]
	ds_load_b128 v[47:50], v115 offset:4096
	ds_load_b128 v[76:79], v115 offset:4112
	ds_load_2addr_b32 v[19:20], v114 offset0:128 offset1:160
	v_fmac_f32_e32 v41, v154, v84
	v_fmac_f32_e32 v40, v121, v0
	s_waitcnt lgkmcnt(2)
	v_bfe_i32 v0, v47, 0, 8
	v_bfe_i32 v33, v47, 8, 8
	;; [unrolled: 1-line block ×3, first 2 shown]
	s_waitcnt lgkmcnt(1)
	v_bfe_i32 v44, v76, 0, 8
	v_ashrrev_i32_e32 v42, 24, v47
	v_mul_i32_i24_e32 v85, v0, v223
	v_bfe_i32 v53, v48, 0, 8
	v_mul_i32_i24_e32 v86, v33, v224
	v_mul_i32_i24_e32 v87, v34, v226
	v_bfe_i32 v45, v76, 8, 8
	v_mad_i32_i24 v85, v44, v221, v85
	v_bfe_i32 v47, v76, 16, 8
	v_mul_i32_i24_e32 v88, v42, v227
	v_mul_i32_i24_e32 v92, v53, v230
	v_ashrrev_i32_e32 v51, 24, v76
	v_add3_u32 v85, v85, v86, v87
	v_bfe_i32 v57, v77, 0, 8
	v_mul_i32_i24_e32 v89, v45, v228
	v_mul_i32_i24_e32 v90, v47, v222
	v_bfe_i32 v54, v48, 8, 8
	v_add3_u32 v85, v85, v88, v92
	v_bfe_i32 v55, v48, 16, 8
	v_mul_i32_i24_e32 v91, v51, v229
	v_mul_i32_i24_e32 v96, v57, v235
	v_ashrrev_i32_e32 v48, 24, v48
	v_add3_u32 v85, v85, v89, v90
	v_bfe_i32 v69, v49, 0, 8
	v_mul_i32_i24_e32 v93, v54, v231
	v_mul_i32_i24_e32 v94, v55, v232
	v_bfe_i32 v58, v77, 8, 8
	v_add3_u32 v85, v85, v91, v96
	;; [unrolled: 10-line block ×6, first 2 shown]
	v_ashrrev_i32_e32 v79, 24, v79
	v_mul_i32_i24_e32 v111, v50, v249
	v_mul_i32_i24_e32 v113, v82, v251
	s_waitcnt lgkmcnt(0)
	v_lshrrev_b32_e32 v84, 16, v19
	v_add3_u32 v85, v85, v109, v110
	v_mul_i32_i24_e32 v253, v83, v240
	v_mul_i32_i24_e32 v254, v79, v252
	;; [unrolled: 1-line block ×3, first 2 shown]
	v_cvt_f32_f16_e32 v84, v84
	v_add3_u32 v85, v85, v111, v113
	v_mul_i32_i24_e32 v87, v34, v193
	v_mul_i32_i24_e32 v88, v42, v194
	;; [unrolled: 1-line block ×3, first 2 shown]
	v_mul_f32_e32 v84, 0x41000000, v84
	v_add3_u32 v85, v85, v253, v254
	v_mul_i32_i24_e32 v89, v45, v195
	v_mul_i32_i24_e32 v90, v47, v189
	;; [unrolled: 1-line block ×4, first 2 shown]
	v_cvt_f32_i32_e32 v85, v85
	v_mul_i32_i24_e32 v93, v54, v199
	v_mul_i32_i24_e32 v94, v55, v200
	;; [unrolled: 1-line block ×4, first 2 shown]
	v_fma_mix_f32 v85, v19, v85, -v84 op_sel_hi:[1,0,0]
	v_mul_i32_i24_e32 v97, v58, v204
	v_mul_i32_i24_e32 v98, v63, v192
	;; [unrolled: 1-line block ×4, first 2 shown]
	v_fmac_f32_e32 v39, v196, v85
	v_mul_i32_i24_e32 v85, v0, v190
	v_mul_i32_i24_e32 v101, v70, v207
	;; [unrolled: 1-line block ×5, first 2 shown]
	v_mad_i32_i24 v85, v44, v188, v85
	v_mul_i32_i24_e32 v105, v73, v212
	v_mul_i32_i24_e32 v106, v75, v202
	v_mul_i32_i24_e32 v107, v76, v213
	v_mul_i32_i24_e32 v112, v81, v218
	v_add3_u32 v85, v85, v86, v87
	v_mul_i32_i24_e32 v109, v78, v215
	v_mul_i32_i24_e32 v110, v80, v216
	v_mul_i32_i24_e32 v111, v50, v217
	v_mul_i32_i24_e32 v113, v82, v219
	v_add3_u32 v85, v85, v88, v92
	;; [unrolled: 5-line block ×15, first 2 shown]
	v_mul_i32_i24_e32 v78, v78, v148
	v_mul_i32_i24_e32 v80, v80, v149
	;; [unrolled: 1-line block ×4, first 2 shown]
	v_cvt_f32_i32_e32 v85, v85
	v_mul_i32_i24_e32 v50, v50, v150
	v_mul_i32_i24_e32 v82, v82, v152
	v_mul_i32_i24_e32 v253, v83, v174
	v_mul_i32_i24_e32 v254, v79, v186
	v_fma_mix_f32 v85, v19, v85, -v84 op_sel_hi:[1,0,0]
	v_mul_i32_i24_e32 v83, v83, v141
	v_mul_i32_i24_e32 v79, v79, v153
	s_delay_alu instid0(VALU_DEP_3) | instskip(SKIP_2) | instid1(VALU_DEP_2)
	v_fmac_f32_e32 v38, v187, v85
	v_mul_i32_i24_e32 v85, v0, v157
	v_mul_i32_i24_e32 v0, v0, v124
	v_mad_i32_i24 v85, v44, v155, v85
	s_delay_alu instid0(VALU_DEP_2) | instskip(NEXT) | instid1(VALU_DEP_2)
	v_mad_i32_i24 v0, v44, v122, v0
	v_add3_u32 v85, v85, v86, v87
	s_delay_alu instid0(VALU_DEP_2) | instskip(NEXT) | instid1(VALU_DEP_2)
	v_add3_u32 v0, v0, v33, v34
	v_add3_u32 v85, v85, v88, v92
	s_delay_alu instid0(VALU_DEP_2) | instskip(NEXT) | instid1(VALU_DEP_2)
	v_add3_u32 v0, v0, v42, v53
	;; [unrolled: 3-line block ×14, first 2 shown]
	v_add3_u32 v85, v85, v253, v254
	s_delay_alu instid0(VALU_DEP_2)
	v_add3_u32 v0, v0, v83, v79
	ds_load_b128 v[47:50], v115 offset:5120
	ds_load_b128 v[76:79], v115 offset:5136
	v_lshrrev_b32_e32 v83, 16, v20
	v_cvt_f32_i32_e32 v85, v85
	v_cvt_f32_i32_e32 v0, v0
	s_delay_alu instid0(VALU_DEP_3) | instskip(NEXT) | instid1(VALU_DEP_3)
	v_cvt_f32_f16_e32 v83, v83
	v_fma_mix_f32 v85, v19, v85, -v84 op_sel_hi:[1,0,0]
	s_delay_alu instid0(VALU_DEP_3) | instskip(NEXT) | instid1(VALU_DEP_3)
	v_fma_mix_f32 v0, v19, v0, -v84 op_sel_hi:[1,0,0]
	v_mul_f32_e32 v83, 0x41000000, v83
	s_delay_alu instid0(VALU_DEP_2)
	v_dual_fmac_f32 v37, v154, v85 :: v_dual_fmac_f32 v36, v121, v0
	s_waitcnt lgkmcnt(1)
	v_bfe_i32 v0, v47, 0, 8
	v_bfe_i32 v19, v47, 8, 8
	;; [unrolled: 1-line block ×3, first 2 shown]
	s_waitcnt lgkmcnt(0)
	v_bfe_i32 v42, v76, 0, 8
	v_ashrrev_i32_e32 v34, 24, v47
	v_mul_i32_i24_e32 v84, v0, v223
	v_bfe_i32 v51, v48, 0, 8
	v_mul_i32_i24_e32 v85, v19, v224
	v_mul_i32_i24_e32 v86, v33, v226
	v_bfe_i32 v44, v76, 8, 8
	v_mad_i32_i24 v84, v42, v221, v84
	v_bfe_i32 v45, v76, 16, 8
	v_mul_i32_i24_e32 v87, v34, v227
	v_mul_i32_i24_e32 v91, v51, v230
	v_ashrrev_i32_e32 v47, 24, v76
	v_add3_u32 v84, v84, v85, v86
	v_bfe_i32 v55, v77, 0, 8
	v_mul_i32_i24_e32 v88, v44, v228
	v_mul_i32_i24_e32 v89, v45, v222
	v_bfe_i32 v53, v48, 8, 8
	v_add3_u32 v84, v84, v87, v91
	v_bfe_i32 v54, v48, 16, 8
	v_mul_i32_i24_e32 v90, v47, v229
	v_mul_i32_i24_e32 v95, v55, v235
	v_ashrrev_i32_e32 v48, 24, v48
	v_add3_u32 v84, v84, v88, v89
	v_bfe_i32 v67, v49, 0, 8
	v_mul_i32_i24_e32 v92, v53, v231
	v_mul_i32_i24_e32 v93, v54, v232
	v_bfe_i32 v57, v77, 8, 8
	v_add3_u32 v84, v84, v90, v95
	;; [unrolled: 10-line block ×6, first 2 shown]
	v_ashrrev_i32_e32 v79, 24, v79
	v_mul_i32_i24_e32 v110, v50, v249
	v_mul_i32_i24_e32 v112, v81, v251
	v_mul_i32_i24_e32 v113, v82, v240
	v_add3_u32 v84, v84, v108, v109
	v_mul_i32_i24_e32 v253, v79, v252
	v_mul_i32_i24_e32 v85, v19, v191
	v_mul_i32_i24_e32 v86, v33, v193
	v_mul_i32_i24_e32 v87, v34, v194
	v_add3_u32 v84, v84, v110, v112
	v_mul_i32_i24_e32 v91, v51, v198
	;; [unrolled: 5-line block ×3, first 2 shown]
	v_mul_i32_i24_e32 v92, v53, v199
	v_mul_i32_i24_e32 v93, v54, v200
	;; [unrolled: 1-line block ×3, first 2 shown]
	v_cvt_f32_i32_e32 v84, v84
	v_mul_i32_i24_e32 v99, v67, v206
	v_mul_i32_i24_e32 v96, v57, v204
	;; [unrolled: 1-line block ×4, first 2 shown]
	v_fma_mix_f32 v84, v20, v84, -v83 op_sel_hi:[1,0,0]
	v_mul_i32_i24_e32 v103, v71, v211
	v_mul_i32_i24_e32 v100, v69, v207
	;; [unrolled: 1-line block ×4, first 2 shown]
	v_fmac_f32_e32 v32, v196, v84
	v_mul_i32_i24_e32 v84, v0, v190
	v_mul_i32_i24_e32 v107, v76, v214
	;; [unrolled: 1-line block ×5, first 2 shown]
	v_mad_i32_i24 v84, v42, v188, v84
	v_mul_i32_i24_e32 v111, v80, v218
	v_mul_i32_i24_e32 v108, v77, v215
	v_mul_i32_i24_e32 v109, v78, v216
	v_mul_i32_i24_e32 v110, v50, v217
	v_add3_u32 v84, v84, v85, v86
	v_mul_i32_i24_e32 v112, v81, v219
	v_mul_i32_i24_e32 v113, v82, v208
	v_mul_i32_i24_e32 v253, v79, v220
	v_mul_i32_i24_e32 v85, v19, v158
	v_add3_u32 v84, v84, v87, v91
	;; [unrolled: 5-line block ×15, first 2 shown]
	v_mul_i32_i24_e32 v112, v81, v185
	v_mul_i32_i24_e32 v50, v50, v150
	;; [unrolled: 1-line block ×4, first 2 shown]
	v_cvt_f32_i32_e32 v84, v84
	v_mul_i32_i24_e32 v253, v79, v186
	v_mul_i32_i24_e32 v82, v82, v141
	;; [unrolled: 1-line block ×3, first 2 shown]
	s_delay_alu instid0(VALU_DEP_4) | instskip(NEXT) | instid1(VALU_DEP_1)
	v_fma_mix_f32 v84, v20, v84, -v83 op_sel_hi:[1,0,0]
	v_fmac_f32_e32 v31, v187, v84
	v_mul_i32_i24_e32 v84, v0, v157
	v_mul_i32_i24_e32 v0, v0, v124
	s_delay_alu instid0(VALU_DEP_2) | instskip(NEXT) | instid1(VALU_DEP_2)
	v_mad_i32_i24 v84, v42, v155, v84
	v_mad_i32_i24 v0, v42, v122, v0
	s_delay_alu instid0(VALU_DEP_2) | instskip(NEXT) | instid1(VALU_DEP_2)
	v_add3_u32 v84, v84, v85, v86
	v_add3_u32 v0, v0, v19, v33
	s_delay_alu instid0(VALU_DEP_2) | instskip(NEXT) | instid1(VALU_DEP_2)
	v_add3_u32 v84, v84, v87, v91
	v_add3_u32 v0, v0, v34, v51
	;; [unrolled: 3-line block ×15, first 2 shown]
	s_delay_alu instid0(VALU_DEP_2) | instskip(NEXT) | instid1(VALU_DEP_2)
	v_cvt_f32_i32_e32 v84, v84
	v_cvt_f32_i32_e32 v0, v0
	s_delay_alu instid0(VALU_DEP_2) | instskip(NEXT) | instid1(VALU_DEP_2)
	v_fma_mix_f32 v84, v20, v84, -v83 op_sel_hi:[1,0,0]
	v_fma_mix_f32 v0, v20, v0, -v83 op_sel_hi:[1,0,0]
	ds_load_b128 v[47:50], v115 offset:6144
	ds_load_b128 v[76:79], v115 offset:6160
	ds_load_2addr_b32 v[19:20], v114 offset0:192 offset1:224
	v_add_nc_u32_e32 v114, 4, v114
	v_fmac_f32_e32 v30, v154, v84
	v_fmac_f32_e32 v29, v121, v0
	s_waitcnt lgkmcnt(2)
	v_bfe_i32 v0, v47, 0, 8
	v_bfe_i32 v33, v47, 8, 8
	;; [unrolled: 1-line block ×3, first 2 shown]
	s_waitcnt lgkmcnt(1)
	v_bfe_i32 v44, v76, 0, 8
	v_ashrrev_i32_e32 v42, 24, v47
	v_mul_i32_i24_e32 v85, v0, v223
	v_bfe_i32 v53, v48, 0, 8
	v_mul_i32_i24_e32 v86, v33, v224
	v_mul_i32_i24_e32 v87, v34, v226
	v_bfe_i32 v45, v76, 8, 8
	v_mad_i32_i24 v85, v44, v221, v85
	v_bfe_i32 v47, v76, 16, 8
	v_mul_i32_i24_e32 v88, v42, v227
	v_mul_i32_i24_e32 v92, v53, v230
	v_ashrrev_i32_e32 v51, 24, v76
	v_add3_u32 v85, v85, v86, v87
	v_bfe_i32 v57, v77, 0, 8
	v_mul_i32_i24_e32 v89, v45, v228
	v_mul_i32_i24_e32 v90, v47, v222
	v_bfe_i32 v54, v48, 8, 8
	v_add3_u32 v85, v85, v88, v92
	v_bfe_i32 v55, v48, 16, 8
	v_mul_i32_i24_e32 v91, v51, v229
	v_mul_i32_i24_e32 v96, v57, v235
	v_ashrrev_i32_e32 v48, 24, v48
	v_add3_u32 v85, v85, v89, v90
	v_bfe_i32 v69, v49, 0, 8
	v_mul_i32_i24_e32 v93, v54, v231
	v_mul_i32_i24_e32 v94, v55, v232
	v_bfe_i32 v58, v77, 8, 8
	v_add3_u32 v85, v85, v91, v96
	;; [unrolled: 10-line block ×6, first 2 shown]
	v_ashrrev_i32_e32 v79, 24, v79
	v_mul_i32_i24_e32 v111, v50, v249
	v_mul_i32_i24_e32 v113, v82, v251
	s_waitcnt lgkmcnt(0)
	v_lshrrev_b32_e32 v84, 16, v19
	v_add3_u32 v85, v85, v109, v110
	v_mul_i32_i24_e32 v253, v83, v240
	v_mul_i32_i24_e32 v254, v79, v252
	;; [unrolled: 1-line block ×3, first 2 shown]
	v_cvt_f32_f16_e32 v84, v84
	v_add3_u32 v85, v85, v111, v113
	v_mul_i32_i24_e32 v87, v34, v193
	v_mul_i32_i24_e32 v88, v42, v194
	v_mul_i32_i24_e32 v92, v53, v198
	v_mul_f32_e32 v84, 0x41000000, v84
	v_add3_u32 v85, v85, v253, v254
	v_mul_i32_i24_e32 v89, v45, v195
	v_mul_i32_i24_e32 v90, v47, v189
	;; [unrolled: 1-line block ×4, first 2 shown]
	v_cvt_f32_i32_e32 v85, v85
	v_mul_i32_i24_e32 v93, v54, v199
	v_mul_i32_i24_e32 v94, v55, v200
	;; [unrolled: 1-line block ×4, first 2 shown]
	v_fma_mix_f32 v85, v19, v85, -v84 op_sel_hi:[1,0,0]
	v_mul_i32_i24_e32 v97, v58, v204
	v_mul_i32_i24_e32 v98, v63, v192
	;; [unrolled: 1-line block ×4, first 2 shown]
	v_fmac_f32_e32 v28, v196, v85
	v_mul_i32_i24_e32 v85, v0, v190
	v_mul_i32_i24_e32 v101, v70, v207
	;; [unrolled: 1-line block ×5, first 2 shown]
	v_mad_i32_i24 v85, v44, v188, v85
	v_mul_i32_i24_e32 v105, v73, v212
	v_mul_i32_i24_e32 v106, v75, v202
	v_mul_i32_i24_e32 v107, v76, v213
	v_mul_i32_i24_e32 v112, v81, v218
	v_add3_u32 v85, v85, v86, v87
	v_mul_i32_i24_e32 v109, v78, v215
	v_mul_i32_i24_e32 v110, v80, v216
	v_mul_i32_i24_e32 v111, v50, v217
	v_mul_i32_i24_e32 v113, v82, v219
	v_add3_u32 v85, v85, v88, v92
	;; [unrolled: 5-line block ×15, first 2 shown]
	v_mul_i32_i24_e32 v78, v78, v148
	v_mul_i32_i24_e32 v80, v80, v149
	;; [unrolled: 1-line block ×4, first 2 shown]
	v_cvt_f32_i32_e32 v85, v85
	v_mul_i32_i24_e32 v50, v50, v150
	v_mul_i32_i24_e32 v82, v82, v152
	;; [unrolled: 1-line block ×4, first 2 shown]
	v_fma_mix_f32 v85, v19, v85, -v84 op_sel_hi:[1,0,0]
	v_mul_i32_i24_e32 v83, v83, v141
	v_mul_i32_i24_e32 v79, v79, v153
	s_delay_alu instid0(VALU_DEP_3) | instskip(SKIP_2) | instid1(VALU_DEP_2)
	v_fmac_f32_e32 v27, v187, v85
	v_mul_i32_i24_e32 v85, v0, v157
	v_mul_i32_i24_e32 v0, v0, v124
	v_mad_i32_i24 v85, v44, v155, v85
	s_delay_alu instid0(VALU_DEP_2) | instskip(NEXT) | instid1(VALU_DEP_2)
	v_mad_i32_i24 v0, v44, v122, v0
	v_add3_u32 v85, v85, v86, v87
	s_delay_alu instid0(VALU_DEP_2) | instskip(NEXT) | instid1(VALU_DEP_2)
	v_add3_u32 v0, v0, v33, v34
	v_add3_u32 v85, v85, v88, v92
	s_delay_alu instid0(VALU_DEP_2) | instskip(NEXT) | instid1(VALU_DEP_2)
	v_add3_u32 v0, v0, v42, v53
	;; [unrolled: 3-line block ×14, first 2 shown]
	v_add3_u32 v85, v85, v253, v254
	s_delay_alu instid0(VALU_DEP_2)
	v_add3_u32 v0, v0, v83, v79
	ds_load_b128 v[76:79], v115 offset:7168
	ds_load_b128 v[108:111], v115 offset:7184
	v_add_nc_u32_e32 v115, 32, v115
	v_cvt_f32_i32_e32 v85, v85
	v_cvt_f32_i32_e32 v0, v0
	s_delay_alu instid0(VALU_DEP_2) | instskip(NEXT) | instid1(VALU_DEP_2)
	v_fma_mix_f32 v85, v19, v85, -v84 op_sel_hi:[1,0,0]
	v_fma_mix_f32 v0, v19, v0, -v84 op_sel_hi:[1,0,0]
	s_delay_alu instid0(VALU_DEP_1) | instskip(SKIP_3) | instid1(VALU_DEP_2)
	v_dual_fmac_f32 v26, v154, v85 :: v_dual_fmac_f32 v25, v121, v0
	v_lshrrev_b32_e32 v0, 16, v20
	s_waitcnt lgkmcnt(1)
	v_bfe_i32 v34, v76, 0, 8
	v_cvt_f32_f16_e32 v0, v0
	v_bfe_i32 v98, v76, 8, 8
	v_bfe_i32 v105, v76, 16, 8
	s_waitcnt lgkmcnt(0)
	v_bfe_i32 v253, v108, 0, 8
	v_ashrrev_i32_e32 v254, 24, v76
	v_mul_f32_e32 v19, 0x41000000, v0
	v_mul_i32_i24_e32 v0, v34, v223
	v_bfe_i32 v33, v77, 0, 8
	v_mul_i32_i24_e32 v42, v98, v224
	v_mul_i32_i24_e32 v70, v105, v226
	v_bfe_i32 v106, v108, 8, 8
	v_mad_i32_i24 v0, v253, v221, v0
	v_bfe_i32 v107, v108, 16, 8
	v_mul_i32_i24_e32 v75, v254, v227
	v_mul_i32_i24_e32 v83, v33, v230
	v_ashrrev_i32_e32 v108, 24, v108
	v_add3_u32 v0, v0, v42, v70
	v_bfe_i32 v48, v109, 0, 8
	v_mul_i32_i24_e32 v80, v106, v228
	v_mul_i32_i24_e32 v81, v107, v222
	v_bfe_i32 v44, v77, 8, 8
	v_add3_u32 v0, v0, v75, v83
	v_bfe_i32 v45, v77, 16, 8
	v_mul_i32_i24_e32 v82, v108, v229
	v_mul_i32_i24_e32 v87, v48, v235
	v_ashrrev_i32_e32 v47, 24, v77
	v_add3_u32 v0, v0, v80, v81
	v_bfe_i32 v51, v78, 0, 8
	v_mul_i32_i24_e32 v84, v44, v231
	v_mul_i32_i24_e32 v85, v45, v232
	v_bfe_i32 v49, v109, 8, 8
	v_add3_u32 v0, v0, v82, v87
	;; [unrolled: 10-line block ×6, first 2 shown]
	v_ashrrev_i32_e32 v79, 24, v111
	v_mul_i32_i24_e32 v103, v73, v249
	v_mul_i32_i24_e32 v110, v77, v251
	v_mul_i32_i24_e32 v111, v78, v240
	v_add3_u32 v0, v0, v101, v102
	v_mul_i32_i24_e32 v112, v79, v252
	v_mul_i32_i24_e32 v42, v98, v191
	v_mul_i32_i24_e32 v70, v105, v193
	v_mul_i32_i24_e32 v75, v254, v194
	v_add3_u32 v0, v0, v103, v110
	v_mul_i32_i24_e32 v83, v33, v198
	;; [unrolled: 5-line block ×3, first 2 shown]
	v_mul_i32_i24_e32 v84, v44, v199
	v_mul_i32_i24_e32 v85, v45, v200
	;; [unrolled: 1-line block ×3, first 2 shown]
	v_cvt_f32_i32_e32 v0, v0
	v_mul_i32_i24_e32 v91, v51, v206
	v_mul_i32_i24_e32 v88, v49, v204
	;; [unrolled: 1-line block ×4, first 2 shown]
	v_fma_mix_f32 v0, v20, v0, -v19 op_sel_hi:[1,0,0]
	v_mul_i32_i24_e32 v95, v57, v211
	v_mul_i32_i24_e32 v92, v53, v207
	;; [unrolled: 1-line block ×4, first 2 shown]
	v_fmac_f32_e32 v24, v196, v0
	v_mul_i32_i24_e32 v0, v34, v190
	v_mul_i32_i24_e32 v100, v69, v214
	;; [unrolled: 1-line block ×5, first 2 shown]
	v_mad_i32_i24 v0, v253, v188, v0
	v_mul_i32_i24_e32 v104, v76, v218
	v_mul_i32_i24_e32 v101, v71, v215
	v_mul_i32_i24_e32 v102, v72, v216
	v_mul_i32_i24_e32 v103, v73, v217
	v_add3_u32 v0, v0, v42, v70
	v_mul_i32_i24_e32 v110, v77, v219
	v_mul_i32_i24_e32 v111, v78, v208
	v_mul_i32_i24_e32 v112, v79, v220
	v_mul_i32_i24_e32 v42, v98, v158
	v_add3_u32 v0, v0, v75, v83
	;; [unrolled: 5-line block ×3, first 2 shown]
	v_mul_i32_i24_e32 v80, v106, v162
	v_mul_i32_i24_e32 v81, v107, v156
	;; [unrolled: 1-line block ×3, first 2 shown]
	s_delay_alu instid0(VALU_DEP_4) | instskip(SKIP_2) | instid1(VALU_DEP_3)
	v_add3_u32 v0, v0, v82, v87
	v_mul_i32_i24_e32 v82, v108, v163
	v_mul_i32_i24_e32 v87, v48, v169
	v_add3_u32 v0, v0, v84, v85
	v_mul_i32_i24_e32 v84, v44, v165
	v_mul_i32_i24_e32 v85, v45, v166
	s_delay_alu instid0(VALU_DEP_3) | instskip(SKIP_2) | instid1(VALU_DEP_3)
	v_add3_u32 v0, v0, v86, v91
	v_mul_i32_i24_e32 v86, v47, v167
	v_mul_i32_i24_e32 v91, v51, v172
	v_add3_u32 v0, v0, v88, v89
	v_mul_i32_i24_e32 v88, v49, v170
	v_mul_i32_i24_e32 v89, v50, v159
	s_delay_alu instid0(VALU_DEP_3)
	v_add3_u32 v0, v0, v90, v95
	v_mul_i32_i24_e32 v90, v109, v171
	v_mul_i32_i24_e32 v95, v57, v177
	;; [unrolled: 1-line block ×4, first 2 shown]
	v_add3_u32 v0, v0, v92, v93
	v_mul_i32_i24_e32 v92, v53, v173
	v_mul_i32_i24_e32 v93, v54, v175
	;; [unrolled: 1-line block ×3, first 2 shown]
	s_delay_alu instid0(VALU_DEP_4) | instskip(SKIP_2) | instid1(VALU_DEP_3)
	v_add3_u32 v0, v0, v94, v100
	v_mul_i32_i24_e32 v94, v55, v176
	v_mul_i32_i24_e32 v100, v69, v180
	v_add3_u32 v0, v0, v96, v97
	v_mul_i32_i24_e32 v96, v58, v178
	v_mul_i32_i24_e32 v97, v63, v168
	s_delay_alu instid0(VALU_DEP_3) | instskip(SKIP_2) | instid1(VALU_DEP_3)
	v_add3_u32 v0, v0, v99, v104
	v_mul_i32_i24_e32 v99, v67, v179
	v_mul_i32_i24_e32 v104, v76, v184
	v_add3_u32 v0, v0, v101, v102
	v_mul_i32_i24_e32 v101, v71, v181
	v_mul_i32_i24_e32 v102, v72, v182
	s_delay_alu instid0(VALU_DEP_3) | instskip(SKIP_2) | instid1(VALU_DEP_3)
	v_add3_u32 v0, v0, v103, v110
	v_mul_i32_i24_e32 v103, v73, v183
	v_mul_i32_i24_e32 v110, v77, v185
	v_add3_u32 v0, v0, v111, v112
	v_mul_i32_i24_e32 v111, v78, v174
	v_mul_i32_i24_e32 v112, v79, v186
	s_delay_alu instid0(VALU_DEP_3) | instskip(NEXT) | instid1(VALU_DEP_1)
	v_cvt_f32_i32_e32 v0, v0
	v_fma_mix_f32 v0, v20, v0, -v19 op_sel_hi:[1,0,0]
	s_delay_alu instid0(VALU_DEP_1) | instskip(SKIP_1) | instid1(VALU_DEP_1)
	v_fmac_f32_e32 v23, v187, v0
	v_mul_i32_i24_e32 v0, v34, v157
	v_mad_i32_i24 v0, v253, v155, v0
	s_delay_alu instid0(VALU_DEP_1)
	v_add3_u32 v0, v0, v42, v70
	v_mul_i32_i24_e32 v42, v98, v125
	v_mul_i32_i24_e32 v70, v105, v127
	v_mul_i32_i24_e32 v127, v108, v130
	v_mul_i32_i24_e32 v125, v45, v133
	v_add3_u32 v0, v0, v75, v83
	v_mul_i32_i24_e32 v75, v254, v128
	v_mul_i32_i24_e32 v128, v48, v136
	v_mul_i32_i24_e32 v108, v50, v126
	v_mul_i32_i24_e32 v98, v53, v140
	;; [unrolled: 5-line block ×4, first 2 shown]
	v_add3_u32 v0, v0, v84, v85
	v_mul_i32_i24_e32 v33, v78, v141
	s_delay_alu instid0(VALU_DEP_2) | instskip(NEXT) | instid1(VALU_DEP_1)
	v_add3_u32 v0, v0, v86, v91
	v_add3_u32 v0, v0, v88, v89
	s_delay_alu instid0(VALU_DEP_1) | instskip(NEXT) | instid1(VALU_DEP_1)
	v_add3_u32 v0, v0, v90, v95
	v_add3_u32 v0, v0, v92, v93
	s_delay_alu instid0(VALU_DEP_1) | instskip(NEXT) | instid1(VALU_DEP_1)
	;; [unrolled: 3-line block ×5, first 2 shown]
	v_cvt_f32_i32_e32 v0, v0
	v_fma_mix_f32 v0, v20, v0, -v19 op_sel_hi:[1,0,0]
	s_delay_alu instid0(VALU_DEP_1)
	v_fmac_f32_e32 v22, v154, v0
	v_mul_i32_i24_e32 v0, v34, v124
	v_mul_i32_i24_e32 v154, v107, v123
	;; [unrolled: 1-line block ×5, first 2 shown]
	v_mad_i32_i24 v0, v253, v122, v0
	v_mul_i32_i24_e32 v49, v67, v146
	v_mul_i32_i24_e32 v47, v71, v148
	;; [unrolled: 1-line block ×4, first 2 shown]
	v_add3_u32 v0, v0, v42, v70
	s_delay_alu instid0(VALU_DEP_1) | instskip(NEXT) | instid1(VALU_DEP_1)
	v_add3_u32 v0, v0, v75, v80
	v_add3_u32 v0, v0, v129, v154
	s_delay_alu instid0(VALU_DEP_1) | instskip(NEXT) | instid1(VALU_DEP_1)
	v_add3_u32 v0, v0, v127, v128
	;; [unrolled: 3-line block ×7, first 2 shown]
	v_add3_u32 v0, v0, v33, v34
	s_delay_alu instid0(VALU_DEP_1) | instskip(NEXT) | instid1(VALU_DEP_1)
	v_cvt_f32_i32_e32 v0, v0
	v_fma_mix_f32 v0, v20, v0, -v19 op_sel_hi:[1,0,0]
	s_delay_alu instid0(VALU_DEP_1)
	v_fmac_f32_e32 v21, v121, v0
	s_cbranch_scc1 .LBB138_10
; %bb.11:                               ;   in Loop: Header=BB138_6 Depth=1
	s_barrier
	buffer_gl0_inv
	s_branch .LBB138_5
.LBB138_12:
	s_clause 0x2
	scratch_load_b32 v1, off, off offset:240
	scratch_load_b32 v0, off, off offset:244
	scratch_load_b32 v4, off, off offset:248
.LBB138_13:
	s_mov_b32 s0, exec_lo
	s_waitcnt vmcnt(0)
	v_cmpx_gt_u32_e64 s6, v4
	s_cbranch_execz .LBB138_64
; %bb.14:
	v_add_nc_u32_e32 v0, s12, v0
	v_mul_lo_u32 v5, v4, s10
	s_delay_alu instid0(VALU_DEP_2)
	v_cmp_gt_u32_e32 vcc_lo, s10, v0
	s_and_saveexec_b32 s1, vcc_lo
	s_cbranch_execz .LBB138_16
; %bb.15:
	s_delay_alu instid0(VALU_DEP_2) | instskip(SKIP_1) | instid1(VALU_DEP_2)
	v_dual_mov_b32 v3, 0 :: v_dual_add_nc_u32 v2, v0, v5
	v_cvt_f16_f32_e32 v4, v35
	v_lshlrev_b64 v[2:3], 1, v[2:3]
	s_waitcnt lgkmcnt(0)
	s_delay_alu instid0(VALU_DEP_1) | instskip(NEXT) | instid1(VALU_DEP_1)
	v_add_co_u32 v2, s0, s8, v2
	v_add_co_ci_u32_e64 v3, s0, s9, v3, s0
	global_store_b16 v[2:3], v4, off
.LBB138_16:
	s_or_b32 exec_lo, exec_lo, s1
	v_add_nc_u32_e32 v2, 32, v0
	s_delay_alu instid0(VALU_DEP_1) | instskip(NEXT) | instid1(VALU_DEP_1)
	v_cmp_gt_u32_e64 s0, s10, v2
	s_and_saveexec_b32 s2, s0
	s_cbranch_execz .LBB138_18
; %bb.17:
	v_dual_mov_b32 v4, 0 :: v_dual_add_nc_u32 v3, v2, v5
	v_cvt_f16_f32_e32 v6, v74
	s_delay_alu instid0(VALU_DEP_2) | instskip(SKIP_1) | instid1(VALU_DEP_1)
	v_lshlrev_b64 v[3:4], 1, v[3:4]
	s_waitcnt lgkmcnt(0)
	v_add_co_u32 v3, s1, s8, v3
	s_delay_alu instid0(VALU_DEP_1)
	v_add_co_ci_u32_e64 v4, s1, s9, v4, s1
	global_store_b16 v[3:4], v6, off
.LBB138_18:
	s_or_b32 exec_lo, exec_lo, s2
	v_add_nc_u32_e32 v3, 64, v0
	s_delay_alu instid0(VALU_DEP_1) | instskip(NEXT) | instid1(VALU_DEP_1)
	v_cmp_gt_u32_e64 s1, s10, v3
	s_and_saveexec_b32 s3, s1
	s_cbranch_execz .LBB138_20
; %bb.19:
	v_dual_mov_b32 v7, 0 :: v_dual_add_nc_u32 v6, v3, v5
	v_cvt_f16_f32_e32 v4, v68
	s_delay_alu instid0(VALU_DEP_2) | instskip(SKIP_1) | instid1(VALU_DEP_1)
	v_lshlrev_b64 v[6:7], 1, v[6:7]
	s_waitcnt lgkmcnt(0)
	v_add_co_u32 v6, s2, s8, v6
	s_delay_alu instid0(VALU_DEP_1)
	v_add_co_ci_u32_e64 v7, s2, s9, v7, s2
	global_store_b16 v[6:7], v4, off
.LBB138_20:
	;; [unrolled: 17-line block ×3, first 2 shown]
	s_or_b32 exec_lo, exec_lo, s4
	v_add3_u32 v5, v1, s11, 8
	s_delay_alu instid0(VALU_DEP_1) | instskip(NEXT) | instid1(VALU_DEP_1)
	v_cmp_gt_u32_e64 s3, s6, v5
	s_and_b32 exec_lo, exec_lo, s3
	s_cbranch_execz .LBB138_64
; %bb.23:
	v_mul_lo_u32 v5, v5, s10
	s_and_saveexec_b32 s4, vcc_lo
	s_cbranch_execnz .LBB138_65
; %bb.24:
	s_or_b32 exec_lo, exec_lo, s4
	s_and_saveexec_b32 s4, s0
	s_cbranch_execnz .LBB138_66
.LBB138_25:
	s_or_b32 exec_lo, exec_lo, s4
	s_and_saveexec_b32 s4, s1
	s_cbranch_execnz .LBB138_67
.LBB138_26:
	s_or_b32 exec_lo, exec_lo, s4
	s_and_saveexec_b32 s4, s2
	s_cbranch_execz .LBB138_28
.LBB138_27:
	v_dual_mov_b32 v6, 0 :: v_dual_add_nc_u32 v5, v5, v4
	v_cvt_f16_f32_e32 v7, v61
	s_delay_alu instid0(VALU_DEP_2) | instskip(SKIP_1) | instid1(VALU_DEP_1)
	v_lshlrev_b64 v[5:6], 1, v[5:6]
	s_waitcnt lgkmcnt(0)
	v_add_co_u32 v5, s3, s8, v5
	s_delay_alu instid0(VALU_DEP_1)
	v_add_co_ci_u32_e64 v6, s3, s9, v6, s3
	global_store_b16 v[5:6], v7, off
.LBB138_28:
	s_or_b32 exec_lo, exec_lo, s4
	v_add3_u32 v5, v1, s11, 16
	s_delay_alu instid0(VALU_DEP_1) | instskip(NEXT) | instid1(VALU_DEP_1)
	v_cmp_gt_u32_e64 s3, s6, v5
	s_and_b32 exec_lo, exec_lo, s3
	s_cbranch_execz .LBB138_64
; %bb.29:
	v_mul_lo_u32 v5, v5, s10
	s_and_saveexec_b32 s4, vcc_lo
	s_cbranch_execnz .LBB138_68
; %bb.30:
	s_or_b32 exec_lo, exec_lo, s4
	s_and_saveexec_b32 s4, s0
	s_cbranch_execnz .LBB138_69
.LBB138_31:
	s_or_b32 exec_lo, exec_lo, s4
	s_and_saveexec_b32 s4, s1
	s_cbranch_execnz .LBB138_70
.LBB138_32:
	s_or_b32 exec_lo, exec_lo, s4
	s_and_saveexec_b32 s4, s2
	s_cbranch_execz .LBB138_34
.LBB138_33:
	v_dual_mov_b32 v6, 0 :: v_dual_add_nc_u32 v5, v5, v4
	v_cvt_f16_f32_e32 v7, v52
	s_delay_alu instid0(VALU_DEP_2) | instskip(SKIP_1) | instid1(VALU_DEP_1)
	v_lshlrev_b64 v[5:6], 1, v[5:6]
	s_waitcnt lgkmcnt(0)
	v_add_co_u32 v5, s3, s8, v5
	s_delay_alu instid0(VALU_DEP_1)
	v_add_co_ci_u32_e64 v6, s3, s9, v6, s3
	global_store_b16 v[5:6], v7, off
.LBB138_34:
	s_or_b32 exec_lo, exec_lo, s4
	v_add3_u32 v5, v1, s11, 24
	s_delay_alu instid0(VALU_DEP_1) | instskip(NEXT) | instid1(VALU_DEP_1)
	v_cmp_gt_u32_e64 s3, s6, v5
	s_and_b32 exec_lo, exec_lo, s3
	s_cbranch_execz .LBB138_64
; %bb.35:
	v_mul_lo_u32 v5, v5, s10
	s_and_saveexec_b32 s4, vcc_lo
	s_cbranch_execnz .LBB138_71
; %bb.36:
	s_or_b32 exec_lo, exec_lo, s4
	s_and_saveexec_b32 s4, s0
	s_cbranch_execnz .LBB138_72
.LBB138_37:
	s_or_b32 exec_lo, exec_lo, s4
	s_and_saveexec_b32 s4, s1
	s_cbranch_execnz .LBB138_73
.LBB138_38:
	s_or_b32 exec_lo, exec_lo, s4
	s_and_saveexec_b32 s4, s2
	s_cbranch_execz .LBB138_40
.LBB138_39:
	v_dual_mov_b32 v6, 0 :: v_dual_add_nc_u32 v5, v5, v4
	v_cvt_f16_f32_e32 v7, v40
	s_delay_alu instid0(VALU_DEP_2) | instskip(SKIP_1) | instid1(VALU_DEP_1)
	v_lshlrev_b64 v[5:6], 1, v[5:6]
	s_waitcnt lgkmcnt(0)
	v_add_co_u32 v5, s3, s8, v5
	s_delay_alu instid0(VALU_DEP_1)
	v_add_co_ci_u32_e64 v6, s3, s9, v6, s3
	global_store_b16 v[5:6], v7, off
.LBB138_40:
	s_or_b32 exec_lo, exec_lo, s4
	v_add3_u32 v5, v1, s11, 32
	s_delay_alu instid0(VALU_DEP_1) | instskip(NEXT) | instid1(VALU_DEP_1)
	v_cmp_gt_u32_e64 s3, s6, v5
	s_and_b32 exec_lo, exec_lo, s3
	s_cbranch_execz .LBB138_64
; %bb.41:
	v_mul_lo_u32 v5, v5, s10
	s_and_saveexec_b32 s4, vcc_lo
	s_cbranch_execnz .LBB138_74
; %bb.42:
	s_or_b32 exec_lo, exec_lo, s4
	s_and_saveexec_b32 s4, s0
	s_cbranch_execnz .LBB138_75
.LBB138_43:
	s_or_b32 exec_lo, exec_lo, s4
	s_and_saveexec_b32 s4, s1
	s_cbranch_execnz .LBB138_76
.LBB138_44:
	s_or_b32 exec_lo, exec_lo, s4
	s_and_saveexec_b32 s4, s2
	s_cbranch_execz .LBB138_46
.LBB138_45:
	v_dual_mov_b32 v6, 0 :: v_dual_add_nc_u32 v5, v5, v4
	v_cvt_f16_f32_e32 v7, v36
	s_delay_alu instid0(VALU_DEP_2) | instskip(SKIP_1) | instid1(VALU_DEP_1)
	v_lshlrev_b64 v[5:6], 1, v[5:6]
	s_waitcnt lgkmcnt(0)
	v_add_co_u32 v5, s3, s8, v5
	s_delay_alu instid0(VALU_DEP_1)
	v_add_co_ci_u32_e64 v6, s3, s9, v6, s3
	global_store_b16 v[5:6], v7, off
.LBB138_46:
	s_or_b32 exec_lo, exec_lo, s4
	v_add3_u32 v5, v1, s11, 40
	s_delay_alu instid0(VALU_DEP_1) | instskip(NEXT) | instid1(VALU_DEP_1)
	v_cmp_gt_u32_e64 s3, s6, v5
	s_and_b32 exec_lo, exec_lo, s3
	s_cbranch_execz .LBB138_64
; %bb.47:
	v_mul_lo_u32 v5, v5, s10
	s_and_saveexec_b32 s4, vcc_lo
	s_cbranch_execnz .LBB138_77
; %bb.48:
	s_or_b32 exec_lo, exec_lo, s4
	s_and_saveexec_b32 s4, s0
	s_cbranch_execnz .LBB138_78
.LBB138_49:
	s_or_b32 exec_lo, exec_lo, s4
	s_and_saveexec_b32 s4, s1
	s_cbranch_execnz .LBB138_79
.LBB138_50:
	s_or_b32 exec_lo, exec_lo, s4
	s_and_saveexec_b32 s4, s2
	s_cbranch_execz .LBB138_52
.LBB138_51:
	v_dual_mov_b32 v6, 0 :: v_dual_add_nc_u32 v5, v5, v4
	v_cvt_f16_f32_e32 v7, v29
	s_delay_alu instid0(VALU_DEP_2) | instskip(SKIP_1) | instid1(VALU_DEP_1)
	v_lshlrev_b64 v[5:6], 1, v[5:6]
	s_waitcnt lgkmcnt(0)
	v_add_co_u32 v5, s3, s8, v5
	s_delay_alu instid0(VALU_DEP_1)
	v_add_co_ci_u32_e64 v6, s3, s9, v6, s3
	global_store_b16 v[5:6], v7, off
.LBB138_52:
	s_or_b32 exec_lo, exec_lo, s4
	v_add3_u32 v5, v1, s11, 48
	s_delay_alu instid0(VALU_DEP_1) | instskip(NEXT) | instid1(VALU_DEP_1)
	v_cmp_gt_u32_e64 s3, s6, v5
	s_and_b32 exec_lo, exec_lo, s3
	s_cbranch_execz .LBB138_64
; %bb.53:
	v_mul_lo_u32 v5, v5, s10
	s_and_saveexec_b32 s4, vcc_lo
	s_cbranch_execnz .LBB138_80
; %bb.54:
	s_or_b32 exec_lo, exec_lo, s4
	s_and_saveexec_b32 s4, s0
	s_cbranch_execnz .LBB138_81
.LBB138_55:
	s_or_b32 exec_lo, exec_lo, s4
	s_and_saveexec_b32 s4, s1
	s_cbranch_execnz .LBB138_82
.LBB138_56:
	s_or_b32 exec_lo, exec_lo, s4
	s_and_saveexec_b32 s4, s2
	s_cbranch_execz .LBB138_58
.LBB138_57:
	v_dual_mov_b32 v6, 0 :: v_dual_add_nc_u32 v5, v5, v4
	v_cvt_f16_f32_e32 v7, v25
	s_delay_alu instid0(VALU_DEP_2) | instskip(SKIP_1) | instid1(VALU_DEP_1)
	v_lshlrev_b64 v[5:6], 1, v[5:6]
	s_waitcnt lgkmcnt(0)
	v_add_co_u32 v5, s3, s8, v5
	s_delay_alu instid0(VALU_DEP_1)
	v_add_co_ci_u32_e64 v6, s3, s9, v6, s3
	global_store_b16 v[5:6], v7, off
.LBB138_58:
	s_or_b32 exec_lo, exec_lo, s4
	v_add3_u32 v1, v1, s11, 56
	s_delay_alu instid0(VALU_DEP_1) | instskip(NEXT) | instid1(VALU_DEP_1)
	v_cmp_gt_u32_e64 s3, s6, v1
	s_and_b32 exec_lo, exec_lo, s3
	s_cbranch_execz .LBB138_64
; %bb.59:
	v_mul_lo_u32 v1, v1, s10
	s_and_saveexec_b32 s3, vcc_lo
	s_cbranch_execnz .LBB138_83
; %bb.60:
	s_or_b32 exec_lo, exec_lo, s3
	s_and_saveexec_b32 s3, s0
	s_cbranch_execnz .LBB138_84
.LBB138_61:
	s_or_b32 exec_lo, exec_lo, s3
	s_and_saveexec_b32 s0, s1
	s_cbranch_execnz .LBB138_85
.LBB138_62:
	s_or_b32 exec_lo, exec_lo, s0
	s_delay_alu instid0(SALU_CYCLE_1)
	s_and_b32 exec_lo, exec_lo, s2
	s_cbranch_execz .LBB138_64
.LBB138_63:
	v_dual_mov_b32 v1, 0 :: v_dual_add_nc_u32 v0, v1, v4
	v_cvt_f16_f32_e32 v2, v21
	s_delay_alu instid0(VALU_DEP_2) | instskip(SKIP_1) | instid1(VALU_DEP_1)
	v_lshlrev_b64 v[0:1], 1, v[0:1]
	s_waitcnt lgkmcnt(0)
	v_add_co_u32 v0, vcc_lo, s8, v0
	s_delay_alu instid0(VALU_DEP_2)
	v_add_co_ci_u32_e32 v1, vcc_lo, s9, v1, vcc_lo
	global_store_b16 v[0:1], v2, off
.LBB138_64:
	s_nop 0
	s_sendmsg sendmsg(MSG_DEALLOC_VGPRS)
	s_endpgm
.LBB138_65:
	s_delay_alu instid0(VALU_DEP_1) | instskip(SKIP_1) | instid1(VALU_DEP_2)
	v_dual_mov_b32 v7, 0 :: v_dual_add_nc_u32 v6, v5, v0
	v_cvt_f16_f32_e32 v8, v65
	v_lshlrev_b64 v[6:7], 1, v[6:7]
	s_waitcnt lgkmcnt(0)
	s_delay_alu instid0(VALU_DEP_1) | instskip(NEXT) | instid1(VALU_DEP_1)
	v_add_co_u32 v6, s3, s8, v6
	v_add_co_ci_u32_e64 v7, s3, s9, v7, s3
	global_store_b16 v[6:7], v8, off
	s_or_b32 exec_lo, exec_lo, s4
	s_and_saveexec_b32 s4, s0
	s_cbranch_execz .LBB138_25
.LBB138_66:
	s_delay_alu instid0(VALU_DEP_1) | instskip(SKIP_1) | instid1(VALU_DEP_2)
	v_dual_mov_b32 v7, 0 :: v_dual_add_nc_u32 v6, v5, v2
	v_cvt_f16_f32_e32 v8, v64
	v_lshlrev_b64 v[6:7], 1, v[6:7]
	s_waitcnt lgkmcnt(0)
	s_delay_alu instid0(VALU_DEP_1) | instskip(NEXT) | instid1(VALU_DEP_1)
	v_add_co_u32 v6, s3, s8, v6
	v_add_co_ci_u32_e64 v7, s3, s9, v7, s3
	global_store_b16 v[6:7], v8, off
	s_or_b32 exec_lo, exec_lo, s4
	s_and_saveexec_b32 s4, s1
	s_cbranch_execz .LBB138_26
.LBB138_67:
	v_dual_mov_b32 v7, 0 :: v_dual_add_nc_u32 v6, v5, v3
	v_cvt_f16_f32_e32 v8, v62
	s_delay_alu instid0(VALU_DEP_2) | instskip(SKIP_1) | instid1(VALU_DEP_1)
	v_lshlrev_b64 v[6:7], 1, v[6:7]
	s_waitcnt lgkmcnt(0)
	v_add_co_u32 v6, s3, s8, v6
	s_delay_alu instid0(VALU_DEP_1)
	v_add_co_ci_u32_e64 v7, s3, s9, v7, s3
	global_store_b16 v[6:7], v8, off
	s_or_b32 exec_lo, exec_lo, s4
	s_and_saveexec_b32 s4, s2
	s_cbranch_execnz .LBB138_27
	s_branch .LBB138_28
.LBB138_68:
	s_delay_alu instid0(VALU_DEP_1) | instskip(SKIP_1) | instid1(VALU_DEP_2)
	v_dual_mov_b32 v7, 0 :: v_dual_add_nc_u32 v6, v5, v0
	v_cvt_f16_f32_e32 v8, v60
	v_lshlrev_b64 v[6:7], 1, v[6:7]
	s_waitcnt lgkmcnt(0)
	s_delay_alu instid0(VALU_DEP_1) | instskip(NEXT) | instid1(VALU_DEP_1)
	v_add_co_u32 v6, s3, s8, v6
	v_add_co_ci_u32_e64 v7, s3, s9, v7, s3
	global_store_b16 v[6:7], v8, off
	s_or_b32 exec_lo, exec_lo, s4
	s_and_saveexec_b32 s4, s0
	s_cbranch_execz .LBB138_31
.LBB138_69:
	s_delay_alu instid0(VALU_DEP_1) | instskip(SKIP_1) | instid1(VALU_DEP_2)
	v_dual_mov_b32 v7, 0 :: v_dual_add_nc_u32 v6, v5, v2
	v_cvt_f16_f32_e32 v8, v59
	v_lshlrev_b64 v[6:7], 1, v[6:7]
	s_waitcnt lgkmcnt(0)
	s_delay_alu instid0(VALU_DEP_1) | instskip(NEXT) | instid1(VALU_DEP_1)
	v_add_co_u32 v6, s3, s8, v6
	v_add_co_ci_u32_e64 v7, s3, s9, v7, s3
	global_store_b16 v[6:7], v8, off
	s_or_b32 exec_lo, exec_lo, s4
	s_and_saveexec_b32 s4, s1
	s_cbranch_execz .LBB138_32
.LBB138_70:
	v_dual_mov_b32 v7, 0 :: v_dual_add_nc_u32 v6, v5, v3
	v_cvt_f16_f32_e32 v8, v56
	s_delay_alu instid0(VALU_DEP_2) | instskip(SKIP_1) | instid1(VALU_DEP_1)
	v_lshlrev_b64 v[6:7], 1, v[6:7]
	s_waitcnt lgkmcnt(0)
	v_add_co_u32 v6, s3, s8, v6
	s_delay_alu instid0(VALU_DEP_1)
	v_add_co_ci_u32_e64 v7, s3, s9, v7, s3
	global_store_b16 v[6:7], v8, off
	s_or_b32 exec_lo, exec_lo, s4
	s_and_saveexec_b32 s4, s2
	s_cbranch_execnz .LBB138_33
	s_branch .LBB138_34
.LBB138_71:
	s_delay_alu instid0(VALU_DEP_1) | instskip(SKIP_1) | instid1(VALU_DEP_2)
	v_dual_mov_b32 v7, 0 :: v_dual_add_nc_u32 v6, v5, v0
	v_cvt_f16_f32_e32 v8, v46
	v_lshlrev_b64 v[6:7], 1, v[6:7]
	s_waitcnt lgkmcnt(0)
	s_delay_alu instid0(VALU_DEP_1) | instskip(NEXT) | instid1(VALU_DEP_1)
	v_add_co_u32 v6, s3, s8, v6
	v_add_co_ci_u32_e64 v7, s3, s9, v7, s3
	global_store_b16 v[6:7], v8, off
	s_or_b32 exec_lo, exec_lo, s4
	s_and_saveexec_b32 s4, s0
	s_cbranch_execz .LBB138_37
.LBB138_72:
	s_delay_alu instid0(VALU_DEP_1) | instskip(SKIP_1) | instid1(VALU_DEP_2)
	v_dual_mov_b32 v7, 0 :: v_dual_add_nc_u32 v6, v5, v2
	v_cvt_f16_f32_e32 v8, v43
	v_lshlrev_b64 v[6:7], 1, v[6:7]
	s_waitcnt lgkmcnt(0)
	s_delay_alu instid0(VALU_DEP_1) | instskip(NEXT) | instid1(VALU_DEP_1)
	v_add_co_u32 v6, s3, s8, v6
	v_add_co_ci_u32_e64 v7, s3, s9, v7, s3
	global_store_b16 v[6:7], v8, off
	s_or_b32 exec_lo, exec_lo, s4
	s_and_saveexec_b32 s4, s1
	s_cbranch_execz .LBB138_38
.LBB138_73:
	v_dual_mov_b32 v7, 0 :: v_dual_add_nc_u32 v6, v5, v3
	v_cvt_f16_f32_e32 v8, v41
	s_delay_alu instid0(VALU_DEP_2) | instskip(SKIP_1) | instid1(VALU_DEP_1)
	v_lshlrev_b64 v[6:7], 1, v[6:7]
	s_waitcnt lgkmcnt(0)
	v_add_co_u32 v6, s3, s8, v6
	s_delay_alu instid0(VALU_DEP_1)
	v_add_co_ci_u32_e64 v7, s3, s9, v7, s3
	global_store_b16 v[6:7], v8, off
	s_or_b32 exec_lo, exec_lo, s4
	s_and_saveexec_b32 s4, s2
	s_cbranch_execnz .LBB138_39
	s_branch .LBB138_40
.LBB138_74:
	s_delay_alu instid0(VALU_DEP_1) | instskip(SKIP_1) | instid1(VALU_DEP_2)
	v_dual_mov_b32 v7, 0 :: v_dual_add_nc_u32 v6, v5, v0
	v_cvt_f16_f32_e32 v8, v39
	v_lshlrev_b64 v[6:7], 1, v[6:7]
	s_waitcnt lgkmcnt(0)
	s_delay_alu instid0(VALU_DEP_1) | instskip(NEXT) | instid1(VALU_DEP_1)
	v_add_co_u32 v6, s3, s8, v6
	v_add_co_ci_u32_e64 v7, s3, s9, v7, s3
	global_store_b16 v[6:7], v8, off
	s_or_b32 exec_lo, exec_lo, s4
	s_and_saveexec_b32 s4, s0
	s_cbranch_execz .LBB138_43
.LBB138_75:
	s_delay_alu instid0(VALU_DEP_1) | instskip(SKIP_1) | instid1(VALU_DEP_2)
	v_dual_mov_b32 v7, 0 :: v_dual_add_nc_u32 v6, v5, v2
	v_cvt_f16_f32_e32 v8, v38
	v_lshlrev_b64 v[6:7], 1, v[6:7]
	s_waitcnt lgkmcnt(0)
	s_delay_alu instid0(VALU_DEP_1) | instskip(NEXT) | instid1(VALU_DEP_1)
	v_add_co_u32 v6, s3, s8, v6
	v_add_co_ci_u32_e64 v7, s3, s9, v7, s3
	global_store_b16 v[6:7], v8, off
	s_or_b32 exec_lo, exec_lo, s4
	s_and_saveexec_b32 s4, s1
	s_cbranch_execz .LBB138_44
.LBB138_76:
	v_dual_mov_b32 v7, 0 :: v_dual_add_nc_u32 v6, v5, v3
	v_cvt_f16_f32_e32 v8, v37
	s_delay_alu instid0(VALU_DEP_2) | instskip(SKIP_1) | instid1(VALU_DEP_1)
	v_lshlrev_b64 v[6:7], 1, v[6:7]
	s_waitcnt lgkmcnt(0)
	v_add_co_u32 v6, s3, s8, v6
	s_delay_alu instid0(VALU_DEP_1)
	v_add_co_ci_u32_e64 v7, s3, s9, v7, s3
	global_store_b16 v[6:7], v8, off
	s_or_b32 exec_lo, exec_lo, s4
	s_and_saveexec_b32 s4, s2
	s_cbranch_execnz .LBB138_45
	s_branch .LBB138_46
.LBB138_77:
	s_delay_alu instid0(VALU_DEP_1) | instskip(SKIP_1) | instid1(VALU_DEP_2)
	v_dual_mov_b32 v7, 0 :: v_dual_add_nc_u32 v6, v5, v0
	v_cvt_f16_f32_e32 v8, v32
	v_lshlrev_b64 v[6:7], 1, v[6:7]
	s_waitcnt lgkmcnt(0)
	s_delay_alu instid0(VALU_DEP_1) | instskip(NEXT) | instid1(VALU_DEP_1)
	v_add_co_u32 v6, s3, s8, v6
	v_add_co_ci_u32_e64 v7, s3, s9, v7, s3
	global_store_b16 v[6:7], v8, off
	s_or_b32 exec_lo, exec_lo, s4
	s_and_saveexec_b32 s4, s0
	s_cbranch_execz .LBB138_49
.LBB138_78:
	s_delay_alu instid0(VALU_DEP_1) | instskip(SKIP_1) | instid1(VALU_DEP_2)
	v_dual_mov_b32 v7, 0 :: v_dual_add_nc_u32 v6, v5, v2
	v_cvt_f16_f32_e32 v8, v31
	v_lshlrev_b64 v[6:7], 1, v[6:7]
	s_waitcnt lgkmcnt(0)
	s_delay_alu instid0(VALU_DEP_1) | instskip(NEXT) | instid1(VALU_DEP_1)
	v_add_co_u32 v6, s3, s8, v6
	v_add_co_ci_u32_e64 v7, s3, s9, v7, s3
	global_store_b16 v[6:7], v8, off
	s_or_b32 exec_lo, exec_lo, s4
	s_and_saveexec_b32 s4, s1
	s_cbranch_execz .LBB138_50
.LBB138_79:
	v_dual_mov_b32 v7, 0 :: v_dual_add_nc_u32 v6, v5, v3
	v_cvt_f16_f32_e32 v8, v30
	s_delay_alu instid0(VALU_DEP_2) | instskip(SKIP_1) | instid1(VALU_DEP_1)
	v_lshlrev_b64 v[6:7], 1, v[6:7]
	s_waitcnt lgkmcnt(0)
	v_add_co_u32 v6, s3, s8, v6
	s_delay_alu instid0(VALU_DEP_1)
	v_add_co_ci_u32_e64 v7, s3, s9, v7, s3
	global_store_b16 v[6:7], v8, off
	s_or_b32 exec_lo, exec_lo, s4
	s_and_saveexec_b32 s4, s2
	s_cbranch_execnz .LBB138_51
	s_branch .LBB138_52
.LBB138_80:
	s_delay_alu instid0(VALU_DEP_1) | instskip(SKIP_1) | instid1(VALU_DEP_2)
	v_dual_mov_b32 v7, 0 :: v_dual_add_nc_u32 v6, v5, v0
	v_cvt_f16_f32_e32 v8, v28
	v_lshlrev_b64 v[6:7], 1, v[6:7]
	s_waitcnt lgkmcnt(0)
	s_delay_alu instid0(VALU_DEP_1) | instskip(NEXT) | instid1(VALU_DEP_1)
	v_add_co_u32 v6, s3, s8, v6
	v_add_co_ci_u32_e64 v7, s3, s9, v7, s3
	global_store_b16 v[6:7], v8, off
	s_or_b32 exec_lo, exec_lo, s4
	s_and_saveexec_b32 s4, s0
	s_cbranch_execz .LBB138_55
.LBB138_81:
	s_delay_alu instid0(VALU_DEP_1) | instskip(SKIP_1) | instid1(VALU_DEP_2)
	v_dual_mov_b32 v7, 0 :: v_dual_add_nc_u32 v6, v5, v2
	v_cvt_f16_f32_e32 v8, v27
	v_lshlrev_b64 v[6:7], 1, v[6:7]
	s_waitcnt lgkmcnt(0)
	s_delay_alu instid0(VALU_DEP_1) | instskip(NEXT) | instid1(VALU_DEP_1)
	v_add_co_u32 v6, s3, s8, v6
	v_add_co_ci_u32_e64 v7, s3, s9, v7, s3
	global_store_b16 v[6:7], v8, off
	s_or_b32 exec_lo, exec_lo, s4
	s_and_saveexec_b32 s4, s1
	s_cbranch_execz .LBB138_56
.LBB138_82:
	v_dual_mov_b32 v7, 0 :: v_dual_add_nc_u32 v6, v5, v3
	v_cvt_f16_f32_e32 v8, v26
	s_delay_alu instid0(VALU_DEP_2) | instskip(SKIP_1) | instid1(VALU_DEP_1)
	v_lshlrev_b64 v[6:7], 1, v[6:7]
	s_waitcnt lgkmcnt(0)
	v_add_co_u32 v6, s3, s8, v6
	s_delay_alu instid0(VALU_DEP_1)
	v_add_co_ci_u32_e64 v7, s3, s9, v7, s3
	global_store_b16 v[6:7], v8, off
	s_or_b32 exec_lo, exec_lo, s4
	s_and_saveexec_b32 s4, s2
	s_cbranch_execnz .LBB138_57
	s_branch .LBB138_58
.LBB138_83:
	s_delay_alu instid0(VALU_DEP_1) | instskip(SKIP_1) | instid1(VALU_DEP_2)
	v_dual_mov_b32 v6, 0 :: v_dual_add_nc_u32 v5, v1, v0
	v_cvt_f16_f32_e32 v0, v24
	v_lshlrev_b64 v[5:6], 1, v[5:6]
	s_waitcnt lgkmcnt(0)
	s_delay_alu instid0(VALU_DEP_1) | instskip(NEXT) | instid1(VALU_DEP_2)
	v_add_co_u32 v5, vcc_lo, s8, v5
	v_add_co_ci_u32_e32 v6, vcc_lo, s9, v6, vcc_lo
	global_store_b16 v[5:6], v0, off
	s_or_b32 exec_lo, exec_lo, s3
	s_and_saveexec_b32 s3, s0
	s_cbranch_execz .LBB138_61
.LBB138_84:
	s_delay_alu instid0(VALU_DEP_1) | instskip(SKIP_1) | instid1(VALU_DEP_2)
	v_dual_mov_b32 v6, 0 :: v_dual_add_nc_u32 v5, v1, v2
	v_cvt_f16_f32_e32 v0, v23
	v_lshlrev_b64 v[5:6], 1, v[5:6]
	s_waitcnt lgkmcnt(0)
	s_delay_alu instid0(VALU_DEP_1) | instskip(NEXT) | instid1(VALU_DEP_2)
	v_add_co_u32 v5, vcc_lo, s8, v5
	v_add_co_ci_u32_e32 v6, vcc_lo, s9, v6, vcc_lo
	global_store_b16 v[5:6], v0, off
	s_or_b32 exec_lo, exec_lo, s3
	s_and_saveexec_b32 s0, s1
	s_cbranch_execz .LBB138_62
.LBB138_85:
	v_dual_mov_b32 v3, 0 :: v_dual_add_nc_u32 v2, v1, v3
	v_cvt_f16_f32_e32 v0, v22
	s_delay_alu instid0(VALU_DEP_2) | instskip(SKIP_1) | instid1(VALU_DEP_1)
	v_lshlrev_b64 v[2:3], 1, v[2:3]
	s_waitcnt lgkmcnt(0)
	v_add_co_u32 v2, vcc_lo, s8, v2
	s_delay_alu instid0(VALU_DEP_2) | instskip(SKIP_2) | instid1(SALU_CYCLE_1)
	v_add_co_ci_u32_e32 v3, vcc_lo, s9, v3, vcc_lo
	global_store_b16 v[2:3], v0, off
	s_or_b32 exec_lo, exec_lo, s0
	s_and_b32 exec_lo, exec_lo, s2
	s_cbranch_execnz .LBB138_63
	s_branch .LBB138_64
	.section	.rodata,"a",@progbits
	.p2align	6, 0x0
	.amdhsa_kernel _ZL12mul_mat_q4_0IN3c104HalfELb1EEvPKvS3_PT_iiiii
		.amdhsa_group_segment_fixed_size 30336
		.amdhsa_private_segment_fixed_size 256
		.amdhsa_kernarg_size 44
		.amdhsa_user_sgpr_count 14
		.amdhsa_user_sgpr_dispatch_ptr 0
		.amdhsa_user_sgpr_queue_ptr 0
		.amdhsa_user_sgpr_kernarg_segment_ptr 1
		.amdhsa_user_sgpr_dispatch_id 0
		.amdhsa_user_sgpr_private_segment_size 0
		.amdhsa_wavefront_size32 1
		.amdhsa_uses_dynamic_stack 0
		.amdhsa_enable_private_segment 1
		.amdhsa_system_sgpr_workgroup_id_x 1
		.amdhsa_system_sgpr_workgroup_id_y 1
		.amdhsa_system_sgpr_workgroup_id_z 0
		.amdhsa_system_sgpr_workgroup_info 0
		.amdhsa_system_vgpr_workitem_id 1
		.amdhsa_next_free_vgpr 256
		.amdhsa_next_free_sgpr 16
		.amdhsa_reserve_vcc 1
		.amdhsa_float_round_mode_32 0
		.amdhsa_float_round_mode_16_64 0
		.amdhsa_float_denorm_mode_32 3
		.amdhsa_float_denorm_mode_16_64 3
		.amdhsa_dx10_clamp 1
		.amdhsa_ieee_mode 1
		.amdhsa_fp16_overflow 0
		.amdhsa_workgroup_processor_mode 1
		.amdhsa_memory_ordered 1
		.amdhsa_forward_progress 0
		.amdhsa_shared_vgpr_count 0
		.amdhsa_exception_fp_ieee_invalid_op 0
		.amdhsa_exception_fp_denorm_src 0
		.amdhsa_exception_fp_ieee_div_zero 0
		.amdhsa_exception_fp_ieee_overflow 0
		.amdhsa_exception_fp_ieee_underflow 0
		.amdhsa_exception_fp_ieee_inexact 0
		.amdhsa_exception_int_div_zero 0
	.end_amdhsa_kernel
	.section	.text._ZL12mul_mat_q4_0IN3c104HalfELb1EEvPKvS3_PT_iiiii,"axG",@progbits,_ZL12mul_mat_q4_0IN3c104HalfELb1EEvPKvS3_PT_iiiii,comdat
.Lfunc_end138:
	.size	_ZL12mul_mat_q4_0IN3c104HalfELb1EEvPKvS3_PT_iiiii, .Lfunc_end138-_ZL12mul_mat_q4_0IN3c104HalfELb1EEvPKvS3_PT_iiiii
                                        ; -- End function
	.section	.AMDGPU.csdata,"",@progbits
; Kernel info:
; codeLenInByte = 32368
; NumSgprs: 18
; NumVgprs: 256
; ScratchSize: 256
; MemoryBound: 0
; FloatMode: 240
; IeeeMode: 1
; LDSByteSize: 30336 bytes/workgroup (compile time only)
; SGPRBlocks: 2
; VGPRBlocks: 31
; NumSGPRsForWavesPerEU: 18
; NumVGPRsForWavesPerEU: 256
; Occupancy: 5
; WaveLimiterHint : 0
; COMPUTE_PGM_RSRC2:SCRATCH_EN: 1
; COMPUTE_PGM_RSRC2:USER_SGPR: 14
; COMPUTE_PGM_RSRC2:TRAP_HANDLER: 0
; COMPUTE_PGM_RSRC2:TGID_X_EN: 1
; COMPUTE_PGM_RSRC2:TGID_Y_EN: 1
; COMPUTE_PGM_RSRC2:TGID_Z_EN: 0
; COMPUTE_PGM_RSRC2:TIDIG_COMP_CNT: 1
	.section	.text._ZL12mul_mat_q4_1IN3c104HalfELb0EEvPKvS3_PT_iiiii,"axG",@progbits,_ZL12mul_mat_q4_1IN3c104HalfELb0EEvPKvS3_PT_iiiii,comdat
	.globl	_ZL12mul_mat_q4_1IN3c104HalfELb0EEvPKvS3_PT_iiiii ; -- Begin function _ZL12mul_mat_q4_1IN3c104HalfELb0EEvPKvS3_PT_iiiii
	.p2align	8
	.type	_ZL12mul_mat_q4_1IN3c104HalfELb0EEvPKvS3_PT_iiiii,@function
_ZL12mul_mat_q4_1IN3c104HalfELb0EEvPKvS3_PT_iiiii: ; @_ZL12mul_mat_q4_1IN3c104HalfELb0EEvPKvS3_PT_iiiii
; %bb.0:
	s_clause 0x1
	s_load_b32 s11, s[0:1], 0x18
	s_load_b128 s[4:7], s[0:1], 0x20
	v_bfe_u32 v39, v0, 10, 10
	v_and_b32_e32 v40, 0x3ff, v0
	s_waitcnt lgkmcnt(0)
	s_lshl_b32 s7, s15, 6
	s_cmp_gt_i32 s11, 31
	s_cbranch_scc1 .LBB139_2
; %bb.1:
	v_bfe_u32 v1, v0, 10, 10
	v_and_b32_e32 v0, 0x3ff, v0
	s_mov_b32 s2, 0
	s_mov_b32 s3, 0
	s_delay_alu instid0(VALU_DEP_2)
	v_add_nc_u32_e32 v2, s7, v1
	s_branch .LBB139_3
.LBB139_2:
	s_mov_b32 s2, -1
                                        ; implicit-def: $sgpr3
                                        ; implicit-def: $vgpr1
                                        ; implicit-def: $vgpr0
                                        ; implicit-def: $vgpr2
.LBB139_3:
	s_load_b64 s[8:9], s[0:1], 0x10
	v_dual_mov_b32 v5, s3 :: v_dual_mov_b32 v28, s3
	v_dual_mov_b32 v9, s3 :: v_dual_mov_b32 v32, s3
	;; [unrolled: 1-line block ×15, first 2 shown]
	v_mov_b32_e32 v31, s3
	v_mov_b32_e32 v33, s3
	s_and_not1_b32 vcc_lo, exec_lo, s2
	s_lshl_b32 s10, s14, 7
	s_cbranch_vccnz .LBB139_13
; %bb.4:
	s_load_b128 s[0:3], s[0:1], 0x0
	s_ashr_i32 s12, s11, 31
	s_ashr_i32 s13, s5, 31
	s_lshr_b32 s12, s12, 27
	s_lshr_b32 s13, s13, 27
	s_add_i32 s11, s11, s12
	v_dual_mov_b32 v36, 0 :: v_dual_add_nc_u32 v13, s7, v39
	s_add_i32 s12, s5, s13
	s_ashr_i32 s5, s11, 5
	s_ashr_i32 s12, s12, 5
	s_mul_i32 s13, s5, s10
	v_add_nc_u32_e32 v4, 16, v13
	v_add_nc_u32_e32 v8, 24, v13
	v_dual_mov_b32 v45, 0 :: v_dual_add_nc_u32 v10, 32, v13
	s_mul_hi_i32 s14, s13, 20
	s_mul_i32 s13, s13, 20
	v_add_nc_u32_e32 v14, 48, v13
	v_cvt_f64_u32_e32 v[4:5], v4
	s_waitcnt lgkmcnt(0)
	s_add_u32 s0, s0, s13
	s_addc_u32 s1, s1, s14
	s_add_i32 s13, s4, -1
	v_cvt_f64_u32_e32 v[8:9], v8
	v_cvt_f64_i32_e32 v[6:7], s13
	v_cvt_f64_u32_e32 v[10:11], v10
	v_cvt_f64_u32_e32 v[14:15], v14
	v_lshlrev_b32_e32 v19, 2, v40
	v_mul_lo_u32 v27, s5, v39
	v_dual_mov_b32 v33, 0 :: v_dual_add_nc_u32 v2, 8, v13
	v_dual_mov_b32 v35, 0 :: v_dual_add_nc_u32 v12, 40, v13
	v_add_nc_u32_e32 v16, 56, v13
	v_and_b32_e32 v25, 12, v19
	v_mad_u32_u24 v26, 0x84, v39, v19
	v_cvt_f64_u32_e32 v[0:1], v13
	v_cvt_f64_u32_e32 v[2:3], v2
	;; [unrolled: 1-line block ×3, first 2 shown]
	v_lshrrev_b32_e32 v24, 2, v40
	v_and_b32_e32 v23, 7, v40
	v_lshrrev_b32_e32 v22, 3, v40
	scratch_store_b32 off, v25, off offset:24 ; 4-byte Folded Spill
	v_add_nc_u32_e32 v28, 0x420, v26
	s_clause 0x1
	scratch_store_b32 off, v27, off offset:32
	scratch_store_b32 off, v13, off offset:240
	v_cvt_f64_u32_e32 v[12:13], v12
	s_lshl_b32 s14, s5, 3
	scratch_store_b32 off, v28, off offset:40 ; 4-byte Folded Spill
	v_add_nc_u32_e32 v28, 0x840, v26
	v_and_b32_e32 v18, 3, v40
	s_clause 0x3
	scratch_store_b32 off, v22, off offset:20
	scratch_store_b32 off, v23, off offset:16
	;; [unrolled: 1-line block ×4, first 2 shown]
	v_dual_mov_b32 v37, 0 :: v_dual_add_nc_u32 v28, 0xc60, v26
	v_lshl_add_u32 v24, v39, 3, v24
	v_add_nc_u32_e32 v27, s14, v27
	v_dual_mov_b32 v34, 0 :: v_dual_lshlrev_b32 v25, 2, v18
	scratch_store_b32 off, v28, off offset:48 ; 4-byte Folded Spill
	v_min_f64 v[4:5], v[4:5], v[6:7]
	v_min_f64 v[8:9], v[8:9], v[6:7]
	;; [unrolled: 1-line block ×4, first 2 shown]
	v_add_nc_u32_e32 v28, 0x1080, v26
	s_clause 0x1
	scratch_store_b32 off, v28, off offset:52
	scratch_store_b32 off, v27, off offset:36
	v_add_nc_u32_e32 v27, s14, v27
	v_add_nc_u32_e32 v28, 0x14a0, v26
	v_min_f64 v[0:1], v[0:1], v[6:7]
	v_min_f64 v[2:3], v[2:3], v[6:7]
	v_and_b32_e32 v24, 63, v24
	scratch_store_b32 off, v27, off offset:56 ; 4-byte Folded Spill
	v_add_nc_u32_e32 v27, s14, v27
	v_and_b32_e32 v20, 31, v40
	v_lshlrev_b32_e32 v21, 7, v39
	v_lshl_add_u32 v22, v39, 2, v22
	v_lshlrev_b32_e32 v23, 2, v23
	s_and_not1_b32 s11, s11, 31
	v_min_f64 v[12:13], v[12:13], v[6:7]
	v_min_f64 v[6:7], v[16:17], v[6:7]
	v_add_nc_u32_e32 v16, 0x18c0, v26
	scratch_store_b32 off, v28, off offset:64 ; 4-byte Folded Spill
	v_add_nc_u32_e32 v17, 0x2100, v26
	v_lshl_or_b32 v20, v20, 2, v21
	v_mul_lo_u32 v30, s5, v22
	scratch_store_b32 off, v16, off offset:68 ; 4-byte Folded Spill
	v_add_nc_u32_e32 v16, 0x1ce0, v26
	v_lshl_add_u32 v104, v39, 4, 0x7280
	v_add_nc_u32_e32 v29, 0x4200, v20
	v_add_nc_u32_e32 v73, 0x4e00, v20
	;; [unrolled: 1-line block ×6, first 2 shown]
	v_cvt_i32_f64_e32 v4, v[4:5]
	v_cvt_i32_f64_e32 v5, v[8:9]
	;; [unrolled: 1-line block ×4, first 2 shown]
	v_lshl_or_b32 v14, v24, 4, v25
	v_dual_mov_b32 v25, 0 :: v_dual_mov_b32 v32, 0
	s_delay_alu instid0(VALU_DEP_2)
	v_dual_mov_b32 v38, 0 :: v_dual_add_nc_u32 v83, 0x7280, v14
	v_mov_b32_e32 v14, 0
	s_clause 0x2
	scratch_store_b32 off, v16, off offset:72
	scratch_store_b32 off, v27, off offset:60
	;; [unrolled: 1-line block ×3, first 2 shown]
	v_add_nc_u32_e32 v17, 0x2520, v26
	v_add_nc_u32_e32 v16, s14, v27
	scratch_store_b32 off, v17, off offset:84 ; 4-byte Folded Spill
	v_add_nc_u32_e32 v17, 0x2940, v26
	v_cvt_i32_f64_e32 v9, v[12:13]
	v_cvt_i32_f64_e32 v6, v[6:7]
	scratch_store_b32 off, v17, off offset:88 ; 4-byte Folded Spill
	v_add_nc_u32_e32 v17, 0x2d60, v26
	s_clause 0x1
	scratch_store_b32 off, v17, off offset:92
	scratch_store_b32 off, v16, off offset:76
	v_add_nc_u32_e32 v17, 0x3180, v26
	v_add_nc_u32_e32 v16, s14, v16
	scratch_store_b32 off, v17, off offset:100 ; 4-byte Folded Spill
	v_add_nc_u32_e32 v17, 0x35a0, v26
	v_add_nc_u32_e32 v27, s14, v16
	v_mul_lo_u32 v88, s12, v4
	v_mul_lo_u32 v89, s12, v5
	;; [unrolled: 1-line block ×3, first 2 shown]
	scratch_store_b32 off, v17, off offset:104 ; 4-byte Folded Spill
	v_add_nc_u32_e32 v17, 0x39c0, v26
	s_clause 0x1
	scratch_store_b32 off, v17, off offset:108
	scratch_store_b32 off, v26, off offset:28
	v_add_nc_u32_e32 v17, 0x3de0, v26
	v_add_nc_u32_e32 v28, s14, v27
	s_clause 0x4
	scratch_store_b32 off, v17, off offset:112
	scratch_store_b32 off, v16, off offset:96
	;; [unrolled: 1-line block ×3, first 2 shown]
	scratch_store_b32 off, v29, off
	scratch_store_b32 off, v28, off offset:124
	v_add_nc_u32_e32 v28, s14, v28
	v_add_nc_u32_e32 v29, 0x4600, v20
	v_and_b32_e32 v16, 0x7fc, v22
	v_lshlrev_b32_e32 v17, 5, v22
	v_add_nc_u32_e32 v26, 32, v22
	v_add_nc_u32_e32 v31, s14, v28
	s_clause 0x1
	scratch_store_b32 off, v29, off offset:4
	scratch_store_b32 off, v30, off offset:120
	v_add_nc_u32_e32 v29, 0x4a00, v20
	v_add_nc_u32_e32 v27, 64, v22
	;; [unrolled: 1-line block ×3, first 2 shown]
	v_add3_u32 v10, v16, v23, 0x6200
	v_mov_b32_e32 v20, 0
	scratch_store_b32 off, v29, off offset:8 ; 4-byte Folded Spill
	v_cvt_i32_f64_e32 v29, v[2:3]
	v_add_nc_u32_e32 v3, s14, v31
	scratch_store_b32 off, v28, off offset:128 ; 4-byte Folded Spill
	v_cvt_i32_f64_e32 v28, v[0:1]
	v_and_b32_e32 v0, 0xffc, v26
	v_and_b32_e32 v2, 0xffc, v22
	v_add_nc_u32_e32 v16, s14, v3
	v_and_b32_e32 v19, 28, v19
	scratch_store_b32 off, v31, off offset:132 ; 4-byte Folded Spill
	v_and_b32_e32 v1, 0xffc, v27
	v_lshlrev_b32_e32 v13, 5, v22
	v_add3_u32 v22, v2, v23, 0x6200
	v_add_nc_u32_e32 v2, s11, v30
	scratch_store_b32 off, v16, off offset:140 ; 4-byte Folded Spill
	v_mov_b32_e32 v30, 0
	v_add3_u32 v15, v0, v23, 0x6200
	v_add_nc_u32_e32 v0, s14, v16
	scratch_store_b32 off, v3, off offset:136 ; 4-byte Folded Spill
	v_or_b32_e32 v3, s7, v24
	v_add3_u32 v16, v1, v23, 0x6200
	v_add_nc_u32_e32 v24, s11, v2
	v_add_nc_u32_e32 v23, s14, v0
	scratch_store_b32 off, v0, off offset:144 ; 4-byte Folded Spill
	v_add_co_u32 v0, s15, s2, v19
	v_min_i32_e32 v19, s13, v3
	s_clause 0x2
	scratch_store_b32 off, v23, off offset:152
	scratch_store_b32 off, v2, off offset:148
	;; [unrolled: 1-line block ×3, first 2 shown]
	v_add_nc_u32_e32 v23, s14, v23
	v_mad_u64_u32 v[2:3], null, v19, s12, v[18:19]
	v_add_nc_u32_e32 v3, s11, v24
	s_clause 0x1
	scratch_store_b32 off, v3, off offset:164
	scratch_store_b32 off, v23, off offset:160
	v_add_nc_u32_e32 v3, s14, v23
	v_mul_u32_u24_e32 v11, 0x84, v40
	v_mul_lo_u32 v95, s12, v6
	v_add_nc_u32_e32 v4, 64, v40
	v_add_nc_u32_e32 v5, 32, v40
	scratch_store_b32 off, v3, off offset:168 ; 4-byte Folded Spill
	v_add_nc_u32_e32 v3, 0x60, v40
	v_lshlrev_b32_e32 v6, 5, v40
	v_mul_lo_u32 v90, s12, v8
	v_and_b32_e32 v4, 0x1fc, v4
	v_and_b32_e32 v8, 0x1fc, v5
	v_and_b32_e32 v3, 0x1fc, v3
	v_lshrrev_b32_e32 v5, 3, v5
	v_mul_lo_u32 v91, s12, v9
	v_add_nc_u32_e32 v4, v6, v4
	v_and_b32_e32 v9, 0xfc, v40
	v_add_nc_u32_e32 v3, v6, v3
	scratch_store_b32 off, v5, off offset:208 ; 4-byte Folded Spill
	v_add_nc_u32_e32 v8, v6, v8
	scratch_store_b32 off, v39, off offset:232 ; 4-byte Folded Spill
	v_add_nc_u32_e32 v6, v6, v9
	v_add_nc_u32_e32 v5, 0x6e00, v3
	scratch_store_b32 off, v11, off offset:172 ; 4-byte Folded Spill
	v_add_nc_u32_e32 v3, 0x6e10, v3
	v_lshlrev_b32_e32 v7, 5, v26
	v_lshlrev_b32_e32 v12, 5, v27
	scratch_store_b32 off, v5, off offset:176 ; 4-byte Folded Spill
	v_add_nc_u32_e32 v5, 0x6a00, v4
	v_mul_lo_u32 v86, s12, v28
	v_mul_lo_u32 v87, s12, v29
	v_add_co_ci_u32_e64 v1, null, s3, 0, s15
	scratch_store_b32 off, v5, off offset:180 ; 4-byte Folded Spill
	v_add_nc_u32_e32 v5, 0x6600, v8
	v_mov_b32_e32 v31, 0
	v_mov_b32_e32 v27, 0
	;; [unrolled: 1-line block ×4, first 2 shown]
	scratch_store_b32 off, v5, off offset:184 ; 4-byte Folded Spill
	v_add_nc_u32_e32 v5, 0x6200, v6
	v_dual_mov_b32 v29, 0 :: v_dual_mov_b32 v24, 0
	v_mov_b32_e32 v18, 0
	v_mov_b32_e32 v28, 0
	s_clause 0x2
	scratch_store_b32 off, v5, off offset:188
	scratch_store_b32 off, v3, off offset:212
	;; [unrolled: 1-line block ×3, first 2 shown]
	v_mad_u32_u24 v3, 0x84, v40, 64
	v_mov_b32_e32 v23, 0
	v_mov_b32_e32 v9, 0
	v_mov_b32_e32 v5, 0
	s_mov_b32 s11, 0
	scratch_store_b32 off, v3, off offset:216 ; 4-byte Folded Spill
	v_add_nc_u32_e32 v3, 0x6a10, v4
	scratch_store_b32 off, v3, off offset:220 ; 4-byte Folded Spill
	v_dual_mov_b32 v8, 0 :: v_dual_add_nc_u32 v3, 0x6610, v8
	scratch_store_b32 off, v3, off offset:224 ; 4-byte Folded Spill
	v_dual_mov_b32 v6, 0 :: v_dual_add_nc_u32 v3, 0x6210, v6
	;; [unrolled: 2-line block ×3, first 2 shown]
	v_mov_b32_e32 v17, 0
	scratch_store_b32 off, v3, off offset:192 ; 4-byte Folded Spill
	v_add_nc_u32_e32 v3, v15, v7
	v_mov_b32_e32 v15, 0
	v_mov_b32_e32 v7, 0
	scratch_store_b32 off, v3, off offset:196 ; 4-byte Folded Spill
	v_dual_mov_b32 v16, 0 :: v_dual_add_nc_u32 v3, v16, v12
	v_dual_mov_b32 v12, 0 :: v_dual_add_nc_u32 v103, 0x4200, v21
	scratch_store_b32 off, v3, off offset:200 ; 4-byte Folded Spill
	v_add_nc_u32_e32 v3, v22, v13
	v_mov_b32_e32 v13, 0
	scratch_store_b32 off, v3, off offset:204 ; 4-byte Folded Spill
	s_branch .LBB139_6
.LBB139_5:                              ;   in Loop: Header=BB139_6 Depth=1
	s_add_i32 s11, s11, 8
	s_delay_alu instid0(SALU_CYCLE_1)
	s_cmp_ge_i32 s11, s5
	s_cbranch_scc1 .LBB139_12
.LBB139_6:                              ; =>This Loop Header: Depth=1
                                        ;     Child Loop BB139_7 Depth 2
                                        ;     Child Loop BB139_10 Depth 2
	s_clause 0x1
	scratch_load_b32 v21, off, off offset:12
	scratch_load_b32 v26, off, off offset:32
	s_mul_i32 s12, s11, 20
	s_mul_hi_u32 s13, s11, 20
	s_add_u32 s12, s0, s12
	s_addc_u32 s13, s1, s13
	v_dual_mov_b32 v115, v104 :: v_dual_add_nc_u32 v114, s11, v2
	v_mov_b32_e32 v116, v103
	s_waitcnt vmcnt(1)
	v_mad_u64_u32 v[3:4], null, v21, 20, s[12:13]
	scratch_load_b32 v21, off, off offset:24 ; 4-byte Folded Reload
	s_waitcnt vmcnt(0)
	v_add_co_u32 v3, vcc_lo, v3, v21
	v_add_co_ci_u32_e32 v4, vcc_lo, 0, v4, vcc_lo
	s_delay_alu instid0(VALU_DEP_2) | instskip(NEXT) | instid1(VALU_DEP_2)
	v_add_co_u32 v3, vcc_lo, v3, 4
	v_add_co_ci_u32_e32 v4, vcc_lo, 0, v4, vcc_lo
	s_delay_alu instid0(VALU_DEP_1)
	v_mad_u64_u32 v[21:22], null, v26, 20, v[3:4]
	scratch_load_b32 v26, off, off offset:36 ; 4-byte Folded Reload
	s_waitcnt vmcnt(0)
	v_mad_u64_u32 v[47:48], null, v26, 20, v[3:4]
	scratch_load_b32 v26, off, off offset:56 ; 4-byte Folded Reload
	s_waitcnt vmcnt(0)
	;; [unrolled: 3-line block ×7, first 2 shown]
	v_mad_u64_u32 v[64:65], null, v26, 20, v[3:4]
	s_clause 0x7
	global_load_b32 v26, v[21:22], off
	global_load_b32 v42, v[47:48], off
	;; [unrolled: 1-line block ×8, first 2 shown]
	scratch_load_b32 v39, off, off offset:128 ; 4-byte Folded Reload
	s_waitcnt vmcnt(0)
	v_mad_u64_u32 v[21:22], null, v39, 20, v[3:4]
	scratch_load_b32 v39, off, off offset:132 ; 4-byte Folded Reload
	s_waitcnt vmcnt(0)
	v_mad_u64_u32 v[47:48], null, v39, 20, v[3:4]
	scratch_load_b32 v39, off, off offset:136 ; 4-byte Folded Reload
	s_waitcnt vmcnt(0)
	v_mad_u64_u32 v[49:50], null, v39, 20, v[3:4]
	scratch_load_b32 v39, off, off offset:140 ; 4-byte Folded Reload
	s_waitcnt vmcnt(0)
	v_mad_u64_u32 v[53:54], null, v39, 20, v[3:4]
	scratch_load_b32 v39, off, off offset:144 ; 4-byte Folded Reload
	s_waitcnt vmcnt(0)
	v_mad_u64_u32 v[57:58], null, v39, 20, v[3:4]
	scratch_load_b32 v39, off, off offset:16 ; 4-byte Folded Reload
	s_waitcnt vmcnt(0)
	v_mad_u64_u32 v[59:60], null, v39, 20, s[12:13]
	scratch_load_b32 v39, off, off offset:152 ; 4-byte Folded Reload
	s_mov_b32 s12, -4
	s_waitcnt vmcnt(0)
	v_mad_u64_u32 v[62:63], null, v39, 20, v[3:4]
	scratch_load_b32 v39, off, off offset:160 ; 4-byte Folded Reload
	s_waitcnt vmcnt(0)
	v_mad_u64_u32 v[64:65], null, v39, 20, v[3:4]
	scratch_load_b32 v39, off, off offset:168 ; 4-byte Folded Reload
	;; [unrolled: 3-line block ×7, first 2 shown]
	s_clause 0xb
	global_load_b32 v124, v[21:22], off
	global_load_b32 v125, v[47:48], off
	global_load_b32 v126, v[49:50], off
	global_load_b32 v127, v[53:54], off
	global_load_b32 v128, v[57:58], off
	global_load_b32 v129, v[62:63], off
	global_load_b32 v130, v[64:65], off
	global_load_b32 v105, v[105:106], off
	global_load_b32 v106, v[3:4], off
	global_load_b32 v107, v[107:108], off
	global_load_b32 v108, v[109:110], off
	global_load_b32 v109, v[111:112], off
	s_waitcnt vmcnt(12)
	v_add_nc_u32_e32 v59, s11, v39
	s_delay_alu instid0(VALU_DEP_1)
	v_add_nc_u32_e32 v21, v59, v86
	v_add_nc_u32_e32 v47, v59, v87
	;; [unrolled: 1-line block ×5, first 2 shown]
	v_mad_i64_i32 v[3:4], null, v21, 36, v[0:1]
	v_add_nc_u32_e32 v60, v59, v91
	v_mad_i64_i32 v[21:22], null, v47, 36, v[0:1]
	v_add_nc_u32_e32 v62, v59, v93
	;; [unrolled: 2-line block ×3, first 2 shown]
	v_mad_i64_i32 v[49:50], null, v53, 36, v[0:1]
	v_mad_i64_i32 v[53:54], null, v57, 36, v[0:1]
	;; [unrolled: 1-line block ×5, first 2 shown]
	v_mad_u64_u32 v[64:65], null, v114, 36, s[2:3]
	s_clause 0x8
	global_load_b32 v3, v[3:4], off offset:4
	global_load_b32 v4, v[21:22], off offset:4
	;; [unrolled: 1-line block ×8, first 2 shown]
	global_load_b32 v53, v[64:65], off
	s_clause 0x5
	scratch_load_b32 v117, off, off offset:172
	scratch_load_b32 v118, off, off offset:188
	;; [unrolled: 1-line block ×6, first 2 shown]
	s_waitcnt vmcnt(0)
	ds_store_b32 v39, v26
	scratch_load_b32 v26, off, off offset:40 ; 4-byte Folded Reload
	s_waitcnt vmcnt(0)
	ds_store_b32 v26, v42
	scratch_load_b32 v26, off, off offset:44 ; 4-byte Folded Reload
	;; [unrolled: 3-line block ×19, first 2 shown]
	s_waitcnt vmcnt(0)
	ds_store_b32 v26, v109
	scratch_load_b32 v26, off, off          ; 4-byte Folded Reload
	s_waitcnt vmcnt(0)
	ds_store_b32 v26, v3
	scratch_load_b32 v3, off, off offset:4  ; 4-byte Folded Reload
	s_waitcnt vmcnt(0)
	ds_store_b32 v3, v4
	scratch_load_b32 v3, off, off offset:8  ; 4-byte Folded Reload
	s_waitcnt vmcnt(0)
	ds_store_b32 v3, v21
	ds_store_b32 v73, v22
	;; [unrolled: 1-line block ×7, first 2 shown]
	s_waitcnt lgkmcnt(0)
	s_waitcnt_vscnt null, 0x0
	s_barrier
	buffer_gl0_inv
.LBB139_7:                              ;   Parent Loop BB139_6 Depth=1
                                        ; =>  This Inner Loop Header: Depth=2
	ds_load_b128 v[47:50], v116
	ds_load_b128 v[57:60], v116 offset:16
	ds_load_2addr_b32 v[3:4], v115 offset1:32
	ds_load_b32 v152, v118
	ds_load_2addr_b32 v[21:22], v117 offset1:1
	s_add_i32 s12, s12, 4
	v_add_nc_u32_e32 v118, 4, v118
	s_cmp_lt_u32 s12, 12
	s_waitcnt lgkmcnt(4)
	v_bfe_i32 v26, v47, 0, 8
	s_waitcnt lgkmcnt(3)
	v_bfe_i32 v54, v57, 0, 8
	v_bfe_i32 v63, v48, 0, 8
	s_waitcnt lgkmcnt(0)
	v_bfe_u32 v155, v21, 20, 4
	v_and_b32_e32 v156, 15, v21
	v_bfe_u32 v157, v21, 8, 4
	v_bfe_u32 v159, v21, 16, 4
	;; [unrolled: 1-line block ×5, first 2 shown]
	v_lshrrev_b32_e32 v162, 28, v21
	v_bfe_u32 v158, v22, 20, 4
	v_and_b32_e32 v163, 15, v22
	v_bfe_u32 v164, v22, 8, 4
	v_bfe_u32 v165, v22, 16, 4
	v_bfe_u32 v167, v22, 24, 4
	v_bfe_u32 v168, v22, 4, 4
	v_bfe_u32 v169, v22, 12, 4
	v_lshrrev_b32_e32 v171, 28, v22
	ds_load_2addr_b32 v[21:22], v117 offset0:2 offset1:3
	v_bfe_i32 v84, v58, 0, 8
	v_mul_i32_i24_e32 v122, v156, v26
	v_bfe_i32 v42, v47, 8, 8
	v_bfe_i32 v106, v49, 0, 8
	v_mul_i32_i24_e32 v129, v163, v63
	v_mul_i32_i24_e32 v133, v168, v84
	v_mad_i32_i24 v122, v153, v54, v122
	v_bfe_i32 v53, v47, 16, 8
	v_ashrrev_i32_e32 v47, 24, v47
	v_mul_i32_i24_e32 v123, v157, v42
	v_bfe_i32 v109, v59, 0, 8
	v_add3_u32 v122, v122, v129, v133
	v_bfe_i32 v112, v50, 0, 8
	v_mul_i32_i24_e32 v124, v159, v53
	v_mul_i32_i24_e32 v125, v160, v47
	v_bfe_i32 v55, v57, 8, 8
	v_bfe_i32 v62, v57, 16, 8
	v_ashrrev_i32_e32 v57, 24, v57
	v_bfe_i32 v64, v48, 8, 8
	s_waitcnt lgkmcnt(0)
	v_and_b32_e32 v172, 15, v21
	v_bfe_u32 v177, v21, 4, 4
	v_and_b32_e32 v181, 15, v22
	v_mul_i32_i24_e32 v126, v161, v55
	v_mul_i32_i24_e32 v127, v155, v62
	;; [unrolled: 1-line block ×5, first 2 shown]
	v_bfe_i32 v65, v48, 16, 8
	v_ashrrev_i32_e32 v48, 24, v48
	v_add3_u32 v122, v122, v137, v123
	v_mul_i32_i24_e32 v128, v162, v57
	v_mul_i32_i24_e32 v130, v164, v64
	v_bfe_i32 v98, v58, 8, 8
	v_bfe_i32 v150, v60, 0, 8
	v_add3_u32 v122, v122, v124, v125
	v_mul_i32_i24_e32 v131, v165, v65
	v_mul_i32_i24_e32 v132, v167, v48
	v_bfe_u32 v185, v22, 4, 4
	v_bfe_i32 v105, v58, 16, 8
	v_add3_u32 v122, v122, v141, v144
	v_ashrrev_i32_e32 v58, 24, v58
	v_mul_i32_i24_e32 v134, v169, v98
	v_mul_i32_i24_e32 v149, v185, v150
	v_bfe_i32 v107, v49, 8, 8
	v_add3_u32 v122, v122, v126, v127
	v_bfe_i32 v108, v49, 16, 8
	v_mul_i32_i24_e32 v135, v158, v105
	v_mul_i32_i24_e32 v136, v171, v58
	v_bfe_u32 v173, v21, 8, 4
	v_add3_u32 v122, v122, v128, v130
	v_bfe_u32 v175, v21, 16, 4
	v_ashrrev_i32_e32 v49, 24, v49
	v_bfe_i32 v110, v59, 8, 8
	v_mul_i32_i24_e32 v138, v173, v107
	v_add3_u32 v122, v122, v131, v132
	v_mul_i32_i24_e32 v139, v175, v108
	v_bfe_u32 v176, v21, 24, 4
	v_bfe_u32 v178, v21, 12, 4
	v_bfe_i32 v111, v59, 16, 8
	v_add3_u32 v122, v122, v149, v134
	v_ashrrev_i32_e32 v59, 24, v59
	v_bfe_u32 v166, v21, 20, 4
	v_mul_i32_i24_e32 v140, v176, v49
	v_mul_i32_i24_e32 v142, v178, v110
	v_add3_u32 v122, v122, v135, v136
	v_lshrrev_b32_e32 v179, 28, v21
	v_bfe_i32 v113, v50, 8, 8
	v_bfe_i32 v148, v50, 16, 8
	v_mul_i32_i24_e32 v143, v166, v111
	v_add3_u32 v122, v122, v138, v139
	v_mul_i32_i24_e32 v21, v179, v59
	v_bfe_u32 v182, v22, 8, 4
	v_bfe_u32 v183, v22, 16, 4
	v_ashrrev_i32_e32 v50, 24, v50
	v_add3_u32 v122, v122, v140, v142
	v_bfe_i32 v151, v60, 8, 8
	v_mul_i32_i24_e32 v145, v182, v113
	v_mul_i32_i24_e32 v146, v183, v148
	v_bfe_u32 v184, v22, 24, 4
	v_bfe_u32 v186, v22, 12, 4
	v_add3_u32 v21, v122, v143, v21
	v_bfe_i32 v254, v60, 16, 8
	v_ashrrev_i32_e32 v60, 24, v60
	v_bfe_u32 v174, v22, 20, 4
	v_mul_i32_i24_e32 v147, v184, v50
	v_mul_i32_i24_e32 v154, v186, v151
	v_lshrrev_b32_e32 v188, 28, v22
	v_add3_u32 v21, v21, v145, v146
	v_mul_i32_i24_e32 v170, v174, v254
	s_delay_alu instid0(VALU_DEP_3) | instskip(NEXT) | instid1(VALU_DEP_3)
	v_mul_i32_i24_e32 v22, v188, v60
	v_add3_u32 v21, v21, v147, v154
	s_delay_alu instid0(VALU_DEP_1) | instskip(SKIP_1) | instid1(VALU_DEP_2)
	v_add3_u32 v21, v21, v170, v22
	v_pk_mul_f16 v22, v3, v152
	v_cvt_f32_i32_e32 v21, v21
	s_delay_alu instid0(VALU_DEP_1) | instskip(NEXT) | instid1(VALU_DEP_1)
	v_fma_mix_f32 v21, v22, v21, v22 op_sel:[0,0,1] op_sel_hi:[1,0,1]
	v_add_f32_e32 v33, v33, v21
	v_add_nc_u32_e32 v21, 0x1080, v117
	ds_load_b32 v154, v119
	ds_load_2addr_b32 v[21:22], v21 offset1:1
	v_add_nc_u32_e32 v119, 4, v119
	s_waitcnt lgkmcnt(0)
	v_bfe_u32 v187, v21, 20, 4
	v_and_b32_e32 v189, 15, v21
	v_bfe_u32 v190, v21, 8, 4
	v_bfe_u32 v192, v21, 16, 4
	;; [unrolled: 1-line block ×5, first 2 shown]
	v_lshrrev_b32_e32 v195, 28, v21
	v_add_nc_u32_e32 v21, 0x1088, v117
	v_bfe_u32 v191, v22, 20, 4
	v_and_b32_e32 v196, 15, v22
	v_bfe_u32 v197, v22, 8, 4
	v_bfe_u32 v198, v22, 16, 4
	;; [unrolled: 1-line block ×5, first 2 shown]
	v_lshrrev_b32_e32 v203, 28, v22
	ds_load_2addr_b32 v[21:22], v21 offset1:1
	v_mul_i32_i24_e32 v122, v189, v26
	v_mul_i32_i24_e32 v129, v196, v63
	;; [unrolled: 1-line block ×5, first 2 shown]
	v_mad_i32_i24 v122, v170, v54, v122
	v_mul_i32_i24_e32 v125, v193, v47
	v_mul_i32_i24_e32 v126, v194, v55
	v_mul_i32_i24_e32 v127, v187, v62
	v_mul_i32_i24_e32 v128, v195, v57
	v_add3_u32 v122, v122, v129, v133
	v_mul_i32_i24_e32 v130, v197, v64
	v_mul_i32_i24_e32 v131, v198, v65
	;; [unrolled: 1-line block ×6, first 2 shown]
	s_waitcnt lgkmcnt(0)
	v_and_b32_e32 v205, 15, v21
	v_bfe_u32 v210, v21, 4, 4
	v_and_b32_e32 v213, 15, v22
	v_bfe_u32 v217, v22, 4, 4
	v_bfe_u32 v206, v21, 8, 4
	v_mul_i32_i24_e32 v137, v205, v106
	v_mul_i32_i24_e32 v141, v210, v109
	;; [unrolled: 1-line block ×4, first 2 shown]
	v_bfe_u32 v208, v21, 16, 4
	v_add3_u32 v122, v122, v137, v123
	v_mul_i32_i24_e32 v138, v206, v107
	v_bfe_u32 v209, v21, 24, 4
	v_bfe_u32 v211, v21, 12, 4
	v_mul_i32_i24_e32 v139, v208, v108
	v_add3_u32 v122, v122, v124, v125
	v_bfe_u32 v200, v21, 20, 4
	v_mul_i32_i24_e32 v140, v209, v49
	v_mul_i32_i24_e32 v142, v211, v110
	v_lshrrev_b32_e32 v212, 28, v21
	v_add3_u32 v122, v122, v141, v144
	v_mul_i32_i24_e32 v143, v200, v111
	v_bfe_u32 v214, v22, 8, 4
	v_bfe_u32 v215, v22, 16, 4
	v_mul_i32_i24_e32 v21, v212, v59
	v_add3_u32 v122, v122, v126, v127
	v_bfe_u32 v216, v22, 24, 4
	v_mul_i32_i24_e32 v145, v214, v113
	v_mul_i32_i24_e32 v146, v215, v148
	v_bfe_u32 v218, v22, 12, 4
	v_add3_u32 v122, v122, v128, v130
	v_bfe_u32 v207, v22, 20, 4
	v_mul_i32_i24_e32 v147, v216, v50
	v_lshrrev_b32_e32 v220, 28, v22
	v_mul_i32_i24_e32 v180, v218, v151
	v_add3_u32 v122, v122, v131, v132
	v_mul_i32_i24_e32 v204, v207, v254
	s_delay_alu instid0(VALU_DEP_4) | instskip(NEXT) | instid1(VALU_DEP_3)
	v_mul_i32_i24_e32 v22, v220, v60
	v_add3_u32 v122, v122, v149, v134
	s_delay_alu instid0(VALU_DEP_1) | instskip(NEXT) | instid1(VALU_DEP_1)
	v_add3_u32 v122, v122, v135, v136
	v_add3_u32 v122, v122, v138, v139
	s_delay_alu instid0(VALU_DEP_1) | instskip(NEXT) | instid1(VALU_DEP_1)
	v_add3_u32 v122, v122, v140, v142
	;; [unrolled: 3-line block ×3, first 2 shown]
	v_add3_u32 v21, v21, v147, v180
	s_delay_alu instid0(VALU_DEP_1) | instskip(SKIP_1) | instid1(VALU_DEP_2)
	v_add3_u32 v21, v21, v204, v22
	v_pk_mul_f16 v22, v3, v154
	v_cvt_f32_i32_e32 v21, v21
	s_delay_alu instid0(VALU_DEP_1) | instskip(NEXT) | instid1(VALU_DEP_1)
	v_fma_mix_f32 v21, v22, v21, v22 op_sel:[0,0,1] op_sel_hi:[1,0,1]
	v_add_f32_e32 v45, v45, v21
	v_add_nc_u32_e32 v21, 0x2100, v117
	ds_load_b32 v180, v120
	ds_load_2addr_b32 v[21:22], v21 offset1:1
	v_add_nc_u32_e32 v120, 4, v120
	s_waitcnt lgkmcnt(0)
	v_bfe_u32 v219, v21, 20, 4
	v_and_b32_e32 v221, 15, v21
	v_bfe_u32 v222, v21, 8, 4
	v_bfe_u32 v224, v21, 16, 4
	;; [unrolled: 1-line block ×5, first 2 shown]
	v_lshrrev_b32_e32 v227, 28, v21
	v_add_nc_u32_e32 v21, 0x2108, v117
	v_bfe_u32 v223, v22, 20, 4
	v_and_b32_e32 v228, 15, v22
	v_bfe_u32 v229, v22, 8, 4
	v_bfe_u32 v230, v22, 16, 4
	;; [unrolled: 1-line block ×5, first 2 shown]
	v_lshrrev_b32_e32 v235, 28, v22
	ds_load_2addr_b32 v[21:22], v21 offset1:1
	v_mul_i32_i24_e32 v122, v221, v26
	v_mul_i32_i24_e32 v129, v228, v63
	v_mul_i32_i24_e32 v133, v233, v84
	v_mul_i32_i24_e32 v123, v222, v42
	v_mul_i32_i24_e32 v124, v224, v53
	v_mad_i32_i24 v122, v204, v54, v122
	v_mul_i32_i24_e32 v125, v225, v47
	v_mul_i32_i24_e32 v126, v226, v55
	;; [unrolled: 1-line block ×4, first 2 shown]
	v_add3_u32 v122, v122, v129, v133
	v_mul_i32_i24_e32 v130, v229, v64
	v_mul_i32_i24_e32 v131, v230, v65
	;; [unrolled: 1-line block ×6, first 2 shown]
	s_waitcnt lgkmcnt(0)
	v_and_b32_e32 v236, 15, v21
	v_bfe_u32 v241, v21, 4, 4
	v_and_b32_e32 v244, 15, v22
	v_bfe_u32 v248, v22, 4, 4
	v_bfe_u32 v237, v21, 8, 4
	v_mul_i32_i24_e32 v137, v236, v106
	v_mul_i32_i24_e32 v141, v241, v109
	;; [unrolled: 1-line block ×4, first 2 shown]
	v_bfe_u32 v239, v21, 16, 4
	v_add3_u32 v122, v122, v137, v123
	v_mul_i32_i24_e32 v138, v237, v107
	v_bfe_u32 v240, v21, 24, 4
	v_bfe_u32 v242, v21, 12, 4
	v_mul_i32_i24_e32 v139, v239, v108
	v_add3_u32 v122, v122, v124, v125
	v_bfe_u32 v232, v21, 20, 4
	v_mul_i32_i24_e32 v140, v240, v49
	v_mul_i32_i24_e32 v142, v242, v110
	v_lshrrev_b32_e32 v243, 28, v21
	v_add3_u32 v122, v122, v141, v144
	v_mul_i32_i24_e32 v143, v232, v111
	v_bfe_u32 v245, v22, 8, 4
	v_bfe_u32 v246, v22, 16, 4
	v_mul_i32_i24_e32 v21, v243, v59
	v_add3_u32 v122, v122, v126, v127
	v_bfe_u32 v247, v22, 24, 4
	v_mul_i32_i24_e32 v145, v245, v113
	v_mul_i32_i24_e32 v146, v246, v148
	v_bfe_u32 v249, v22, 12, 4
	v_add3_u32 v122, v122, v128, v130
	v_bfe_u32 v238, v22, 20, 4
	v_mul_i32_i24_e32 v147, v247, v50
	v_lshrrev_b32_e32 v250, 28, v22
	v_mul_i32_i24_e32 v251, v249, v151
	v_add3_u32 v122, v122, v131, v132
	v_mul_i32_i24_e32 v252, v238, v254
	s_delay_alu instid0(VALU_DEP_4) | instskip(NEXT) | instid1(VALU_DEP_3)
	v_mul_i32_i24_e32 v22, v250, v60
	v_add3_u32 v122, v122, v149, v134
	s_delay_alu instid0(VALU_DEP_1) | instskip(NEXT) | instid1(VALU_DEP_1)
	v_add3_u32 v122, v122, v135, v136
	v_add3_u32 v122, v122, v138, v139
	s_delay_alu instid0(VALU_DEP_1) | instskip(NEXT) | instid1(VALU_DEP_1)
	v_add3_u32 v122, v122, v140, v142
	;; [unrolled: 3-line block ×3, first 2 shown]
	v_add3_u32 v21, v21, v147, v251
	s_delay_alu instid0(VALU_DEP_1) | instskip(SKIP_1) | instid1(VALU_DEP_2)
	v_add3_u32 v21, v21, v252, v22
	v_pk_mul_f16 v22, v3, v180
	v_cvt_f32_i32_e32 v21, v21
	s_delay_alu instid0(VALU_DEP_1) | instskip(NEXT) | instid1(VALU_DEP_1)
	v_fma_mix_f32 v21, v22, v21, v22 op_sel:[0,0,1] op_sel_hi:[1,0,1]
	v_add_f32_e32 v38, v38, v21
	v_add_nc_u32_e32 v21, 0x3180, v117
	ds_load_b32 v122, v121
	ds_load_2addr_b32 v[21:22], v21 offset1:1
	v_add_nc_u32_e32 v121, 4, v121
	s_waitcnt lgkmcnt(1)
	v_pk_mul_f16 v3, v3, v122
	s_waitcnt lgkmcnt(0)
	v_bfe_u32 v124, v21, 20, 4
	v_and_b32_e32 v251, 15, v21
	v_bfe_u32 v252, v21, 8, 4
	v_bfe_u32 v253, v21, 16, 4
	;; [unrolled: 1-line block ×5, first 2 shown]
	v_lshrrev_b32_e32 v128, 28, v21
	v_add_nc_u32_e32 v21, 0x3188, v117
	v_bfe_u32 v125, v22, 20, 4
	v_and_b32_e32 v129, 15, v22
	v_bfe_u32 v130, v22, 8, 4
	v_bfe_u32 v131, v22, 16, 4
	;; [unrolled: 1-line block ×5, first 2 shown]
	v_lshrrev_b32_e32 v136, 28, v22
	ds_load_2addr_b32 v[21:22], v21 offset1:1
	v_mul_i32_i24_e32 v26, v251, v26
	v_mul_i32_i24_e32 v63, v129, v63
	;; [unrolled: 1-line block ×5, first 2 shown]
	v_mad_i32_i24 v26, v123, v54, v26
	v_mul_i32_i24_e32 v47, v126, v47
	v_mul_i32_i24_e32 v55, v127, v55
	;; [unrolled: 1-line block ×4, first 2 shown]
	v_add3_u32 v26, v26, v63, v84
	v_mul_i32_i24_e32 v64, v130, v64
	v_mul_i32_i24_e32 v65, v131, v65
	;; [unrolled: 1-line block ×6, first 2 shown]
	v_add_nc_u32_e32 v117, 16, v117
	s_waitcnt lgkmcnt(0)
	v_and_b32_e32 v137, 15, v21
	v_bfe_u32 v142, v21, 4, 4
	v_lshrrev_b32_e32 v144, 28, v21
	v_and_b32_e32 v145, 15, v22
	v_bfe_u32 v133, v21, 20, 4
	v_mul_i32_i24_e32 v106, v137, v106
	v_bfe_u32 v138, v21, 8, 4
	v_bfe_u32 v140, v21, 16, 4
	;; [unrolled: 1-line block ×3, first 2 shown]
	v_mul_i32_i24_e32 v109, v142, v109
	v_add3_u32 v26, v26, v106, v42
	v_bfe_u32 v143, v21, 12, 4
	v_mul_i32_i24_e32 v21, v144, v59
	v_mul_i32_i24_e32 v59, v145, v112
	v_bfe_u32 v149, v22, 4, 4
	v_add3_u32 v26, v26, v53, v47
	v_mul_i32_i24_e32 v107, v138, v107
	v_mul_i32_i24_e32 v108, v140, v108
	;; [unrolled: 1-line block ×4, first 2 shown]
	v_add3_u32 v26, v26, v109, v59
	v_mul_i32_i24_e32 v110, v143, v110
	v_mul_i32_i24_e32 v111, v133, v111
	v_bfe_u32 v146, v22, 8, 4
	v_bfe_u32 v147, v22, 16, 4
	v_add3_u32 v26, v26, v55, v62
	v_bfe_u32 v150, v22, 12, 4
	v_bfe_u32 v139, v22, 20, 4
	v_mul_i32_i24_e32 v112, v146, v113
	v_mul_i32_i24_e32 v113, v147, v148
	v_add3_u32 v26, v26, v57, v64
	v_bfe_u32 v148, v22, 24, 4
	v_mul_i32_i24_e32 v85, v150, v151
	v_lshrrev_b32_e32 v151, 28, v22
	v_mul_i32_i24_e32 v254, v139, v254
	v_add3_u32 v26, v26, v65, v48
	v_mul_i32_i24_e32 v50, v148, v50
	s_delay_alu instid0(VALU_DEP_4) | instskip(NEXT) | instid1(VALU_DEP_3)
	v_mul_i32_i24_e32 v22, v151, v60
	v_add3_u32 v26, v26, v255, v98
	s_delay_alu instid0(VALU_DEP_1) | instskip(NEXT) | instid1(VALU_DEP_1)
	v_add3_u32 v26, v26, v105, v58
	v_add3_u32 v26, v26, v107, v108
	s_delay_alu instid0(VALU_DEP_1) | instskip(NEXT) | instid1(VALU_DEP_1)
	v_add3_u32 v26, v26, v49, v110
	;; [unrolled: 3-line block ×3, first 2 shown]
	v_add3_u32 v21, v21, v50, v85
	ds_load_b128 v[47:50], v116 offset:1024
	ds_load_b128 v[57:60], v116 offset:1040
	v_add3_u32 v21, v21, v254, v22
	s_delay_alu instid0(VALU_DEP_1) | instskip(NEXT) | instid1(VALU_DEP_1)
	v_cvt_f32_i32_e32 v21, v21
	v_fma_mix_f32 v3, v3, v21, v3 op_sel:[0,0,1] op_sel_hi:[1,0,1]
	s_delay_alu instid0(VALU_DEP_1)
	v_add_f32_e32 v37, v37, v3
	s_waitcnt lgkmcnt(1)
	v_bfe_i32 v3, v47, 0, 8
	v_bfe_i32 v21, v47, 8, 8
	;; [unrolled: 1-line block ×3, first 2 shown]
	s_waitcnt lgkmcnt(0)
	v_bfe_i32 v42, v57, 0, 8
	v_ashrrev_i32_e32 v26, 24, v47
	v_mul_i32_i24_e32 v254, v3, v156
	v_bfe_i32 v55, v48, 0, 8
	v_mul_i32_i24_e32 v255, v21, v157
	v_mul_i32_i24_e32 v97, v22, v159
	v_bfe_i32 v47, v57, 8, 8
	v_mad_i32_i24 v254, v42, v153, v254
	v_bfe_i32 v53, v57, 16, 8
	v_mul_i32_i24_e32 v99, v26, v160
	v_mul_i32_i24_e32 v39, v55, v163
	v_ashrrev_i32_e32 v54, 24, v57
	v_add3_u32 v97, v254, v255, v97
	v_bfe_i32 v63, v58, 0, 8
	v_mul_i32_i24_e32 v100, v47, v161
	v_mul_i32_i24_e32 v101, v53, v155
	v_bfe_i32 v57, v48, 8, 8
	v_add3_u32 v39, v97, v99, v39
	v_bfe_i32 v62, v48, 16, 8
	v_mul_i32_i24_e32 v102, v54, v162
	v_mul_i32_i24_e32 v46, v63, v168
	v_ashrrev_i32_e32 v48, 24, v48
	v_add3_u32 v39, v39, v100, v101
	v_bfe_i32 v84, v49, 0, 8
	v_mul_i32_i24_e32 v40, v57, v164
	v_mul_i32_i24_e32 v41, v62, v165
	v_bfe_i32 v64, v58, 8, 8
	v_add3_u32 v39, v39, v102, v46
	;; [unrolled: 10-line block ×6, first 2 shown]
	v_ashrrev_i32_e32 v60, 24, v60
	v_mul_i32_i24_e32 v81, v50, v184
	v_mul_i32_i24_e32 v43, v112, v186
	;; [unrolled: 1-line block ×3, first 2 shown]
	v_add3_u32 v39, v39, v79, v80
	v_mul_i32_i24_e32 v71, v60, v188
	v_pk_mul_f16 v40, v152, v4
	v_mul_i32_i24_e32 v41, v22, v192
	v_mul_i32_i24_e32 v52, v55, v196
	v_add3_u32 v39, v39, v81, v43
	v_mul_i32_i24_e32 v43, v26, v193
	v_mul_i32_i24_e32 v44, v47, v194
	;; [unrolled: 1-line block ×4, first 2 shown]
	v_add3_u32 v39, v39, v69, v71
	v_mul_i32_i24_e32 v67, v63, v201
	v_mul_i32_i24_e32 v56, v57, v197
	;; [unrolled: 1-line block ×4, first 2 shown]
	v_cvt_f32_i32_e32 v39, v39
	v_mul_i32_i24_e32 v71, v84, v205
	v_mul_i32_i24_e32 v68, v64, v202
	;; [unrolled: 1-line block ×4, first 2 shown]
	v_fma_mix_f32 v39, v40, v39, v40 op_sel:[0,0,1] op_sel_hi:[1,0,1]
	v_mul_i32_i24_e32 v40, v21, v190
	v_mul_i32_i24_e32 v78, v105, v210
	;; [unrolled: 1-line block ×4, first 2 shown]
	v_add_f32_e32 v36, v36, v39
	v_mul_i32_i24_e32 v39, v3, v189
	v_mul_i32_i24_e32 v77, v49, v209
	;; [unrolled: 1-line block ×5, first 2 shown]
	v_mad_i32_i24 v39, v42, v170, v39
	v_mul_i32_i24_e32 v81, v59, v212
	v_mul_i32_i24_e32 v101, v111, v217
	;; [unrolled: 1-line block ×4, first 2 shown]
	v_add3_u32 v39, v39, v40, v41
	v_mul_i32_i24_e32 v100, v50, v216
	v_mul_i32_i24_e32 v102, v112, v218
	;; [unrolled: 1-line block ×4, first 2 shown]
	v_add3_u32 v39, v39, v43, v52
	v_pk_mul_f16 v40, v154, v4
	v_mul_i32_i24_e32 v41, v22, v224
	v_mul_i32_i24_e32 v43, v26, v225
	;; [unrolled: 1-line block ×3, first 2 shown]
	v_add3_u32 v39, v39, v44, v46
	v_mul_i32_i24_e32 v44, v47, v226
	v_mul_i32_i24_e32 v46, v53, v219
	;; [unrolled: 1-line block ×4, first 2 shown]
	v_add3_u32 v39, v39, v51, v67
	v_mul_i32_i24_e32 v51, v54, v227
	v_mul_i32_i24_e32 v67, v63, v233
	s_delay_alu instid0(VALU_DEP_3) | instskip(SKIP_2) | instid1(VALU_DEP_3)
	v_add3_u32 v39, v39, v56, v61
	v_mul_i32_i24_e32 v56, v57, v229
	v_mul_i32_i24_e32 v61, v62, v230
	v_add3_u32 v39, v39, v66, v71
	v_mul_i32_i24_e32 v66, v48, v231
	v_mul_i32_i24_e32 v71, v84, v236
	s_delay_alu instid0(VALU_DEP_3) | instskip(SKIP_2) | instid1(VALU_DEP_3)
	v_add3_u32 v39, v39, v68, v69
	v_mul_i32_i24_e32 v68, v64, v234
	v_mul_i32_i24_e32 v69, v65, v223
	;; [unrolled: 7-line block ×3, first 2 shown]
	v_add3_u32 v39, v39, v77, v82
	v_mul_i32_i24_e32 v77, v49, v240
	v_mul_i32_i24_e32 v82, v108, v244
	;; [unrolled: 1-line block ×3, first 2 shown]
	s_delay_alu instid0(VALU_DEP_4) | instskip(SKIP_2) | instid1(VALU_DEP_3)
	v_add3_u32 v39, v39, v79, v80
	v_mul_i32_i24_e32 v79, v106, v242
	v_mul_i32_i24_e32 v80, v107, v232
	v_add3_u32 v39, v39, v81, v101
	v_mul_i32_i24_e32 v81, v59, v243
	v_mul_i32_i24_e32 v101, v111, v248
	;; [unrolled: 1-line block ×3, first 2 shown]
	s_delay_alu instid0(VALU_DEP_4) | instskip(SKIP_2) | instid1(VALU_DEP_3)
	v_add3_u32 v39, v39, v97, v99
	v_mul_i32_i24_e32 v97, v109, v245
	v_mul_i32_i24_e32 v99, v110, v246
	v_add3_u32 v39, v39, v100, v102
	v_mul_i32_i24_e32 v100, v50, v247
	v_mul_i32_i24_e32 v102, v112, v249
	;; [unrolled: 1-line block ×3, first 2 shown]
	s_delay_alu instid0(VALU_DEP_4) | instskip(SKIP_3) | instid1(VALU_DEP_4)
	v_add3_u32 v39, v39, v254, v255
	v_mul_i32_i24_e32 v254, v113, v238
	v_mul_i32_i24_e32 v255, v60, v250
	;; [unrolled: 1-line block ×3, first 2 shown]
	v_cvt_f32_i32_e32 v39, v39
	s_delay_alu instid0(VALU_DEP_1) | instskip(SKIP_2) | instid1(VALU_DEP_3)
	v_fma_mix_f32 v39, v40, v39, v40 op_sel:[0,0,1] op_sel_hi:[1,0,1]
	v_mul_i32_i24_e32 v40, v21, v222
	v_mul_i32_i24_e32 v21, v21, v252
	v_add_f32_e32 v35, v35, v39
	v_mul_i32_i24_e32 v39, v3, v221
	v_mul_i32_i24_e32 v3, v3, v251
	s_delay_alu instid0(VALU_DEP_2) | instskip(NEXT) | instid1(VALU_DEP_2)
	v_mad_i32_i24 v39, v42, v204, v39
	v_mad_i32_i24 v3, v42, v123, v3
	s_delay_alu instid0(VALU_DEP_2) | instskip(SKIP_1) | instid1(VALU_DEP_3)
	v_add3_u32 v39, v39, v40, v41
	v_pk_mul_f16 v40, v180, v4
	v_add3_u32 v3, v3, v21, v22
	v_mul_i32_i24_e32 v41, v54, v128
	v_mul_i32_i24_e32 v54, v84, v137
	v_add3_u32 v39, v39, v43, v52
	v_mul_i32_i24_e32 v43, v55, v129
	v_mul_i32_i24_e32 v52, v65, v125
	;; [unrolled: 1-line block ×4, first 2 shown]
	v_add3_u32 v39, v39, v44, v46
	v_add3_u32 v3, v3, v26, v43
	v_mul_i32_i24_e32 v44, v57, v130
	v_mul_i32_i24_e32 v46, v62, v131
	;; [unrolled: 1-line block ×3, first 2 shown]
	v_add3_u32 v39, v39, v51, v67
	v_mul_i32_i24_e32 v51, v64, v135
	v_mul_i32_i24_e32 v62, v108, v145
	;; [unrolled: 1-line block ×4, first 2 shown]
	v_add3_u32 v39, v39, v56, v61
	v_mul_i32_i24_e32 v56, v98, v140
	v_mul_i32_i24_e32 v61, v107, v133
	v_pk_mul_f16 v4, v122, v4
	s_delay_alu instid0(VALU_DEP_4) | instskip(SKIP_1) | instid1(VALU_DEP_2)
	v_add3_u32 v39, v39, v66, v71
	v_mul_i32_i24_e32 v66, v112, v150
	v_add3_u32 v39, v39, v68, v69
	s_delay_alu instid0(VALU_DEP_1) | instskip(NEXT) | instid1(VALU_DEP_1)
	v_add3_u32 v39, v39, v70, v78
	v_add3_u32 v39, v39, v75, v76
	s_delay_alu instid0(VALU_DEP_1) | instskip(NEXT) | instid1(VALU_DEP_1)
	v_add3_u32 v39, v39, v77, v82
	v_add3_u32 v39, v39, v79, v80
	s_delay_alu instid0(VALU_DEP_1) | instskip(NEXT) | instid1(VALU_DEP_1)
	v_add3_u32 v39, v39, v81, v101
	v_add3_u32 v39, v39, v97, v99
	s_delay_alu instid0(VALU_DEP_1) | instskip(NEXT) | instid1(VALU_DEP_1)
	v_add3_u32 v39, v39, v100, v102
	v_add3_u32 v39, v39, v254, v255
	s_delay_alu instid0(VALU_DEP_1) | instskip(NEXT) | instid1(VALU_DEP_1)
	v_cvt_f32_i32_e32 v39, v39
	v_fma_mix_f32 v39, v40, v39, v40 op_sel:[0,0,1] op_sel_hi:[1,0,1]
	v_mul_i32_i24_e32 v40, v53, v124
	v_mul_i32_i24_e32 v53, v58, v136
	;; [unrolled: 1-line block ×3, first 2 shown]
	s_delay_alu instid0(VALU_DEP_4) | instskip(SKIP_4) | instid1(VALU_DEP_4)
	v_add_f32_e32 v34, v34, v39
	v_mul_i32_i24_e32 v39, v47, v127
	v_mul_i32_i24_e32 v47, v48, v132
	;; [unrolled: 1-line block ×4, first 2 shown]
	v_add3_u32 v3, v3, v39, v40
	s_delay_alu instid0(VALU_DEP_1) | instskip(NEXT) | instid1(VALU_DEP_1)
	v_add3_u32 v3, v3, v41, v48
	v_add3_u32 v3, v3, v44, v46
	s_delay_alu instid0(VALU_DEP_1) | instskip(NEXT) | instid1(VALU_DEP_1)
	v_add3_u32 v3, v3, v47, v54
	;; [unrolled: 3-line block ×6, first 2 shown]
	v_add3_u32 v3, v3, v67, v60
	s_delay_alu instid0(VALU_DEP_1) | instskip(NEXT) | instid1(VALU_DEP_1)
	v_cvt_f32_i32_e32 v3, v3
	v_fma_mix_f32 v3, v4, v3, v4 op_sel:[0,0,1] op_sel_hi:[1,0,1]
	s_delay_alu instid0(VALU_DEP_1)
	v_add_f32_e32 v32, v32, v3
	ds_load_b128 v[47:50], v116 offset:2048
	ds_load_b128 v[57:60], v116 offset:2064
	ds_load_2addr_b32 v[3:4], v115 offset0:64 offset1:96
	s_waitcnt lgkmcnt(2)
	v_bfe_i32 v21, v47, 0, 8
	v_bfe_i32 v22, v47, 8, 8
	;; [unrolled: 1-line block ×3, first 2 shown]
	s_waitcnt lgkmcnt(1)
	v_bfe_i32 v40, v57, 0, 8
	v_ashrrev_i32_e32 v39, 24, v47
	v_mul_i32_i24_e32 v69, v21, v156
	v_bfe_i32 v44, v48, 0, 8
	v_mul_i32_i24_e32 v70, v22, v157
	v_mul_i32_i24_e32 v71, v26, v159
	v_bfe_i32 v41, v57, 8, 8
	v_mad_i32_i24 v69, v40, v153, v69
	v_bfe_i32 v42, v57, 16, 8
	v_mul_i32_i24_e32 v75, v39, v160
	v_mul_i32_i24_e32 v79, v44, v163
	v_ashrrev_i32_e32 v43, 24, v57
	v_add3_u32 v69, v69, v70, v71
	v_bfe_i32 v51, v58, 0, 8
	v_mul_i32_i24_e32 v76, v41, v161
	v_mul_i32_i24_e32 v77, v42, v155
	v_bfe_i32 v46, v48, 8, 8
	v_add3_u32 v69, v69, v75, v79
	v_bfe_i32 v47, v48, 16, 8
	v_mul_i32_i24_e32 v78, v43, v162
	v_mul_i32_i24_e32 v84, v51, v168
	v_ashrrev_i32_e32 v48, 24, v48
	v_add3_u32 v69, v69, v76, v77
	v_bfe_i32 v55, v49, 0, 8
	v_mul_i32_i24_e32 v80, v46, v164
	v_mul_i32_i24_e32 v81, v47, v165
	v_bfe_i32 v52, v58, 8, 8
	v_add3_u32 v69, v69, v78, v84
	;; [unrolled: 10-line block ×6, first 2 shown]
	v_ashrrev_i32_e32 v60, 24, v60
	v_mul_i32_i24_e32 v112, v50, v184
	v_mul_i32_i24_e32 v254, v67, v186
	;; [unrolled: 1-line block ×3, first 2 shown]
	v_add3_u32 v69, v69, v110, v111
	v_mul_i32_i24_e32 v72, v60, v188
	s_waitcnt lgkmcnt(0)
	v_pk_mul_f16 v70, v152, v3
	v_mul_i32_i24_e32 v71, v26, v192
	v_mul_i32_i24_e32 v78, v44, v196
	v_add3_u32 v69, v69, v112, v254
	v_mul_i32_i24_e32 v75, v41, v194
	v_mul_i32_i24_e32 v76, v42, v187
	;; [unrolled: 1-line block ×4, first 2 shown]
	v_add3_u32 v69, v69, v255, v72
	v_mul_i32_i24_e32 v72, v39, v193
	v_mul_i32_i24_e32 v79, v46, v197
	;; [unrolled: 1-line block ×4, first 2 shown]
	v_cvt_f32_i32_e32 v69, v69
	v_mul_i32_i24_e32 v98, v55, v205
	v_mul_i32_i24_e32 v84, v52, v202
	;; [unrolled: 1-line block ×4, first 2 shown]
	v_fma_mix_f32 v69, v70, v69, v70 op_sel:[0,0,1] op_sel_hi:[1,0,1]
	v_mul_i32_i24_e32 v70, v22, v190
	v_mul_i32_i24_e32 v102, v58, v210
	;; [unrolled: 1-line block ×4, first 2 shown]
	v_add_f32_e32 v31, v31, v69
	v_mul_i32_i24_e32 v69, v21, v189
	v_mul_i32_i24_e32 v101, v49, v209
	;; [unrolled: 1-line block ×5, first 2 shown]
	v_mad_i32_i24 v69, v40, v170, v69
	v_mul_i32_i24_e32 v107, v59, v212
	v_mul_i32_i24_e32 v112, v66, v217
	;; [unrolled: 1-line block ×4, first 2 shown]
	v_add3_u32 v69, v69, v70, v71
	v_mul_i32_i24_e32 v111, v50, v216
	v_mul_i32_i24_e32 v113, v67, v218
	v_mul_i32_i24_e32 v254, v68, v207
	v_mul_i32_i24_e32 v255, v60, v220
	v_add3_u32 v69, v69, v72, v78
	v_pk_mul_f16 v70, v154, v3
	v_mul_i32_i24_e32 v71, v26, v224
	v_mul_i32_i24_e32 v26, v26, v253
	v_mul_i32_i24_e32 v72, v39, v225
	v_add3_u32 v69, v69, v75, v76
	v_mul_i32_i24_e32 v78, v44, v228
	v_mul_i32_i24_e32 v39, v39, v126
	v_mul_i32_i24_e32 v44, v44, v129
	v_mul_i32_i24_e32 v75, v41, v226
	v_add3_u32 v69, v69, v77, v82
	v_mul_i32_i24_e32 v76, v42, v219
	;; [unrolled: 5-line block ×13, first 2 shown]
	v_mul_i32_i24_e32 v50, v50, v148
	v_mul_i32_i24_e32 v67, v67, v150
	;; [unrolled: 1-line block ×3, first 2 shown]
	v_cvt_f32_i32_e32 v69, v69
	v_mul_i32_i24_e32 v255, v60, v250
	v_mul_i32_i24_e32 v68, v68, v139
	v_mul_i32_i24_e32 v60, v60, v151
	s_delay_alu instid0(VALU_DEP_4) | instskip(SKIP_2) | instid1(VALU_DEP_3)
	v_fma_mix_f32 v69, v70, v69, v70 op_sel:[0,0,1] op_sel_hi:[1,0,1]
	v_mul_i32_i24_e32 v70, v22, v222
	v_mul_i32_i24_e32 v22, v22, v252
	v_add_f32_e32 v30, v30, v69
	v_mul_i32_i24_e32 v69, v21, v221
	v_mul_i32_i24_e32 v21, v21, v251
	s_delay_alu instid0(VALU_DEP_2) | instskip(NEXT) | instid1(VALU_DEP_2)
	v_mad_i32_i24 v69, v40, v204, v69
	v_mad_i32_i24 v21, v40, v123, v21
	s_delay_alu instid0(VALU_DEP_2) | instskip(NEXT) | instid1(VALU_DEP_2)
	v_add3_u32 v69, v69, v70, v71
	v_add3_u32 v21, v21, v22, v26
	v_pk_mul_f16 v70, v180, v3
	v_pk_mul_f16 v3, v122, v3
	s_delay_alu instid0(VALU_DEP_4) | instskip(NEXT) | instid1(VALU_DEP_4)
	v_add3_u32 v69, v69, v72, v78
	v_add3_u32 v21, v21, v39, v44
	s_delay_alu instid0(VALU_DEP_2) | instskip(NEXT) | instid1(VALU_DEP_2)
	v_add3_u32 v69, v69, v75, v76
	v_add3_u32 v21, v21, v41, v42
	s_delay_alu instid0(VALU_DEP_2) | instskip(NEXT) | instid1(VALU_DEP_2)
	;; [unrolled: 3-line block ×13, first 2 shown]
	v_add3_u32 v69, v69, v254, v255
	v_add3_u32 v21, v21, v68, v60
	ds_load_b128 v[47:50], v116 offset:3072
	ds_load_b128 v[57:60], v116 offset:3088
	v_cvt_f32_i32_e32 v69, v69
	v_cvt_f32_i32_e32 v21, v21
	s_delay_alu instid0(VALU_DEP_2) | instskip(NEXT) | instid1(VALU_DEP_2)
	v_fma_mix_f32 v69, v70, v69, v70 op_sel:[0,0,1] op_sel_hi:[1,0,1]
	v_fma_mix_f32 v3, v3, v21, v3 op_sel:[0,0,1] op_sel_hi:[1,0,1]
	s_delay_alu instid0(VALU_DEP_1)
	v_dual_add_f32 v29, v29, v69 :: v_dual_add_f32 v28, v28, v3
	s_waitcnt lgkmcnt(1)
	v_bfe_i32 v3, v47, 0, 8
	v_bfe_i32 v21, v47, 8, 8
	;; [unrolled: 1-line block ×3, first 2 shown]
	s_waitcnt lgkmcnt(0)
	v_bfe_i32 v39, v57, 0, 8
	v_ashrrev_i32_e32 v26, 24, v47
	v_mul_i32_i24_e32 v68, v3, v156
	v_bfe_i32 v43, v48, 0, 8
	v_mul_i32_i24_e32 v69, v21, v157
	v_mul_i32_i24_e32 v70, v22, v159
	v_bfe_i32 v40, v57, 8, 8
	v_mad_i32_i24 v68, v39, v153, v68
	v_bfe_i32 v41, v57, 16, 8
	v_mul_i32_i24_e32 v71, v26, v160
	v_mul_i32_i24_e32 v77, v43, v163
	v_ashrrev_i32_e32 v42, 24, v57
	v_add3_u32 v68, v68, v69, v70
	v_bfe_i32 v44, v48, 8, 8
	v_bfe_i32 v46, v48, 16, 8
	v_ashrrev_i32_e32 v47, 24, v48
	v_bfe_i32 v48, v58, 0, 8
	v_mul_i32_i24_e32 v72, v40, v161
	v_mul_i32_i24_e32 v75, v41, v155
	v_add3_u32 v68, v68, v71, v77
	v_mul_i32_i24_e32 v76, v42, v162
	v_mul_i32_i24_e32 v81, v48, v168
	v_bfe_i32 v54, v49, 0, 8
	v_mul_i32_i24_e32 v78, v44, v164
	v_add3_u32 v68, v68, v72, v75
	v_mul_i32_i24_e32 v79, v46, v165
	v_bfe_i32 v51, v58, 8, 8
	v_bfe_i32 v52, v58, 16, 8
	v_mul_i32_i24_e32 v80, v47, v167
	v_add3_u32 v68, v68, v76, v81
	v_mul_i32_i24_e32 v97, v54, v172
	v_ashrrev_i32_e32 v53, 24, v58
	v_bfe_i32 v57, v59, 0, 8
	v_mul_i32_i24_e32 v82, v51, v169
	v_add3_u32 v68, v68, v78, v79
	v_mul_i32_i24_e32 v84, v52, v158
	v_bfe_i32 v55, v49, 8, 8
	v_bfe_i32 v56, v49, 16, 8
	v_mul_i32_i24_e32 v85, v53, v171
	v_add3_u32 v68, v68, v80, v97
	v_mul_i32_i24_e32 v101, v57, v177
	v_ashrrev_i32_e32 v49, 24, v49
	v_bfe_i32 v62, v50, 0, 8
	v_mul_i32_i24_e32 v98, v55, v173
	v_add3_u32 v68, v68, v82, v84
	v_mul_i32_i24_e32 v99, v56, v175
	v_bfe_i32 v58, v59, 8, 8
	v_bfe_i32 v61, v59, 16, 8
	v_mul_i32_i24_e32 v100, v49, v176
	v_add3_u32 v68, v68, v85, v101
	v_mul_i32_i24_e32 v107, v62, v181
	v_ashrrev_i32_e32 v59, 24, v59
	v_bfe_i32 v65, v60, 0, 8
	v_mul_i32_i24_e32 v102, v58, v178
	v_add3_u32 v68, v68, v98, v99
	v_mul_i32_i24_e32 v105, v61, v166
	v_bfe_i32 v63, v50, 8, 8
	v_bfe_i32 v64, v50, 16, 8
	v_mul_i32_i24_e32 v106, v59, v179
	v_add3_u32 v68, v68, v100, v107
	v_mul_i32_i24_e32 v111, v65, v185
	v_ashrrev_i32_e32 v50, 24, v50
	v_bfe_i32 v66, v60, 8, 8
	v_mul_i32_i24_e32 v108, v63, v182
	v_add3_u32 v68, v68, v102, v105
	v_mul_i32_i24_e32 v109, v64, v183
	v_bfe_i32 v67, v60, 16, 8
	v_ashrrev_i32_e32 v60, 24, v60
	v_mul_i32_i24_e32 v110, v50, v184
	v_add3_u32 v68, v68, v106, v111
	v_mul_i32_i24_e32 v112, v66, v186
	v_mul_i32_i24_e32 v113, v67, v174
	;; [unrolled: 1-line block ×3, first 2 shown]
	v_pk_mul_f16 v69, v152, v4
	v_add3_u32 v68, v68, v108, v109
	v_mul_i32_i24_e32 v70, v22, v192
	v_mul_i32_i24_e32 v71, v26, v193
	v_mul_i32_i24_e32 v77, v43, v196
	v_mul_i32_i24_e32 v72, v40, v194
	v_add3_u32 v68, v68, v110, v112
	v_mul_i32_i24_e32 v75, v41, v187
	v_mul_i32_i24_e32 v76, v42, v195
	v_mul_i32_i24_e32 v81, v48, v201
	v_mul_i32_i24_e32 v78, v44, v197
	;; [unrolled: 5-line block ×3, first 2 shown]
	v_cvt_f32_i32_e32 v68, v68
	v_mul_i32_i24_e32 v84, v52, v191
	v_mul_i32_i24_e32 v85, v53, v203
	;; [unrolled: 1-line block ×4, first 2 shown]
	v_fma_mix_f32 v68, v69, v68, v69 op_sel:[0,0,1] op_sel_hi:[1,0,1]
	v_mul_i32_i24_e32 v69, v21, v190
	v_mul_i32_i24_e32 v99, v56, v208
	;; [unrolled: 1-line block ×4, first 2 shown]
	v_add_f32_e32 v27, v27, v68
	v_mul_i32_i24_e32 v68, v3, v189
	v_mul_i32_i24_e32 v102, v58, v211
	;; [unrolled: 1-line block ×5, first 2 shown]
	v_mad_i32_i24 v68, v39, v170, v68
	v_mul_i32_i24_e32 v108, v63, v214
	v_mul_i32_i24_e32 v109, v64, v215
	;; [unrolled: 1-line block ×4, first 2 shown]
	v_add3_u32 v68, v68, v69, v70
	v_mul_i32_i24_e32 v113, v67, v207
	v_mul_i32_i24_e32 v254, v60, v220
	v_pk_mul_f16 v69, v154, v4
	v_mul_i32_i24_e32 v70, v22, v224
	v_add3_u32 v68, v68, v71, v77
	v_mul_i32_i24_e32 v22, v22, v253
	v_mul_i32_i24_e32 v71, v26, v225
	v_mul_i32_i24_e32 v77, v43, v228
	v_mul_i32_i24_e32 v26, v26, v126
	v_add3_u32 v68, v68, v72, v75
	v_mul_i32_i24_e32 v43, v43, v129
	v_mul_i32_i24_e32 v72, v40, v226
	v_mul_i32_i24_e32 v75, v41, v219
	;; [unrolled: 5-line block ×14, first 2 shown]
	v_mul_i32_i24_e32 v67, v67, v139
	v_cvt_f32_i32_e32 v68, v68
	v_mul_i32_i24_e32 v60, v60, v151
	s_delay_alu instid0(VALU_DEP_2) | instskip(SKIP_2) | instid1(VALU_DEP_3)
	v_fma_mix_f32 v68, v69, v68, v69 op_sel:[0,0,1] op_sel_hi:[1,0,1]
	v_mul_i32_i24_e32 v69, v21, v222
	v_mul_i32_i24_e32 v21, v21, v252
	v_add_f32_e32 v25, v25, v68
	v_mul_i32_i24_e32 v68, v3, v221
	v_mul_i32_i24_e32 v3, v3, v251
	s_delay_alu instid0(VALU_DEP_2) | instskip(NEXT) | instid1(VALU_DEP_2)
	v_mad_i32_i24 v68, v39, v204, v68
	v_mad_i32_i24 v3, v39, v123, v3
	s_delay_alu instid0(VALU_DEP_2) | instskip(NEXT) | instid1(VALU_DEP_2)
	v_add3_u32 v68, v68, v69, v70
	v_add3_u32 v3, v3, v21, v22
	v_pk_mul_f16 v69, v180, v4
	v_pk_mul_f16 v4, v122, v4
	s_delay_alu instid0(VALU_DEP_4) | instskip(NEXT) | instid1(VALU_DEP_4)
	v_add3_u32 v68, v68, v71, v77
	v_add3_u32 v3, v3, v26, v43
	s_delay_alu instid0(VALU_DEP_2) | instskip(NEXT) | instid1(VALU_DEP_2)
	v_add3_u32 v68, v68, v72, v75
	v_add3_u32 v3, v3, v40, v41
	s_delay_alu instid0(VALU_DEP_2) | instskip(NEXT) | instid1(VALU_DEP_2)
	v_add3_u32 v68, v68, v76, v81
	v_add3_u32 v3, v3, v42, v48
	s_delay_alu instid0(VALU_DEP_2) | instskip(NEXT) | instid1(VALU_DEP_2)
	v_add3_u32 v68, v68, v78, v79
	v_add3_u32 v3, v3, v44, v46
	s_delay_alu instid0(VALU_DEP_2) | instskip(NEXT) | instid1(VALU_DEP_2)
	v_add3_u32 v68, v68, v80, v97
	v_add3_u32 v3, v3, v47, v54
	s_delay_alu instid0(VALU_DEP_2) | instskip(NEXT) | instid1(VALU_DEP_2)
	v_add3_u32 v68, v68, v82, v84
	v_add3_u32 v3, v3, v51, v52
	s_delay_alu instid0(VALU_DEP_2) | instskip(NEXT) | instid1(VALU_DEP_2)
	v_add3_u32 v68, v68, v85, v101
	v_add3_u32 v3, v3, v53, v57
	s_delay_alu instid0(VALU_DEP_2) | instskip(NEXT) | instid1(VALU_DEP_2)
	v_add3_u32 v68, v68, v98, v99
	v_add3_u32 v3, v3, v55, v56
	s_delay_alu instid0(VALU_DEP_2) | instskip(NEXT) | instid1(VALU_DEP_2)
	v_add3_u32 v68, v68, v100, v107
	v_add3_u32 v3, v3, v49, v62
	s_delay_alu instid0(VALU_DEP_2) | instskip(NEXT) | instid1(VALU_DEP_2)
	v_add3_u32 v68, v68, v102, v105
	v_add3_u32 v3, v3, v58, v61
	s_delay_alu instid0(VALU_DEP_2) | instskip(NEXT) | instid1(VALU_DEP_2)
	v_add3_u32 v68, v68, v106, v111
	v_add3_u32 v3, v3, v59, v65
	s_delay_alu instid0(VALU_DEP_2) | instskip(NEXT) | instid1(VALU_DEP_2)
	v_add3_u32 v68, v68, v108, v109
	v_add3_u32 v3, v3, v63, v64
	s_delay_alu instid0(VALU_DEP_2) | instskip(NEXT) | instid1(VALU_DEP_2)
	v_add3_u32 v68, v68, v110, v112
	v_add3_u32 v3, v3, v50, v66
	s_delay_alu instid0(VALU_DEP_2) | instskip(NEXT) | instid1(VALU_DEP_2)
	v_add3_u32 v68, v68, v113, v254
	v_add3_u32 v3, v3, v67, v60
	s_delay_alu instid0(VALU_DEP_2) | instskip(NEXT) | instid1(VALU_DEP_2)
	v_cvt_f32_i32_e32 v68, v68
	v_cvt_f32_i32_e32 v3, v3
	s_delay_alu instid0(VALU_DEP_2) | instskip(NEXT) | instid1(VALU_DEP_2)
	v_fma_mix_f32 v68, v69, v68, v69 op_sel:[0,0,1] op_sel_hi:[1,0,1]
	v_fma_mix_f32 v3, v4, v3, v4 op_sel:[0,0,1] op_sel_hi:[1,0,1]
	s_delay_alu instid0(VALU_DEP_1)
	v_dual_add_f32 v24, v24, v68 :: v_dual_add_f32 v23, v23, v3
	ds_load_b128 v[47:50], v116 offset:4096
	ds_load_b128 v[57:60], v116 offset:4112
	ds_load_2addr_b32 v[3:4], v115 offset0:128 offset1:160
	s_waitcnt lgkmcnt(2)
	v_bfe_i32 v21, v47, 0, 8
	v_bfe_i32 v22, v47, 8, 8
	;; [unrolled: 1-line block ×3, first 2 shown]
	s_waitcnt lgkmcnt(1)
	v_bfe_i32 v40, v57, 0, 8
	v_ashrrev_i32_e32 v39, 24, v47
	v_mul_i32_i24_e32 v69, v21, v156
	v_bfe_i32 v44, v48, 0, 8
	v_mul_i32_i24_e32 v70, v22, v157
	v_mul_i32_i24_e32 v71, v26, v159
	v_bfe_i32 v41, v57, 8, 8
	v_mad_i32_i24 v69, v40, v153, v69
	v_bfe_i32 v42, v57, 16, 8
	v_mul_i32_i24_e32 v72, v39, v160
	v_mul_i32_i24_e32 v78, v44, v163
	v_ashrrev_i32_e32 v43, 24, v57
	v_add3_u32 v69, v69, v70, v71
	v_bfe_i32 v51, v58, 0, 8
	v_mul_i32_i24_e32 v75, v41, v161
	v_mul_i32_i24_e32 v76, v42, v155
	v_bfe_i32 v46, v48, 8, 8
	v_add3_u32 v69, v69, v72, v78
	v_bfe_i32 v47, v48, 16, 8
	v_mul_i32_i24_e32 v77, v43, v162
	v_mul_i32_i24_e32 v82, v51, v168
	v_ashrrev_i32_e32 v48, 24, v48
	v_add3_u32 v69, v69, v75, v76
	v_bfe_i32 v55, v49, 0, 8
	v_mul_i32_i24_e32 v79, v46, v164
	v_mul_i32_i24_e32 v80, v47, v165
	v_bfe_i32 v52, v58, 8, 8
	v_add3_u32 v69, v69, v77, v82
	;; [unrolled: 10-line block ×6, first 2 shown]
	v_ashrrev_i32_e32 v60, 24, v60
	v_mul_i32_i24_e32 v111, v50, v184
	v_mul_i32_i24_e32 v113, v67, v186
	;; [unrolled: 1-line block ×3, first 2 shown]
	v_add3_u32 v69, v69, v109, v110
	v_mul_i32_i24_e32 v255, v60, v188
	s_waitcnt lgkmcnt(0)
	v_pk_mul_f16 v70, v152, v3
	v_mul_i32_i24_e32 v71, v26, v192
	v_mul_i32_i24_e32 v72, v39, v193
	v_add3_u32 v69, v69, v111, v113
	v_mul_i32_i24_e32 v78, v44, v196
	v_mul_i32_i24_e32 v75, v41, v194
	;; [unrolled: 1-line block ×4, first 2 shown]
	v_add3_u32 v69, v69, v254, v255
	v_mul_i32_i24_e32 v82, v51, v201
	v_mul_i32_i24_e32 v79, v46, v197
	v_mul_i32_i24_e32 v80, v47, v198
	v_mul_i32_i24_e32 v81, v48, v199
	v_cvt_f32_i32_e32 v69, v69
	v_mul_i32_i24_e32 v98, v55, v205
	v_mul_i32_i24_e32 v84, v52, v202
	;; [unrolled: 1-line block ×4, first 2 shown]
	v_fma_mix_f32 v69, v70, v69, v70 op_sel:[0,0,1] op_sel_hi:[1,0,1]
	v_mul_i32_i24_e32 v70, v22, v190
	v_mul_i32_i24_e32 v102, v58, v210
	;; [unrolled: 1-line block ×4, first 2 shown]
	v_add_f32_e32 v20, v20, v69
	v_mul_i32_i24_e32 v69, v21, v189
	v_mul_i32_i24_e32 v101, v49, v209
	;; [unrolled: 1-line block ×5, first 2 shown]
	v_mad_i32_i24 v69, v40, v170, v69
	v_mul_i32_i24_e32 v107, v59, v212
	v_mul_i32_i24_e32 v112, v66, v217
	;; [unrolled: 1-line block ×4, first 2 shown]
	v_add3_u32 v69, v69, v70, v71
	v_mul_i32_i24_e32 v111, v50, v216
	v_mul_i32_i24_e32 v113, v67, v218
	;; [unrolled: 1-line block ×4, first 2 shown]
	v_add3_u32 v69, v69, v72, v78
	v_pk_mul_f16 v70, v154, v3
	v_mul_i32_i24_e32 v71, v26, v224
	v_mul_i32_i24_e32 v72, v39, v225
	v_mul_i32_i24_e32 v78, v44, v228
	v_add3_u32 v69, v69, v75, v76
	v_mul_i32_i24_e32 v75, v41, v226
	v_mul_i32_i24_e32 v76, v42, v219
	v_mul_i32_i24_e32 v26, v26, v253
	v_mul_i32_i24_e32 v39, v39, v126
	v_add3_u32 v69, v69, v77, v82
	v_mul_i32_i24_e32 v77, v43, v227
	;; [unrolled: 5-line block ×13, first 2 shown]
	v_mul_i32_i24_e32 v255, v60, v250
	v_mul_i32_i24_e32 v50, v50, v148
	v_mul_i32_i24_e32 v67, v67, v150
	v_cvt_f32_i32_e32 v69, v69
	v_mul_i32_i24_e32 v68, v68, v139
	v_mul_i32_i24_e32 v60, v60, v151
	s_delay_alu instid0(VALU_DEP_3) | instskip(SKIP_2) | instid1(VALU_DEP_3)
	v_fma_mix_f32 v69, v70, v69, v70 op_sel:[0,0,1] op_sel_hi:[1,0,1]
	v_mul_i32_i24_e32 v70, v22, v222
	v_mul_i32_i24_e32 v22, v22, v252
	v_add_f32_e32 v19, v19, v69
	v_mul_i32_i24_e32 v69, v21, v221
	v_mul_i32_i24_e32 v21, v21, v251
	s_delay_alu instid0(VALU_DEP_2) | instskip(NEXT) | instid1(VALU_DEP_2)
	v_mad_i32_i24 v69, v40, v204, v69
	v_mad_i32_i24 v21, v40, v123, v21
	s_delay_alu instid0(VALU_DEP_2) | instskip(NEXT) | instid1(VALU_DEP_2)
	v_add3_u32 v69, v69, v70, v71
	v_add3_u32 v21, v21, v22, v26
	v_pk_mul_f16 v70, v180, v3
	v_pk_mul_f16 v3, v122, v3
	s_delay_alu instid0(VALU_DEP_4) | instskip(NEXT) | instid1(VALU_DEP_4)
	v_add3_u32 v69, v69, v72, v78
	v_add3_u32 v21, v21, v39, v44
	s_delay_alu instid0(VALU_DEP_2) | instskip(NEXT) | instid1(VALU_DEP_2)
	v_add3_u32 v69, v69, v75, v76
	v_add3_u32 v21, v21, v41, v42
	s_delay_alu instid0(VALU_DEP_2) | instskip(NEXT) | instid1(VALU_DEP_2)
	;; [unrolled: 3-line block ×7, first 2 shown]
	v_add3_u32 v69, v69, v99, v100
	v_add3_u32 v21, v21, v56, v57
	s_delay_alu instid0(VALU_DEP_2) | instskip(NEXT) | instid1(VALU_DEP_1)
	v_add3_u32 v69, v69, v101, v108
	v_add3_u32 v69, v69, v105, v106
	s_delay_alu instid0(VALU_DEP_1) | instskip(NEXT) | instid1(VALU_DEP_1)
	v_add3_u32 v69, v69, v107, v112
	v_add3_u32 v69, v69, v109, v110
	s_delay_alu instid0(VALU_DEP_1) | instskip(NEXT) | instid1(VALU_DEP_1)
	;; [unrolled: 3-line block ×3, first 2 shown]
	v_cvt_f32_i32_e32 v69, v69
	v_fma_mix_f32 v69, v70, v69, v70 op_sel:[0,0,1] op_sel_hi:[1,0,1]
	s_delay_alu instid0(VALU_DEP_1) | instskip(SKIP_1) | instid1(VALU_DEP_1)
	v_add_f32_e32 v18, v18, v69
	v_mul_i32_i24_e32 v63, v63, v145
	v_add3_u32 v21, v21, v49, v63
	s_delay_alu instid0(VALU_DEP_1) | instskip(NEXT) | instid1(VALU_DEP_1)
	v_add3_u32 v21, v21, v61, v62
	v_add3_u32 v21, v21, v59, v66
	s_delay_alu instid0(VALU_DEP_1) | instskip(NEXT) | instid1(VALU_DEP_1)
	v_add3_u32 v21, v21, v64, v65
	v_add3_u32 v21, v21, v50, v67
	s_delay_alu instid0(VALU_DEP_1) | instskip(SKIP_3) | instid1(VALU_DEP_1)
	v_add3_u32 v21, v21, v68, v60
	ds_load_b128 v[47:50], v116 offset:5120
	ds_load_b128 v[57:60], v116 offset:5136
	v_cvt_f32_i32_e32 v21, v21
	v_fma_mix_f32 v3, v3, v21, v3 op_sel:[0,0,1] op_sel_hi:[1,0,1]
	s_delay_alu instid0(VALU_DEP_1)
	v_add_f32_e32 v17, v17, v3
	s_waitcnt lgkmcnt(1)
	v_bfe_i32 v3, v47, 0, 8
	v_bfe_i32 v21, v47, 8, 8
	;; [unrolled: 1-line block ×3, first 2 shown]
	s_waitcnt lgkmcnt(0)
	v_bfe_i32 v39, v57, 0, 8
	v_ashrrev_i32_e32 v26, 24, v47
	v_mul_i32_i24_e32 v68, v3, v156
	v_bfe_i32 v43, v48, 0, 8
	v_mul_i32_i24_e32 v69, v21, v157
	v_mul_i32_i24_e32 v70, v22, v159
	v_bfe_i32 v40, v57, 8, 8
	v_mad_i32_i24 v68, v39, v153, v68
	v_bfe_i32 v41, v57, 16, 8
	v_mul_i32_i24_e32 v71, v26, v160
	v_mul_i32_i24_e32 v77, v43, v163
	v_ashrrev_i32_e32 v42, 24, v57
	v_add3_u32 v68, v68, v69, v70
	v_bfe_i32 v44, v48, 8, 8
	v_bfe_i32 v46, v48, 16, 8
	v_ashrrev_i32_e32 v47, 24, v48
	v_bfe_i32 v48, v58, 0, 8
	v_mul_i32_i24_e32 v72, v40, v161
	v_mul_i32_i24_e32 v75, v41, v155
	v_add3_u32 v68, v68, v71, v77
	v_mul_i32_i24_e32 v76, v42, v162
	v_mul_i32_i24_e32 v81, v48, v168
	v_bfe_i32 v54, v49, 0, 8
	v_mul_i32_i24_e32 v78, v44, v164
	v_add3_u32 v68, v68, v72, v75
	v_mul_i32_i24_e32 v79, v46, v165
	v_bfe_i32 v51, v58, 8, 8
	v_bfe_i32 v52, v58, 16, 8
	v_mul_i32_i24_e32 v80, v47, v167
	v_add3_u32 v68, v68, v76, v81
	v_mul_i32_i24_e32 v97, v54, v172
	v_ashrrev_i32_e32 v53, 24, v58
	v_bfe_i32 v57, v59, 0, 8
	v_mul_i32_i24_e32 v82, v51, v169
	v_add3_u32 v68, v68, v78, v79
	v_mul_i32_i24_e32 v84, v52, v158
	v_bfe_i32 v55, v49, 8, 8
	v_bfe_i32 v56, v49, 16, 8
	v_mul_i32_i24_e32 v85, v53, v171
	v_add3_u32 v68, v68, v80, v97
	v_mul_i32_i24_e32 v101, v57, v177
	v_ashrrev_i32_e32 v49, 24, v49
	;; [unrolled: 10-line block ×4, first 2 shown]
	v_bfe_i32 v66, v60, 8, 8
	v_mul_i32_i24_e32 v108, v63, v182
	v_add3_u32 v68, v68, v102, v105
	v_mul_i32_i24_e32 v109, v64, v183
	v_bfe_i32 v67, v60, 16, 8
	v_ashrrev_i32_e32 v60, 24, v60
	v_mul_i32_i24_e32 v110, v50, v184
	v_add3_u32 v68, v68, v106, v111
	v_mul_i32_i24_e32 v112, v66, v186
	v_mul_i32_i24_e32 v113, v67, v174
	;; [unrolled: 1-line block ×3, first 2 shown]
	v_pk_mul_f16 v69, v152, v4
	v_add3_u32 v68, v68, v108, v109
	v_mul_i32_i24_e32 v70, v22, v192
	v_mul_i32_i24_e32 v71, v26, v193
	v_mul_i32_i24_e32 v77, v43, v196
	v_mul_i32_i24_e32 v72, v40, v194
	v_add3_u32 v68, v68, v110, v112
	v_mul_i32_i24_e32 v75, v41, v187
	v_mul_i32_i24_e32 v76, v42, v195
	v_mul_i32_i24_e32 v81, v48, v201
	v_mul_i32_i24_e32 v78, v44, v197
	;; [unrolled: 5-line block ×3, first 2 shown]
	v_cvt_f32_i32_e32 v68, v68
	v_mul_i32_i24_e32 v84, v52, v191
	v_mul_i32_i24_e32 v85, v53, v203
	;; [unrolled: 1-line block ×4, first 2 shown]
	v_fma_mix_f32 v68, v69, v68, v69 op_sel:[0,0,1] op_sel_hi:[1,0,1]
	v_mul_i32_i24_e32 v69, v21, v190
	v_mul_i32_i24_e32 v99, v56, v208
	;; [unrolled: 1-line block ×4, first 2 shown]
	v_add_f32_e32 v16, v16, v68
	v_mul_i32_i24_e32 v68, v3, v189
	v_mul_i32_i24_e32 v102, v58, v211
	;; [unrolled: 1-line block ×5, first 2 shown]
	v_mad_i32_i24 v68, v39, v170, v68
	v_mul_i32_i24_e32 v108, v63, v214
	v_mul_i32_i24_e32 v109, v64, v215
	;; [unrolled: 1-line block ×4, first 2 shown]
	v_add3_u32 v68, v68, v69, v70
	v_mul_i32_i24_e32 v113, v67, v207
	v_mul_i32_i24_e32 v254, v60, v220
	v_pk_mul_f16 v69, v154, v4
	v_mul_i32_i24_e32 v70, v22, v224
	v_add3_u32 v68, v68, v71, v77
	v_mul_i32_i24_e32 v22, v22, v253
	v_mul_i32_i24_e32 v71, v26, v225
	v_mul_i32_i24_e32 v77, v43, v228
	v_mul_i32_i24_e32 v26, v26, v126
	v_add3_u32 v68, v68, v72, v75
	v_mul_i32_i24_e32 v43, v43, v129
	v_mul_i32_i24_e32 v72, v40, v226
	v_mul_i32_i24_e32 v75, v41, v219
	;; [unrolled: 5-line block ×14, first 2 shown]
	v_mul_i32_i24_e32 v67, v67, v139
	v_cvt_f32_i32_e32 v68, v68
	v_mul_i32_i24_e32 v60, v60, v151
	s_delay_alu instid0(VALU_DEP_2) | instskip(SKIP_2) | instid1(VALU_DEP_3)
	v_fma_mix_f32 v68, v69, v68, v69 op_sel:[0,0,1] op_sel_hi:[1,0,1]
	v_mul_i32_i24_e32 v69, v21, v222
	v_mul_i32_i24_e32 v21, v21, v252
	v_add_f32_e32 v15, v15, v68
	v_mul_i32_i24_e32 v68, v3, v221
	v_mul_i32_i24_e32 v3, v3, v251
	s_delay_alu instid0(VALU_DEP_2) | instskip(NEXT) | instid1(VALU_DEP_2)
	v_mad_i32_i24 v68, v39, v204, v68
	v_mad_i32_i24 v3, v39, v123, v3
	s_delay_alu instid0(VALU_DEP_2) | instskip(NEXT) | instid1(VALU_DEP_2)
	v_add3_u32 v68, v68, v69, v70
	v_add3_u32 v3, v3, v21, v22
	v_pk_mul_f16 v69, v180, v4
	v_pk_mul_f16 v4, v122, v4
	s_delay_alu instid0(VALU_DEP_4) | instskip(NEXT) | instid1(VALU_DEP_4)
	v_add3_u32 v68, v68, v71, v77
	v_add3_u32 v3, v3, v26, v43
	s_delay_alu instid0(VALU_DEP_2) | instskip(NEXT) | instid1(VALU_DEP_2)
	v_add3_u32 v68, v68, v72, v75
	v_add3_u32 v3, v3, v40, v41
	s_delay_alu instid0(VALU_DEP_2) | instskip(NEXT) | instid1(VALU_DEP_2)
	v_add3_u32 v68, v68, v76, v81
	v_add3_u32 v3, v3, v42, v48
	s_delay_alu instid0(VALU_DEP_2) | instskip(NEXT) | instid1(VALU_DEP_2)
	v_add3_u32 v68, v68, v78, v79
	v_add3_u32 v3, v3, v44, v46
	s_delay_alu instid0(VALU_DEP_2) | instskip(NEXT) | instid1(VALU_DEP_2)
	v_add3_u32 v68, v68, v80, v97
	v_add3_u32 v3, v3, v47, v54
	s_delay_alu instid0(VALU_DEP_2) | instskip(NEXT) | instid1(VALU_DEP_2)
	v_add3_u32 v68, v68, v82, v84
	v_add3_u32 v3, v3, v51, v52
	s_delay_alu instid0(VALU_DEP_2) | instskip(NEXT) | instid1(VALU_DEP_2)
	v_add3_u32 v68, v68, v85, v101
	v_add3_u32 v3, v3, v53, v57
	s_delay_alu instid0(VALU_DEP_2) | instskip(NEXT) | instid1(VALU_DEP_2)
	v_add3_u32 v68, v68, v98, v99
	v_add3_u32 v3, v3, v55, v56
	s_delay_alu instid0(VALU_DEP_2) | instskip(NEXT) | instid1(VALU_DEP_2)
	v_add3_u32 v68, v68, v100, v107
	v_add3_u32 v3, v3, v49, v62
	s_delay_alu instid0(VALU_DEP_2) | instskip(NEXT) | instid1(VALU_DEP_2)
	v_add3_u32 v68, v68, v102, v105
	v_add3_u32 v3, v3, v58, v61
	s_delay_alu instid0(VALU_DEP_2) | instskip(NEXT) | instid1(VALU_DEP_2)
	v_add3_u32 v68, v68, v106, v111
	v_add3_u32 v3, v3, v59, v65
	s_delay_alu instid0(VALU_DEP_2) | instskip(NEXT) | instid1(VALU_DEP_2)
	v_add3_u32 v68, v68, v108, v109
	v_add3_u32 v3, v3, v63, v64
	s_delay_alu instid0(VALU_DEP_2) | instskip(NEXT) | instid1(VALU_DEP_2)
	v_add3_u32 v68, v68, v110, v112
	v_add3_u32 v3, v3, v50, v66
	s_delay_alu instid0(VALU_DEP_2) | instskip(NEXT) | instid1(VALU_DEP_2)
	v_add3_u32 v68, v68, v113, v254
	v_add3_u32 v3, v3, v67, v60
	s_delay_alu instid0(VALU_DEP_2) | instskip(NEXT) | instid1(VALU_DEP_2)
	v_cvt_f32_i32_e32 v68, v68
	v_cvt_f32_i32_e32 v3, v3
	s_delay_alu instid0(VALU_DEP_2) | instskip(NEXT) | instid1(VALU_DEP_2)
	v_fma_mix_f32 v68, v69, v68, v69 op_sel:[0,0,1] op_sel_hi:[1,0,1]
	v_fma_mix_f32 v3, v4, v3, v4 op_sel:[0,0,1] op_sel_hi:[1,0,1]
	s_delay_alu instid0(VALU_DEP_1)
	v_dual_add_f32 v14, v14, v68 :: v_dual_add_f32 v13, v13, v3
	ds_load_b128 v[47:50], v116 offset:6144
	ds_load_b128 v[57:60], v116 offset:6160
	ds_load_2addr_b32 v[3:4], v115 offset0:192 offset1:224
	v_add_nc_u32_e32 v115, 4, v115
	s_waitcnt lgkmcnt(2)
	v_bfe_i32 v21, v47, 0, 8
	v_bfe_i32 v22, v47, 8, 8
	;; [unrolled: 1-line block ×3, first 2 shown]
	s_waitcnt lgkmcnt(1)
	v_bfe_i32 v40, v57, 0, 8
	v_ashrrev_i32_e32 v39, 24, v47
	v_mul_i32_i24_e32 v69, v21, v156
	v_bfe_i32 v44, v48, 0, 8
	v_mul_i32_i24_e32 v70, v22, v157
	v_mul_i32_i24_e32 v71, v26, v159
	v_bfe_i32 v41, v57, 8, 8
	v_mad_i32_i24 v69, v40, v153, v69
	v_bfe_i32 v42, v57, 16, 8
	v_mul_i32_i24_e32 v72, v39, v160
	v_mul_i32_i24_e32 v78, v44, v163
	v_ashrrev_i32_e32 v43, 24, v57
	v_add3_u32 v69, v69, v70, v71
	v_bfe_i32 v51, v58, 0, 8
	v_mul_i32_i24_e32 v75, v41, v161
	v_mul_i32_i24_e32 v76, v42, v155
	v_bfe_i32 v46, v48, 8, 8
	v_add3_u32 v69, v69, v72, v78
	v_bfe_i32 v47, v48, 16, 8
	v_mul_i32_i24_e32 v77, v43, v162
	v_mul_i32_i24_e32 v82, v51, v168
	v_ashrrev_i32_e32 v48, 24, v48
	v_add3_u32 v69, v69, v75, v76
	v_bfe_i32 v55, v49, 0, 8
	v_mul_i32_i24_e32 v79, v46, v164
	v_mul_i32_i24_e32 v80, v47, v165
	v_bfe_i32 v52, v58, 8, 8
	v_add3_u32 v69, v69, v77, v82
	;; [unrolled: 10-line block ×6, first 2 shown]
	v_ashrrev_i32_e32 v60, 24, v60
	v_mul_i32_i24_e32 v111, v50, v184
	v_mul_i32_i24_e32 v113, v67, v186
	;; [unrolled: 1-line block ×3, first 2 shown]
	v_add3_u32 v69, v69, v109, v110
	v_mul_i32_i24_e32 v255, v60, v188
	s_waitcnt lgkmcnt(0)
	v_pk_mul_f16 v70, v152, v3
	v_mul_i32_i24_e32 v71, v26, v192
	v_mul_i32_i24_e32 v72, v39, v193
	v_add3_u32 v69, v69, v111, v113
	v_mul_i32_i24_e32 v78, v44, v196
	v_mul_i32_i24_e32 v75, v41, v194
	;; [unrolled: 1-line block ×4, first 2 shown]
	v_add3_u32 v69, v69, v254, v255
	v_mul_i32_i24_e32 v82, v51, v201
	v_mul_i32_i24_e32 v79, v46, v197
	;; [unrolled: 1-line block ×4, first 2 shown]
	v_cvt_f32_i32_e32 v69, v69
	v_mul_i32_i24_e32 v98, v55, v205
	v_mul_i32_i24_e32 v84, v52, v202
	;; [unrolled: 1-line block ×4, first 2 shown]
	v_fma_mix_f32 v69, v70, v69, v70 op_sel:[0,0,1] op_sel_hi:[1,0,1]
	v_mul_i32_i24_e32 v70, v22, v190
	v_mul_i32_i24_e32 v102, v58, v210
	v_mul_i32_i24_e32 v99, v56, v206
	v_mul_i32_i24_e32 v100, v57, v208
	v_add_f32_e32 v12, v12, v69
	v_mul_i32_i24_e32 v69, v21, v189
	v_mul_i32_i24_e32 v101, v49, v209
	;; [unrolled: 1-line block ×5, first 2 shown]
	v_mad_i32_i24 v69, v40, v170, v69
	v_mul_i32_i24_e32 v107, v59, v212
	v_mul_i32_i24_e32 v112, v66, v217
	;; [unrolled: 1-line block ×4, first 2 shown]
	v_add3_u32 v69, v69, v70, v71
	v_mul_i32_i24_e32 v111, v50, v216
	v_mul_i32_i24_e32 v113, v67, v218
	;; [unrolled: 1-line block ×4, first 2 shown]
	v_add3_u32 v69, v69, v72, v78
	v_pk_mul_f16 v70, v154, v3
	v_mul_i32_i24_e32 v71, v26, v224
	v_mul_i32_i24_e32 v26, v26, v253
	v_mul_i32_i24_e32 v72, v39, v225
	v_add3_u32 v69, v69, v75, v76
	v_mul_i32_i24_e32 v78, v44, v228
	v_mul_i32_i24_e32 v39, v39, v126
	v_mul_i32_i24_e32 v44, v44, v129
	v_mul_i32_i24_e32 v75, v41, v226
	v_add3_u32 v69, v69, v77, v82
	v_mul_i32_i24_e32 v76, v42, v219
	;; [unrolled: 5-line block ×13, first 2 shown]
	v_mul_i32_i24_e32 v50, v50, v148
	v_mul_i32_i24_e32 v67, v67, v150
	;; [unrolled: 1-line block ×3, first 2 shown]
	v_cvt_f32_i32_e32 v69, v69
	v_mul_i32_i24_e32 v255, v60, v250
	v_mul_i32_i24_e32 v68, v68, v139
	v_mul_i32_i24_e32 v60, v60, v151
	s_delay_alu instid0(VALU_DEP_4) | instskip(SKIP_2) | instid1(VALU_DEP_3)
	v_fma_mix_f32 v69, v70, v69, v70 op_sel:[0,0,1] op_sel_hi:[1,0,1]
	v_mul_i32_i24_e32 v70, v22, v222
	v_mul_i32_i24_e32 v22, v22, v252
	v_add_f32_e32 v11, v11, v69
	v_mul_i32_i24_e32 v69, v21, v221
	v_mul_i32_i24_e32 v21, v21, v251
	s_delay_alu instid0(VALU_DEP_2) | instskip(NEXT) | instid1(VALU_DEP_2)
	v_mad_i32_i24 v69, v40, v204, v69
	v_mad_i32_i24 v21, v40, v123, v21
	s_delay_alu instid0(VALU_DEP_2) | instskip(NEXT) | instid1(VALU_DEP_2)
	v_add3_u32 v69, v69, v70, v71
	v_add3_u32 v21, v21, v22, v26
	v_pk_mul_f16 v70, v180, v3
	v_pk_mul_f16 v3, v122, v3
	s_delay_alu instid0(VALU_DEP_4) | instskip(NEXT) | instid1(VALU_DEP_4)
	v_add3_u32 v69, v69, v72, v78
	v_add3_u32 v21, v21, v39, v44
	s_delay_alu instid0(VALU_DEP_2) | instskip(NEXT) | instid1(VALU_DEP_2)
	v_add3_u32 v69, v69, v75, v76
	v_add3_u32 v21, v21, v41, v42
	s_delay_alu instid0(VALU_DEP_2) | instskip(NEXT) | instid1(VALU_DEP_2)
	;; [unrolled: 3-line block ×11, first 2 shown]
	v_add3_u32 v69, v69, v109, v110
	v_add3_u32 v21, v21, v64, v65
	s_delay_alu instid0(VALU_DEP_2)
	v_add3_u32 v69, v69, v111, v113
	ds_load_b128 v[62:65], v116 offset:7168
	ds_load_b128 v[110:113], v116 offset:7184
	v_add_nc_u32_e32 v116, 32, v116
	v_add3_u32 v21, v21, v50, v67
	v_add3_u32 v69, v69, v254, v255
	s_delay_alu instid0(VALU_DEP_2) | instskip(NEXT) | instid1(VALU_DEP_2)
	v_add3_u32 v21, v21, v68, v60
	v_cvt_f32_i32_e32 v69, v69
	s_delay_alu instid0(VALU_DEP_2) | instskip(NEXT) | instid1(VALU_DEP_2)
	v_cvt_f32_i32_e32 v21, v21
	v_fma_mix_f32 v69, v70, v69, v70 op_sel:[0,0,1] op_sel_hi:[1,0,1]
	s_delay_alu instid0(VALU_DEP_2)
	v_fma_mix_f32 v3, v3, v21, v3 op_sel:[0,0,1] op_sel_hi:[1,0,1]
	s_waitcnt lgkmcnt(1)
	v_bfe_i32 v39, v62, 0, 8
	v_bfe_i32 v40, v62, 8, 8
	;; [unrolled: 1-line block ×3, first 2 shown]
	v_add_f32_e32 v9, v9, v3
	s_waitcnt lgkmcnt(0)
	v_bfe_i32 v3, v110, 0, 8
	v_mul_i32_i24_e32 v43, v39, v156
	v_ashrrev_i32_e32 v254, 24, v62
	v_bfe_i32 v98, v63, 0, 8
	v_mul_i32_i24_e32 v44, v40, v157
	v_mul_i32_i24_e32 v46, v41, v159
	v_mad_i32_i24 v43, v3, v153, v43
	v_bfe_i32 v255, v110, 8, 8
	v_bfe_i32 v21, v110, 16, 8
	v_mul_i32_i24_e32 v51, v254, v160
	v_mul_i32_i24_e32 v66, v98, v163
	v_add3_u32 v43, v43, v44, v46
	v_ashrrev_i32_e32 v22, 24, v110
	v_bfe_i32 v108, v111, 0, 8
	v_mul_i32_i24_e32 v52, v255, v161
	v_mul_i32_i24_e32 v56, v21, v155
	v_add3_u32 v43, v43, v51, v66
	v_bfe_i32 v105, v63, 8, 8
	v_bfe_i32 v106, v63, 16, 8
	v_mul_i32_i24_e32 v61, v22, v162
	v_mul_i32_i24_e32 v70, v108, v168
	v_add3_u32 v43, v43, v52, v56
	v_ashrrev_i32_e32 v107, 24, v63
	v_bfe_i32 v47, v64, 0, 8
	v_mul_i32_i24_e32 v67, v105, v164
	v_mul_i32_i24_e32 v68, v106, v165
	v_add3_u32 v43, v43, v61, v70
	v_add_f32_e32 v10, v10, v69
	v_bfe_i32 v109, v111, 8, 8
	v_bfe_i32 v26, v111, 16, 8
	v_mul_i32_i24_e32 v69, v107, v167
	v_mul_i32_i24_e32 v76, v47, v172
	v_add3_u32 v43, v43, v67, v68
	v_ashrrev_i32_e32 v42, 24, v111
	v_bfe_i32 v53, v112, 0, 8
	v_mul_i32_i24_e32 v71, v109, v169
	v_mul_i32_i24_e32 v72, v26, v158
	v_add3_u32 v43, v43, v69, v76
	v_bfe_i32 v48, v64, 8, 8
	v_bfe_i32 v49, v64, 16, 8
	v_mul_i32_i24_e32 v75, v42, v171
	v_mul_i32_i24_e32 v80, v53, v177
	v_add3_u32 v43, v43, v71, v72
	v_ashrrev_i32_e32 v50, 24, v64
	v_bfe_i32 v58, v65, 0, 8
	v_mul_i32_i24_e32 v77, v48, v173
	v_mul_i32_i24_e32 v78, v49, v175
	v_add3_u32 v43, v43, v75, v80
	;; [unrolled: 10-line block ×4, first 2 shown]
	v_bfe_i32 v65, v113, 16, 8
	v_ashrrev_i32_e32 v84, 24, v113
	v_mul_i32_i24_e32 v101, v62, v184
	v_mul_i32_i24_e32 v110, v64, v186
	v_add3_u32 v43, v43, v99, v100
	v_mul_i32_i24_e32 v111, v65, v174
	v_mul_i32_i24_e32 v112, v84, v188
	v_pk_mul_f16 v44, v152, v4
	v_mul_i32_i24_e32 v46, v41, v192
	v_add3_u32 v43, v43, v101, v110
	v_mul_i32_i24_e32 v51, v254, v193
	v_mul_i32_i24_e32 v66, v98, v196
	;; [unrolled: 1-line block ×4, first 2 shown]
	v_add3_u32 v43, v43, v111, v112
	v_mul_i32_i24_e32 v61, v22, v195
	v_mul_i32_i24_e32 v70, v108, v201
	;; [unrolled: 1-line block ×4, first 2 shown]
	v_cvt_f32_i32_e32 v43, v43
	v_mul_i32_i24_e32 v69, v107, v199
	v_mul_i32_i24_e32 v76, v47, v205
	;; [unrolled: 1-line block ×4, first 2 shown]
	v_fma_mix_f32 v43, v44, v43, v44 op_sel:[0,0,1] op_sel_hi:[1,0,1]
	v_mul_i32_i24_e32 v44, v40, v190
	v_mul_i32_i24_e32 v75, v42, v203
	;; [unrolled: 1-line block ×4, first 2 shown]
	v_add_f32_e32 v8, v8, v43
	v_mul_i32_i24_e32 v43, v39, v189
	v_mul_i32_i24_e32 v78, v49, v208
	;; [unrolled: 1-line block ×5, first 2 shown]
	v_mad_i32_i24 v43, v3, v170, v43
	v_mul_i32_i24_e32 v82, v55, v200
	v_mul_i32_i24_e32 v85, v57, v212
	;; [unrolled: 1-line block ×4, first 2 shown]
	v_add3_u32 v43, v43, v44, v46
	v_mul_i32_i24_e32 v100, v60, v215
	v_mul_i32_i24_e32 v101, v62, v216
	;; [unrolled: 1-line block ×4, first 2 shown]
	v_add3_u32 v43, v43, v51, v66
	v_mul_i32_i24_e32 v112, v84, v220
	v_pk_mul_f16 v44, v154, v4
	v_mul_i32_i24_e32 v46, v41, v224
	v_mul_i32_i24_e32 v51, v254, v225
	v_add3_u32 v43, v43, v52, v56
	v_mul_i32_i24_e32 v66, v98, v228
	v_mul_i32_i24_e32 v52, v255, v226
	v_mul_i32_i24_e32 v56, v21, v219
	v_mul_i32_i24_e32 v152, v39, v251
	v_add3_u32 v43, v43, v61, v70
	v_mul_i32_i24_e32 v61, v22, v227
	v_mul_i32_i24_e32 v70, v108, v233
	;; [unrolled: 5-line block ×5, first 2 shown]
	v_mul_i32_i24_e32 v26, v26, v125
	s_delay_alu instid0(VALU_DEP_4)
	v_add3_u32 v43, v43, v75, v80
	v_mul_i32_i24_e32 v75, v42, v235
	v_mul_i32_i24_e32 v80, v53, v241
	;; [unrolled: 1-line block ×4, first 2 shown]
	v_add3_u32 v43, v43, v77, v78
	v_mul_i32_i24_e32 v77, v48, v237
	v_mul_i32_i24_e32 v78, v49, v239
	;; [unrolled: 1-line block ×4, first 2 shown]
	v_add3_u32 v43, v43, v79, v97
	v_mul_i32_i24_e32 v79, v50, v240
	v_mul_i32_i24_e32 v97, v58, v244
	;; [unrolled: 1-line block ×3, first 2 shown]
	s_delay_alu instid0(VALU_DEP_4)
	v_add3_u32 v43, v43, v81, v82
	v_mul_i32_i24_e32 v81, v54, v242
	v_mul_i32_i24_e32 v82, v55, v232
	;; [unrolled: 1-line block ×4, first 2 shown]
	v_add3_u32 v43, v43, v85, v102
	v_mul_i32_i24_e32 v85, v57, v243
	v_mul_i32_i24_e32 v102, v63, v248
	s_delay_alu instid0(VALU_DEP_3) | instskip(SKIP_2) | instid1(VALU_DEP_3)
	v_add3_u32 v43, v43, v99, v100
	v_mul_i32_i24_e32 v99, v59, v245
	v_mul_i32_i24_e32 v100, v60, v246
	v_add3_u32 v43, v43, v101, v110
	v_mul_i32_i24_e32 v101, v62, v247
	v_mul_i32_i24_e32 v110, v64, v249
	s_delay_alu instid0(VALU_DEP_3) | instskip(SKIP_2) | instid1(VALU_DEP_3)
	v_add3_u32 v43, v43, v111, v112
	v_mul_i32_i24_e32 v111, v65, v238
	v_mul_i32_i24_e32 v112, v84, v250
	v_cvt_f32_i32_e32 v43, v43
	s_delay_alu instid0(VALU_DEP_1) | instskip(SKIP_2) | instid1(VALU_DEP_3)
	v_fma_mix_f32 v43, v44, v43, v44 op_sel:[0,0,1] op_sel_hi:[1,0,1]
	v_mul_i32_i24_e32 v44, v40, v222
	v_mul_i32_i24_e32 v40, v255, v127
	v_add_f32_e32 v7, v7, v43
	v_mul_i32_i24_e32 v43, v39, v221
	v_mul_i32_i24_e32 v39, v254, v126
	s_delay_alu instid0(VALU_DEP_2) | instskip(SKIP_1) | instid1(VALU_DEP_2)
	v_mad_i32_i24 v43, v3, v204, v43
	v_mad_i32_i24 v3, v3, v123, v152
	v_add3_u32 v43, v43, v44, v46
	s_delay_alu instid0(VALU_DEP_2)
	v_add3_u32 v3, v3, v153, v154
	v_pk_mul_f16 v44, v180, v4
	v_mul_i32_i24_e32 v46, v107, v132
	v_pk_mul_f16 v4, v122, v4
	v_add3_u32 v43, v43, v51, v66
	v_add3_u32 v3, v3, v39, v41
	v_mul_i32_i24_e32 v51, v108, v134
	s_delay_alu instid0(VALU_DEP_3) | instskip(NEXT) | instid1(VALU_DEP_3)
	v_add3_u32 v43, v43, v52, v56
	v_add3_u32 v3, v3, v40, v21
	v_mul_i32_i24_e32 v52, v109, v135
	v_mul_i32_i24_e32 v56, v57, v144
	;; [unrolled: 1-line block ×3, first 2 shown]
	v_add3_u32 v43, v43, v61, v70
	v_add3_u32 v3, v3, v22, v51
	v_mul_i32_i24_e32 v61, v63, v149
	v_mul_i32_i24_e32 v58, v59, v146
	;; [unrolled: 1-line block ×3, first 2 shown]
	v_add3_u32 v43, v43, v67, v68
	v_mul_i32_i24_e32 v60, v62, v148
	v_mul_i32_i24_e32 v62, v64, v150
	;; [unrolled: 1-line block ×4, first 2 shown]
	v_add3_u32 v43, v43, v69, v76
	s_delay_alu instid0(VALU_DEP_1) | instskip(NEXT) | instid1(VALU_DEP_1)
	v_add3_u32 v43, v43, v71, v72
	v_add3_u32 v43, v43, v75, v80
	s_delay_alu instid0(VALU_DEP_1) | instskip(NEXT) | instid1(VALU_DEP_1)
	v_add3_u32 v43, v43, v77, v78
	;; [unrolled: 3-line block ×5, first 2 shown]
	v_cvt_f32_i32_e32 v43, v43
	s_delay_alu instid0(VALU_DEP_1) | instskip(SKIP_1) | instid1(VALU_DEP_2)
	v_fma_mix_f32 v43, v44, v43, v44 op_sel:[0,0,1] op_sel_hi:[1,0,1]
	v_mul_i32_i24_e32 v44, v106, v131
	v_add_f32_e32 v6, v6, v43
	v_mul_i32_i24_e32 v43, v105, v130
	s_delay_alu instid0(VALU_DEP_1) | instskip(NEXT) | instid1(VALU_DEP_1)
	v_add3_u32 v3, v3, v43, v44
	v_add3_u32 v3, v3, v46, v47
	s_delay_alu instid0(VALU_DEP_1) | instskip(NEXT) | instid1(VALU_DEP_1)
	v_add3_u32 v3, v3, v52, v26
	v_add3_u32 v3, v3, v42, v53
	;; [unrolled: 3-line block ×5, first 2 shown]
	s_delay_alu instid0(VALU_DEP_1) | instskip(NEXT) | instid1(VALU_DEP_1)
	v_add3_u32 v3, v3, v63, v64
	v_cvt_f32_i32_e32 v3, v3
	s_delay_alu instid0(VALU_DEP_1) | instskip(NEXT) | instid1(VALU_DEP_1)
	v_fma_mix_f32 v3, v4, v3, v4 op_sel:[0,0,1] op_sel_hi:[1,0,1]
	v_add_f32_e32 v5, v5, v3
	s_cbranch_scc1 .LBB139_7
; %bb.8:                                ;   in Loop: Header=BB139_6 Depth=1
	s_or_b32 s12, s11, 4
	s_delay_alu instid0(SALU_CYCLE_1)
	s_cmp_ge_i32 s12, s5
	s_barrier
	buffer_gl0_inv
	s_cbranch_scc1 .LBB139_5
; %bb.9:                                ;   in Loop: Header=BB139_6 Depth=1
	scratch_load_b32 v3, off, off offset:208 ; 4-byte Folded Reload
	s_mov_b32 s12, 12
	s_waitcnt vmcnt(0)
	v_dual_mov_b32 v115, v103 :: v_dual_add_nc_u32 v26, s11, v3
	s_delay_alu instid0(VALU_DEP_1) | instskip(SKIP_3) | instid1(VALU_DEP_4)
	v_add_nc_u32_e32 v40, v26, v88
	v_add_nc_u32_e32 v21, v26, v86
	v_add_nc_u32_e32 v39, v26, v87
	v_add_nc_u32_e32 v41, v26, v89
	v_mad_i64_i32 v[47:48], null, v40, 36, v[0:1]
	v_add_nc_u32_e32 v40, v26, v91
	s_delay_alu instid0(VALU_DEP_3) | instskip(NEXT) | instid1(VALU_DEP_2)
	v_mad_i64_i32 v[49:50], null, v41, 36, v[0:1]
	v_mad_i64_i32 v[57:58], null, v40, 36, v[0:1]
	v_add_nc_u32_e32 v40, 4, v114
	v_mov_b32_e32 v114, v104
	v_mad_i64_i32 v[3:4], null, v21, 36, v[0:1]
	v_mad_i64_i32 v[21:22], null, v39, 36, v[0:1]
	v_add_nc_u32_e32 v39, v26, v90
	v_mad_u64_u32 v[64:65], null, v40, 36, s[2:3]
	s_delay_alu instid0(VALU_DEP_2) | instskip(SKIP_2) | instid1(VALU_DEP_2)
	v_mad_i64_i32 v[53:54], null, v39, 36, v[0:1]
	v_add_nc_u32_e32 v39, v26, v93
	v_add_nc_u32_e32 v26, v26, v95
	v_mad_i64_i32 v[59:60], null, v39, 36, v[0:1]
	s_delay_alu instid0(VALU_DEP_2)
	v_mad_i64_i32 v[62:63], null, v26, 36, v[0:1]
	s_clause 0x8
	global_load_b32 v3, v[3:4], off offset:4
	global_load_b32 v4, v[21:22], off offset:4
	;; [unrolled: 1-line block ×8, first 2 shown]
	global_load_b32 v42, v[64:65], off
	s_clause 0x5
	scratch_load_b32 v116, off, off offset:228
	scratch_load_b32 v117, off, off offset:224
	;; [unrolled: 1-line block ×5, first 2 shown]
	scratch_load_b32 v43, off, off
	s_waitcnt vmcnt(0)
	ds_store_b32 v43, v3
	scratch_load_b32 v3, off, off offset:4  ; 4-byte Folded Reload
	s_waitcnt vmcnt(0)
	ds_store_b32 v3, v4
	scratch_load_b32 v3, off, off offset:8  ; 4-byte Folded Reload
	s_waitcnt vmcnt(0)
	ds_store_b32 v3, v21
	ds_store_b32 v73, v22
	;; [unrolled: 1-line block ×7, first 2 shown]
	s_waitcnt lgkmcnt(0)
	s_barrier
	buffer_gl0_inv
.LBB139_10:                             ;   Parent Loop BB139_6 Depth=1
                                        ; =>  This Inner Loop Header: Depth=2
	ds_load_b128 v[47:50], v115
	ds_load_b128 v[57:60], v115 offset:16
	ds_load_2addr_b32 v[3:4], v114 offset1:32
	ds_load_b32 v151, v116
	ds_load_2addr_b32 v[21:22], v119 offset1:1
	s_add_i32 s12, s12, 4
	v_add_nc_u32_e32 v116, 4, v116
	s_cmp_lt_u32 s12, 28
	s_waitcnt lgkmcnt(4)
	v_bfe_i32 v26, v47, 0, 8
	v_bfe_i32 v39, v47, 8, 8
	;; [unrolled: 1-line block ×3, first 2 shown]
	s_waitcnt lgkmcnt(0)
	v_bfe_u32 v154, v21, 20, 4
	v_and_b32_e32 v155, 15, v21
	v_bfe_u32 v156, v21, 8, 4
	v_bfe_u32 v158, v21, 16, 4
	;; [unrolled: 1-line block ×5, first 2 shown]
	v_lshrrev_b32_e32 v161, 28, v21
	v_bfe_u32 v157, v22, 20, 4
	v_and_b32_e32 v162, 15, v22
	v_bfe_u32 v163, v22, 8, 4
	v_bfe_u32 v164, v22, 16, 4
	;; [unrolled: 1-line block ×5, first 2 shown]
	v_lshrrev_b32_e32 v170, 28, v22
	ds_load_2addr_b32 v[21:22], v119 offset0:2 offset1:3
	v_ashrrev_i32_e32 v41, 24, v47
	v_bfe_i32 v42, v57, 0, 8
	v_bfe_i32 v47, v48, 0, 8
	;; [unrolled: 1-line block ×3, first 2 shown]
	v_mul_i32_i24_e32 v71, v155, v26
	v_bfe_i32 v43, v57, 8, 8
	v_bfe_i32 v44, v57, 16, 8
	v_ashrrev_i32_e32 v46, 24, v57
	v_bfe_i32 v57, v49, 0, 8
	v_mul_i32_i24_e32 v80, v162, v47
	v_mul_i32_i24_e32 v85, v167, v53
	v_mad_i32_i24 v71, v152, v42, v71
	v_mul_i32_i24_e32 v72, v156, v39
	v_bfe_i32 v62, v59, 0, 8
	v_bfe_i32 v65, v50, 0, 8
	v_mul_i32_i24_e32 v75, v158, v40
	v_add3_u32 v71, v71, v80, v85
	v_mul_i32_i24_e32 v76, v159, v41
	v_bfe_i32 v51, v48, 8, 8
	s_waitcnt lgkmcnt(0)
	v_and_b32_e32 v171, 15, v21
	v_bfe_u32 v176, v21, 4, 4
	v_and_b32_e32 v180, 15, v22
	v_mul_i32_i24_e32 v77, v160, v43
	v_mul_i32_i24_e32 v78, v154, v44
	;; [unrolled: 1-line block ×5, first 2 shown]
	v_bfe_i32 v52, v48, 16, 8
	v_ashrrev_i32_e32 v48, 24, v48
	v_add3_u32 v71, v71, v100, v72
	v_mul_i32_i24_e32 v79, v161, v46
	v_mul_i32_i24_e32 v81, v163, v51
	v_bfe_i32 v54, v58, 8, 8
	v_bfe_i32 v68, v60, 0, 8
	v_add3_u32 v71, v71, v75, v76
	v_mul_i32_i24_e32 v82, v164, v52
	v_mul_i32_i24_e32 v84, v166, v48
	v_bfe_u32 v184, v22, 4, 4
	v_bfe_i32 v55, v58, 16, 8
	v_add3_u32 v71, v71, v106, v109
	v_ashrrev_i32_e32 v56, 24, v58
	v_mul_i32_i24_e32 v97, v168, v54
	v_mul_i32_i24_e32 v113, v184, v68
	v_bfe_i32 v58, v49, 8, 8
	v_add3_u32 v71, v71, v77, v78
	v_bfe_i32 v61, v49, 16, 8
	v_mul_i32_i24_e32 v98, v157, v55
	v_mul_i32_i24_e32 v99, v170, v56
	v_bfe_u32 v172, v21, 8, 4
	v_add3_u32 v71, v71, v79, v81
	v_bfe_u32 v174, v21, 16, 4
	v_ashrrev_i32_e32 v49, 24, v49
	v_bfe_i32 v63, v59, 8, 8
	v_mul_i32_i24_e32 v101, v172, v58
	v_add3_u32 v71, v71, v82, v84
	v_mul_i32_i24_e32 v102, v174, v61
	v_bfe_u32 v175, v21, 24, 4
	v_bfe_u32 v177, v21, 12, 4
	v_bfe_i32 v64, v59, 16, 8
	v_add3_u32 v71, v71, v113, v97
	v_ashrrev_i32_e32 v59, 24, v59
	v_bfe_u32 v165, v21, 20, 4
	v_mul_i32_i24_e32 v105, v175, v49
	v_mul_i32_i24_e32 v107, v177, v63
	v_add3_u32 v71, v71, v98, v99
	v_lshrrev_b32_e32 v178, 28, v21
	v_bfe_i32 v66, v50, 8, 8
	v_bfe_i32 v67, v50, 16, 8
	v_mul_i32_i24_e32 v108, v165, v64
	v_add3_u32 v71, v71, v101, v102
	v_mul_i32_i24_e32 v21, v178, v59
	v_bfe_u32 v181, v22, 8, 4
	v_bfe_u32 v182, v22, 16, 4
	v_ashrrev_i32_e32 v50, 24, v50
	v_add3_u32 v71, v71, v105, v107
	v_bfe_i32 v69, v60, 8, 8
	v_mul_i32_i24_e32 v110, v181, v66
	v_mul_i32_i24_e32 v111, v182, v67
	v_bfe_u32 v183, v22, 24, 4
	v_bfe_u32 v185, v22, 12, 4
	v_add3_u32 v21, v71, v108, v21
	v_bfe_i32 v70, v60, 16, 8
	v_ashrrev_i32_e32 v60, 24, v60
	v_bfe_u32 v173, v22, 20, 4
	v_mul_i32_i24_e32 v112, v183, v50
	v_mul_i32_i24_e32 v121, v185, v69
	v_lshrrev_b32_e32 v187, 28, v22
	v_add3_u32 v21, v21, v110, v111
	v_mul_i32_i24_e32 v122, v173, v70
	s_delay_alu instid0(VALU_DEP_3) | instskip(NEXT) | instid1(VALU_DEP_3)
	v_mul_i32_i24_e32 v22, v187, v60
	v_add3_u32 v21, v21, v112, v121
	s_delay_alu instid0(VALU_DEP_1) | instskip(SKIP_1) | instid1(VALU_DEP_2)
	v_add3_u32 v21, v21, v122, v22
	v_pk_mul_f16 v22, v3, v151
	v_cvt_f32_i32_e32 v21, v21
	s_delay_alu instid0(VALU_DEP_1) | instskip(NEXT) | instid1(VALU_DEP_1)
	v_fma_mix_f32 v21, v22, v21, v22 op_sel:[0,0,1] op_sel_hi:[1,0,1]
	v_add_f32_e32 v33, v33, v21
	v_add_nc_u32_e32 v21, 0x1080, v119
	ds_load_b32 v153, v117
	ds_load_2addr_b32 v[21:22], v21 offset1:1
	v_add_nc_u32_e32 v117, 4, v117
	s_waitcnt lgkmcnt(0)
	v_bfe_u32 v186, v21, 20, 4
	v_and_b32_e32 v188, 15, v21
	v_bfe_u32 v189, v21, 8, 4
	v_bfe_u32 v191, v21, 16, 4
	;; [unrolled: 1-line block ×5, first 2 shown]
	v_lshrrev_b32_e32 v194, 28, v21
	v_add_nc_u32_e32 v21, 0x1088, v119
	v_bfe_u32 v190, v22, 20, 4
	v_and_b32_e32 v195, 15, v22
	v_bfe_u32 v196, v22, 8, 4
	v_bfe_u32 v197, v22, 16, 4
	;; [unrolled: 1-line block ×5, first 2 shown]
	v_lshrrev_b32_e32 v202, 28, v22
	ds_load_2addr_b32 v[21:22], v21 offset1:1
	v_mul_i32_i24_e32 v71, v188, v26
	v_mul_i32_i24_e32 v80, v195, v47
	v_mul_i32_i24_e32 v85, v200, v53
	v_mul_i32_i24_e32 v72, v189, v39
	v_mul_i32_i24_e32 v75, v191, v40
	v_mad_i32_i24 v71, v169, v42, v71
	v_mul_i32_i24_e32 v76, v192, v41
	v_mul_i32_i24_e32 v77, v193, v43
	;; [unrolled: 1-line block ×4, first 2 shown]
	v_add3_u32 v71, v71, v80, v85
	v_mul_i32_i24_e32 v81, v196, v51
	v_mul_i32_i24_e32 v82, v197, v52
	;; [unrolled: 1-line block ×6, first 2 shown]
	s_waitcnt lgkmcnt(0)
	v_and_b32_e32 v204, 15, v21
	v_bfe_u32 v209, v21, 4, 4
	v_and_b32_e32 v212, 15, v22
	v_bfe_u32 v216, v22, 4, 4
	v_bfe_u32 v205, v21, 8, 4
	v_mul_i32_i24_e32 v100, v204, v57
	v_mul_i32_i24_e32 v106, v209, v62
	;; [unrolled: 1-line block ×4, first 2 shown]
	v_bfe_u32 v207, v21, 16, 4
	v_add3_u32 v71, v71, v100, v72
	v_mul_i32_i24_e32 v101, v205, v58
	v_bfe_u32 v208, v21, 24, 4
	v_bfe_u32 v210, v21, 12, 4
	v_mul_i32_i24_e32 v102, v207, v61
	v_add3_u32 v71, v71, v75, v76
	v_bfe_u32 v199, v21, 20, 4
	v_mul_i32_i24_e32 v105, v208, v49
	v_mul_i32_i24_e32 v107, v210, v63
	v_lshrrev_b32_e32 v211, 28, v21
	v_add3_u32 v71, v71, v106, v109
	v_mul_i32_i24_e32 v108, v199, v64
	v_bfe_u32 v213, v22, 8, 4
	v_bfe_u32 v214, v22, 16, 4
	v_mul_i32_i24_e32 v21, v211, v59
	v_add3_u32 v71, v71, v77, v78
	v_bfe_u32 v215, v22, 24, 4
	v_mul_i32_i24_e32 v110, v213, v66
	v_mul_i32_i24_e32 v111, v214, v67
	v_bfe_u32 v217, v22, 12, 4
	v_add3_u32 v71, v71, v79, v81
	v_bfe_u32 v206, v22, 20, 4
	v_mul_i32_i24_e32 v112, v215, v50
	v_lshrrev_b32_e32 v219, 28, v22
	v_mul_i32_i24_e32 v121, v217, v69
	v_add3_u32 v71, v71, v82, v84
	v_mul_i32_i24_e32 v122, v206, v70
	s_delay_alu instid0(VALU_DEP_4) | instskip(NEXT) | instid1(VALU_DEP_3)
	v_mul_i32_i24_e32 v22, v219, v60
	v_add3_u32 v71, v71, v113, v97
	s_delay_alu instid0(VALU_DEP_1) | instskip(NEXT) | instid1(VALU_DEP_1)
	v_add3_u32 v71, v71, v98, v99
	v_add3_u32 v71, v71, v101, v102
	s_delay_alu instid0(VALU_DEP_1) | instskip(NEXT) | instid1(VALU_DEP_1)
	v_add3_u32 v71, v71, v105, v107
	;; [unrolled: 3-line block ×3, first 2 shown]
	v_add3_u32 v21, v21, v112, v121
	s_delay_alu instid0(VALU_DEP_1) | instskip(SKIP_1) | instid1(VALU_DEP_2)
	v_add3_u32 v21, v21, v122, v22
	v_pk_mul_f16 v22, v3, v153
	v_cvt_f32_i32_e32 v21, v21
	s_delay_alu instid0(VALU_DEP_1) | instskip(NEXT) | instid1(VALU_DEP_1)
	v_fma_mix_f32 v21, v22, v21, v22 op_sel:[0,0,1] op_sel_hi:[1,0,1]
	v_add_f32_e32 v45, v45, v21
	v_add_nc_u32_e32 v21, 0x2100, v119
	ds_load_b32 v179, v118
	ds_load_2addr_b32 v[21:22], v21 offset1:1
	v_add_nc_u32_e32 v118, 4, v118
	s_waitcnt lgkmcnt(0)
	v_bfe_u32 v218, v21, 20, 4
	v_and_b32_e32 v220, 15, v21
	v_bfe_u32 v221, v21, 8, 4
	v_bfe_u32 v223, v21, 16, 4
	v_bfe_u32 v224, v21, 24, 4
	v_bfe_u32 v203, v21, 4, 4
	v_bfe_u32 v225, v21, 12, 4
	v_lshrrev_b32_e32 v226, 28, v21
	v_add_nc_u32_e32 v21, 0x2108, v119
	v_bfe_u32 v222, v22, 20, 4
	v_and_b32_e32 v227, 15, v22
	v_bfe_u32 v228, v22, 8, 4
	v_bfe_u32 v229, v22, 16, 4
	;; [unrolled: 1-line block ×5, first 2 shown]
	v_lshrrev_b32_e32 v234, 28, v22
	ds_load_2addr_b32 v[21:22], v21 offset1:1
	v_mul_i32_i24_e32 v71, v220, v26
	v_mul_i32_i24_e32 v80, v227, v47
	;; [unrolled: 1-line block ×5, first 2 shown]
	v_mad_i32_i24 v71, v203, v42, v71
	v_mul_i32_i24_e32 v76, v224, v41
	v_mul_i32_i24_e32 v77, v225, v43
	;; [unrolled: 1-line block ×4, first 2 shown]
	v_add3_u32 v71, v71, v80, v85
	v_mul_i32_i24_e32 v81, v228, v51
	v_mul_i32_i24_e32 v82, v229, v52
	;; [unrolled: 1-line block ×6, first 2 shown]
	s_waitcnt lgkmcnt(0)
	v_and_b32_e32 v235, 15, v21
	v_bfe_u32 v240, v21, 4, 4
	v_and_b32_e32 v243, 15, v22
	v_bfe_u32 v247, v22, 4, 4
	v_bfe_u32 v236, v21, 8, 4
	v_mul_i32_i24_e32 v100, v235, v57
	v_mul_i32_i24_e32 v106, v240, v62
	;; [unrolled: 1-line block ×4, first 2 shown]
	v_bfe_u32 v238, v21, 16, 4
	v_add3_u32 v71, v71, v100, v72
	v_mul_i32_i24_e32 v101, v236, v58
	v_bfe_u32 v239, v21, 24, 4
	v_bfe_u32 v241, v21, 12, 4
	v_mul_i32_i24_e32 v102, v238, v61
	v_add3_u32 v71, v71, v75, v76
	v_bfe_u32 v231, v21, 20, 4
	v_mul_i32_i24_e32 v105, v239, v49
	v_mul_i32_i24_e32 v107, v241, v63
	v_lshrrev_b32_e32 v242, 28, v21
	v_add3_u32 v71, v71, v106, v109
	v_mul_i32_i24_e32 v108, v231, v64
	v_bfe_u32 v244, v22, 8, 4
	v_bfe_u32 v245, v22, 16, 4
	v_mul_i32_i24_e32 v21, v242, v59
	v_add3_u32 v71, v71, v77, v78
	v_bfe_u32 v246, v22, 24, 4
	v_mul_i32_i24_e32 v110, v244, v66
	v_mul_i32_i24_e32 v111, v245, v67
	v_bfe_u32 v248, v22, 12, 4
	v_add3_u32 v71, v71, v79, v81
	v_bfe_u32 v237, v22, 20, 4
	v_mul_i32_i24_e32 v112, v246, v50
	v_lshrrev_b32_e32 v249, 28, v22
	v_mul_i32_i24_e32 v121, v248, v69
	v_add3_u32 v71, v71, v82, v84
	v_mul_i32_i24_e32 v122, v237, v70
	s_delay_alu instid0(VALU_DEP_4) | instskip(NEXT) | instid1(VALU_DEP_3)
	v_mul_i32_i24_e32 v22, v249, v60
	v_add3_u32 v71, v71, v113, v97
	s_delay_alu instid0(VALU_DEP_1) | instskip(NEXT) | instid1(VALU_DEP_1)
	v_add3_u32 v71, v71, v98, v99
	v_add3_u32 v71, v71, v101, v102
	s_delay_alu instid0(VALU_DEP_1) | instskip(NEXT) | instid1(VALU_DEP_1)
	v_add3_u32 v71, v71, v105, v107
	;; [unrolled: 3-line block ×3, first 2 shown]
	v_add3_u32 v21, v21, v112, v121
	s_delay_alu instid0(VALU_DEP_1) | instskip(SKIP_1) | instid1(VALU_DEP_2)
	v_add3_u32 v21, v21, v122, v22
	v_pk_mul_f16 v22, v3, v179
	v_cvt_f32_i32_e32 v21, v21
	s_delay_alu instid0(VALU_DEP_1) | instskip(NEXT) | instid1(VALU_DEP_1)
	v_fma_mix_f32 v21, v22, v21, v22 op_sel:[0,0,1] op_sel_hi:[1,0,1]
	v_dual_add_f32 v38, v38, v21 :: v_dual_add_nc_u32 v21, 0x3180, v119
	ds_load_b32 v121, v120
	ds_load_2addr_b32 v[21:22], v21 offset1:1
	v_add_nc_u32_e32 v120, 4, v120
	s_waitcnt lgkmcnt(1)
	v_pk_mul_f16 v3, v3, v121
	s_waitcnt lgkmcnt(0)
	v_bfe_u32 v123, v21, 20, 4
	v_and_b32_e32 v250, 15, v21
	v_bfe_u32 v251, v21, 8, 4
	v_bfe_u32 v252, v21, 16, 4
	;; [unrolled: 1-line block ×5, first 2 shown]
	v_lshrrev_b32_e32 v127, 28, v21
	v_add_nc_u32_e32 v21, 0x3188, v119
	v_bfe_u32 v124, v22, 20, 4
	v_and_b32_e32 v128, 15, v22
	v_bfe_u32 v129, v22, 8, 4
	v_bfe_u32 v130, v22, 16, 4
	;; [unrolled: 1-line block ×5, first 2 shown]
	v_lshrrev_b32_e32 v135, 28, v22
	ds_load_2addr_b32 v[21:22], v21 offset1:1
	v_mul_i32_i24_e32 v26, v250, v26
	v_mul_i32_i24_e32 v47, v128, v47
	;; [unrolled: 1-line block ×5, first 2 shown]
	v_mad_i32_i24 v26, v122, v42, v26
	v_mul_i32_i24_e32 v41, v125, v41
	v_mul_i32_i24_e32 v43, v126, v43
	;; [unrolled: 1-line block ×4, first 2 shown]
	v_add3_u32 v26, v26, v47, v53
	v_mul_i32_i24_e32 v51, v129, v51
	v_mul_i32_i24_e32 v52, v130, v52
	;; [unrolled: 1-line block ×6, first 2 shown]
	v_add_nc_u32_e32 v119, 16, v119
	s_waitcnt lgkmcnt(0)
	v_and_b32_e32 v136, 15, v21
	v_bfe_u32 v141, v21, 4, 4
	v_lshrrev_b32_e32 v143, 28, v21
	v_and_b32_e32 v144, 15, v22
	v_bfe_u32 v132, v21, 20, 4
	v_mul_i32_i24_e32 v57, v136, v57
	v_bfe_u32 v137, v21, 8, 4
	v_bfe_u32 v139, v21, 16, 4
	;; [unrolled: 1-line block ×3, first 2 shown]
	v_mul_i32_i24_e32 v62, v141, v62
	v_add3_u32 v26, v26, v57, v39
	v_bfe_u32 v142, v21, 12, 4
	v_mul_i32_i24_e32 v21, v143, v59
	v_mul_i32_i24_e32 v59, v144, v65
	v_bfe_u32 v145, v22, 8, 4
	v_add3_u32 v26, v26, v40, v41
	v_bfe_u32 v146, v22, 16, 4
	v_bfe_u32 v148, v22, 4, 4
	v_mul_i32_i24_e32 v58, v137, v58
	v_mul_i32_i24_e32 v65, v145, v66
	v_add3_u32 v26, v26, v62, v59
	v_mul_i32_i24_e32 v66, v146, v67
	v_mul_i32_i24_e32 v67, v148, v68
	;; [unrolled: 1-line block ×4, first 2 shown]
	v_add3_u32 v26, v26, v43, v44
	v_mul_i32_i24_e32 v63, v142, v63
	v_mul_i32_i24_e32 v64, v132, v64
	v_bfe_u32 v147, v22, 24, 4
	v_bfe_u32 v149, v22, 12, 4
	v_add3_u32 v26, v26, v46, v51
	v_bfe_u32 v138, v22, 20, 4
	v_lshrrev_b32_e32 v150, 28, v22
	v_mul_i32_i24_e32 v50, v147, v50
	v_mul_i32_i24_e32 v68, v149, v69
	v_add3_u32 v26, v26, v52, v48
	v_mul_i32_i24_e32 v69, v138, v70
	v_mul_i32_i24_e32 v22, v150, v60
	s_delay_alu instid0(VALU_DEP_3) | instskip(NEXT) | instid1(VALU_DEP_1)
	v_add3_u32 v26, v26, v67, v54
	v_add3_u32 v26, v26, v55, v56
	s_delay_alu instid0(VALU_DEP_1) | instskip(NEXT) | instid1(VALU_DEP_1)
	v_add3_u32 v26, v26, v58, v61
	v_add3_u32 v26, v26, v49, v63
	s_delay_alu instid0(VALU_DEP_1) | instskip(NEXT) | instid1(VALU_DEP_1)
	v_add3_u32 v21, v26, v64, v21
	v_add3_u32 v21, v21, v65, v66
	s_delay_alu instid0(VALU_DEP_1) | instskip(SKIP_3) | instid1(VALU_DEP_1)
	v_add3_u32 v21, v21, v50, v68
	ds_load_b128 v[47:50], v115 offset:1024
	ds_load_b128 v[57:60], v115 offset:1040
	v_add3_u32 v21, v21, v69, v22
	v_cvt_f32_i32_e32 v21, v21
	s_delay_alu instid0(VALU_DEP_1) | instskip(NEXT) | instid1(VALU_DEP_1)
	v_fma_mix_f32 v3, v3, v21, v3 op_sel:[0,0,1] op_sel_hi:[1,0,1]
	v_add_f32_e32 v37, v37, v3
	s_waitcnt lgkmcnt(1)
	v_bfe_i32 v3, v47, 0, 8
	v_bfe_i32 v21, v47, 8, 8
	;; [unrolled: 1-line block ×3, first 2 shown]
	s_waitcnt lgkmcnt(0)
	v_bfe_i32 v39, v57, 0, 8
	v_ashrrev_i32_e32 v26, 24, v47
	v_mul_i32_i24_e32 v68, v3, v155
	v_bfe_i32 v43, v48, 0, 8
	v_mul_i32_i24_e32 v69, v21, v156
	v_mul_i32_i24_e32 v70, v22, v158
	v_bfe_i32 v40, v57, 8, 8
	v_mad_i32_i24 v68, v39, v152, v68
	v_bfe_i32 v41, v57, 16, 8
	v_mul_i32_i24_e32 v71, v26, v159
	v_mul_i32_i24_e32 v77, v43, v162
	v_ashrrev_i32_e32 v42, 24, v57
	v_add3_u32 v68, v68, v69, v70
	v_bfe_i32 v44, v48, 8, 8
	v_bfe_i32 v46, v48, 16, 8
	v_ashrrev_i32_e32 v47, 24, v48
	v_bfe_i32 v48, v58, 0, 8
	v_mul_i32_i24_e32 v72, v40, v160
	v_mul_i32_i24_e32 v75, v41, v154
	v_add3_u32 v68, v68, v71, v77
	v_mul_i32_i24_e32 v76, v42, v161
	v_mul_i32_i24_e32 v81, v48, v167
	v_bfe_i32 v54, v49, 0, 8
	v_mul_i32_i24_e32 v78, v44, v163
	v_add3_u32 v68, v68, v72, v75
	v_mul_i32_i24_e32 v79, v46, v164
	v_bfe_i32 v51, v58, 8, 8
	v_bfe_i32 v52, v58, 16, 8
	v_mul_i32_i24_e32 v80, v47, v166
	v_add3_u32 v68, v68, v76, v81
	v_mul_i32_i24_e32 v97, v54, v171
	v_ashrrev_i32_e32 v53, 24, v58
	v_bfe_i32 v57, v59, 0, 8
	v_mul_i32_i24_e32 v82, v51, v168
	v_add3_u32 v68, v68, v78, v79
	v_mul_i32_i24_e32 v84, v52, v157
	v_bfe_i32 v55, v49, 8, 8
	v_bfe_i32 v56, v49, 16, 8
	v_mul_i32_i24_e32 v85, v53, v170
	v_add3_u32 v68, v68, v80, v97
	v_mul_i32_i24_e32 v101, v57, v176
	v_ashrrev_i32_e32 v49, 24, v49
	;; [unrolled: 10-line block ×4, first 2 shown]
	v_bfe_i32 v66, v60, 8, 8
	v_mul_i32_i24_e32 v108, v63, v181
	v_add3_u32 v68, v68, v102, v105
	v_mul_i32_i24_e32 v109, v64, v182
	v_bfe_i32 v67, v60, 16, 8
	v_ashrrev_i32_e32 v60, 24, v60
	v_mul_i32_i24_e32 v110, v50, v183
	v_add3_u32 v68, v68, v106, v111
	v_mul_i32_i24_e32 v112, v66, v185
	v_mul_i32_i24_e32 v113, v67, v173
	;; [unrolled: 1-line block ×3, first 2 shown]
	v_pk_mul_f16 v69, v151, v4
	v_add3_u32 v68, v68, v108, v109
	v_mul_i32_i24_e32 v70, v22, v191
	v_mul_i32_i24_e32 v71, v26, v192
	v_mul_i32_i24_e32 v77, v43, v195
	v_mul_i32_i24_e32 v72, v40, v193
	v_add3_u32 v68, v68, v110, v112
	v_mul_i32_i24_e32 v75, v41, v186
	v_mul_i32_i24_e32 v76, v42, v194
	v_mul_i32_i24_e32 v81, v48, v200
	v_mul_i32_i24_e32 v78, v44, v196
	;; [unrolled: 5-line block ×3, first 2 shown]
	v_cvt_f32_i32_e32 v68, v68
	v_mul_i32_i24_e32 v84, v52, v190
	v_mul_i32_i24_e32 v85, v53, v202
	;; [unrolled: 1-line block ×4, first 2 shown]
	v_fma_mix_f32 v68, v69, v68, v69 op_sel:[0,0,1] op_sel_hi:[1,0,1]
	v_mul_i32_i24_e32 v69, v21, v189
	v_mul_i32_i24_e32 v99, v56, v207
	;; [unrolled: 1-line block ×4, first 2 shown]
	v_add_f32_e32 v36, v36, v68
	v_mul_i32_i24_e32 v68, v3, v188
	v_mul_i32_i24_e32 v102, v58, v210
	;; [unrolled: 1-line block ×5, first 2 shown]
	v_mad_i32_i24 v68, v39, v169, v68
	v_mul_i32_i24_e32 v108, v63, v213
	v_mul_i32_i24_e32 v109, v64, v214
	;; [unrolled: 1-line block ×4, first 2 shown]
	v_add3_u32 v68, v68, v69, v70
	v_mul_i32_i24_e32 v113, v67, v206
	v_mul_i32_i24_e32 v253, v60, v219
	v_pk_mul_f16 v69, v153, v4
	v_mul_i32_i24_e32 v70, v22, v223
	v_add3_u32 v68, v68, v71, v77
	v_mul_i32_i24_e32 v22, v22, v252
	v_mul_i32_i24_e32 v71, v26, v224
	v_mul_i32_i24_e32 v77, v43, v227
	v_mul_i32_i24_e32 v26, v26, v125
	v_add3_u32 v68, v68, v72, v75
	v_mul_i32_i24_e32 v43, v43, v128
	v_mul_i32_i24_e32 v72, v40, v225
	v_mul_i32_i24_e32 v75, v41, v218
	;; [unrolled: 5-line block ×14, first 2 shown]
	v_mul_i32_i24_e32 v67, v67, v138
	v_cvt_f32_i32_e32 v68, v68
	v_mul_i32_i24_e32 v60, v60, v150
	s_delay_alu instid0(VALU_DEP_2) | instskip(SKIP_2) | instid1(VALU_DEP_3)
	v_fma_mix_f32 v68, v69, v68, v69 op_sel:[0,0,1] op_sel_hi:[1,0,1]
	v_mul_i32_i24_e32 v69, v21, v221
	v_mul_i32_i24_e32 v21, v21, v251
	v_add_f32_e32 v35, v35, v68
	v_mul_i32_i24_e32 v68, v3, v220
	v_mul_i32_i24_e32 v3, v3, v250
	s_delay_alu instid0(VALU_DEP_2) | instskip(NEXT) | instid1(VALU_DEP_2)
	v_mad_i32_i24 v68, v39, v203, v68
	v_mad_i32_i24 v3, v39, v122, v3
	s_delay_alu instid0(VALU_DEP_2) | instskip(NEXT) | instid1(VALU_DEP_2)
	v_add3_u32 v68, v68, v69, v70
	v_add3_u32 v3, v3, v21, v22
	v_pk_mul_f16 v69, v179, v4
	v_pk_mul_f16 v4, v121, v4
	s_delay_alu instid0(VALU_DEP_4) | instskip(NEXT) | instid1(VALU_DEP_4)
	v_add3_u32 v68, v68, v71, v77
	v_add3_u32 v3, v3, v26, v43
	s_delay_alu instid0(VALU_DEP_2) | instskip(NEXT) | instid1(VALU_DEP_2)
	v_add3_u32 v68, v68, v72, v75
	v_add3_u32 v3, v3, v40, v41
	s_delay_alu instid0(VALU_DEP_2) | instskip(NEXT) | instid1(VALU_DEP_2)
	;; [unrolled: 3-line block ×14, first 2 shown]
	v_cvt_f32_i32_e32 v68, v68
	v_cvt_f32_i32_e32 v3, v3
	s_delay_alu instid0(VALU_DEP_2) | instskip(NEXT) | instid1(VALU_DEP_2)
	v_fma_mix_f32 v68, v69, v68, v69 op_sel:[0,0,1] op_sel_hi:[1,0,1]
	v_fma_mix_f32 v3, v4, v3, v4 op_sel:[0,0,1] op_sel_hi:[1,0,1]
	s_delay_alu instid0(VALU_DEP_2) | instskip(NEXT) | instid1(VALU_DEP_2)
	v_add_f32_e32 v34, v34, v68
	v_add_f32_e32 v32, v32, v3
	ds_load_b128 v[47:50], v115 offset:2048
	ds_load_b128 v[57:60], v115 offset:2064
	ds_load_2addr_b32 v[3:4], v114 offset0:64 offset1:96
	s_waitcnt lgkmcnt(2)
	v_bfe_i32 v21, v47, 0, 8
	v_bfe_i32 v22, v47, 8, 8
	;; [unrolled: 1-line block ×3, first 2 shown]
	s_waitcnt lgkmcnt(1)
	v_bfe_i32 v40, v57, 0, 8
	v_ashrrev_i32_e32 v39, 24, v47
	v_mul_i32_i24_e32 v69, v21, v155
	v_bfe_i32 v44, v48, 0, 8
	v_mul_i32_i24_e32 v70, v22, v156
	v_mul_i32_i24_e32 v71, v26, v158
	v_bfe_i32 v41, v57, 8, 8
	v_mad_i32_i24 v69, v40, v152, v69
	v_bfe_i32 v42, v57, 16, 8
	v_mul_i32_i24_e32 v72, v39, v159
	v_mul_i32_i24_e32 v78, v44, v162
	v_ashrrev_i32_e32 v43, 24, v57
	v_add3_u32 v69, v69, v70, v71
	v_bfe_i32 v51, v58, 0, 8
	v_mul_i32_i24_e32 v75, v41, v160
	v_mul_i32_i24_e32 v76, v42, v154
	v_bfe_i32 v46, v48, 8, 8
	v_add3_u32 v69, v69, v72, v78
	v_bfe_i32 v47, v48, 16, 8
	v_mul_i32_i24_e32 v77, v43, v161
	v_mul_i32_i24_e32 v82, v51, v167
	v_ashrrev_i32_e32 v48, 24, v48
	v_add3_u32 v69, v69, v75, v76
	v_bfe_i32 v55, v49, 0, 8
	v_mul_i32_i24_e32 v79, v46, v163
	v_mul_i32_i24_e32 v80, v47, v164
	v_bfe_i32 v52, v58, 8, 8
	v_add3_u32 v69, v69, v77, v82
	;; [unrolled: 10-line block ×6, first 2 shown]
	v_ashrrev_i32_e32 v60, 24, v60
	v_mul_i32_i24_e32 v111, v50, v183
	v_mul_i32_i24_e32 v113, v67, v185
	;; [unrolled: 1-line block ×3, first 2 shown]
	v_add3_u32 v69, v69, v109, v110
	v_mul_i32_i24_e32 v254, v60, v187
	s_waitcnt lgkmcnt(0)
	v_pk_mul_f16 v70, v151, v3
	v_mul_i32_i24_e32 v71, v26, v191
	v_mul_i32_i24_e32 v72, v39, v192
	v_add3_u32 v69, v69, v111, v113
	v_mul_i32_i24_e32 v78, v44, v195
	v_mul_i32_i24_e32 v75, v41, v193
	;; [unrolled: 1-line block ×4, first 2 shown]
	v_add3_u32 v69, v69, v253, v254
	v_mul_i32_i24_e32 v82, v51, v200
	v_mul_i32_i24_e32 v79, v46, v196
	;; [unrolled: 1-line block ×4, first 2 shown]
	v_cvt_f32_i32_e32 v69, v69
	v_mul_i32_i24_e32 v98, v55, v204
	v_mul_i32_i24_e32 v84, v52, v201
	;; [unrolled: 1-line block ×4, first 2 shown]
	v_fma_mix_f32 v69, v70, v69, v70 op_sel:[0,0,1] op_sel_hi:[1,0,1]
	v_mul_i32_i24_e32 v70, v22, v189
	v_mul_i32_i24_e32 v102, v58, v209
	;; [unrolled: 1-line block ×4, first 2 shown]
	v_add_f32_e32 v31, v31, v69
	v_mul_i32_i24_e32 v69, v21, v188
	v_mul_i32_i24_e32 v101, v49, v208
	;; [unrolled: 1-line block ×5, first 2 shown]
	v_mad_i32_i24 v69, v40, v169, v69
	v_mul_i32_i24_e32 v107, v59, v211
	v_mul_i32_i24_e32 v112, v66, v216
	;; [unrolled: 1-line block ×4, first 2 shown]
	v_add3_u32 v69, v69, v70, v71
	v_mul_i32_i24_e32 v111, v50, v215
	v_mul_i32_i24_e32 v113, v67, v217
	;; [unrolled: 1-line block ×4, first 2 shown]
	v_add3_u32 v69, v69, v72, v78
	v_pk_mul_f16 v70, v153, v3
	v_mul_i32_i24_e32 v71, v26, v223
	v_mul_i32_i24_e32 v72, v39, v224
	v_mul_i32_i24_e32 v78, v44, v227
	v_add3_u32 v69, v69, v75, v76
	v_mul_i32_i24_e32 v75, v41, v225
	v_mul_i32_i24_e32 v76, v42, v218
	v_mul_i32_i24_e32 v26, v26, v252
	v_mul_i32_i24_e32 v39, v39, v125
	v_add3_u32 v69, v69, v77, v82
	v_mul_i32_i24_e32 v77, v43, v226
	;; [unrolled: 5-line block ×13, first 2 shown]
	v_mul_i32_i24_e32 v254, v60, v249
	v_mul_i32_i24_e32 v50, v50, v147
	;; [unrolled: 1-line block ×3, first 2 shown]
	v_cvt_f32_i32_e32 v69, v69
	v_mul_i32_i24_e32 v68, v68, v138
	v_mul_i32_i24_e32 v60, v60, v150
	s_delay_alu instid0(VALU_DEP_3) | instskip(SKIP_2) | instid1(VALU_DEP_3)
	v_fma_mix_f32 v69, v70, v69, v70 op_sel:[0,0,1] op_sel_hi:[1,0,1]
	v_mul_i32_i24_e32 v70, v22, v221
	v_mul_i32_i24_e32 v22, v22, v251
	v_add_f32_e32 v30, v30, v69
	v_mul_i32_i24_e32 v69, v21, v220
	v_mul_i32_i24_e32 v21, v21, v250
	s_delay_alu instid0(VALU_DEP_2) | instskip(NEXT) | instid1(VALU_DEP_2)
	v_mad_i32_i24 v69, v40, v203, v69
	v_mad_i32_i24 v21, v40, v122, v21
	s_delay_alu instid0(VALU_DEP_2) | instskip(SKIP_1) | instid1(VALU_DEP_3)
	v_add3_u32 v69, v69, v70, v71
	v_pk_mul_f16 v70, v179, v3
	v_add3_u32 v21, v21, v22, v26
	v_pk_mul_f16 v3, v121, v3
	s_delay_alu instid0(VALU_DEP_4) | instskip(NEXT) | instid1(VALU_DEP_1)
	v_add3_u32 v69, v69, v72, v78
	v_add3_u32 v69, v69, v75, v76
	s_delay_alu instid0(VALU_DEP_1) | instskip(NEXT) | instid1(VALU_DEP_1)
	v_add3_u32 v69, v69, v77, v82
	v_add3_u32 v69, v69, v79, v80
	s_delay_alu instid0(VALU_DEP_1) | instskip(NEXT) | instid1(VALU_DEP_1)
	;; [unrolled: 3-line block ×7, first 2 shown]
	v_cvt_f32_i32_e32 v69, v69
	v_fma_mix_f32 v69, v70, v69, v70 op_sel:[0,0,1] op_sel_hi:[1,0,1]
	s_delay_alu instid0(VALU_DEP_1) | instskip(SKIP_1) | instid1(VALU_DEP_1)
	v_add_f32_e32 v29, v29, v69
	v_mul_i32_i24_e32 v44, v44, v128
	v_add3_u32 v21, v21, v39, v44
	s_delay_alu instid0(VALU_DEP_1) | instskip(NEXT) | instid1(VALU_DEP_1)
	v_add3_u32 v21, v21, v41, v42
	v_add3_u32 v21, v21, v43, v51
	s_delay_alu instid0(VALU_DEP_1) | instskip(NEXT) | instid1(VALU_DEP_1)
	v_add3_u32 v21, v21, v46, v47
	;; [unrolled: 3-line block ×6, first 2 shown]
	v_add3_u32 v21, v21, v50, v67
	s_delay_alu instid0(VALU_DEP_1) | instskip(SKIP_3) | instid1(VALU_DEP_1)
	v_add3_u32 v21, v21, v68, v60
	ds_load_b128 v[47:50], v115 offset:3072
	ds_load_b128 v[57:60], v115 offset:3088
	v_cvt_f32_i32_e32 v21, v21
	v_fma_mix_f32 v3, v3, v21, v3 op_sel:[0,0,1] op_sel_hi:[1,0,1]
	s_delay_alu instid0(VALU_DEP_1)
	v_add_f32_e32 v28, v28, v3
	s_waitcnt lgkmcnt(1)
	v_bfe_i32 v3, v47, 0, 8
	v_bfe_i32 v21, v47, 8, 8
	;; [unrolled: 1-line block ×3, first 2 shown]
	s_waitcnt lgkmcnt(0)
	v_bfe_i32 v39, v57, 0, 8
	v_ashrrev_i32_e32 v26, 24, v47
	v_mul_i32_i24_e32 v68, v3, v155
	v_bfe_i32 v43, v48, 0, 8
	v_mul_i32_i24_e32 v69, v21, v156
	v_mul_i32_i24_e32 v70, v22, v158
	v_bfe_i32 v40, v57, 8, 8
	v_mad_i32_i24 v68, v39, v152, v68
	v_bfe_i32 v41, v57, 16, 8
	v_mul_i32_i24_e32 v71, v26, v159
	v_mul_i32_i24_e32 v77, v43, v162
	v_ashrrev_i32_e32 v42, 24, v57
	v_add3_u32 v68, v68, v69, v70
	v_bfe_i32 v44, v48, 8, 8
	v_bfe_i32 v46, v48, 16, 8
	v_ashrrev_i32_e32 v47, 24, v48
	v_bfe_i32 v48, v58, 0, 8
	v_mul_i32_i24_e32 v72, v40, v160
	v_mul_i32_i24_e32 v75, v41, v154
	v_add3_u32 v68, v68, v71, v77
	v_mul_i32_i24_e32 v76, v42, v161
	v_mul_i32_i24_e32 v81, v48, v167
	v_bfe_i32 v54, v49, 0, 8
	v_mul_i32_i24_e32 v78, v44, v163
	v_add3_u32 v68, v68, v72, v75
	v_mul_i32_i24_e32 v79, v46, v164
	v_bfe_i32 v51, v58, 8, 8
	v_bfe_i32 v52, v58, 16, 8
	v_mul_i32_i24_e32 v80, v47, v166
	v_add3_u32 v68, v68, v76, v81
	v_mul_i32_i24_e32 v97, v54, v171
	v_ashrrev_i32_e32 v53, 24, v58
	v_bfe_i32 v57, v59, 0, 8
	v_mul_i32_i24_e32 v82, v51, v168
	v_add3_u32 v68, v68, v78, v79
	v_mul_i32_i24_e32 v84, v52, v157
	v_bfe_i32 v55, v49, 8, 8
	v_bfe_i32 v56, v49, 16, 8
	v_mul_i32_i24_e32 v85, v53, v170
	v_add3_u32 v68, v68, v80, v97
	v_mul_i32_i24_e32 v101, v57, v176
	v_ashrrev_i32_e32 v49, 24, v49
	;; [unrolled: 10-line block ×4, first 2 shown]
	v_bfe_i32 v66, v60, 8, 8
	v_mul_i32_i24_e32 v108, v63, v181
	v_add3_u32 v68, v68, v102, v105
	v_mul_i32_i24_e32 v109, v64, v182
	v_bfe_i32 v67, v60, 16, 8
	v_ashrrev_i32_e32 v60, 24, v60
	v_mul_i32_i24_e32 v110, v50, v183
	v_add3_u32 v68, v68, v106, v111
	v_mul_i32_i24_e32 v112, v66, v185
	v_mul_i32_i24_e32 v113, v67, v173
	;; [unrolled: 1-line block ×3, first 2 shown]
	v_pk_mul_f16 v69, v151, v4
	v_add3_u32 v68, v68, v108, v109
	v_mul_i32_i24_e32 v70, v22, v191
	v_mul_i32_i24_e32 v71, v26, v192
	v_mul_i32_i24_e32 v77, v43, v195
	v_mul_i32_i24_e32 v72, v40, v193
	v_add3_u32 v68, v68, v110, v112
	v_mul_i32_i24_e32 v75, v41, v186
	v_mul_i32_i24_e32 v76, v42, v194
	v_mul_i32_i24_e32 v81, v48, v200
	v_mul_i32_i24_e32 v78, v44, v196
	;; [unrolled: 5-line block ×3, first 2 shown]
	v_cvt_f32_i32_e32 v68, v68
	v_mul_i32_i24_e32 v84, v52, v190
	v_mul_i32_i24_e32 v85, v53, v202
	;; [unrolled: 1-line block ×4, first 2 shown]
	v_fma_mix_f32 v68, v69, v68, v69 op_sel:[0,0,1] op_sel_hi:[1,0,1]
	v_mul_i32_i24_e32 v69, v21, v189
	v_mul_i32_i24_e32 v99, v56, v207
	;; [unrolled: 1-line block ×4, first 2 shown]
	v_add_f32_e32 v27, v27, v68
	v_mul_i32_i24_e32 v68, v3, v188
	v_mul_i32_i24_e32 v102, v58, v210
	;; [unrolled: 1-line block ×5, first 2 shown]
	v_mad_i32_i24 v68, v39, v169, v68
	v_mul_i32_i24_e32 v108, v63, v213
	v_mul_i32_i24_e32 v109, v64, v214
	;; [unrolled: 1-line block ×4, first 2 shown]
	v_add3_u32 v68, v68, v69, v70
	v_mul_i32_i24_e32 v113, v67, v206
	v_mul_i32_i24_e32 v253, v60, v219
	v_pk_mul_f16 v69, v153, v4
	v_mul_i32_i24_e32 v70, v22, v223
	v_add3_u32 v68, v68, v71, v77
	v_mul_i32_i24_e32 v22, v22, v252
	v_mul_i32_i24_e32 v71, v26, v224
	v_mul_i32_i24_e32 v77, v43, v227
	v_mul_i32_i24_e32 v26, v26, v125
	v_add3_u32 v68, v68, v72, v75
	v_mul_i32_i24_e32 v43, v43, v128
	v_mul_i32_i24_e32 v72, v40, v225
	v_mul_i32_i24_e32 v75, v41, v218
	v_mul_i32_i24_e32 v40, v40, v126
	v_add3_u32 v68, v68, v76, v81
	v_mul_i32_i24_e32 v41, v41, v123
	v_mul_i32_i24_e32 v76, v42, v226
	v_mul_i32_i24_e32 v81, v48, v232
	v_mul_i32_i24_e32 v42, v42, v127
	v_add3_u32 v68, v68, v78, v79
	v_mul_i32_i24_e32 v48, v48, v133
	v_mul_i32_i24_e32 v78, v44, v228
	v_mul_i32_i24_e32 v79, v46, v229
	v_mul_i32_i24_e32 v44, v44, v129
	v_add3_u32 v68, v68, v80, v97
	v_mul_i32_i24_e32 v46, v46, v130
	v_mul_i32_i24_e32 v80, v47, v230
	v_mul_i32_i24_e32 v97, v54, v235
	v_mul_i32_i24_e32 v47, v47, v131
	v_add3_u32 v68, v68, v82, v84
	v_mul_i32_i24_e32 v54, v54, v136
	v_mul_i32_i24_e32 v82, v51, v233
	v_mul_i32_i24_e32 v84, v52, v222
	v_mul_i32_i24_e32 v51, v51, v134
	v_add3_u32 v68, v68, v85, v101
	v_mul_i32_i24_e32 v52, v52, v124
	v_mul_i32_i24_e32 v85, v53, v234
	v_mul_i32_i24_e32 v101, v57, v240
	v_mul_i32_i24_e32 v53, v53, v135
	v_add3_u32 v68, v68, v98, v99
	v_mul_i32_i24_e32 v57, v57, v141
	v_mul_i32_i24_e32 v98, v55, v236
	v_mul_i32_i24_e32 v99, v56, v238
	v_mul_i32_i24_e32 v55, v55, v137
	v_add3_u32 v68, v68, v100, v107
	v_mul_i32_i24_e32 v56, v56, v139
	v_mul_i32_i24_e32 v100, v49, v239
	v_mul_i32_i24_e32 v107, v62, v243
	v_mul_i32_i24_e32 v49, v49, v140
	v_add3_u32 v68, v68, v102, v105
	v_mul_i32_i24_e32 v62, v62, v144
	v_mul_i32_i24_e32 v102, v58, v241
	v_mul_i32_i24_e32 v105, v61, v231
	v_mul_i32_i24_e32 v58, v58, v142
	v_add3_u32 v68, v68, v106, v111
	v_mul_i32_i24_e32 v61, v61, v132
	v_mul_i32_i24_e32 v106, v59, v242
	v_mul_i32_i24_e32 v111, v65, v247
	v_mul_i32_i24_e32 v59, v59, v143
	v_add3_u32 v68, v68, v108, v109
	v_mul_i32_i24_e32 v65, v65, v148
	v_mul_i32_i24_e32 v108, v63, v244
	v_mul_i32_i24_e32 v109, v64, v245
	v_mul_i32_i24_e32 v63, v63, v145
	v_add3_u32 v68, v68, v110, v112
	v_mul_i32_i24_e32 v64, v64, v146
	v_mul_i32_i24_e32 v110, v50, v246
	v_mul_i32_i24_e32 v112, v66, v248
	v_mul_i32_i24_e32 v50, v50, v147
	v_add3_u32 v68, v68, v113, v253
	v_mul_i32_i24_e32 v66, v66, v149
	v_mul_i32_i24_e32 v113, v67, v237
	v_mul_i32_i24_e32 v253, v60, v249
	v_mul_i32_i24_e32 v67, v67, v138
	v_cvt_f32_i32_e32 v68, v68
	v_mul_i32_i24_e32 v60, v60, v150
	s_delay_alu instid0(VALU_DEP_2) | instskip(SKIP_2) | instid1(VALU_DEP_3)
	v_fma_mix_f32 v68, v69, v68, v69 op_sel:[0,0,1] op_sel_hi:[1,0,1]
	v_mul_i32_i24_e32 v69, v21, v221
	v_mul_i32_i24_e32 v21, v21, v251
	v_add_f32_e32 v25, v25, v68
	v_mul_i32_i24_e32 v68, v3, v220
	v_mul_i32_i24_e32 v3, v3, v250
	s_delay_alu instid0(VALU_DEP_2) | instskip(NEXT) | instid1(VALU_DEP_2)
	v_mad_i32_i24 v68, v39, v203, v68
	v_mad_i32_i24 v3, v39, v122, v3
	s_delay_alu instid0(VALU_DEP_2) | instskip(NEXT) | instid1(VALU_DEP_2)
	v_add3_u32 v68, v68, v69, v70
	v_add3_u32 v3, v3, v21, v22
	v_pk_mul_f16 v69, v179, v4
	v_pk_mul_f16 v4, v121, v4
	s_delay_alu instid0(VALU_DEP_4) | instskip(NEXT) | instid1(VALU_DEP_4)
	v_add3_u32 v68, v68, v71, v77
	v_add3_u32 v3, v3, v26, v43
	s_delay_alu instid0(VALU_DEP_2) | instskip(NEXT) | instid1(VALU_DEP_2)
	v_add3_u32 v68, v68, v72, v75
	v_add3_u32 v3, v3, v40, v41
	s_delay_alu instid0(VALU_DEP_2) | instskip(NEXT) | instid1(VALU_DEP_2)
	v_add3_u32 v68, v68, v76, v81
	v_add3_u32 v3, v3, v42, v48
	s_delay_alu instid0(VALU_DEP_2) | instskip(NEXT) | instid1(VALU_DEP_2)
	v_add3_u32 v68, v68, v78, v79
	v_add3_u32 v3, v3, v44, v46
	s_delay_alu instid0(VALU_DEP_2) | instskip(NEXT) | instid1(VALU_DEP_2)
	v_add3_u32 v68, v68, v80, v97
	v_add3_u32 v3, v3, v47, v54
	s_delay_alu instid0(VALU_DEP_2) | instskip(NEXT) | instid1(VALU_DEP_2)
	v_add3_u32 v68, v68, v82, v84
	v_add3_u32 v3, v3, v51, v52
	s_delay_alu instid0(VALU_DEP_2) | instskip(NEXT) | instid1(VALU_DEP_2)
	v_add3_u32 v68, v68, v85, v101
	v_add3_u32 v3, v3, v53, v57
	s_delay_alu instid0(VALU_DEP_2) | instskip(NEXT) | instid1(VALU_DEP_2)
	v_add3_u32 v68, v68, v98, v99
	v_add3_u32 v3, v3, v55, v56
	s_delay_alu instid0(VALU_DEP_2) | instskip(NEXT) | instid1(VALU_DEP_2)
	v_add3_u32 v68, v68, v100, v107
	v_add3_u32 v3, v3, v49, v62
	s_delay_alu instid0(VALU_DEP_2) | instskip(NEXT) | instid1(VALU_DEP_2)
	v_add3_u32 v68, v68, v102, v105
	v_add3_u32 v3, v3, v58, v61
	s_delay_alu instid0(VALU_DEP_2) | instskip(NEXT) | instid1(VALU_DEP_2)
	v_add3_u32 v68, v68, v106, v111
	v_add3_u32 v3, v3, v59, v65
	s_delay_alu instid0(VALU_DEP_2) | instskip(NEXT) | instid1(VALU_DEP_2)
	v_add3_u32 v68, v68, v108, v109
	v_add3_u32 v3, v3, v63, v64
	s_delay_alu instid0(VALU_DEP_2) | instskip(NEXT) | instid1(VALU_DEP_2)
	v_add3_u32 v68, v68, v110, v112
	v_add3_u32 v3, v3, v50, v66
	s_delay_alu instid0(VALU_DEP_2) | instskip(NEXT) | instid1(VALU_DEP_2)
	v_add3_u32 v68, v68, v113, v253
	v_add3_u32 v3, v3, v67, v60
	s_delay_alu instid0(VALU_DEP_2) | instskip(NEXT) | instid1(VALU_DEP_2)
	v_cvt_f32_i32_e32 v68, v68
	v_cvt_f32_i32_e32 v3, v3
	s_delay_alu instid0(VALU_DEP_2) | instskip(NEXT) | instid1(VALU_DEP_2)
	v_fma_mix_f32 v68, v69, v68, v69 op_sel:[0,0,1] op_sel_hi:[1,0,1]
	v_fma_mix_f32 v3, v4, v3, v4 op_sel:[0,0,1] op_sel_hi:[1,0,1]
	s_delay_alu instid0(VALU_DEP_1)
	v_dual_add_f32 v24, v24, v68 :: v_dual_add_f32 v23, v23, v3
	ds_load_b128 v[47:50], v115 offset:4096
	ds_load_b128 v[57:60], v115 offset:4112
	ds_load_2addr_b32 v[3:4], v114 offset0:128 offset1:160
	s_waitcnt lgkmcnt(2)
	v_bfe_i32 v21, v47, 0, 8
	v_bfe_i32 v22, v47, 8, 8
	;; [unrolled: 1-line block ×3, first 2 shown]
	s_waitcnt lgkmcnt(1)
	v_bfe_i32 v40, v57, 0, 8
	v_ashrrev_i32_e32 v39, 24, v47
	v_mul_i32_i24_e32 v69, v21, v155
	v_bfe_i32 v44, v48, 0, 8
	v_mul_i32_i24_e32 v70, v22, v156
	v_mul_i32_i24_e32 v71, v26, v158
	v_bfe_i32 v41, v57, 8, 8
	v_mad_i32_i24 v69, v40, v152, v69
	v_bfe_i32 v42, v57, 16, 8
	v_mul_i32_i24_e32 v72, v39, v159
	v_mul_i32_i24_e32 v78, v44, v162
	v_ashrrev_i32_e32 v43, 24, v57
	v_add3_u32 v69, v69, v70, v71
	v_bfe_i32 v51, v58, 0, 8
	v_mul_i32_i24_e32 v75, v41, v160
	v_mul_i32_i24_e32 v76, v42, v154
	v_bfe_i32 v46, v48, 8, 8
	v_add3_u32 v69, v69, v72, v78
	v_bfe_i32 v47, v48, 16, 8
	v_mul_i32_i24_e32 v77, v43, v161
	v_mul_i32_i24_e32 v82, v51, v167
	v_ashrrev_i32_e32 v48, 24, v48
	v_add3_u32 v69, v69, v75, v76
	v_bfe_i32 v55, v49, 0, 8
	v_mul_i32_i24_e32 v79, v46, v163
	v_mul_i32_i24_e32 v80, v47, v164
	v_bfe_i32 v52, v58, 8, 8
	v_add3_u32 v69, v69, v77, v82
	;; [unrolled: 10-line block ×6, first 2 shown]
	v_ashrrev_i32_e32 v60, 24, v60
	v_mul_i32_i24_e32 v111, v50, v183
	v_mul_i32_i24_e32 v113, v67, v185
	;; [unrolled: 1-line block ×3, first 2 shown]
	v_add3_u32 v69, v69, v109, v110
	v_mul_i32_i24_e32 v254, v60, v187
	s_waitcnt lgkmcnt(0)
	v_pk_mul_f16 v70, v151, v3
	v_mul_i32_i24_e32 v71, v26, v191
	v_mul_i32_i24_e32 v72, v39, v192
	v_add3_u32 v69, v69, v111, v113
	v_mul_i32_i24_e32 v78, v44, v195
	v_mul_i32_i24_e32 v75, v41, v193
	;; [unrolled: 1-line block ×4, first 2 shown]
	v_add3_u32 v69, v69, v253, v254
	v_mul_i32_i24_e32 v82, v51, v200
	v_mul_i32_i24_e32 v79, v46, v196
	;; [unrolled: 1-line block ×4, first 2 shown]
	v_cvt_f32_i32_e32 v69, v69
	v_mul_i32_i24_e32 v98, v55, v204
	v_mul_i32_i24_e32 v84, v52, v201
	;; [unrolled: 1-line block ×4, first 2 shown]
	v_fma_mix_f32 v69, v70, v69, v70 op_sel:[0,0,1] op_sel_hi:[1,0,1]
	v_mul_i32_i24_e32 v70, v22, v189
	v_mul_i32_i24_e32 v102, v58, v209
	;; [unrolled: 1-line block ×4, first 2 shown]
	v_add_f32_e32 v20, v20, v69
	v_mul_i32_i24_e32 v69, v21, v188
	v_mul_i32_i24_e32 v101, v49, v208
	;; [unrolled: 1-line block ×5, first 2 shown]
	v_mad_i32_i24 v69, v40, v169, v69
	v_mul_i32_i24_e32 v107, v59, v211
	v_mul_i32_i24_e32 v112, v66, v216
	;; [unrolled: 1-line block ×4, first 2 shown]
	v_add3_u32 v69, v69, v70, v71
	v_mul_i32_i24_e32 v111, v50, v215
	v_mul_i32_i24_e32 v113, v67, v217
	;; [unrolled: 1-line block ×4, first 2 shown]
	v_add3_u32 v69, v69, v72, v78
	v_pk_mul_f16 v70, v153, v3
	v_mul_i32_i24_e32 v71, v26, v223
	v_mul_i32_i24_e32 v26, v26, v252
	v_mul_i32_i24_e32 v72, v39, v224
	v_add3_u32 v69, v69, v75, v76
	v_mul_i32_i24_e32 v78, v44, v227
	v_mul_i32_i24_e32 v39, v39, v125
	v_mul_i32_i24_e32 v44, v44, v128
	v_mul_i32_i24_e32 v75, v41, v225
	v_add3_u32 v69, v69, v77, v82
	v_mul_i32_i24_e32 v76, v42, v218
	;; [unrolled: 5-line block ×13, first 2 shown]
	v_mul_i32_i24_e32 v67, v67, v149
	v_mul_i32_i24_e32 v253, v68, v237
	;; [unrolled: 1-line block ×3, first 2 shown]
	v_cvt_f32_i32_e32 v69, v69
	v_mul_i32_i24_e32 v68, v68, v138
	v_mul_i32_i24_e32 v60, v60, v150
	s_delay_alu instid0(VALU_DEP_3) | instskip(SKIP_2) | instid1(VALU_DEP_3)
	v_fma_mix_f32 v69, v70, v69, v70 op_sel:[0,0,1] op_sel_hi:[1,0,1]
	v_mul_i32_i24_e32 v70, v22, v221
	v_mul_i32_i24_e32 v22, v22, v251
	v_add_f32_e32 v19, v19, v69
	v_mul_i32_i24_e32 v69, v21, v220
	v_mul_i32_i24_e32 v21, v21, v250
	;; [unrolled: 1-line block ×3, first 2 shown]
	s_delay_alu instid0(VALU_DEP_3) | instskip(NEXT) | instid1(VALU_DEP_3)
	v_mad_i32_i24 v69, v40, v203, v69
	v_mad_i32_i24 v21, v40, v122, v21
	s_delay_alu instid0(VALU_DEP_2) | instskip(NEXT) | instid1(VALU_DEP_2)
	v_add3_u32 v69, v69, v70, v71
	v_add3_u32 v21, v21, v22, v26
	v_pk_mul_f16 v70, v179, v3
	v_pk_mul_f16 v3, v121, v3
	s_delay_alu instid0(VALU_DEP_4) | instskip(NEXT) | instid1(VALU_DEP_4)
	v_add3_u32 v69, v69, v72, v78
	v_add3_u32 v21, v21, v39, v44
	s_delay_alu instid0(VALU_DEP_2) | instskip(NEXT) | instid1(VALU_DEP_2)
	v_add3_u32 v69, v69, v75, v76
	v_add3_u32 v21, v21, v41, v42
	s_delay_alu instid0(VALU_DEP_2) | instskip(NEXT) | instid1(VALU_DEP_2)
	;; [unrolled: 3-line block ×13, first 2 shown]
	v_add3_u32 v69, v69, v253, v254
	v_add3_u32 v21, v21, v68, v60
	ds_load_b128 v[47:50], v115 offset:5120
	ds_load_b128 v[57:60], v115 offset:5136
	v_cvt_f32_i32_e32 v69, v69
	v_cvt_f32_i32_e32 v21, v21
	s_delay_alu instid0(VALU_DEP_2) | instskip(NEXT) | instid1(VALU_DEP_2)
	v_fma_mix_f32 v69, v70, v69, v70 op_sel:[0,0,1] op_sel_hi:[1,0,1]
	v_fma_mix_f32 v3, v3, v21, v3 op_sel:[0,0,1] op_sel_hi:[1,0,1]
	s_delay_alu instid0(VALU_DEP_1)
	v_dual_add_f32 v18, v18, v69 :: v_dual_add_f32 v17, v17, v3
	s_waitcnt lgkmcnt(1)
	v_bfe_i32 v3, v47, 0, 8
	v_bfe_i32 v21, v47, 8, 8
	;; [unrolled: 1-line block ×3, first 2 shown]
	s_waitcnt lgkmcnt(0)
	v_bfe_i32 v39, v57, 0, 8
	v_ashrrev_i32_e32 v26, 24, v47
	v_mul_i32_i24_e32 v68, v3, v155
	v_bfe_i32 v43, v48, 0, 8
	v_mul_i32_i24_e32 v69, v21, v156
	v_mul_i32_i24_e32 v70, v22, v158
	v_bfe_i32 v40, v57, 8, 8
	v_mad_i32_i24 v68, v39, v152, v68
	v_bfe_i32 v41, v57, 16, 8
	v_mul_i32_i24_e32 v71, v26, v159
	v_mul_i32_i24_e32 v77, v43, v162
	v_ashrrev_i32_e32 v42, 24, v57
	v_add3_u32 v68, v68, v69, v70
	v_bfe_i32 v44, v48, 8, 8
	v_bfe_i32 v46, v48, 16, 8
	v_ashrrev_i32_e32 v47, 24, v48
	v_bfe_i32 v48, v58, 0, 8
	v_mul_i32_i24_e32 v72, v40, v160
	v_mul_i32_i24_e32 v75, v41, v154
	v_add3_u32 v68, v68, v71, v77
	v_mul_i32_i24_e32 v76, v42, v161
	v_mul_i32_i24_e32 v81, v48, v167
	v_bfe_i32 v54, v49, 0, 8
	v_mul_i32_i24_e32 v78, v44, v163
	v_add3_u32 v68, v68, v72, v75
	v_mul_i32_i24_e32 v79, v46, v164
	v_bfe_i32 v51, v58, 8, 8
	v_bfe_i32 v52, v58, 16, 8
	v_mul_i32_i24_e32 v80, v47, v166
	v_add3_u32 v68, v68, v76, v81
	v_mul_i32_i24_e32 v97, v54, v171
	v_ashrrev_i32_e32 v53, 24, v58
	v_bfe_i32 v57, v59, 0, 8
	v_mul_i32_i24_e32 v82, v51, v168
	v_add3_u32 v68, v68, v78, v79
	v_mul_i32_i24_e32 v84, v52, v157
	v_bfe_i32 v55, v49, 8, 8
	v_bfe_i32 v56, v49, 16, 8
	v_mul_i32_i24_e32 v85, v53, v170
	v_add3_u32 v68, v68, v80, v97
	v_mul_i32_i24_e32 v101, v57, v176
	v_ashrrev_i32_e32 v49, 24, v49
	;; [unrolled: 10-line block ×4, first 2 shown]
	v_bfe_i32 v66, v60, 8, 8
	v_mul_i32_i24_e32 v108, v63, v181
	v_add3_u32 v68, v68, v102, v105
	v_mul_i32_i24_e32 v109, v64, v182
	v_bfe_i32 v67, v60, 16, 8
	v_ashrrev_i32_e32 v60, 24, v60
	v_mul_i32_i24_e32 v110, v50, v183
	v_add3_u32 v68, v68, v106, v111
	v_mul_i32_i24_e32 v112, v66, v185
	v_mul_i32_i24_e32 v113, v67, v173
	;; [unrolled: 1-line block ×3, first 2 shown]
	v_pk_mul_f16 v69, v151, v4
	v_add3_u32 v68, v68, v108, v109
	v_mul_i32_i24_e32 v70, v22, v191
	v_mul_i32_i24_e32 v71, v26, v192
	v_mul_i32_i24_e32 v77, v43, v195
	v_mul_i32_i24_e32 v72, v40, v193
	v_add3_u32 v68, v68, v110, v112
	v_mul_i32_i24_e32 v75, v41, v186
	v_mul_i32_i24_e32 v76, v42, v194
	v_mul_i32_i24_e32 v81, v48, v200
	v_mul_i32_i24_e32 v78, v44, v196
	;; [unrolled: 5-line block ×3, first 2 shown]
	v_cvt_f32_i32_e32 v68, v68
	v_mul_i32_i24_e32 v84, v52, v190
	v_mul_i32_i24_e32 v85, v53, v202
	;; [unrolled: 1-line block ×4, first 2 shown]
	v_fma_mix_f32 v68, v69, v68, v69 op_sel:[0,0,1] op_sel_hi:[1,0,1]
	v_mul_i32_i24_e32 v69, v21, v189
	v_mul_i32_i24_e32 v99, v56, v207
	;; [unrolled: 1-line block ×4, first 2 shown]
	v_add_f32_e32 v16, v16, v68
	v_mul_i32_i24_e32 v68, v3, v188
	v_mul_i32_i24_e32 v102, v58, v210
	;; [unrolled: 1-line block ×5, first 2 shown]
	v_mad_i32_i24 v68, v39, v169, v68
	v_mul_i32_i24_e32 v108, v63, v213
	v_mul_i32_i24_e32 v109, v64, v214
	;; [unrolled: 1-line block ×4, first 2 shown]
	v_add3_u32 v68, v68, v69, v70
	v_mul_i32_i24_e32 v113, v67, v206
	v_mul_i32_i24_e32 v253, v60, v219
	v_pk_mul_f16 v69, v153, v4
	v_mul_i32_i24_e32 v70, v22, v223
	v_add3_u32 v68, v68, v71, v77
	v_mul_i32_i24_e32 v22, v22, v252
	v_mul_i32_i24_e32 v71, v26, v224
	v_mul_i32_i24_e32 v77, v43, v227
	v_mul_i32_i24_e32 v26, v26, v125
	v_add3_u32 v68, v68, v72, v75
	v_mul_i32_i24_e32 v43, v43, v128
	v_mul_i32_i24_e32 v72, v40, v225
	v_mul_i32_i24_e32 v75, v41, v218
	;; [unrolled: 5-line block ×14, first 2 shown]
	v_mul_i32_i24_e32 v67, v67, v138
	v_cvt_f32_i32_e32 v68, v68
	v_mul_i32_i24_e32 v60, v60, v150
	s_delay_alu instid0(VALU_DEP_2) | instskip(SKIP_2) | instid1(VALU_DEP_3)
	v_fma_mix_f32 v68, v69, v68, v69 op_sel:[0,0,1] op_sel_hi:[1,0,1]
	v_mul_i32_i24_e32 v69, v21, v221
	v_mul_i32_i24_e32 v21, v21, v251
	v_add_f32_e32 v15, v15, v68
	v_mul_i32_i24_e32 v68, v3, v220
	v_mul_i32_i24_e32 v3, v3, v250
	s_delay_alu instid0(VALU_DEP_2) | instskip(NEXT) | instid1(VALU_DEP_2)
	v_mad_i32_i24 v68, v39, v203, v68
	v_mad_i32_i24 v3, v39, v122, v3
	s_delay_alu instid0(VALU_DEP_2) | instskip(NEXT) | instid1(VALU_DEP_2)
	v_add3_u32 v68, v68, v69, v70
	v_add3_u32 v3, v3, v21, v22
	v_pk_mul_f16 v69, v179, v4
	v_pk_mul_f16 v4, v121, v4
	s_delay_alu instid0(VALU_DEP_4) | instskip(NEXT) | instid1(VALU_DEP_4)
	v_add3_u32 v68, v68, v71, v77
	v_add3_u32 v3, v3, v26, v43
	s_delay_alu instid0(VALU_DEP_2) | instskip(NEXT) | instid1(VALU_DEP_2)
	v_add3_u32 v68, v68, v72, v75
	v_add3_u32 v3, v3, v40, v41
	s_delay_alu instid0(VALU_DEP_2) | instskip(NEXT) | instid1(VALU_DEP_2)
	;; [unrolled: 3-line block ×14, first 2 shown]
	v_cvt_f32_i32_e32 v68, v68
	v_cvt_f32_i32_e32 v3, v3
	s_delay_alu instid0(VALU_DEP_2) | instskip(NEXT) | instid1(VALU_DEP_2)
	v_fma_mix_f32 v68, v69, v68, v69 op_sel:[0,0,1] op_sel_hi:[1,0,1]
	v_fma_mix_f32 v3, v4, v3, v4 op_sel:[0,0,1] op_sel_hi:[1,0,1]
	s_delay_alu instid0(VALU_DEP_1)
	v_dual_add_f32 v14, v14, v68 :: v_dual_add_f32 v13, v13, v3
	ds_load_b128 v[47:50], v115 offset:6144
	ds_load_b128 v[57:60], v115 offset:6160
	ds_load_2addr_b32 v[3:4], v114 offset0:192 offset1:224
	v_add_nc_u32_e32 v114, 4, v114
	s_waitcnt lgkmcnt(2)
	v_bfe_i32 v21, v47, 0, 8
	v_bfe_i32 v22, v47, 8, 8
	v_bfe_i32 v26, v47, 16, 8
	s_waitcnt lgkmcnt(1)
	v_bfe_i32 v40, v57, 0, 8
	v_ashrrev_i32_e32 v39, 24, v47
	v_mul_i32_i24_e32 v69, v21, v155
	v_bfe_i32 v44, v48, 0, 8
	v_mul_i32_i24_e32 v70, v22, v156
	v_mul_i32_i24_e32 v71, v26, v158
	v_bfe_i32 v41, v57, 8, 8
	v_mad_i32_i24 v69, v40, v152, v69
	v_bfe_i32 v42, v57, 16, 8
	v_mul_i32_i24_e32 v72, v39, v159
	v_mul_i32_i24_e32 v78, v44, v162
	v_ashrrev_i32_e32 v43, 24, v57
	v_add3_u32 v69, v69, v70, v71
	v_bfe_i32 v51, v58, 0, 8
	v_mul_i32_i24_e32 v75, v41, v160
	v_mul_i32_i24_e32 v76, v42, v154
	v_bfe_i32 v46, v48, 8, 8
	v_add3_u32 v69, v69, v72, v78
	v_bfe_i32 v47, v48, 16, 8
	v_mul_i32_i24_e32 v77, v43, v161
	v_mul_i32_i24_e32 v82, v51, v167
	v_ashrrev_i32_e32 v48, 24, v48
	v_add3_u32 v69, v69, v75, v76
	v_bfe_i32 v55, v49, 0, 8
	v_mul_i32_i24_e32 v79, v46, v163
	v_mul_i32_i24_e32 v80, v47, v164
	v_bfe_i32 v52, v58, 8, 8
	v_add3_u32 v69, v69, v77, v82
	;; [unrolled: 10-line block ×6, first 2 shown]
	v_ashrrev_i32_e32 v60, 24, v60
	v_mul_i32_i24_e32 v111, v50, v183
	v_mul_i32_i24_e32 v113, v67, v185
	;; [unrolled: 1-line block ×3, first 2 shown]
	v_add3_u32 v69, v69, v109, v110
	v_mul_i32_i24_e32 v254, v60, v187
	s_waitcnt lgkmcnt(0)
	v_pk_mul_f16 v70, v151, v3
	v_mul_i32_i24_e32 v71, v26, v191
	v_mul_i32_i24_e32 v72, v39, v192
	v_add3_u32 v69, v69, v111, v113
	v_mul_i32_i24_e32 v78, v44, v195
	v_mul_i32_i24_e32 v75, v41, v193
	;; [unrolled: 1-line block ×4, first 2 shown]
	v_add3_u32 v69, v69, v253, v254
	v_mul_i32_i24_e32 v82, v51, v200
	v_mul_i32_i24_e32 v79, v46, v196
	;; [unrolled: 1-line block ×4, first 2 shown]
	v_cvt_f32_i32_e32 v69, v69
	v_mul_i32_i24_e32 v98, v55, v204
	v_mul_i32_i24_e32 v84, v52, v201
	;; [unrolled: 1-line block ×4, first 2 shown]
	v_fma_mix_f32 v69, v70, v69, v70 op_sel:[0,0,1] op_sel_hi:[1,0,1]
	v_mul_i32_i24_e32 v70, v22, v189
	v_mul_i32_i24_e32 v102, v58, v209
	;; [unrolled: 1-line block ×4, first 2 shown]
	v_add_f32_e32 v12, v12, v69
	v_mul_i32_i24_e32 v69, v21, v188
	v_mul_i32_i24_e32 v101, v49, v208
	;; [unrolled: 1-line block ×5, first 2 shown]
	v_mad_i32_i24 v69, v40, v169, v69
	v_mul_i32_i24_e32 v107, v59, v211
	v_mul_i32_i24_e32 v112, v66, v216
	;; [unrolled: 1-line block ×4, first 2 shown]
	v_add3_u32 v69, v69, v70, v71
	v_mul_i32_i24_e32 v111, v50, v215
	v_mul_i32_i24_e32 v113, v67, v217
	;; [unrolled: 1-line block ×4, first 2 shown]
	v_add3_u32 v69, v69, v72, v78
	v_pk_mul_f16 v70, v153, v3
	v_mul_i32_i24_e32 v71, v26, v223
	v_mul_i32_i24_e32 v26, v26, v252
	v_mul_i32_i24_e32 v72, v39, v224
	v_add3_u32 v69, v69, v75, v76
	v_mul_i32_i24_e32 v78, v44, v227
	v_mul_i32_i24_e32 v39, v39, v125
	v_mul_i32_i24_e32 v44, v44, v128
	v_mul_i32_i24_e32 v75, v41, v225
	v_add3_u32 v69, v69, v77, v82
	v_mul_i32_i24_e32 v76, v42, v218
	;; [unrolled: 5-line block ×13, first 2 shown]
	v_mul_i32_i24_e32 v50, v50, v147
	v_mul_i32_i24_e32 v67, v67, v149
	;; [unrolled: 1-line block ×3, first 2 shown]
	v_cvt_f32_i32_e32 v69, v69
	v_mul_i32_i24_e32 v254, v60, v249
	v_mul_i32_i24_e32 v68, v68, v138
	;; [unrolled: 1-line block ×3, first 2 shown]
	s_delay_alu instid0(VALU_DEP_4) | instskip(SKIP_2) | instid1(VALU_DEP_3)
	v_fma_mix_f32 v69, v70, v69, v70 op_sel:[0,0,1] op_sel_hi:[1,0,1]
	v_mul_i32_i24_e32 v70, v22, v221
	v_mul_i32_i24_e32 v22, v22, v251
	v_add_f32_e32 v11, v11, v69
	v_mul_i32_i24_e32 v69, v21, v220
	v_mul_i32_i24_e32 v21, v21, v250
	s_delay_alu instid0(VALU_DEP_2) | instskip(NEXT) | instid1(VALU_DEP_2)
	v_mad_i32_i24 v69, v40, v203, v69
	v_mad_i32_i24 v21, v40, v122, v21
	s_delay_alu instid0(VALU_DEP_2) | instskip(NEXT) | instid1(VALU_DEP_2)
	v_add3_u32 v69, v69, v70, v71
	v_add3_u32 v21, v21, v22, v26
	v_pk_mul_f16 v70, v179, v3
	v_pk_mul_f16 v3, v121, v3
	s_delay_alu instid0(VALU_DEP_4) | instskip(NEXT) | instid1(VALU_DEP_4)
	v_add3_u32 v69, v69, v72, v78
	v_add3_u32 v21, v21, v39, v44
	s_delay_alu instid0(VALU_DEP_2) | instskip(NEXT) | instid1(VALU_DEP_2)
	v_add3_u32 v69, v69, v75, v76
	v_add3_u32 v21, v21, v41, v42
	s_delay_alu instid0(VALU_DEP_2) | instskip(NEXT) | instid1(VALU_DEP_2)
	;; [unrolled: 3-line block ×11, first 2 shown]
	v_add3_u32 v69, v69, v109, v110
	v_add3_u32 v21, v21, v64, v65
	s_delay_alu instid0(VALU_DEP_2)
	v_add3_u32 v69, v69, v111, v113
	ds_load_b128 v[62:65], v115 offset:7168
	ds_load_b128 v[108:111], v115 offset:7184
	v_add3_u32 v21, v21, v50, v67
	v_add_nc_u32_e32 v115, 32, v115
	v_add3_u32 v69, v69, v253, v254
	s_delay_alu instid0(VALU_DEP_3) | instskip(NEXT) | instid1(VALU_DEP_2)
	v_add3_u32 v21, v21, v68, v60
	v_cvt_f32_i32_e32 v69, v69
	s_delay_alu instid0(VALU_DEP_2) | instskip(NEXT) | instid1(VALU_DEP_2)
	v_cvt_f32_i32_e32 v21, v21
	v_fma_mix_f32 v69, v70, v69, v70 op_sel:[0,0,1] op_sel_hi:[1,0,1]
	s_delay_alu instid0(VALU_DEP_2) | instskip(SKIP_3) | instid1(VALU_DEP_3)
	v_fma_mix_f32 v3, v3, v21, v3 op_sel:[0,0,1] op_sel_hi:[1,0,1]
	s_waitcnt lgkmcnt(1)
	v_bfe_i32 v39, v62, 0, 8
	v_bfe_i32 v40, v62, 8, 8
	v_add_f32_e32 v9, v9, v3
	v_bfe_i32 v41, v62, 16, 8
	s_waitcnt lgkmcnt(0)
	v_bfe_i32 v3, v108, 0, 8
	v_mul_i32_i24_e32 v43, v39, v155
	v_ashrrev_i32_e32 v253, 24, v62
	v_bfe_i32 v26, v63, 0, 8
	v_mul_i32_i24_e32 v44, v40, v156
	v_mul_i32_i24_e32 v46, v41, v158
	v_mad_i32_i24 v43, v3, v152, v43
	v_bfe_i32 v21, v108, 8, 8
	v_bfe_i32 v22, v108, 16, 8
	v_mul_i32_i24_e32 v51, v253, v159
	v_mul_i32_i24_e32 v66, v26, v162
	v_add3_u32 v43, v43, v44, v46
	v_ashrrev_i32_e32 v254, 24, v108
	v_bfe_i32 v106, v109, 0, 8
	v_mul_i32_i24_e32 v52, v21, v160
	v_mul_i32_i24_e32 v56, v22, v154
	v_add3_u32 v43, v43, v51, v66
	v_bfe_i32 v42, v63, 8, 8
	v_bfe_i32 v98, v63, 16, 8
	v_mul_i32_i24_e32 v61, v254, v161
	v_mul_i32_i24_e32 v70, v106, v167
	v_add3_u32 v43, v43, v52, v56
	v_ashrrev_i32_e32 v105, 24, v63
	v_bfe_i32 v47, v64, 0, 8
	v_mul_i32_i24_e32 v67, v42, v163
	v_mul_i32_i24_e32 v68, v98, v164
	v_add3_u32 v43, v43, v61, v70
	v_add_f32_e32 v10, v10, v69
	v_bfe_i32 v107, v109, 8, 8
	v_bfe_i32 v108, v109, 16, 8
	v_mul_i32_i24_e32 v69, v105, v166
	v_mul_i32_i24_e32 v76, v47, v171
	v_add3_u32 v43, v43, v67, v68
	v_ashrrev_i32_e32 v109, 24, v109
	v_bfe_i32 v53, v110, 0, 8
	v_mul_i32_i24_e32 v71, v107, v168
	v_mul_i32_i24_e32 v72, v108, v157
	v_add3_u32 v43, v43, v69, v76
	v_bfe_i32 v48, v64, 8, 8
	v_bfe_i32 v49, v64, 16, 8
	v_mul_i32_i24_e32 v75, v109, v170
	v_mul_i32_i24_e32 v80, v53, v176
	v_add3_u32 v43, v43, v71, v72
	v_ashrrev_i32_e32 v50, 24, v64
	v_bfe_i32 v58, v65, 0, 8
	v_mul_i32_i24_e32 v77, v48, v172
	v_mul_i32_i24_e32 v78, v49, v174
	v_add3_u32 v43, v43, v75, v80
	;; [unrolled: 10-line block ×4, first 2 shown]
	v_bfe_i32 v65, v111, 16, 8
	v_ashrrev_i32_e32 v84, 24, v111
	v_mul_i32_i24_e32 v101, v62, v183
	v_mul_i32_i24_e32 v110, v64, v185
	v_add3_u32 v43, v43, v99, v100
	v_mul_i32_i24_e32 v111, v65, v173
	v_mul_i32_i24_e32 v112, v84, v187
	v_pk_mul_f16 v44, v151, v4
	v_mul_i32_i24_e32 v46, v41, v191
	v_add3_u32 v43, v43, v101, v110
	v_mul_i32_i24_e32 v51, v253, v192
	v_mul_i32_i24_e32 v66, v26, v195
	;; [unrolled: 1-line block ×4, first 2 shown]
	v_add3_u32 v43, v43, v111, v112
	v_mul_i32_i24_e32 v61, v254, v194
	v_mul_i32_i24_e32 v70, v106, v200
	;; [unrolled: 1-line block ×4, first 2 shown]
	v_cvt_f32_i32_e32 v43, v43
	v_mul_i32_i24_e32 v69, v105, v198
	v_mul_i32_i24_e32 v76, v47, v204
	;; [unrolled: 1-line block ×4, first 2 shown]
	v_fma_mix_f32 v43, v44, v43, v44 op_sel:[0,0,1] op_sel_hi:[1,0,1]
	v_mul_i32_i24_e32 v44, v40, v189
	v_mul_i32_i24_e32 v75, v109, v202
	;; [unrolled: 1-line block ×4, first 2 shown]
	v_add_f32_e32 v8, v8, v43
	v_mul_i32_i24_e32 v43, v39, v188
	v_mul_i32_i24_e32 v78, v49, v207
	;; [unrolled: 1-line block ×5, first 2 shown]
	v_mad_i32_i24 v43, v3, v169, v43
	v_mul_i32_i24_e32 v82, v55, v199
	v_mul_i32_i24_e32 v85, v57, v211
	;; [unrolled: 1-line block ×4, first 2 shown]
	v_add3_u32 v43, v43, v44, v46
	v_mul_i32_i24_e32 v100, v60, v214
	v_mul_i32_i24_e32 v101, v62, v215
	;; [unrolled: 1-line block ×4, first 2 shown]
	v_add3_u32 v43, v43, v51, v66
	v_mul_i32_i24_e32 v112, v84, v219
	v_pk_mul_f16 v44, v153, v4
	v_mul_i32_i24_e32 v46, v41, v223
	v_mul_i32_i24_e32 v51, v253, v224
	v_add3_u32 v43, v43, v52, v56
	v_mul_i32_i24_e32 v66, v26, v227
	v_mul_i32_i24_e32 v52, v21, v225
	v_mul_i32_i24_e32 v56, v22, v218
	v_mul_i32_i24_e32 v151, v39, v250
	v_add3_u32 v43, v43, v61, v70
	v_mul_i32_i24_e32 v61, v254, v226
	v_mul_i32_i24_e32 v70, v106, v232
	;; [unrolled: 5-line block ×6, first 2 shown]
	v_mul_i32_i24_e32 v53, v53, v141
	s_delay_alu instid0(VALU_DEP_4)
	v_add3_u32 v43, v43, v77, v78
	v_mul_i32_i24_e32 v77, v48, v236
	v_mul_i32_i24_e32 v78, v49, v238
	;; [unrolled: 1-line block ×4, first 2 shown]
	v_add3_u32 v43, v43, v79, v97
	v_mul_i32_i24_e32 v79, v50, v239
	v_mul_i32_i24_e32 v97, v58, v243
	;; [unrolled: 1-line block ×3, first 2 shown]
	s_delay_alu instid0(VALU_DEP_4)
	v_add3_u32 v43, v43, v81, v82
	v_mul_i32_i24_e32 v81, v54, v241
	v_mul_i32_i24_e32 v82, v55, v231
	;; [unrolled: 1-line block ×4, first 2 shown]
	v_add3_u32 v43, v43, v85, v102
	v_mul_i32_i24_e32 v85, v57, v242
	v_mul_i32_i24_e32 v102, v63, v247
	s_delay_alu instid0(VALU_DEP_3) | instskip(SKIP_2) | instid1(VALU_DEP_3)
	v_add3_u32 v43, v43, v99, v100
	v_mul_i32_i24_e32 v99, v59, v244
	v_mul_i32_i24_e32 v100, v60, v245
	v_add3_u32 v43, v43, v101, v110
	v_mul_i32_i24_e32 v101, v62, v246
	v_mul_i32_i24_e32 v110, v64, v248
	s_delay_alu instid0(VALU_DEP_3) | instskip(SKIP_2) | instid1(VALU_DEP_3)
	v_add3_u32 v43, v43, v111, v112
	v_mul_i32_i24_e32 v111, v65, v237
	v_mul_i32_i24_e32 v112, v84, v249
	v_cvt_f32_i32_e32 v43, v43
	s_delay_alu instid0(VALU_DEP_1) | instskip(SKIP_2) | instid1(VALU_DEP_3)
	v_fma_mix_f32 v43, v44, v43, v44 op_sel:[0,0,1] op_sel_hi:[1,0,1]
	v_mul_i32_i24_e32 v44, v40, v221
	v_mul_i32_i24_e32 v40, v254, v127
	v_add_f32_e32 v7, v7, v43
	v_mul_i32_i24_e32 v43, v39, v220
	v_mul_i32_i24_e32 v39, v253, v125
	s_delay_alu instid0(VALU_DEP_2) | instskip(SKIP_1) | instid1(VALU_DEP_2)
	v_mad_i32_i24 v43, v3, v203, v43
	v_mad_i32_i24 v3, v3, v122, v151
	v_add3_u32 v43, v43, v44, v46
	s_delay_alu instid0(VALU_DEP_2)
	v_add3_u32 v3, v3, v152, v153
	v_pk_mul_f16 v44, v179, v4
	v_mul_i32_i24_e32 v46, v107, v134
	v_pk_mul_f16 v4, v121, v4
	v_add3_u32 v43, v43, v51, v66
	v_add3_u32 v3, v3, v39, v26
	v_mul_i32_i24_e32 v51, v108, v124
	s_delay_alu instid0(VALU_DEP_3) | instskip(NEXT) | instid1(VALU_DEP_3)
	v_add3_u32 v43, v43, v52, v56
	v_add3_u32 v3, v3, v21, v22
	v_mul_i32_i24_e32 v52, v109, v135
	v_mul_i32_i24_e32 v56, v57, v143
	;; [unrolled: 1-line block ×3, first 2 shown]
	v_add3_u32 v43, v43, v61, v70
	v_mul_i32_i24_e32 v61, v63, v148
	v_mul_i32_i24_e32 v58, v59, v145
	;; [unrolled: 1-line block ×4, first 2 shown]
	v_add3_u32 v43, v43, v67, v68
	v_mul_i32_i24_e32 v62, v64, v149
	v_mul_i32_i24_e32 v63, v65, v138
	;; [unrolled: 1-line block ×3, first 2 shown]
	s_delay_alu instid0(VALU_DEP_4) | instskip(NEXT) | instid1(VALU_DEP_1)
	v_add3_u32 v43, v43, v69, v76
	v_add3_u32 v43, v43, v71, v72
	s_delay_alu instid0(VALU_DEP_1) | instskip(NEXT) | instid1(VALU_DEP_1)
	v_add3_u32 v43, v43, v75, v80
	v_add3_u32 v43, v43, v77, v78
	s_delay_alu instid0(VALU_DEP_1) | instskip(NEXT) | instid1(VALU_DEP_1)
	;; [unrolled: 3-line block ×5, first 2 shown]
	v_cvt_f32_i32_e32 v43, v43
	v_fma_mix_f32 v43, v44, v43, v44 op_sel:[0,0,1] op_sel_hi:[1,0,1]
	v_mul_i32_i24_e32 v44, v106, v133
	s_delay_alu instid0(VALU_DEP_2) | instskip(NEXT) | instid1(VALU_DEP_2)
	v_add_f32_e32 v6, v6, v43
	v_add3_u32 v3, v3, v40, v44
	v_mul_i32_i24_e32 v43, v105, v131
	s_delay_alu instid0(VALU_DEP_2) | instskip(NEXT) | instid1(VALU_DEP_1)
	v_add3_u32 v3, v3, v41, v42
	v_add3_u32 v3, v3, v43, v47
	s_delay_alu instid0(VALU_DEP_1) | instskip(NEXT) | instid1(VALU_DEP_1)
	v_add3_u32 v3, v3, v46, v51
	v_add3_u32 v3, v3, v52, v53
	s_delay_alu instid0(VALU_DEP_1) | instskip(NEXT) | instid1(VALU_DEP_1)
	;; [unrolled: 3-line block ×5, first 2 shown]
	v_add3_u32 v3, v3, v63, v64
	v_cvt_f32_i32_e32 v3, v3
	s_delay_alu instid0(VALU_DEP_1) | instskip(NEXT) | instid1(VALU_DEP_1)
	v_fma_mix_f32 v3, v4, v3, v4 op_sel:[0,0,1] op_sel_hi:[1,0,1]
	v_add_f32_e32 v5, v5, v3
	s_cbranch_scc1 .LBB139_10
; %bb.11:                               ;   in Loop: Header=BB139_6 Depth=1
	s_barrier
	buffer_gl0_inv
	s_branch .LBB139_5
.LBB139_12:
	s_clause 0x2
	scratch_load_b32 v1, off, off offset:232
	scratch_load_b32 v0, off, off offset:236
	;; [unrolled: 1-line block ×3, first 2 shown]
.LBB139_13:
	s_mov_b32 s0, exec_lo
	s_waitcnt vmcnt(0)
	v_cmpx_gt_u32_e64 s4, v2
	s_cbranch_execz .LBB139_64
; %bb.14:
	v_add_nc_u32_e32 v0, s10, v0
	v_mul_lo_u32 v21, v2, s6
	s_delay_alu instid0(VALU_DEP_2)
	v_cmp_gt_u32_e32 vcc_lo, s6, v0
	s_and_saveexec_b32 s1, vcc_lo
	s_cbranch_execz .LBB139_16
; %bb.15:
	s_delay_alu instid0(VALU_DEP_2) | instskip(SKIP_1) | instid1(VALU_DEP_2)
	v_dual_mov_b32 v3, 0 :: v_dual_add_nc_u32 v2, v0, v21
	v_cvt_f16_f32_e32 v4, v33
	v_lshlrev_b64 v[2:3], 1, v[2:3]
	s_waitcnt lgkmcnt(0)
	s_delay_alu instid0(VALU_DEP_1) | instskip(NEXT) | instid1(VALU_DEP_1)
	v_add_co_u32 v2, s0, s8, v2
	v_add_co_ci_u32_e64 v3, s0, s9, v3, s0
	global_store_b16 v[2:3], v4, off
.LBB139_16:
	s_or_b32 exec_lo, exec_lo, s1
	v_add_nc_u32_e32 v2, 32, v0
	s_delay_alu instid0(VALU_DEP_1) | instskip(NEXT) | instid1(VALU_DEP_1)
	v_cmp_gt_u32_e64 s0, s6, v2
	s_and_saveexec_b32 s2, s0
	s_cbranch_execz .LBB139_18
; %bb.17:
	v_dual_mov_b32 v4, 0 :: v_dual_add_nc_u32 v3, v2, v21
	v_cvt_f16_f32_e32 v22, v45
	s_delay_alu instid0(VALU_DEP_2) | instskip(SKIP_1) | instid1(VALU_DEP_1)
	v_lshlrev_b64 v[3:4], 1, v[3:4]
	s_waitcnt lgkmcnt(0)
	v_add_co_u32 v3, s1, s8, v3
	s_delay_alu instid0(VALU_DEP_1)
	v_add_co_ci_u32_e64 v4, s1, s9, v4, s1
	global_store_b16 v[3:4], v22, off
.LBB139_18:
	s_or_b32 exec_lo, exec_lo, s2
	v_add_nc_u32_e32 v3, 64, v0
	s_delay_alu instid0(VALU_DEP_1) | instskip(NEXT) | instid1(VALU_DEP_1)
	v_cmp_gt_u32_e64 s1, s6, v3
	s_and_saveexec_b32 s3, s1
	s_cbranch_execz .LBB139_20
; %bb.19:
	v_dual_mov_b32 v40, 0 :: v_dual_add_nc_u32 v39, v3, v21
	v_cvt_f16_f32_e32 v4, v38
	s_delay_alu instid0(VALU_DEP_2) | instskip(SKIP_1) | instid1(VALU_DEP_1)
	v_lshlrev_b64 v[39:40], 1, v[39:40]
	s_waitcnt lgkmcnt(0)
	v_add_co_u32 v39, s2, s8, v39
	s_delay_alu instid0(VALU_DEP_1)
	v_add_co_ci_u32_e64 v40, s2, s9, v40, s2
	global_store_b16 v[39:40], v4, off
.LBB139_20:
	;; [unrolled: 17-line block ×3, first 2 shown]
	s_or_b32 exec_lo, exec_lo, s5
	v_add3_u32 v21, v1, s7, 8
	s_delay_alu instid0(VALU_DEP_1) | instskip(NEXT) | instid1(VALU_DEP_1)
	v_cmp_gt_u32_e64 s3, s4, v21
	s_and_b32 exec_lo, exec_lo, s3
	s_cbranch_execz .LBB139_64
; %bb.23:
	v_mul_lo_u32 v21, v21, s6
	s_and_saveexec_b32 s5, vcc_lo
	s_cbranch_execnz .LBB139_65
; %bb.24:
	s_or_b32 exec_lo, exec_lo, s5
	s_and_saveexec_b32 s5, s0
	s_cbranch_execnz .LBB139_66
.LBB139_25:
	s_or_b32 exec_lo, exec_lo, s5
	s_and_saveexec_b32 s5, s1
	s_cbranch_execnz .LBB139_67
.LBB139_26:
	s_or_b32 exec_lo, exec_lo, s5
	s_and_saveexec_b32 s5, s2
	s_cbranch_execz .LBB139_28
.LBB139_27:
	v_dual_mov_b32 v22, 0 :: v_dual_add_nc_u32 v21, v21, v4
	v_cvt_f16_f32_e32 v26, v32
	s_delay_alu instid0(VALU_DEP_2) | instskip(SKIP_1) | instid1(VALU_DEP_1)
	v_lshlrev_b64 v[21:22], 1, v[21:22]
	s_waitcnt lgkmcnt(0)
	v_add_co_u32 v21, s3, s8, v21
	s_delay_alu instid0(VALU_DEP_1)
	v_add_co_ci_u32_e64 v22, s3, s9, v22, s3
	global_store_b16 v[21:22], v26, off
.LBB139_28:
	s_or_b32 exec_lo, exec_lo, s5
	v_add3_u32 v21, v1, s7, 16
	s_delay_alu instid0(VALU_DEP_1) | instskip(NEXT) | instid1(VALU_DEP_1)
	v_cmp_gt_u32_e64 s3, s4, v21
	s_and_b32 exec_lo, exec_lo, s3
	s_cbranch_execz .LBB139_64
; %bb.29:
	v_mul_lo_u32 v21, v21, s6
	s_and_saveexec_b32 s5, vcc_lo
	s_cbranch_execnz .LBB139_68
; %bb.30:
	s_or_b32 exec_lo, exec_lo, s5
	s_and_saveexec_b32 s5, s0
	s_cbranch_execnz .LBB139_69
.LBB139_31:
	s_or_b32 exec_lo, exec_lo, s5
	s_and_saveexec_b32 s5, s1
	s_cbranch_execnz .LBB139_70
.LBB139_32:
	s_or_b32 exec_lo, exec_lo, s5
	s_and_saveexec_b32 s5, s2
	s_cbranch_execz .LBB139_34
.LBB139_33:
	v_dual_mov_b32 v22, 0 :: v_dual_add_nc_u32 v21, v21, v4
	v_cvt_f16_f32_e32 v26, v28
	s_delay_alu instid0(VALU_DEP_2) | instskip(SKIP_1) | instid1(VALU_DEP_1)
	v_lshlrev_b64 v[21:22], 1, v[21:22]
	s_waitcnt lgkmcnt(0)
	v_add_co_u32 v21, s3, s8, v21
	s_delay_alu instid0(VALU_DEP_1)
	v_add_co_ci_u32_e64 v22, s3, s9, v22, s3
	global_store_b16 v[21:22], v26, off
.LBB139_34:
	s_or_b32 exec_lo, exec_lo, s5
	v_add3_u32 v21, v1, s7, 24
	s_delay_alu instid0(VALU_DEP_1) | instskip(NEXT) | instid1(VALU_DEP_1)
	v_cmp_gt_u32_e64 s3, s4, v21
	s_and_b32 exec_lo, exec_lo, s3
	s_cbranch_execz .LBB139_64
; %bb.35:
	v_mul_lo_u32 v21, v21, s6
	s_and_saveexec_b32 s5, vcc_lo
	s_cbranch_execnz .LBB139_71
; %bb.36:
	s_or_b32 exec_lo, exec_lo, s5
	s_and_saveexec_b32 s5, s0
	s_cbranch_execnz .LBB139_72
.LBB139_37:
	s_or_b32 exec_lo, exec_lo, s5
	s_and_saveexec_b32 s5, s1
	s_cbranch_execnz .LBB139_73
.LBB139_38:
	s_or_b32 exec_lo, exec_lo, s5
	s_and_saveexec_b32 s5, s2
	s_cbranch_execz .LBB139_40
.LBB139_39:
	v_dual_mov_b32 v22, 0 :: v_dual_add_nc_u32 v21, v21, v4
	v_cvt_f16_f32_e32 v23, v23
	s_delay_alu instid0(VALU_DEP_2) | instskip(SKIP_1) | instid1(VALU_DEP_1)
	v_lshlrev_b64 v[21:22], 1, v[21:22]
	s_waitcnt lgkmcnt(0)
	v_add_co_u32 v21, s3, s8, v21
	s_delay_alu instid0(VALU_DEP_1)
	v_add_co_ci_u32_e64 v22, s3, s9, v22, s3
	global_store_b16 v[21:22], v23, off
.LBB139_40:
	s_or_b32 exec_lo, exec_lo, s5
	v_add3_u32 v21, v1, s7, 32
	s_delay_alu instid0(VALU_DEP_1) | instskip(NEXT) | instid1(VALU_DEP_1)
	v_cmp_gt_u32_e64 s3, s4, v21
	s_and_b32 exec_lo, exec_lo, s3
	s_cbranch_execz .LBB139_64
; %bb.41:
	v_mul_lo_u32 v21, v21, s6
	s_and_saveexec_b32 s5, vcc_lo
	s_cbranch_execnz .LBB139_74
; %bb.42:
	s_or_b32 exec_lo, exec_lo, s5
	s_and_saveexec_b32 s5, s0
	s_cbranch_execnz .LBB139_75
.LBB139_43:
	s_or_b32 exec_lo, exec_lo, s5
	s_and_saveexec_b32 s5, s1
	s_cbranch_execnz .LBB139_76
.LBB139_44:
	s_or_b32 exec_lo, exec_lo, s5
	s_and_saveexec_b32 s5, s2
	s_cbranch_execz .LBB139_46
.LBB139_45:
	v_dual_mov_b32 v19, 0 :: v_dual_add_nc_u32 v18, v21, v4
	v_cvt_f16_f32_e32 v17, v17
	s_delay_alu instid0(VALU_DEP_2) | instskip(SKIP_1) | instid1(VALU_DEP_1)
	v_lshlrev_b64 v[18:19], 1, v[18:19]
	s_waitcnt lgkmcnt(0)
	v_add_co_u32 v18, s3, s8, v18
	s_delay_alu instid0(VALU_DEP_1)
	v_add_co_ci_u32_e64 v19, s3, s9, v19, s3
	global_store_b16 v[18:19], v17, off
.LBB139_46:
	s_or_b32 exec_lo, exec_lo, s5
	v_add3_u32 v17, v1, s7, 40
	s_delay_alu instid0(VALU_DEP_1) | instskip(NEXT) | instid1(VALU_DEP_1)
	v_cmp_gt_u32_e64 s3, s4, v17
	s_and_b32 exec_lo, exec_lo, s3
	s_cbranch_execz .LBB139_64
; %bb.47:
	v_mul_lo_u32 v17, v17, s6
	s_and_saveexec_b32 s5, vcc_lo
	s_cbranch_execnz .LBB139_77
; %bb.48:
	s_or_b32 exec_lo, exec_lo, s5
	s_and_saveexec_b32 s5, s0
	s_cbranch_execnz .LBB139_78
.LBB139_49:
	s_or_b32 exec_lo, exec_lo, s5
	s_and_saveexec_b32 s5, s1
	s_cbranch_execnz .LBB139_79
.LBB139_50:
	s_or_b32 exec_lo, exec_lo, s5
	s_and_saveexec_b32 s5, s2
	s_cbranch_execz .LBB139_52
.LBB139_51:
	v_dual_mov_b32 v15, 0 :: v_dual_add_nc_u32 v14, v17, v4
	v_cvt_f16_f32_e32 v13, v13
	s_delay_alu instid0(VALU_DEP_2) | instskip(SKIP_1) | instid1(VALU_DEP_1)
	v_lshlrev_b64 v[14:15], 1, v[14:15]
	s_waitcnt lgkmcnt(0)
	v_add_co_u32 v14, s3, s8, v14
	s_delay_alu instid0(VALU_DEP_1)
	v_add_co_ci_u32_e64 v15, s3, s9, v15, s3
	global_store_b16 v[14:15], v13, off
.LBB139_52:
	s_or_b32 exec_lo, exec_lo, s5
	v_add3_u32 v13, v1, s7, 48
	s_delay_alu instid0(VALU_DEP_1) | instskip(NEXT) | instid1(VALU_DEP_1)
	v_cmp_gt_u32_e64 s3, s4, v13
	s_and_b32 exec_lo, exec_lo, s3
	s_cbranch_execz .LBB139_64
; %bb.53:
	v_mul_lo_u32 v13, v13, s6
	s_and_saveexec_b32 s5, vcc_lo
	s_cbranch_execnz .LBB139_80
; %bb.54:
	s_or_b32 exec_lo, exec_lo, s5
	s_and_saveexec_b32 s5, s0
	s_cbranch_execnz .LBB139_81
.LBB139_55:
	s_or_b32 exec_lo, exec_lo, s5
	s_and_saveexec_b32 s5, s1
	s_cbranch_execnz .LBB139_82
.LBB139_56:
	s_or_b32 exec_lo, exec_lo, s5
	s_and_saveexec_b32 s5, s2
	s_cbranch_execz .LBB139_58
.LBB139_57:
	v_dual_mov_b32 v11, 0 :: v_dual_add_nc_u32 v10, v13, v4
	v_cvt_f16_f32_e32 v9, v9
	s_delay_alu instid0(VALU_DEP_2) | instskip(SKIP_1) | instid1(VALU_DEP_1)
	v_lshlrev_b64 v[10:11], 1, v[10:11]
	s_waitcnt lgkmcnt(0)
	v_add_co_u32 v10, s3, s8, v10
	s_delay_alu instid0(VALU_DEP_1)
	v_add_co_ci_u32_e64 v11, s3, s9, v11, s3
	global_store_b16 v[10:11], v9, off
.LBB139_58:
	s_or_b32 exec_lo, exec_lo, s5
	v_add3_u32 v1, v1, s7, 56
	s_delay_alu instid0(VALU_DEP_1) | instskip(NEXT) | instid1(VALU_DEP_1)
	v_cmp_gt_u32_e64 s3, s4, v1
	s_and_b32 exec_lo, exec_lo, s3
	s_cbranch_execz .LBB139_64
; %bb.59:
	v_mul_lo_u32 v1, v1, s6
	s_and_saveexec_b32 s3, vcc_lo
	s_cbranch_execnz .LBB139_83
; %bb.60:
	s_or_b32 exec_lo, exec_lo, s3
	s_and_saveexec_b32 s3, s0
	s_cbranch_execnz .LBB139_84
.LBB139_61:
	s_or_b32 exec_lo, exec_lo, s3
	s_and_saveexec_b32 s0, s1
	s_cbranch_execnz .LBB139_85
.LBB139_62:
	s_or_b32 exec_lo, exec_lo, s0
	s_delay_alu instid0(SALU_CYCLE_1)
	s_and_b32 exec_lo, exec_lo, s2
	s_cbranch_execz .LBB139_64
.LBB139_63:
	v_dual_mov_b32 v1, 0 :: v_dual_add_nc_u32 v0, v1, v4
	v_cvt_f16_f32_e32 v2, v5
	s_delay_alu instid0(VALU_DEP_2) | instskip(SKIP_1) | instid1(VALU_DEP_1)
	v_lshlrev_b64 v[0:1], 1, v[0:1]
	s_waitcnt lgkmcnt(0)
	v_add_co_u32 v0, vcc_lo, s8, v0
	s_delay_alu instid0(VALU_DEP_2)
	v_add_co_ci_u32_e32 v1, vcc_lo, s9, v1, vcc_lo
	global_store_b16 v[0:1], v2, off
.LBB139_64:
	s_nop 0
	s_sendmsg sendmsg(MSG_DEALLOC_VGPRS)
	s_endpgm
.LBB139_65:
	s_delay_alu instid0(VALU_DEP_1) | instskip(SKIP_1) | instid1(VALU_DEP_2)
	v_dual_mov_b32 v38, 0 :: v_dual_add_nc_u32 v37, v21, v0
	v_cvt_f16_f32_e32 v22, v36
	v_lshlrev_b64 v[37:38], 1, v[37:38]
	s_waitcnt lgkmcnt(0)
	s_delay_alu instid0(VALU_DEP_1) | instskip(NEXT) | instid1(VALU_DEP_1)
	v_add_co_u32 v37, s3, s8, v37
	v_add_co_ci_u32_e64 v38, s3, s9, v38, s3
	global_store_b16 v[37:38], v22, off
	s_or_b32 exec_lo, exec_lo, s5
	s_and_saveexec_b32 s5, s0
	s_cbranch_execz .LBB139_25
.LBB139_66:
	s_delay_alu instid0(VALU_DEP_1) | instskip(SKIP_1) | instid1(VALU_DEP_2)
	v_dual_mov_b32 v37, 0 :: v_dual_add_nc_u32 v36, v21, v2
	v_cvt_f16_f32_e32 v22, v35
	v_lshlrev_b64 v[36:37], 1, v[36:37]
	s_waitcnt lgkmcnt(0)
	s_delay_alu instid0(VALU_DEP_1) | instskip(NEXT) | instid1(VALU_DEP_1)
	v_add_co_u32 v36, s3, s8, v36
	v_add_co_ci_u32_e64 v37, s3, s9, v37, s3
	global_store_b16 v[36:37], v22, off
	s_or_b32 exec_lo, exec_lo, s5
	s_and_saveexec_b32 s5, s1
	s_cbranch_execz .LBB139_26
.LBB139_67:
	v_dual_mov_b32 v36, 0 :: v_dual_add_nc_u32 v35, v21, v3
	v_cvt_f16_f32_e32 v22, v34
	s_delay_alu instid0(VALU_DEP_2) | instskip(SKIP_1) | instid1(VALU_DEP_1)
	v_lshlrev_b64 v[35:36], 1, v[35:36]
	s_waitcnt lgkmcnt(0)
	v_add_co_u32 v35, s3, s8, v35
	s_delay_alu instid0(VALU_DEP_1)
	v_add_co_ci_u32_e64 v36, s3, s9, v36, s3
	global_store_b16 v[35:36], v22, off
	s_or_b32 exec_lo, exec_lo, s5
	s_and_saveexec_b32 s5, s2
	s_cbranch_execnz .LBB139_27
	s_branch .LBB139_28
.LBB139_68:
	s_delay_alu instid0(VALU_DEP_1) | instskip(SKIP_1) | instid1(VALU_DEP_2)
	v_dual_mov_b32 v33, 0 :: v_dual_add_nc_u32 v32, v21, v0
	v_cvt_f16_f32_e32 v22, v31
	v_lshlrev_b64 v[32:33], 1, v[32:33]
	s_waitcnt lgkmcnt(0)
	s_delay_alu instid0(VALU_DEP_1) | instskip(NEXT) | instid1(VALU_DEP_1)
	v_add_co_u32 v32, s3, s8, v32
	v_add_co_ci_u32_e64 v33, s3, s9, v33, s3
	global_store_b16 v[32:33], v22, off
	s_or_b32 exec_lo, exec_lo, s5
	s_and_saveexec_b32 s5, s0
	s_cbranch_execz .LBB139_31
.LBB139_69:
	s_delay_alu instid0(VALU_DEP_1) | instskip(SKIP_1) | instid1(VALU_DEP_2)
	v_dual_mov_b32 v32, 0 :: v_dual_add_nc_u32 v31, v21, v2
	v_cvt_f16_f32_e32 v22, v30
	v_lshlrev_b64 v[31:32], 1, v[31:32]
	s_waitcnt lgkmcnt(0)
	s_delay_alu instid0(VALU_DEP_1) | instskip(NEXT) | instid1(VALU_DEP_1)
	v_add_co_u32 v31, s3, s8, v31
	v_add_co_ci_u32_e64 v32, s3, s9, v32, s3
	global_store_b16 v[31:32], v22, off
	s_or_b32 exec_lo, exec_lo, s5
	s_and_saveexec_b32 s5, s1
	s_cbranch_execz .LBB139_32
.LBB139_70:
	v_dual_mov_b32 v31, 0 :: v_dual_add_nc_u32 v30, v21, v3
	v_cvt_f16_f32_e32 v22, v29
	s_delay_alu instid0(VALU_DEP_2) | instskip(SKIP_1) | instid1(VALU_DEP_1)
	v_lshlrev_b64 v[30:31], 1, v[30:31]
	s_waitcnt lgkmcnt(0)
	v_add_co_u32 v30, s3, s8, v30
	s_delay_alu instid0(VALU_DEP_1)
	v_add_co_ci_u32_e64 v31, s3, s9, v31, s3
	global_store_b16 v[30:31], v22, off
	s_or_b32 exec_lo, exec_lo, s5
	s_and_saveexec_b32 s5, s2
	s_cbranch_execnz .LBB139_33
	s_branch .LBB139_34
.LBB139_71:
	s_delay_alu instid0(VALU_DEP_1) | instskip(SKIP_1) | instid1(VALU_DEP_2)
	v_dual_mov_b32 v29, 0 :: v_dual_add_nc_u32 v28, v21, v0
	v_cvt_f16_f32_e32 v22, v27
	v_lshlrev_b64 v[28:29], 1, v[28:29]
	s_waitcnt lgkmcnt(0)
	s_delay_alu instid0(VALU_DEP_1) | instskip(NEXT) | instid1(VALU_DEP_1)
	v_add_co_u32 v28, s3, s8, v28
	v_add_co_ci_u32_e64 v29, s3, s9, v29, s3
	global_store_b16 v[28:29], v22, off
	s_or_b32 exec_lo, exec_lo, s5
	s_and_saveexec_b32 s5, s0
	s_cbranch_execz .LBB139_37
.LBB139_72:
	s_delay_alu instid0(VALU_DEP_1) | instskip(SKIP_1) | instid1(VALU_DEP_2)
	v_dual_mov_b32 v27, 0 :: v_dual_add_nc_u32 v26, v21, v2
	v_cvt_f16_f32_e32 v22, v25
	v_lshlrev_b64 v[26:27], 1, v[26:27]
	s_waitcnt lgkmcnt(0)
	s_delay_alu instid0(VALU_DEP_1) | instskip(NEXT) | instid1(VALU_DEP_1)
	v_add_co_u32 v26, s3, s8, v26
	v_add_co_ci_u32_e64 v27, s3, s9, v27, s3
	global_store_b16 v[26:27], v22, off
	s_or_b32 exec_lo, exec_lo, s5
	s_and_saveexec_b32 s5, s1
	s_cbranch_execz .LBB139_38
.LBB139_73:
	v_dual_mov_b32 v26, 0 :: v_dual_add_nc_u32 v25, v21, v3
	v_cvt_f16_f32_e32 v22, v24
	s_delay_alu instid0(VALU_DEP_2) | instskip(SKIP_1) | instid1(VALU_DEP_1)
	v_lshlrev_b64 v[25:26], 1, v[25:26]
	s_waitcnt lgkmcnt(0)
	v_add_co_u32 v25, s3, s8, v25
	s_delay_alu instid0(VALU_DEP_1)
	v_add_co_ci_u32_e64 v26, s3, s9, v26, s3
	global_store_b16 v[25:26], v22, off
	s_or_b32 exec_lo, exec_lo, s5
	s_and_saveexec_b32 s5, s2
	s_cbranch_execnz .LBB139_39
	s_branch .LBB139_40
.LBB139_74:
	s_delay_alu instid0(VALU_DEP_1) | instskip(SKIP_1) | instid1(VALU_DEP_2)
	v_dual_mov_b32 v23, 0 :: v_dual_add_nc_u32 v22, v21, v0
	v_cvt_f16_f32_e32 v20, v20
	v_lshlrev_b64 v[22:23], 1, v[22:23]
	s_waitcnt lgkmcnt(0)
	s_delay_alu instid0(VALU_DEP_1) | instskip(NEXT) | instid1(VALU_DEP_1)
	v_add_co_u32 v22, s3, s8, v22
	v_add_co_ci_u32_e64 v23, s3, s9, v23, s3
	global_store_b16 v[22:23], v20, off
	s_or_b32 exec_lo, exec_lo, s5
	s_and_saveexec_b32 s5, s0
	s_cbranch_execz .LBB139_43
.LBB139_75:
	s_delay_alu instid0(VALU_DEP_1) | instskip(SKIP_1) | instid1(VALU_DEP_2)
	v_dual_mov_b32 v23, 0 :: v_dual_add_nc_u32 v22, v21, v2
	v_cvt_f16_f32_e32 v19, v19
	v_lshlrev_b64 v[22:23], 1, v[22:23]
	s_waitcnt lgkmcnt(0)
	s_delay_alu instid0(VALU_DEP_1) | instskip(NEXT) | instid1(VALU_DEP_1)
	v_add_co_u32 v22, s3, s8, v22
	v_add_co_ci_u32_e64 v23, s3, s9, v23, s3
	global_store_b16 v[22:23], v19, off
	s_or_b32 exec_lo, exec_lo, s5
	s_and_saveexec_b32 s5, s1
	s_cbranch_execz .LBB139_44
.LBB139_76:
	v_dual_mov_b32 v20, 0 :: v_dual_add_nc_u32 v19, v21, v3
	v_cvt_f16_f32_e32 v18, v18
	s_delay_alu instid0(VALU_DEP_2) | instskip(SKIP_1) | instid1(VALU_DEP_1)
	v_lshlrev_b64 v[19:20], 1, v[19:20]
	s_waitcnt lgkmcnt(0)
	v_add_co_u32 v19, s3, s8, v19
	s_delay_alu instid0(VALU_DEP_1)
	v_add_co_ci_u32_e64 v20, s3, s9, v20, s3
	global_store_b16 v[19:20], v18, off
	s_or_b32 exec_lo, exec_lo, s5
	s_and_saveexec_b32 s5, s2
	s_cbranch_execnz .LBB139_45
	s_branch .LBB139_46
.LBB139_77:
	s_delay_alu instid0(VALU_DEP_1) | instskip(SKIP_1) | instid1(VALU_DEP_2)
	v_dual_mov_b32 v19, 0 :: v_dual_add_nc_u32 v18, v17, v0
	v_cvt_f16_f32_e32 v16, v16
	v_lshlrev_b64 v[18:19], 1, v[18:19]
	s_waitcnt lgkmcnt(0)
	s_delay_alu instid0(VALU_DEP_1) | instskip(NEXT) | instid1(VALU_DEP_1)
	v_add_co_u32 v18, s3, s8, v18
	v_add_co_ci_u32_e64 v19, s3, s9, v19, s3
	global_store_b16 v[18:19], v16, off
	s_or_b32 exec_lo, exec_lo, s5
	s_and_saveexec_b32 s5, s0
	s_cbranch_execz .LBB139_49
.LBB139_78:
	s_delay_alu instid0(VALU_DEP_1) | instskip(SKIP_1) | instid1(VALU_DEP_2)
	v_dual_mov_b32 v19, 0 :: v_dual_add_nc_u32 v18, v17, v2
	v_cvt_f16_f32_e32 v15, v15
	v_lshlrev_b64 v[18:19], 1, v[18:19]
	s_waitcnt lgkmcnt(0)
	s_delay_alu instid0(VALU_DEP_1) | instskip(NEXT) | instid1(VALU_DEP_1)
	v_add_co_u32 v18, s3, s8, v18
	v_add_co_ci_u32_e64 v19, s3, s9, v19, s3
	global_store_b16 v[18:19], v15, off
	s_or_b32 exec_lo, exec_lo, s5
	s_and_saveexec_b32 s5, s1
	s_cbranch_execz .LBB139_50
.LBB139_79:
	v_dual_mov_b32 v16, 0 :: v_dual_add_nc_u32 v15, v17, v3
	v_cvt_f16_f32_e32 v14, v14
	s_delay_alu instid0(VALU_DEP_2) | instskip(SKIP_1) | instid1(VALU_DEP_1)
	v_lshlrev_b64 v[15:16], 1, v[15:16]
	s_waitcnt lgkmcnt(0)
	v_add_co_u32 v15, s3, s8, v15
	s_delay_alu instid0(VALU_DEP_1)
	v_add_co_ci_u32_e64 v16, s3, s9, v16, s3
	global_store_b16 v[15:16], v14, off
	s_or_b32 exec_lo, exec_lo, s5
	s_and_saveexec_b32 s5, s2
	s_cbranch_execnz .LBB139_51
	s_branch .LBB139_52
.LBB139_80:
	s_delay_alu instid0(VALU_DEP_1) | instskip(SKIP_1) | instid1(VALU_DEP_2)
	v_dual_mov_b32 v15, 0 :: v_dual_add_nc_u32 v14, v13, v0
	v_cvt_f16_f32_e32 v12, v12
	v_lshlrev_b64 v[14:15], 1, v[14:15]
	s_waitcnt lgkmcnt(0)
	s_delay_alu instid0(VALU_DEP_1) | instskip(NEXT) | instid1(VALU_DEP_1)
	v_add_co_u32 v14, s3, s8, v14
	v_add_co_ci_u32_e64 v15, s3, s9, v15, s3
	global_store_b16 v[14:15], v12, off
	s_or_b32 exec_lo, exec_lo, s5
	s_and_saveexec_b32 s5, s0
	s_cbranch_execz .LBB139_55
.LBB139_81:
	s_delay_alu instid0(VALU_DEP_1) | instskip(SKIP_1) | instid1(VALU_DEP_2)
	v_dual_mov_b32 v15, 0 :: v_dual_add_nc_u32 v14, v13, v2
	v_cvt_f16_f32_e32 v11, v11
	v_lshlrev_b64 v[14:15], 1, v[14:15]
	s_waitcnt lgkmcnt(0)
	s_delay_alu instid0(VALU_DEP_1) | instskip(NEXT) | instid1(VALU_DEP_1)
	v_add_co_u32 v14, s3, s8, v14
	v_add_co_ci_u32_e64 v15, s3, s9, v15, s3
	global_store_b16 v[14:15], v11, off
	s_or_b32 exec_lo, exec_lo, s5
	s_and_saveexec_b32 s5, s1
	s_cbranch_execz .LBB139_56
.LBB139_82:
	v_dual_mov_b32 v12, 0 :: v_dual_add_nc_u32 v11, v13, v3
	v_cvt_f16_f32_e32 v10, v10
	s_delay_alu instid0(VALU_DEP_2) | instskip(SKIP_1) | instid1(VALU_DEP_1)
	v_lshlrev_b64 v[11:12], 1, v[11:12]
	s_waitcnt lgkmcnt(0)
	v_add_co_u32 v11, s3, s8, v11
	s_delay_alu instid0(VALU_DEP_1)
	v_add_co_ci_u32_e64 v12, s3, s9, v12, s3
	global_store_b16 v[11:12], v10, off
	s_or_b32 exec_lo, exec_lo, s5
	s_and_saveexec_b32 s5, s2
	s_cbranch_execnz .LBB139_57
	s_branch .LBB139_58
.LBB139_83:
	s_delay_alu instid0(VALU_DEP_1) | instskip(SKIP_1) | instid1(VALU_DEP_2)
	v_dual_mov_b32 v10, 0 :: v_dual_add_nc_u32 v9, v1, v0
	v_cvt_f16_f32_e32 v0, v8
	v_lshlrev_b64 v[9:10], 1, v[9:10]
	s_waitcnt lgkmcnt(0)
	s_delay_alu instid0(VALU_DEP_1) | instskip(NEXT) | instid1(VALU_DEP_2)
	v_add_co_u32 v9, vcc_lo, s8, v9
	v_add_co_ci_u32_e32 v10, vcc_lo, s9, v10, vcc_lo
	global_store_b16 v[9:10], v0, off
	s_or_b32 exec_lo, exec_lo, s3
	s_and_saveexec_b32 s3, s0
	s_cbranch_execz .LBB139_61
.LBB139_84:
	s_delay_alu instid0(VALU_DEP_1) | instskip(SKIP_1) | instid1(VALU_DEP_2)
	v_dual_mov_b32 v9, 0 :: v_dual_add_nc_u32 v8, v1, v2
	v_cvt_f16_f32_e32 v0, v7
	v_lshlrev_b64 v[8:9], 1, v[8:9]
	s_waitcnt lgkmcnt(0)
	s_delay_alu instid0(VALU_DEP_1) | instskip(NEXT) | instid1(VALU_DEP_2)
	v_add_co_u32 v8, vcc_lo, s8, v8
	v_add_co_ci_u32_e32 v9, vcc_lo, s9, v9, vcc_lo
	global_store_b16 v[8:9], v0, off
	s_or_b32 exec_lo, exec_lo, s3
	s_and_saveexec_b32 s0, s1
	s_cbranch_execz .LBB139_62
.LBB139_85:
	v_dual_mov_b32 v3, 0 :: v_dual_add_nc_u32 v2, v1, v3
	v_cvt_f16_f32_e32 v0, v6
	s_delay_alu instid0(VALU_DEP_2) | instskip(SKIP_1) | instid1(VALU_DEP_1)
	v_lshlrev_b64 v[2:3], 1, v[2:3]
	s_waitcnt lgkmcnt(0)
	v_add_co_u32 v2, vcc_lo, s8, v2
	s_delay_alu instid0(VALU_DEP_2) | instskip(SKIP_2) | instid1(SALU_CYCLE_1)
	v_add_co_ci_u32_e32 v3, vcc_lo, s9, v3, vcc_lo
	global_store_b16 v[2:3], v0, off
	s_or_b32 exec_lo, exec_lo, s0
	s_and_b32 exec_lo, exec_lo, s2
	s_cbranch_execnz .LBB139_63
	s_branch .LBB139_64
	.section	.rodata,"a",@progbits
	.p2align	6, 0x0
	.amdhsa_kernel _ZL12mul_mat_q4_1IN3c104HalfELb0EEvPKvS3_PT_iiiii
		.amdhsa_group_segment_fixed_size 30336
		.amdhsa_private_segment_fixed_size 248
		.amdhsa_kernarg_size 44
		.amdhsa_user_sgpr_count 14
		.amdhsa_user_sgpr_dispatch_ptr 0
		.amdhsa_user_sgpr_queue_ptr 0
		.amdhsa_user_sgpr_kernarg_segment_ptr 1
		.amdhsa_user_sgpr_dispatch_id 0
		.amdhsa_user_sgpr_private_segment_size 0
		.amdhsa_wavefront_size32 1
		.amdhsa_uses_dynamic_stack 0
		.amdhsa_enable_private_segment 1
		.amdhsa_system_sgpr_workgroup_id_x 1
		.amdhsa_system_sgpr_workgroup_id_y 1
		.amdhsa_system_sgpr_workgroup_id_z 0
		.amdhsa_system_sgpr_workgroup_info 0
		.amdhsa_system_vgpr_workitem_id 1
		.amdhsa_next_free_vgpr 256
		.amdhsa_next_free_sgpr 16
		.amdhsa_reserve_vcc 1
		.amdhsa_float_round_mode_32 0
		.amdhsa_float_round_mode_16_64 0
		.amdhsa_float_denorm_mode_32 3
		.amdhsa_float_denorm_mode_16_64 3
		.amdhsa_dx10_clamp 1
		.amdhsa_ieee_mode 1
		.amdhsa_fp16_overflow 0
		.amdhsa_workgroup_processor_mode 1
		.amdhsa_memory_ordered 1
		.amdhsa_forward_progress 0
		.amdhsa_shared_vgpr_count 0
		.amdhsa_exception_fp_ieee_invalid_op 0
		.amdhsa_exception_fp_denorm_src 0
		.amdhsa_exception_fp_ieee_div_zero 0
		.amdhsa_exception_fp_ieee_overflow 0
		.amdhsa_exception_fp_ieee_underflow 0
		.amdhsa_exception_fp_ieee_inexact 0
		.amdhsa_exception_int_div_zero 0
	.end_amdhsa_kernel
	.section	.text._ZL12mul_mat_q4_1IN3c104HalfELb0EEvPKvS3_PT_iiiii,"axG",@progbits,_ZL12mul_mat_q4_1IN3c104HalfELb0EEvPKvS3_PT_iiiii,comdat
.Lfunc_end139:
	.size	_ZL12mul_mat_q4_1IN3c104HalfELb0EEvPKvS3_PT_iiiii, .Lfunc_end139-_ZL12mul_mat_q4_1IN3c104HalfELb0EEvPKvS3_PT_iiiii
                                        ; -- End function
	.section	.AMDGPU.csdata,"",@progbits
; Kernel info:
; codeLenInByte = 31904
; NumSgprs: 18
; NumVgprs: 256
; ScratchSize: 248
; MemoryBound: 0
; FloatMode: 240
; IeeeMode: 1
; LDSByteSize: 30336 bytes/workgroup (compile time only)
; SGPRBlocks: 2
; VGPRBlocks: 31
; NumSGPRsForWavesPerEU: 18
; NumVGPRsForWavesPerEU: 256
; Occupancy: 5
; WaveLimiterHint : 0
; COMPUTE_PGM_RSRC2:SCRATCH_EN: 1
; COMPUTE_PGM_RSRC2:USER_SGPR: 14
; COMPUTE_PGM_RSRC2:TRAP_HANDLER: 0
; COMPUTE_PGM_RSRC2:TGID_X_EN: 1
; COMPUTE_PGM_RSRC2:TGID_Y_EN: 1
; COMPUTE_PGM_RSRC2:TGID_Z_EN: 0
; COMPUTE_PGM_RSRC2:TIDIG_COMP_CNT: 1
	.section	.text._ZL12mul_mat_q4_1IN3c104HalfELb1EEvPKvS3_PT_iiiii,"axG",@progbits,_ZL12mul_mat_q4_1IN3c104HalfELb1EEvPKvS3_PT_iiiii,comdat
	.globl	_ZL12mul_mat_q4_1IN3c104HalfELb1EEvPKvS3_PT_iiiii ; -- Begin function _ZL12mul_mat_q4_1IN3c104HalfELb1EEvPKvS3_PT_iiiii
	.p2align	8
	.type	_ZL12mul_mat_q4_1IN3c104HalfELb1EEvPKvS3_PT_iiiii,@function
_ZL12mul_mat_q4_1IN3c104HalfELb1EEvPKvS3_PT_iiiii: ; @_ZL12mul_mat_q4_1IN3c104HalfELb1EEvPKvS3_PT_iiiii
; %bb.0:
	s_clause 0x1
	s_load_b128 s[4:7], s[0:1], 0x18
	s_load_b32 s10, s[0:1], 0x28
	v_bfe_u32 v2, v0, 10, 10
	v_and_b32_e32 v3, 0x3ff, v0
	s_lshl_b32 s11, s15, 6
	s_waitcnt lgkmcnt(0)
	s_cmp_gt_i32 s4, 31
	s_cbranch_scc1 .LBB140_2
; %bb.1:
	v_bfe_u32 v1, v0, 10, 10
	v_and_b32_e32 v0, 0x3ff, v0
	s_mov_b32 s2, 0
	s_mov_b32 s3, 0
	s_delay_alu instid0(VALU_DEP_2)
	v_add_nc_u32_e32 v4, s11, v1
	s_branch .LBB140_3
.LBB140_2:
	s_mov_b32 s2, -1
                                        ; implicit-def: $sgpr3
                                        ; implicit-def: $vgpr1
                                        ; implicit-def: $vgpr0
                                        ; implicit-def: $vgpr4
.LBB140_3:
	s_load_b64 s[8:9], s[0:1], 0x10
	v_dual_mov_b32 v21, s3 :: v_dual_mov_b32 v36, s3
	v_dual_mov_b32 v25, s3 :: v_dual_mov_b32 v40, s3
	;; [unrolled: 1-line block ×14, first 2 shown]
	v_mov_b32_e32 v28, s3
	v_mov_b32_e32 v32, s3
	;; [unrolled: 1-line block ×4, first 2 shown]
	s_and_not1_b32 vcc_lo, exec_lo, s2
	s_lshl_b32 s12, s14, 7
	s_cbranch_vccnz .LBB140_13
; %bb.4:
	s_load_b128 s[0:3], s[0:1], 0x0
	s_ashr_i32 s13, s4, 31
	s_ashr_i32 s14, s7, 31
	s_lshr_b32 s13, s13, 27
	v_dual_mov_b32 v42, v2 :: v_dual_lshlrev_b32 v17, 2, v3
	s_add_i32 s4, s4, s13
	s_lshr_b32 s13, s14, 27
	s_ashr_i32 s4, s4, 5
	s_add_i32 s7, s7, s13
	s_mul_i32 s13, s4, s12
	s_ashr_i32 s7, s7, 5
	s_mul_i32 s14, s13, 20
	s_mul_hi_i32 s13, s13, 20
	v_dual_mov_b32 v35, 0 :: v_dual_add_nc_u32 v34, 8, v2
	v_dual_mov_b32 v51, v3 :: v_dual_add_nc_u32 v38, 16, v2
	v_dual_mov_b32 v65, 0 :: v_dual_and_b32 v0, 12, v17
	s_waitcnt lgkmcnt(0)
	s_add_u32 s0, s0, s14
	s_addc_u32 s1, s1, s13
	s_not_b32 s13, s12
	scratch_store_b32 off, v0, off offset:80 ; 4-byte Folded Spill
	s_add_i32 s5, s13, s5
	v_lshrrev_b32_e32 v52, 2, v3
	v_min_i32_e32 v2, s5, v42
	v_min_i32_e32 v3, s5, v34
	;; [unrolled: 1-line block ×3, first 2 shown]
	v_dual_mov_b32 v60, 0 :: v_dual_add_nc_u32 v39, 24, v42
	s_delay_alu instid0(VALU_DEP_4) | instskip(SKIP_2) | instid1(VALU_DEP_4)
	v_mul_lo_u32 v0, v2, s4
	v_add_nc_u32_e32 v40, 32, v42
	v_add_nc_u32_e32 v41, 40, v42
	v_min_i32_e32 v5, s5, v39
	v_add_nc_u32_e32 v43, 48, v42
	v_dual_mov_b32 v59, 0 :: v_dual_add_nc_u32 v44, 56, v42
	v_min_i32_e32 v6, s5, v40
	scratch_store_b32 off, v0, off offset:84 ; 4-byte Folded Spill
	v_mad_u64_u32 v[0:1], null, 0x84, v2, v[17:18]
	v_mul_lo_u32 v1, v3, s4
	v_min_i32_e32 v7, s5, v41
	v_min_i32_e32 v8, s5, v43
	;; [unrolled: 1-line block ×3, first 2 shown]
	v_add_nc_u32_e32 v10, 64, v42
	v_add_nc_u32_e32 v11, 0x48, v42
	;; [unrolled: 1-line block ×3, first 2 shown]
	s_add_i32 s13, s6, -1
	scratch_store_b32 off, v1, off offset:88 ; 4-byte Folded Spill
	v_mad_u64_u32 v[1:2], null, 0x84, v3, v[17:18]
	v_mul_lo_u32 v2, v4, s4
	v_min_i32_e32 v10, s5, v10
	v_min_i32_e32 v11, s5, v11
	;; [unrolled: 1-line block ×3, first 2 shown]
	v_add_nc_u32_e32 v28, s11, v42
	v_add_nc_u32_e32 v13, 0x58, v42
	;; [unrolled: 1-line block ×4, first 2 shown]
	scratch_store_b32 off, v2, off offset:92 ; 4-byte Folded Spill
	v_mad_u64_u32 v[2:3], null, 0x84, v4, v[17:18]
	v_mul_lo_u32 v3, v5, s4
	v_add_nc_u32_e32 v14, 16, v28
	v_add_nc_u32_e32 v24, 24, v28
	v_cvt_f64_u32_e32 v[15:16], v28
	v_min_i32_e32 v13, s5, v13
	v_add_nc_u32_e32 v32, 56, v28
	v_cvt_f64_u32_e32 v[22:23], v14
	v_cvt_f64_u32_e32 v[24:25], v24
	scratch_store_b32 off, v3, off offset:96 ; 4-byte Folded Spill
	v_mad_u64_u32 v[3:4], null, 0x84, v5, v[17:18]
	v_mul_lo_u32 v4, v6, s4
	v_mul_lo_u32 v29, v13, s4
	v_add_nc_u32_e32 v14, 40, v28
	v_min_i32_e32 v36, s5, v36
	v_cvt_f64_u32_e32 v[32:33], v32
	v_lshrrev_b32_e32 v46, 3, v51
	v_min_i32_e32 v45, s5, v37
	v_dual_mov_b32 v68, 0 :: v_dual_add_nc_u32 v37, 0x78, v42
	scratch_store_b32 off, v4, off offset:100 ; 4-byte Folded Spill
	v_mad_u64_u32 v[4:5], null, 0x84, v6, v[17:18]
	v_mul_lo_u32 v5, v7, s4
	v_min_i32_e32 v47, s5, v37
	v_dual_mov_b32 v61, 0 :: v_dual_and_b32 v50, 7, v51
	v_mov_b32_e32 v74, 0
	v_mov_b32_e32 v64, 0
	;; [unrolled: 1-line block ×4, first 2 shown]
	scratch_store_b32 off, v5, off offset:104 ; 4-byte Folded Spill
	v_mad_u64_u32 v[5:6], null, 0x84, v7, v[17:18]
	v_mul_lo_u32 v6, v8, s4
	v_mov_b32_e32 v66, 0
	scratch_store_b32 off, v6, off offset:108 ; 4-byte Folded Spill
	v_mad_u64_u32 v[6:7], null, 0x84, v8, v[17:18]
	v_mul_lo_u32 v7, v9, s4
	scratch_store_b32 off, v7, off offset:112 ; 4-byte Folded Spill
	v_mad_u64_u32 v[7:8], null, 0x84, v9, v[17:18]
	v_mul_lo_u32 v8, v10, s4
	;; [unrolled: 3-line block ×3, first 2 shown]
	scratch_store_b32 off, v9, off offset:120 ; 4-byte Folded Spill
	v_mad_u64_u32 v[9:10], null, 0x84, v11, v[17:18]
	v_cvt_f64_i32_e32 v[18:19], s13
	v_mul_lo_u32 v10, v12, s4
	scratch_store_b32 off, v10, off offset:124 ; 4-byte Folded Spill
	v_add_nc_u32_e32 v10, 8, v28
	s_clause 0x2
	scratch_store_b32 off, v29, off offset:128
	scratch_store_b32 off, v28, off offset:240
	;; [unrolled: 1-line block ×3, first 2 shown]
	v_lshl_add_u32 v46, v42, 2, v46
	v_cvt_f64_u32_e32 v[20:21], v10
	s_delay_alu instid0(VALU_DEP_2)
	v_min_i32_e32 v48, s5, v46
	v_mad_u64_u32 v[10:11], null, 0x84, v12, v[17:18]
	v_add_nc_u32_e32 v11, 32, v28
	v_add_nc_u32_e32 v12, 0x60, v42
	v_min_f64 v[22:23], v[22:23], v[18:19]
	v_min_f64 v[24:25], v[24:25], v[18:19]
	s_delay_alu instid0(VALU_DEP_4) | instskip(SKIP_3) | instid1(VALU_DEP_3)
	v_cvt_f64_u32_e32 v[26:27], v11
	v_add_nc_u32_e32 v11, 48, v28
	v_cvt_f64_u32_e32 v[28:29], v14
	v_min_i32_e32 v14, s5, v12
	v_cvt_f64_u32_e32 v[30:31], v11
	v_mad_u64_u32 v[11:12], null, 0x84, v13, v[17:18]
	s_delay_alu instid0(VALU_DEP_3)
	v_mul_lo_u32 v12, v14, s4
	v_min_f64 v[20:21], v[20:21], v[18:19]
	scratch_store_b32 off, v12, off offset:132 ; 4-byte Folded Spill
	v_mad_u64_u32 v[12:13], null, 0x84, v14, v[17:18]
	v_mul_lo_u32 v13, v36, s4
	scratch_store_b32 off, v13, off offset:140 ; 4-byte Folded Spill
	v_mad_u64_u32 v[13:14], null, 0x84, v36, v[17:18]
	v_min_f64 v[36:37], v[15:16], v[18:19]
	v_mul_lo_u32 v14, v45, s4
	v_mul_lo_u32 v16, v47, s4
	v_cvt_i32_f64_e32 v22, v[22:23]
	v_cvt_i32_f64_e32 v23, v[24:25]
	v_lshl_add_u32 v24, v42, 3, v52
	v_min_f64 v[26:27], v[26:27], v[18:19]
	s_clause 0x1
	scratch_store_b32 off, v14, off offset:144
	scratch_store_b32 off, v16, off offset:148
	v_mad_u64_u32 v[14:15], null, 0x84, v45, v[17:18]
	v_add_nc_u32_e32 v15, 32, v46
	v_min_f64 v[28:29], v[28:29], v[18:19]
	v_min_f64 v[30:31], v[30:31], v[18:19]
	v_ashrrev_i32_e32 v45, 31, v48
	v_cvt_i32_f64_e32 v21, v[20:21]
	v_min_i32_e32 v49, s5, v15
	v_mad_u64_u32 v[15:16], null, 0x84, v47, v[17:18]
	v_add_nc_u32_e32 v16, 64, v46
	v_min_f64 v[18:19], v[32:33], v[18:19]
	s_delay_alu instid0(VALU_DEP_4)
	v_ashrrev_i32_e32 v47, 31, v49
	v_add_nc_u32_e32 v46, 0x60, v46
	v_lshrrev_b32_e32 v45, 30, v45
	v_min_i32_e32 v16, s5, v16
	v_and_b32_e32 v24, 63, v24
	v_lshrrev_b32_e32 v32, 30, v47
	v_lshlrev_b32_e32 v47, 2, v50
	v_min_i32_e32 v46, s5, v46
	v_ashrrev_i32_e32 v33, 31, v16
	v_mul_lo_u32 v20, v16, s4
	scratch_store_b32 off, v50, off offset:152 ; 4-byte Folded Spill
	v_mul_lo_u32 v50, v48, s4
	v_lshlrev_b32_e32 v25, 5, v16
	v_lshrrev_b32_e32 v33, 30, v33
	v_add_nc_u32_e32 v32, v49, v32
	v_cvt_i32_f64_e32 v36, v[36:37]
	v_lshlrev_b32_e32 v37, 5, v49
	scratch_store_b32 off, v20, off offset:164 ; 4-byte Folded Spill
	v_add_nc_u32_e32 v33, v16, v33
	v_mul_lo_u32 v16, v46, s4
	scratch_store_b32 off, v50, off offset:156 ; 4-byte Folded Spill
	v_mul_lo_u32 v50, v49, s4
	v_add_nc_u32_e32 v45, v48, v45
	v_cvt_i32_f64_e32 v26, v[26:27]
	v_and_b32_e32 v32, -4, v32
	v_and_b32_e32 v33, -4, v33
	v_lshlrev_b32_e32 v48, 5, v48
	scratch_store_b32 off, v16, off offset:168 ; 4-byte Folded Spill
	v_and_b32_e32 v45, -4, v45
	scratch_store_b32 off, v50, off offset:160 ; 4-byte Folded Spill
	v_ashrrev_i32_e32 v50, 31, v46
	v_cvt_i32_f64_e32 v27, v[28:29]
	v_cvt_i32_f64_e32 v28, v[30:31]
	v_lshlrev_b32_e32 v31, 5, v46
	v_add3_u32 v45, v45, v47, 0x6200
	v_lshrrev_b32_e32 v49, 30, v50
	v_add3_u32 v32, v32, v47, 0x6200
	v_cvt_i32_f64_e32 v30, v[18:19]
	v_and_b32_e32 v19, 31, v51
	v_add3_u32 v33, v33, v47, 0x6200
	v_add_nc_u32_e32 v20, v46, v49
	v_lshlrev_b32_e32 v49, 7, v42
	v_and_b32_e32 v17, 28, v17
	s_delay_alu instid0(VALU_DEP_3) | instskip(SKIP_1) | instid1(VALU_DEP_2)
	v_and_b32_e32 v16, -4, v20
	v_and_b32_e32 v20, 3, v51
	v_add3_u32 v29, v16, v47, 0x6200
	v_or_b32_e32 v16, s11, v24
	s_delay_alu instid0(VALU_DEP_3) | instskip(SKIP_1) | instid1(VALU_DEP_3)
	v_lshlrev_b32_e32 v18, 2, v20
	v_lshlrev_b32_e32 v47, 2, v19
	v_min_i32_e32 v46, s13, v16
	s_delay_alu instid0(VALU_DEP_3) | instskip(NEXT) | instid1(VALU_DEP_3)
	v_lshl_or_b32 v24, v24, 4, v18
	v_or_b32_e32 v50, v49, v47
	v_add_co_u32 v16, s5, s2, v17
	s_delay_alu instid0(VALU_DEP_4)
	v_mad_u64_u32 v[18:19], null, v46, s7, v[20:21]
	v_mul_lo_u32 v20, s7, v36
	v_dual_mov_b32 v36, 0 :: v_dual_add_nc_u32 v19, 0x7280, v24
	v_mul_lo_u32 v21, s7, v21
	v_mov_b32_e32 v46, 0
	v_and_b32_e32 v24, 0xfc, v51
	v_add_co_ci_u32_e64 v17, null, s3, 0, s5
	s_clause 0x1
	scratch_store_b32 off, v19, off
	scratch_store_b32 off, v20, off offset:4
	v_lshl_or_b32 v19, v34, 7, v47
	v_add_nc_u32_e32 v20, 0x4200, v50
	s_mov_b32 s5, 0
	s_delay_alu instid0(VALU_DEP_2) | instskip(SKIP_3) | instid1(VALU_DEP_2)
	v_add_nc_u32_e32 v19, 0x4200, v19
	scratch_store_b32 off, v20, off offset:8 ; 4-byte Folded Spill
	v_lshl_or_b32 v20, v38, 7, v47
	v_mov_b32_e32 v38, 0
	v_add_nc_u32_e32 v20, 0x4200, v20
	scratch_store_b32 off, v21, off offset:12 ; 4-byte Folded Spill
	v_mul_lo_u32 v21, s7, v22
	scratch_store_b32 off, v19, off offset:16 ; 4-byte Folded Spill
	v_lshl_or_b32 v19, v39, 7, v47
	v_dual_mov_b32 v39, 0 :: v_dual_add_nc_u32 v22, 32, v51
	s_delay_alu instid0(VALU_DEP_2)
	v_add_nc_u32_e32 v19, 0x4200, v19
	scratch_store_b32 off, v20, off offset:24 ; 4-byte Folded Spill
	v_mul_lo_u32 v20, s7, v23
	scratch_store_b32 off, v21, off offset:20 ; 4-byte Folded Spill
	v_mul_lo_u32 v21, s7, v26
	v_mul_u32_u24_e32 v26, 0x84, v51
	v_and_b32_e32 v23, 0x1fc, v22
	v_lshrrev_b32_e32 v22, 3, v22
	scratch_store_b32 off, v20, off offset:28 ; 4-byte Folded Spill
	v_lshl_or_b32 v20, v40, 7, v47
	scratch_store_b32 off, v22, off offset:208 ; 4-byte Folded Spill
	v_mov_b32_e32 v40, 0
	v_add_nc_u32_e32 v20, 0x4200, v20
	scratch_store_b32 off, v19, off offset:32 ; 4-byte Folded Spill
	v_lshl_or_b32 v19, v41, 7, v47
	v_mov_b32_e32 v41, 0
	s_delay_alu instid0(VALU_DEP_2)
	v_add_nc_u32_e32 v19, 0x4200, v19
	s_clause 0x1
	scratch_store_b32 off, v20, off offset:40
	scratch_store_b32 off, v52, off offset:76
	v_mul_lo_u32 v20, s7, v27
	s_clause 0x1
	scratch_store_b32 off, v21, off offset:36
	scratch_store_b32 off, v19, off offset:48
	v_mul_lo_u32 v19, s7, v28
	v_lshl_or_b32 v21, v43, 7, v47
	v_mov_b32_e32 v52, 0
	v_dual_mov_b32 v28, 0 :: v_dual_mov_b32 v43, 0
	scratch_store_b32 off, v20, off offset:44 ; 4-byte Folded Spill
	v_mul_lo_u32 v20, s7, v30
	v_mov_b32_e32 v27, 0
	scratch_store_b32 off, v19, off offset:52 ; 4-byte Folded Spill
	v_add_nc_u32_e32 v19, 0x4200, v21
	v_dual_mov_b32 v30, 0 :: v_dual_add_nc_u32 v21, 64, v51
	s_clause 0x1
	scratch_store_b32 off, v20, off offset:60
	scratch_store_b32 off, v19, off offset:56
	v_lshl_or_b32 v19, v44, 7, v47
	v_add_nc_u32_e32 v20, 0x60, v51
	v_and_b32_e32 v21, 0x1fc, v21
	s_delay_alu instid0(VALU_DEP_3) | instskip(NEXT) | instid1(VALU_DEP_3)
	v_add_nc_u32_e32 v19, 0x4200, v19
	v_and_b32_e32 v20, 0x1fc, v20
	scratch_store_b32 off, v19, off offset:64 ; 4-byte Folded Spill
	v_lshlrev_b32_e32 v19, 5, v51
	s_delay_alu instid0(VALU_DEP_1) | instskip(SKIP_3) | instid1(VALU_DEP_4)
	v_add_nc_u32_e32 v20, v19, v20
	v_add_nc_u32_e32 v21, v19, v21
	;; [unrolled: 1-line block ×3, first 2 shown]
	v_dual_mov_b32 v24, 0 :: v_dual_add_nc_u32 v19, v19, v24
	v_add_nc_u32_e32 v22, 0x6e00, v20
	scratch_store_b32 off, v26, off offset:172 ; 4-byte Folded Spill
	v_add_nc_u32_e32 v20, 0x6e10, v20
	v_mov_b32_e32 v26, 0
	scratch_store_b32 off, v22, off offset:176 ; 4-byte Folded Spill
	v_add_nc_u32_e32 v22, 0x6a00, v21
	scratch_store_b32 off, v22, off offset:180 ; 4-byte Folded Spill
	v_add_nc_u32_e32 v22, 0x6600, v23
	;; [unrolled: 2-line block ×3, first 2 shown]
	v_add_nc_u32_e32 v19, 0x6210, v19
	scratch_store_b32 off, v22, off offset:188 ; 4-byte Folded Spill
	v_add_nc_u32_e32 v22, 0x4200, v49
	s_clause 0x1
	scratch_store_b32 off, v22, off offset:68
	scratch_store_b32 off, v42, off offset:232
	v_lshl_add_u32 v22, v42, 4, 0x7280
	s_clause 0x2
	scratch_store_b32 off, v22, off offset:72
	scratch_store_b32 off, v20, off offset:212
	;; [unrolled: 1-line block ×3, first 2 shown]
	v_mad_u32_u24 v20, 0x84, v51, 64
	scratch_store_b32 off, v19, off offset:228 ; 4-byte Folded Spill
	v_dual_mov_b32 v22, 0 :: v_dual_add_nc_u32 v19, v45, v48
	scratch_store_b32 off, v20, off offset:216 ; 4-byte Folded Spill
	v_add_nc_u32_e32 v20, 0x6a10, v21
	scratch_store_b32 off, v19, off offset:192 ; 4-byte Folded Spill
	v_dual_mov_b32 v32, 0 :: v_dual_add_nc_u32 v19, v32, v37
	v_mov_b32_e32 v37, 0
	scratch_store_b32 off, v20, off offset:220 ; 4-byte Folded Spill
	v_add_nc_u32_e32 v20, 0x6610, v23
	scratch_store_b32 off, v19, off offset:196 ; 4-byte Folded Spill
	v_add_nc_u32_e32 v19, v33, v25
	v_mov_b32_e32 v23, 0
	v_mov_b32_e32 v25, 0
	scratch_store_b32 off, v20, off offset:224 ; 4-byte Folded Spill
	v_mov_b32_e32 v21, 0
	scratch_store_b32 off, v19, off offset:200 ; 4-byte Folded Spill
	v_add_nc_u32_e32 v19, v29, v31
	v_mov_b32_e32 v31, 0
	v_mov_b32_e32 v29, 0
	scratch_store_b32 off, v19, off offset:204 ; 4-byte Folded Spill
	s_branch .LBB140_6
.LBB140_5:                              ;   in Loop: Header=BB140_6 Depth=1
	s_add_i32 s5, s5, 8
	s_delay_alu instid0(SALU_CYCLE_1)
	s_cmp_ge_i32 s5, s4
	s_cbranch_scc1 .LBB140_12
.LBB140_6:                              ; =>This Loop Header: Depth=1
                                        ;     Child Loop BB140_7 Depth 2
                                        ;     Child Loop BB140_10 Depth 2
	s_clause 0x1
	scratch_load_b32 v33, off, off offset:76
	scratch_load_b32 v42, off, off offset:84
	s_mul_i32 s7, s5, 20
	s_mul_hi_u32 s13, s5, 20
	s_add_u32 s14, s0, s7
	s_addc_u32 s15, s1, s13
	v_add_nc_u32_e32 v114, s5, v18
	s_mov_b32 s7, -4
	s_waitcnt vmcnt(1)
	v_mad_u64_u32 v[19:20], null, v33, 20, s[14:15]
	scratch_load_b32 v33, off, off offset:80 ; 4-byte Folded Reload
	s_waitcnt vmcnt(0)
	v_add_co_u32 v19, vcc_lo, v19, v33
	v_add_co_ci_u32_e32 v20, vcc_lo, 0, v20, vcc_lo
	s_delay_alu instid0(VALU_DEP_2) | instskip(NEXT) | instid1(VALU_DEP_2)
	v_add_co_u32 v19, vcc_lo, v19, 4
	v_add_co_ci_u32_e32 v20, vcc_lo, 0, v20, vcc_lo
	s_delay_alu instid0(VALU_DEP_1)
	v_mad_i64_i32 v[33:34], null, v42, 20, v[19:20]
	scratch_load_b32 v42, off, off offset:88 ; 4-byte Folded Reload
	s_waitcnt vmcnt(0)
	v_mad_i64_i32 v[44:45], null, v42, 20, v[19:20]
	scratch_load_b32 v42, off, off offset:92 ; 4-byte Folded Reload
	s_waitcnt vmcnt(0)
	;; [unrolled: 3-line block ×7, first 2 shown]
	v_mad_i64_i32 v[76:77], null, v42, 20, v[19:20]
	s_clause 0x7
	global_load_b32 v51, v[33:34], off
	global_load_b32 v55, v[44:45], off
	;; [unrolled: 1-line block ×8, first 2 shown]
	scratch_load_b32 v42, off, off offset:116 ; 4-byte Folded Reload
	s_waitcnt vmcnt(0)
	v_mad_i64_i32 v[33:34], null, v42, 20, v[19:20]
	scratch_load_b32 v42, off, off offset:120 ; 4-byte Folded Reload
	s_waitcnt vmcnt(0)
	v_mad_i64_i32 v[44:45], null, v42, 20, v[19:20]
	;; [unrolled: 3-line block ×5, first 2 shown]
	scratch_load_b32 v42, off, off offset:152 ; 4-byte Folded Reload
	s_waitcnt vmcnt(0)
	v_mad_u64_u32 v[57:58], null, v42, 20, s[14:15]
	scratch_load_b32 v42, off, off offset:140 ; 4-byte Folded Reload
	s_waitcnt vmcnt(0)
	v_mad_i64_i32 v[71:72], null, v42, 20, v[19:20]
	scratch_load_b32 v42, off, off offset:144 ; 4-byte Folded Reload
	s_waitcnt vmcnt(0)
	v_mad_i64_i32 v[76:77], null, v42, 20, v[19:20]
	;; [unrolled: 3-line block ×7, first 2 shown]
	scratch_load_b32 v42, off, off offset:136 ; 4-byte Folded Reload
	s_clause 0x7
	global_load_b32 v112, v[33:34], off
	global_load_b32 v113, v[44:45], off
	;; [unrolled: 1-line block ×8, first 2 shown]
	scratch_load_b32 v33, off, off offset:4 ; 4-byte Folded Reload
	s_clause 0x3
	global_load_b32 v79, v[19:20], off
	global_load_b32 v105, v[105:106], off
	;; [unrolled: 1-line block ×4, first 2 shown]
	scratch_load_b32 v19, off, off offset:12 ; 4-byte Folded Reload
	s_waitcnt vmcnt(14)
	v_add_nc_u32_e32 v57, s5, v42
	scratch_load_b32 v42, off, off offset:28 ; 4-byte Folded Reload
	s_waitcnt vmcnt(6)
	v_add_nc_u32_e32 v33, v57, v33
	s_waitcnt vmcnt(1)
	v_add_nc_u32_e32 v44, v57, v19
	s_delay_alu instid0(VALU_DEP_2)
	v_mad_i64_i32 v[19:20], null, v33, 36, v[16:17]
	scratch_load_b32 v33, off, off offset:20 ; 4-byte Folded Reload
	s_waitcnt vmcnt(1)
	v_add_nc_u32_e32 v49, v57, v42
	scratch_load_b32 v42, off, off offset:36 ; 4-byte Folded Reload
	s_waitcnt vmcnt(1)
	v_add_nc_u32_e32 v47, v57, v33
	v_mad_i64_i32 v[33:34], null, v44, 36, v[16:17]
	s_delay_alu instid0(VALU_DEP_2)
	v_mad_i64_i32 v[44:45], null, v47, 36, v[16:17]
	v_mad_i64_i32 v[47:48], null, v49, 36, v[16:17]
	s_waitcnt vmcnt(0)
	v_add_nc_u32_e32 v53, v57, v42
	scratch_load_b32 v42, off, off offset:44 ; 4-byte Folded Reload
	v_mad_i64_i32 v[49:50], null, v53, 36, v[16:17]
	s_waitcnt vmcnt(0)
	v_add_nc_u32_e32 v58, v57, v42
	scratch_load_b32 v42, off, off offset:52 ; 4-byte Folded Reload
	;; [unrolled: 4-line block ×3, first 2 shown]
	s_waitcnt vmcnt(0)
	v_add_nc_u32_e32 v76, v57, v42
	v_mad_i64_i32 v[57:58], null, v71, 36, v[16:17]
	s_delay_alu instid0(VALU_DEP_2)
	v_mad_i64_i32 v[71:72], null, v76, 36, v[16:17]
	v_mad_u64_u32 v[76:77], null, v114, 36, s[2:3]
	s_clause 0x8
	global_load_b32 v19, v[19:20], off offset:4
	global_load_b32 v20, v[33:34], off offset:4
	;; [unrolled: 1-line block ×8, first 2 shown]
	global_load_b32 v49, v[76:77], off
	s_clause 0x6
	scratch_load_b32 v115, off, off offset:72
	scratch_load_b32 v116, off, off offset:68
	;; [unrolled: 1-line block ×7, first 2 shown]
	ds_store_b32 v0, v51
	ds_store_b32 v1, v55
	;; [unrolled: 1-line block ×16, first 2 shown]
	scratch_load_b32 v42, off, off offset:192 ; 4-byte Folded Reload
	s_waitcnt vmcnt(0)
	ds_store_b32 v42, v79
	scratch_load_b32 v42, off, off offset:196 ; 4-byte Folded Reload
	s_waitcnt vmcnt(0)
	ds_store_b32 v42, v105
	;; [unrolled: 3-line block ×12, first 2 shown]
	scratch_load_b32 v19, off, off          ; 4-byte Folded Reload
	s_waitcnt vmcnt(0)
	ds_store_b32 v19, v49
	s_waitcnt lgkmcnt(0)
	s_waitcnt_vscnt null, 0x0
	s_barrier
	buffer_gl0_inv
.LBB140_7:                              ;   Parent Loop BB140_6 Depth=1
                                        ; =>  This Inner Loop Header: Depth=2
	ds_load_b128 v[47:50], v116
	ds_load_b128 v[105:108], v116 offset:16
	ds_load_2addr_b32 v[19:20], v115 offset1:32
	ds_load_b32 v152, v118
	ds_load_2addr_b32 v[33:34], v117 offset1:1
	s_add_i32 s7, s7, 4
	v_add_nc_u32_e32 v118, 4, v118
	s_cmp_lt_u32 s7, 12
	s_waitcnt lgkmcnt(4)
	v_bfe_i32 v44, v47, 0, 8
	s_waitcnt lgkmcnt(3)
	v_bfe_i32 v53, v105, 0, 8
	v_bfe_i32 v58, v48, 0, 8
	s_waitcnt lgkmcnt(0)
	v_bfe_u32 v155, v33, 20, 4
	v_and_b32_e32 v156, 15, v33
	v_bfe_u32 v157, v33, 8, 4
	v_bfe_u32 v159, v33, 16, 4
	;; [unrolled: 1-line block ×5, first 2 shown]
	v_lshrrev_b32_e32 v162, 28, v33
	v_bfe_u32 v158, v34, 20, 4
	v_and_b32_e32 v163, 15, v34
	v_bfe_u32 v164, v34, 8, 4
	v_bfe_u32 v165, v34, 16, 4
	;; [unrolled: 1-line block ×5, first 2 shown]
	v_lshrrev_b32_e32 v171, 28, v34
	ds_load_2addr_b32 v[33:34], v117 offset0:2 offset1:3
	v_bfe_i32 v69, v106, 0, 8
	v_mul_i32_i24_e32 v122, v156, v44
	v_bfe_i32 v45, v47, 8, 8
	v_bfe_i32 v76, v49, 0, 8
	v_mul_i32_i24_e32 v129, v163, v58
	v_mul_i32_i24_e32 v133, v168, v69
	v_mad_i32_i24 v122, v153, v53, v122
	v_bfe_i32 v51, v47, 16, 8
	v_ashrrev_i32_e32 v47, 24, v47
	v_mul_i32_i24_e32 v123, v157, v45
	v_bfe_i32 v54, v105, 8, 8
	v_add3_u32 v122, v122, v129, v133
	v_bfe_i32 v55, v105, 16, 8
	v_ashrrev_i32_e32 v57, 24, v105
	v_bfe_i32 v71, v106, 8, 8
	v_bfe_i32 v72, v106, 16, 8
	v_ashrrev_i32_e32 v73, 24, v106
	v_bfe_i32 v79, v107, 0, 8
	v_bfe_i32 v98, v107, 8, 8
	s_waitcnt lgkmcnt(0)
	v_and_b32_e32 v172, 15, v33
	v_bfe_i32 v105, v107, 16, 8
	v_ashrrev_i32_e32 v106, 24, v107
	v_bfe_i32 v107, v50, 0, 8
	v_mul_i32_i24_e32 v124, v159, v51
	v_mul_i32_i24_e32 v137, v172, v76
	;; [unrolled: 1-line block ×3, first 2 shown]
	v_bfe_u32 v177, v33, 4, 4
	v_and_b32_e32 v181, 15, v34
	v_bfe_i32 v63, v48, 8, 8
	v_add3_u32 v122, v122, v137, v123
	v_mul_i32_i24_e32 v126, v161, v54
	v_mul_i32_i24_e32 v141, v177, v79
	;; [unrolled: 1-line block ×4, first 2 shown]
	v_add3_u32 v122, v122, v124, v125
	v_bfe_i32 v67, v48, 16, 8
	v_ashrrev_i32_e32 v48, 24, v48
	v_mul_i32_i24_e32 v128, v162, v57
	v_mul_i32_i24_e32 v130, v164, v63
	v_add3_u32 v122, v122, v141, v144
	v_bfe_i32 v111, v108, 0, 8
	v_mul_i32_i24_e32 v131, v165, v67
	v_mul_i32_i24_e32 v132, v167, v48
	v_bfe_u32 v185, v34, 4, 4
	v_add3_u32 v122, v122, v126, v127
	v_mul_i32_i24_e32 v134, v169, v71
	v_bfe_i32 v77, v49, 8, 8
	v_bfe_i32 v78, v49, 16, 8
	v_mul_i32_i24_e32 v148, v185, v111
	v_add3_u32 v122, v122, v128, v130
	v_mul_i32_i24_e32 v135, v158, v72
	v_mul_i32_i24_e32 v136, v171, v73
	v_bfe_u32 v173, v33, 8, 4
	v_bfe_u32 v175, v33, 16, 4
	v_add3_u32 v122, v122, v131, v132
	v_ashrrev_i32_e32 v49, 24, v49
	v_bfe_u32 v176, v33, 24, 4
	v_mul_i32_i24_e32 v138, v173, v77
	v_mul_i32_i24_e32 v139, v175, v78
	v_add3_u32 v122, v122, v148, v134
	v_bfe_u32 v178, v33, 12, 4
	v_bfe_u32 v166, v33, 20, 4
	v_mul_i32_i24_e32 v140, v176, v49
	v_lshrrev_b32_e32 v179, 28, v33
	v_add3_u32 v122, v122, v135, v136
	v_mul_i32_i24_e32 v142, v178, v98
	v_bfe_i32 v109, v50, 8, 8
	v_bfe_i32 v110, v50, 16, 8
	v_mul_i32_i24_e32 v143, v166, v105
	v_add3_u32 v122, v122, v138, v139
	v_mul_i32_i24_e32 v33, v179, v106
	v_bfe_u32 v182, v34, 8, 4
	v_bfe_u32 v183, v34, 16, 4
	v_ashrrev_i32_e32 v50, 24, v50
	v_add3_u32 v122, v122, v140, v142
	v_bfe_i32 v112, v108, 8, 8
	v_mul_i32_i24_e32 v145, v182, v109
	v_mul_i32_i24_e32 v146, v183, v110
	v_bfe_u32 v184, v34, 24, 4
	v_bfe_u32 v186, v34, 12, 4
	v_add3_u32 v33, v122, v143, v33
	v_bfe_i32 v113, v108, 16, 8
	v_ashrrev_i32_e32 v108, 24, v108
	v_bfe_u32 v174, v34, 20, 4
	v_mul_i32_i24_e32 v147, v184, v50
	v_mul_i32_i24_e32 v149, v186, v112
	v_lshrrev_b32_e32 v188, 28, v34
	v_add3_u32 v33, v33, v145, v146
	v_mul_i32_i24_e32 v150, v174, v113
	s_delay_alu instid0(VALU_DEP_3) | instskip(NEXT) | instid1(VALU_DEP_3)
	v_mul_i32_i24_e32 v34, v188, v108
	v_add3_u32 v33, v33, v147, v149
	s_delay_alu instid0(VALU_DEP_1) | instskip(SKIP_1) | instid1(VALU_DEP_2)
	v_add3_u32 v33, v33, v150, v34
	v_pk_mul_f16 v34, v19, v152
	v_cvt_f32_i32_e32 v33, v33
	s_delay_alu instid0(VALU_DEP_1) | instskip(NEXT) | instid1(VALU_DEP_1)
	v_fma_mix_f32 v33, v34, v33, v34 op_sel:[0,0,1] op_sel_hi:[1,0,1]
	v_add_f32_e32 v35, v35, v33
	v_add_nc_u32_e32 v33, 0x1080, v117
	ds_load_b32 v154, v119
	ds_load_2addr_b32 v[33:34], v33 offset1:1
	v_add_nc_u32_e32 v119, 4, v119
	s_waitcnt lgkmcnt(0)
	v_bfe_u32 v187, v33, 20, 4
	v_and_b32_e32 v189, 15, v33
	v_bfe_u32 v190, v33, 8, 4
	v_bfe_u32 v192, v33, 16, 4
	;; [unrolled: 1-line block ×5, first 2 shown]
	v_lshrrev_b32_e32 v195, 28, v33
	v_add_nc_u32_e32 v33, 0x1088, v117
	v_bfe_u32 v191, v34, 20, 4
	v_and_b32_e32 v196, 15, v34
	v_bfe_u32 v197, v34, 8, 4
	v_bfe_u32 v198, v34, 16, 4
	;; [unrolled: 1-line block ×5, first 2 shown]
	v_lshrrev_b32_e32 v203, 28, v34
	ds_load_2addr_b32 v[33:34], v33 offset1:1
	v_mul_i32_i24_e32 v122, v189, v44
	v_mul_i32_i24_e32 v129, v196, v58
	;; [unrolled: 1-line block ×5, first 2 shown]
	v_mad_i32_i24 v122, v170, v53, v122
	v_mul_i32_i24_e32 v125, v193, v47
	v_mul_i32_i24_e32 v126, v194, v54
	;; [unrolled: 1-line block ×4, first 2 shown]
	v_add3_u32 v122, v122, v129, v133
	v_mul_i32_i24_e32 v130, v197, v63
	v_mul_i32_i24_e32 v131, v198, v67
	v_mul_i32_i24_e32 v132, v199, v48
	v_mul_i32_i24_e32 v134, v202, v71
	v_mul_i32_i24_e32 v135, v191, v72
	v_mul_i32_i24_e32 v136, v203, v73
	s_waitcnt lgkmcnt(0)
	v_and_b32_e32 v205, 15, v33
	v_bfe_u32 v210, v33, 4, 4
	v_and_b32_e32 v213, 15, v34
	v_bfe_u32 v217, v34, 4, 4
	v_bfe_u32 v206, v33, 8, 4
	v_mul_i32_i24_e32 v137, v205, v76
	v_mul_i32_i24_e32 v141, v210, v79
	;; [unrolled: 1-line block ×4, first 2 shown]
	v_bfe_u32 v208, v33, 16, 4
	v_add3_u32 v122, v122, v137, v123
	v_mul_i32_i24_e32 v138, v206, v77
	v_bfe_u32 v209, v33, 24, 4
	v_bfe_u32 v211, v33, 12, 4
	v_mul_i32_i24_e32 v139, v208, v78
	v_add3_u32 v122, v122, v124, v125
	v_bfe_u32 v200, v33, 20, 4
	v_mul_i32_i24_e32 v140, v209, v49
	v_mul_i32_i24_e32 v142, v211, v98
	v_lshrrev_b32_e32 v212, 28, v33
	v_add3_u32 v122, v122, v141, v144
	v_mul_i32_i24_e32 v143, v200, v105
	v_bfe_u32 v214, v34, 8, 4
	v_bfe_u32 v215, v34, 16, 4
	v_mul_i32_i24_e32 v33, v212, v106
	v_add3_u32 v122, v122, v126, v127
	v_bfe_u32 v216, v34, 24, 4
	v_mul_i32_i24_e32 v145, v214, v109
	v_mul_i32_i24_e32 v146, v215, v110
	v_bfe_u32 v218, v34, 12, 4
	v_add3_u32 v122, v122, v128, v130
	v_bfe_u32 v207, v34, 20, 4
	v_mul_i32_i24_e32 v147, v216, v50
	v_lshrrev_b32_e32 v220, 28, v34
	v_mul_i32_i24_e32 v149, v218, v112
	v_add3_u32 v122, v122, v131, v132
	v_mul_i32_i24_e32 v150, v207, v113
	s_delay_alu instid0(VALU_DEP_4) | instskip(NEXT) | instid1(VALU_DEP_3)
	v_mul_i32_i24_e32 v34, v220, v108
	v_add3_u32 v122, v122, v148, v134
	s_delay_alu instid0(VALU_DEP_1) | instskip(NEXT) | instid1(VALU_DEP_1)
	v_add3_u32 v122, v122, v135, v136
	v_add3_u32 v122, v122, v138, v139
	s_delay_alu instid0(VALU_DEP_1) | instskip(NEXT) | instid1(VALU_DEP_1)
	v_add3_u32 v122, v122, v140, v142
	;; [unrolled: 3-line block ×3, first 2 shown]
	v_add3_u32 v33, v33, v147, v149
	s_delay_alu instid0(VALU_DEP_1) | instskip(SKIP_1) | instid1(VALU_DEP_2)
	v_add3_u32 v33, v33, v150, v34
	v_pk_mul_f16 v34, v19, v154
	v_cvt_f32_i32_e32 v33, v33
	s_delay_alu instid0(VALU_DEP_1) | instskip(NEXT) | instid1(VALU_DEP_1)
	v_fma_mix_f32 v33, v34, v33, v34 op_sel:[0,0,1] op_sel_hi:[1,0,1]
	v_add_f32_e32 v74, v74, v33
	v_add_nc_u32_e32 v33, 0x2100, v117
	ds_load_b32 v180, v120
	ds_load_2addr_b32 v[33:34], v33 offset1:1
	v_add_nc_u32_e32 v120, 4, v120
	s_waitcnt lgkmcnt(0)
	v_bfe_u32 v219, v33, 20, 4
	v_and_b32_e32 v221, 15, v33
	v_bfe_u32 v222, v33, 8, 4
	v_bfe_u32 v224, v33, 16, 4
	;; [unrolled: 1-line block ×5, first 2 shown]
	v_lshrrev_b32_e32 v227, 28, v33
	v_add_nc_u32_e32 v33, 0x2108, v117
	v_bfe_u32 v223, v34, 20, 4
	v_and_b32_e32 v228, 15, v34
	v_bfe_u32 v229, v34, 8, 4
	v_bfe_u32 v230, v34, 16, 4
	;; [unrolled: 1-line block ×5, first 2 shown]
	v_lshrrev_b32_e32 v235, 28, v34
	ds_load_2addr_b32 v[33:34], v33 offset1:1
	v_mul_i32_i24_e32 v122, v221, v44
	v_mul_i32_i24_e32 v129, v228, v58
	;; [unrolled: 1-line block ×5, first 2 shown]
	v_mad_i32_i24 v122, v204, v53, v122
	v_mul_i32_i24_e32 v125, v225, v47
	v_mul_i32_i24_e32 v126, v226, v54
	v_mul_i32_i24_e32 v127, v219, v55
	v_mul_i32_i24_e32 v128, v227, v57
	v_add3_u32 v122, v122, v129, v133
	v_mul_i32_i24_e32 v130, v229, v63
	v_mul_i32_i24_e32 v131, v230, v67
	;; [unrolled: 1-line block ×6, first 2 shown]
	s_waitcnt lgkmcnt(0)
	v_and_b32_e32 v236, 15, v33
	v_bfe_u32 v241, v33, 4, 4
	v_and_b32_e32 v244, 15, v34
	v_bfe_u32 v248, v34, 4, 4
	v_bfe_u32 v237, v33, 8, 4
	v_mul_i32_i24_e32 v137, v236, v76
	v_mul_i32_i24_e32 v141, v241, v79
	;; [unrolled: 1-line block ×4, first 2 shown]
	v_bfe_u32 v239, v33, 16, 4
	v_add3_u32 v122, v122, v137, v123
	v_mul_i32_i24_e32 v138, v237, v77
	v_bfe_u32 v240, v33, 24, 4
	v_bfe_u32 v242, v33, 12, 4
	v_mul_i32_i24_e32 v139, v239, v78
	v_add3_u32 v122, v122, v124, v125
	v_bfe_u32 v232, v33, 20, 4
	v_mul_i32_i24_e32 v140, v240, v49
	v_mul_i32_i24_e32 v142, v242, v98
	v_lshrrev_b32_e32 v243, 28, v33
	v_add3_u32 v122, v122, v141, v144
	v_mul_i32_i24_e32 v143, v232, v105
	v_bfe_u32 v245, v34, 8, 4
	v_bfe_u32 v246, v34, 16, 4
	v_mul_i32_i24_e32 v33, v243, v106
	v_add3_u32 v122, v122, v126, v127
	v_bfe_u32 v247, v34, 24, 4
	v_mul_i32_i24_e32 v145, v245, v109
	v_mul_i32_i24_e32 v146, v246, v110
	v_bfe_u32 v249, v34, 12, 4
	v_add3_u32 v122, v122, v128, v130
	v_bfe_u32 v238, v34, 20, 4
	v_mul_i32_i24_e32 v147, v247, v50
	v_lshrrev_b32_e32 v250, 28, v34
	v_mul_i32_i24_e32 v149, v249, v112
	v_add3_u32 v122, v122, v131, v132
	v_mul_i32_i24_e32 v150, v238, v113
	s_delay_alu instid0(VALU_DEP_4) | instskip(NEXT) | instid1(VALU_DEP_3)
	v_mul_i32_i24_e32 v34, v250, v108
	v_add3_u32 v122, v122, v148, v134
	s_delay_alu instid0(VALU_DEP_1) | instskip(NEXT) | instid1(VALU_DEP_1)
	v_add3_u32 v122, v122, v135, v136
	v_add3_u32 v122, v122, v138, v139
	s_delay_alu instid0(VALU_DEP_1) | instskip(NEXT) | instid1(VALU_DEP_1)
	v_add3_u32 v122, v122, v140, v142
	v_add3_u32 v33, v122, v143, v33
	s_delay_alu instid0(VALU_DEP_1) | instskip(NEXT) | instid1(VALU_DEP_1)
	v_add3_u32 v33, v33, v145, v146
	v_add3_u32 v33, v33, v147, v149
	s_delay_alu instid0(VALU_DEP_1) | instskip(SKIP_1) | instid1(VALU_DEP_2)
	v_add3_u32 v33, v33, v150, v34
	v_pk_mul_f16 v34, v19, v180
	v_cvt_f32_i32_e32 v33, v33
	s_delay_alu instid0(VALU_DEP_1) | instskip(NEXT) | instid1(VALU_DEP_1)
	v_fma_mix_f32 v33, v34, v33, v34 op_sel:[0,0,1] op_sel_hi:[1,0,1]
	v_add_f32_e32 v68, v68, v33
	v_add_nc_u32_e32 v33, 0x3180, v117
	ds_load_b32 v122, v121
	ds_load_2addr_b32 v[33:34], v33 offset1:1
	v_add_nc_u32_e32 v121, 4, v121
	s_waitcnt lgkmcnt(1)
	v_pk_mul_f16 v19, v19, v122
	s_waitcnt lgkmcnt(0)
	v_bfe_u32 v124, v33, 20, 4
	v_and_b32_e32 v251, 15, v33
	v_bfe_u32 v252, v33, 8, 4
	v_bfe_u32 v253, v33, 16, 4
	;; [unrolled: 1-line block ×5, first 2 shown]
	v_lshrrev_b32_e32 v128, 28, v33
	v_add_nc_u32_e32 v33, 0x3188, v117
	v_bfe_u32 v125, v34, 20, 4
	v_and_b32_e32 v129, 15, v34
	v_bfe_u32 v130, v34, 8, 4
	v_bfe_u32 v131, v34, 16, 4
	;; [unrolled: 1-line block ×5, first 2 shown]
	v_lshrrev_b32_e32 v136, 28, v34
	ds_load_2addr_b32 v[33:34], v33 offset1:1
	v_mul_i32_i24_e32 v44, v251, v44
	v_mul_i32_i24_e32 v58, v129, v58
	;; [unrolled: 1-line block ×5, first 2 shown]
	v_mad_i32_i24 v44, v123, v53, v44
	v_mul_i32_i24_e32 v47, v126, v47
	v_mul_i32_i24_e32 v54, v127, v54
	;; [unrolled: 1-line block ×4, first 2 shown]
	v_add3_u32 v44, v44, v58, v69
	v_mul_i32_i24_e32 v63, v130, v63
	v_mul_i32_i24_e32 v67, v131, v67
	;; [unrolled: 1-line block ×6, first 2 shown]
	v_add_nc_u32_e32 v117, 16, v117
	s_waitcnt lgkmcnt(0)
	v_and_b32_e32 v137, 15, v33
	v_bfe_u32 v142, v33, 4, 4
	v_lshrrev_b32_e32 v144, 28, v33
	v_and_b32_e32 v145, 15, v34
	v_bfe_u32 v133, v33, 20, 4
	v_mul_i32_i24_e32 v76, v137, v76
	v_bfe_u32 v138, v33, 8, 4
	v_bfe_u32 v140, v33, 16, 4
	;; [unrolled: 1-line block ×3, first 2 shown]
	v_mul_i32_i24_e32 v79, v142, v79
	v_add3_u32 v44, v44, v76, v45
	v_bfe_u32 v143, v33, 12, 4
	v_mul_i32_i24_e32 v33, v144, v106
	v_mul_i32_i24_e32 v106, v145, v107
	v_bfe_u32 v146, v34, 8, 4
	v_add3_u32 v44, v44, v51, v47
	v_bfe_u32 v147, v34, 16, 4
	v_bfe_u32 v149, v34, 4, 4
	v_mul_i32_i24_e32 v77, v138, v77
	v_mul_i32_i24_e32 v107, v146, v109
	v_add3_u32 v44, v44, v79, v106
	v_mul_i32_i24_e32 v109, v147, v110
	v_mul_i32_i24_e32 v110, v149, v111
	;; [unrolled: 1-line block ×4, first 2 shown]
	v_add3_u32 v44, v44, v54, v55
	v_mul_i32_i24_e32 v98, v143, v98
	v_mul_i32_i24_e32 v105, v133, v105
	v_bfe_u32 v148, v34, 24, 4
	v_bfe_u32 v150, v34, 12, 4
	v_add3_u32 v44, v44, v57, v63
	v_bfe_u32 v139, v34, 20, 4
	v_lshrrev_b32_e32 v151, 28, v34
	v_mul_i32_i24_e32 v50, v148, v50
	v_mul_i32_i24_e32 v111, v150, v112
	v_add3_u32 v44, v44, v67, v48
	v_mul_i32_i24_e32 v112, v139, v113
	v_mul_i32_i24_e32 v34, v151, v108
	s_delay_alu instid0(VALU_DEP_3) | instskip(NEXT) | instid1(VALU_DEP_1)
	v_add3_u32 v44, v44, v110, v71
	v_add3_u32 v44, v44, v72, v73
	s_delay_alu instid0(VALU_DEP_1) | instskip(NEXT) | instid1(VALU_DEP_1)
	v_add3_u32 v44, v44, v77, v78
	v_add3_u32 v44, v44, v49, v98
	s_delay_alu instid0(VALU_DEP_1) | instskip(NEXT) | instid1(VALU_DEP_1)
	v_add3_u32 v33, v44, v105, v33
	v_add3_u32 v33, v33, v107, v109
	s_delay_alu instid0(VALU_DEP_1) | instskip(SKIP_3) | instid1(VALU_DEP_1)
	v_add3_u32 v33, v33, v50, v111
	ds_load_b128 v[47:50], v116 offset:1024
	ds_load_b128 v[105:108], v116 offset:1040
	v_add3_u32 v33, v33, v112, v34
	v_cvt_f32_i32_e32 v33, v33
	s_delay_alu instid0(VALU_DEP_1) | instskip(NEXT) | instid1(VALU_DEP_1)
	v_fma_mix_f32 v19, v19, v33, v19 op_sel:[0,0,1] op_sel_hi:[1,0,1]
	v_add_f32_e32 v66, v66, v19
	s_waitcnt lgkmcnt(1)
	v_bfe_i32 v19, v47, 0, 8
	v_bfe_i32 v33, v47, 8, 8
	;; [unrolled: 1-line block ×3, first 2 shown]
	s_waitcnt lgkmcnt(0)
	v_bfe_i32 v45, v105, 0, 8
	v_ashrrev_i32_e32 v44, 24, v47
	v_mul_i32_i24_e32 v111, v19, v156
	v_bfe_i32 v54, v48, 0, 8
	v_mul_i32_i24_e32 v112, v33, v157
	v_mul_i32_i24_e32 v113, v34, v159
	v_bfe_i32 v47, v105, 8, 8
	v_mad_i32_i24 v111, v45, v153, v111
	v_bfe_i32 v51, v105, 16, 8
	v_mul_i32_i24_e32 v254, v44, v160
	v_mul_i32_i24_e32 v100, v54, v163
	v_ashrrev_i32_e32 v53, 24, v105
	v_add3_u32 v111, v111, v112, v113
	v_bfe_i32 v58, v106, 0, 8
	v_mul_i32_i24_e32 v255, v47, v161
	v_mul_i32_i24_e32 v97, v51, v155
	v_bfe_i32 v55, v48, 8, 8
	v_add3_u32 v100, v111, v254, v100
	v_bfe_i32 v57, v48, 16, 8
	v_mul_i32_i24_e32 v99, v53, v162
	v_mul_i32_i24_e32 v70, v58, v168
	v_ashrrev_i32_e32 v48, 24, v48
	v_add3_u32 v97, v100, v255, v97
	v_bfe_i32 v71, v49, 0, 8
	v_mul_i32_i24_e32 v101, v55, v164
	v_mul_i32_i24_e32 v102, v57, v165
	v_bfe_i32 v63, v106, 8, 8
	v_add3_u32 v70, v97, v99, v70
	v_bfe_i32 v67, v106, 16, 8
	v_mul_i32_i24_e32 v42, v48, v167
	v_mul_i32_i24_e32 v82, v71, v172
	v_ashrrev_i32_e32 v69, 24, v106
	v_add3_u32 v70, v70, v101, v102
	v_bfe_i32 v76, v107, 0, 8
	v_mul_i32_i24_e32 v75, v63, v169
	v_mul_i32_i24_e32 v80, v67, v158
	v_bfe_i32 v72, v49, 8, 8
	v_add3_u32 v42, v70, v42, v82
	v_bfe_i32 v73, v49, 16, 8
	v_mul_i32_i24_e32 v81, v69, v171
	v_mul_i32_i24_e32 v86, v76, v177
	v_ashrrev_i32_e32 v49, 24, v49
	v_add3_u32 v42, v42, v75, v80
	v_bfe_i32 v98, v50, 0, 8
	v_mul_i32_i24_e32 v83, v72, v173
	v_mul_i32_i24_e32 v84, v73, v175
	v_bfe_i32 v77, v107, 8, 8
	v_add3_u32 v42, v42, v81, v86
	v_bfe_i32 v78, v107, 16, 8
	v_mul_i32_i24_e32 v85, v49, v176
	v_mul_i32_i24_e32 v90, v98, v181
	v_ashrrev_i32_e32 v79, 24, v107
	v_add3_u32 v42, v42, v83, v84
	v_bfe_i32 v107, v108, 0, 8
	v_mul_i32_i24_e32 v87, v77, v178
	v_mul_i32_i24_e32 v88, v78, v166
	v_bfe_i32 v105, v50, 8, 8
	v_add3_u32 v42, v42, v85, v90
	v_bfe_i32 v106, v50, 16, 8
	v_mul_i32_i24_e32 v89, v79, v179
	v_mul_i32_i24_e32 v94, v107, v185
	v_ashrrev_i32_e32 v50, 24, v50
	v_add3_u32 v42, v42, v87, v88
	v_bfe_i32 v109, v108, 8, 8
	v_mul_i32_i24_e32 v91, v105, v182
	v_mul_i32_i24_e32 v92, v106, v183
	v_bfe_i32 v110, v108, 16, 8
	v_add3_u32 v42, v42, v89, v94
	v_ashrrev_i32_e32 v108, 24, v108
	v_mul_i32_i24_e32 v93, v50, v184
	v_mul_i32_i24_e32 v95, v109, v186
	;; [unrolled: 1-line block ×3, first 2 shown]
	v_add3_u32 v42, v42, v91, v92
	v_mul_i32_i24_e32 v103, v108, v188
	v_pk_mul_f16 v70, v152, v20
	v_mul_i32_i24_e32 v75, v34, v192
	v_mul_i32_i24_e32 v80, v44, v193
	v_add3_u32 v42, v42, v93, v95
	v_mul_i32_i24_e32 v84, v54, v196
	v_mul_i32_i24_e32 v81, v47, v194
	;; [unrolled: 1-line block ×4, first 2 shown]
	v_add3_u32 v42, v42, v96, v103
	v_mul_i32_i24_e32 v88, v58, v201
	v_mul_i32_i24_e32 v85, v55, v197
	;; [unrolled: 1-line block ×4, first 2 shown]
	v_cvt_f32_i32_e32 v42, v42
	v_mul_i32_i24_e32 v92, v71, v205
	v_mul_i32_i24_e32 v89, v63, v202
	;; [unrolled: 1-line block ×4, first 2 shown]
	v_fma_mix_f32 v42, v70, v42, v70 op_sel:[0,0,1] op_sel_hi:[1,0,1]
	v_mul_i32_i24_e32 v70, v33, v190
	v_mul_i32_i24_e32 v96, v76, v210
	;; [unrolled: 1-line block ×4, first 2 shown]
	v_add_f32_e32 v65, v65, v42
	v_mul_i32_i24_e32 v42, v19, v189
	v_mul_i32_i24_e32 v95, v49, v209
	;; [unrolled: 1-line block ×5, first 2 shown]
	v_mad_i32_i24 v42, v45, v170, v42
	v_mul_i32_i24_e32 v100, v79, v212
	v_mul_i32_i24_e32 v112, v107, v217
	;; [unrolled: 1-line block ×4, first 2 shown]
	v_add3_u32 v42, v42, v70, v75
	v_mul_i32_i24_e32 v111, v50, v216
	v_mul_i32_i24_e32 v113, v109, v218
	;; [unrolled: 1-line block ×4, first 2 shown]
	v_add3_u32 v42, v42, v80, v84
	v_pk_mul_f16 v70, v154, v20
	v_mul_i32_i24_e32 v75, v34, v224
	v_mul_i32_i24_e32 v80, v44, v225
	;; [unrolled: 1-line block ×3, first 2 shown]
	v_add3_u32 v42, v42, v81, v82
	v_mul_i32_i24_e32 v81, v47, v226
	v_mul_i32_i24_e32 v82, v51, v219
	;; [unrolled: 1-line block ×3, first 2 shown]
	s_delay_alu instid0(VALU_DEP_4) | instskip(SKIP_2) | instid1(VALU_DEP_3)
	v_add3_u32 v42, v42, v83, v88
	v_mul_i32_i24_e32 v83, v53, v227
	v_mul_i32_i24_e32 v88, v58, v233
	v_add3_u32 v42, v42, v85, v86
	v_mul_i32_i24_e32 v85, v55, v229
	v_mul_i32_i24_e32 v86, v57, v230
	s_delay_alu instid0(VALU_DEP_3) | instskip(SKIP_3) | instid1(VALU_DEP_4)
	v_add3_u32 v42, v42, v87, v92
	v_mul_i32_i24_e32 v87, v48, v231
	v_mul_i32_i24_e32 v92, v71, v236
	;; [unrolled: 1-line block ×3, first 2 shown]
	v_add3_u32 v42, v42, v89, v90
	v_mul_i32_i24_e32 v89, v63, v234
	v_mul_i32_i24_e32 v90, v67, v223
	s_delay_alu instid0(VALU_DEP_3) | instskip(SKIP_2) | instid1(VALU_DEP_3)
	v_add3_u32 v42, v42, v91, v96
	v_mul_i32_i24_e32 v91, v69, v235
	v_mul_i32_i24_e32 v96, v76, v241
	v_add3_u32 v42, v42, v93, v94
	v_mul_i32_i24_e32 v93, v72, v237
	v_mul_i32_i24_e32 v94, v73, v239
	s_delay_alu instid0(VALU_DEP_3) | instskip(SKIP_3) | instid1(VALU_DEP_4)
	v_add3_u32 v42, v42, v95, v101
	v_mul_i32_i24_e32 v95, v49, v240
	v_mul_i32_i24_e32 v101, v98, v244
	;; [unrolled: 1-line block ×3, first 2 shown]
	v_add3_u32 v42, v42, v97, v99
	v_mul_i32_i24_e32 v97, v77, v242
	v_mul_i32_i24_e32 v99, v78, v232
	s_delay_alu instid0(VALU_DEP_3) | instskip(SKIP_2) | instid1(VALU_DEP_3)
	v_add3_u32 v42, v42, v100, v112
	v_mul_i32_i24_e32 v100, v79, v243
	v_mul_i32_i24_e32 v112, v107, v248
	v_add3_u32 v42, v42, v102, v103
	v_mul_i32_i24_e32 v102, v105, v245
	v_mul_i32_i24_e32 v103, v106, v246
	s_delay_alu instid0(VALU_DEP_3) | instskip(SKIP_3) | instid1(VALU_DEP_4)
	v_add3_u32 v42, v42, v111, v113
	v_mul_i32_i24_e32 v111, v50, v247
	v_mul_i32_i24_e32 v113, v109, v249
	;; [unrolled: 1-line block ×3, first 2 shown]
	v_add3_u32 v42, v42, v254, v255
	v_mul_i32_i24_e32 v254, v110, v238
	v_mul_i32_i24_e32 v255, v108, v250
	s_delay_alu instid0(VALU_DEP_3) | instskip(NEXT) | instid1(VALU_DEP_1)
	v_cvt_f32_i32_e32 v42, v42
	v_fma_mix_f32 v42, v70, v42, v70 op_sel:[0,0,1] op_sel_hi:[1,0,1]
	v_mul_i32_i24_e32 v70, v33, v222
	v_mul_i32_i24_e32 v33, v33, v252
	s_delay_alu instid0(VALU_DEP_3) | instskip(SKIP_2) | instid1(VALU_DEP_2)
	v_add_f32_e32 v64, v64, v42
	v_mul_i32_i24_e32 v42, v19, v221
	v_mul_i32_i24_e32 v19, v19, v251
	v_mad_i32_i24 v42, v45, v204, v42
	s_delay_alu instid0(VALU_DEP_2) | instskip(NEXT) | instid1(VALU_DEP_2)
	v_mad_i32_i24 v19, v45, v123, v19
	v_add3_u32 v42, v42, v70, v75
	v_pk_mul_f16 v70, v180, v20
	s_delay_alu instid0(VALU_DEP_3)
	v_add3_u32 v19, v19, v33, v34
	v_mul_i32_i24_e32 v75, v78, v133
	v_mul_i32_i24_e32 v78, v105, v146
	v_add3_u32 v42, v42, v80, v84
	v_mul_i32_i24_e32 v80, v107, v149
	v_pk_mul_f16 v20, v122, v20
	s_delay_alu instid0(VALU_DEP_3) | instskip(SKIP_2) | instid1(VALU_DEP_3)
	v_add3_u32 v42, v42, v81, v82
	v_mul_i32_i24_e32 v81, v109, v150
	v_mul_i32_i24_e32 v82, v110, v139
	v_add3_u32 v42, v42, v83, v88
	v_mul_i32_i24_e32 v83, v108, v151
	s_delay_alu instid0(VALU_DEP_2) | instskip(NEXT) | instid1(VALU_DEP_1)
	v_add3_u32 v42, v42, v85, v86
	v_add3_u32 v42, v42, v87, v92
	s_delay_alu instid0(VALU_DEP_1) | instskip(NEXT) | instid1(VALU_DEP_1)
	v_add3_u32 v42, v42, v89, v90
	v_add3_u32 v42, v42, v91, v96
	s_delay_alu instid0(VALU_DEP_1) | instskip(NEXT) | instid1(VALU_DEP_1)
	;; [unrolled: 3-line block ×5, first 2 shown]
	v_add3_u32 v42, v42, v254, v255
	v_cvt_f32_i32_e32 v42, v42
	s_delay_alu instid0(VALU_DEP_1)
	v_fma_mix_f32 v42, v70, v42, v70 op_sel:[0,0,1] op_sel_hi:[1,0,1]
	v_mul_i32_i24_e32 v70, v72, v138
	v_mul_i32_i24_e32 v72, v76, v142
	v_mul_i32_i24_e32 v76, v79, v144
	v_mul_i32_i24_e32 v79, v106, v147
	v_add_f32_e32 v62, v62, v42
	v_mul_i32_i24_e32 v42, v44, v126
	v_mul_i32_i24_e32 v44, v47, v127
	;; [unrolled: 1-line block ×9, first 2 shown]
	v_add3_u32 v19, v19, v42, v53
	v_mul_i32_i24_e32 v63, v67, v125
	v_mul_i32_i24_e32 v67, v69, v136
	;; [unrolled: 1-line block ×4, first 2 shown]
	v_add3_u32 v19, v19, v44, v47
	v_mul_i32_i24_e32 v73, v77, v143
	v_mul_i32_i24_e32 v77, v98, v145
	s_delay_alu instid0(VALU_DEP_3) | instskip(NEXT) | instid1(VALU_DEP_1)
	v_add3_u32 v19, v19, v51, v57
	v_add3_u32 v19, v19, v54, v55
	s_delay_alu instid0(VALU_DEP_1) | instskip(NEXT) | instid1(VALU_DEP_1)
	v_add3_u32 v19, v19, v48, v69
	v_add3_u32 v19, v19, v58, v63
	s_delay_alu instid0(VALU_DEP_1) | instskip(NEXT) | instid1(VALU_DEP_1)
	;; [unrolled: 3-line block ×6, first 2 shown]
	v_cvt_f32_i32_e32 v19, v19
	v_fma_mix_f32 v19, v20, v19, v20 op_sel:[0,0,1] op_sel_hi:[1,0,1]
	s_delay_alu instid0(VALU_DEP_1)
	v_add_f32_e32 v61, v61, v19
	ds_load_b128 v[47:50], v116 offset:2048
	ds_load_b128 v[105:108], v116 offset:2064
	ds_load_2addr_b32 v[19:20], v115 offset0:64 offset1:96
	s_waitcnt lgkmcnt(2)
	v_bfe_i32 v33, v47, 0, 8
	v_bfe_i32 v34, v47, 8, 8
	;; [unrolled: 1-line block ×3, first 2 shown]
	s_waitcnt lgkmcnt(1)
	v_bfe_i32 v45, v105, 0, 8
	v_ashrrev_i32_e32 v44, 24, v47
	v_mul_i32_i24_e32 v85, v33, v156
	v_bfe_i32 v54, v48, 0, 8
	v_mul_i32_i24_e32 v86, v34, v157
	v_mul_i32_i24_e32 v87, v42, v159
	v_bfe_i32 v47, v105, 8, 8
	v_mad_i32_i24 v85, v45, v153, v85
	v_bfe_i32 v51, v105, 16, 8
	v_mul_i32_i24_e32 v88, v44, v160
	v_mul_i32_i24_e32 v92, v54, v163
	v_ashrrev_i32_e32 v53, 24, v105
	v_add3_u32 v85, v85, v86, v87
	v_bfe_i32 v58, v106, 0, 8
	v_mul_i32_i24_e32 v89, v47, v161
	v_mul_i32_i24_e32 v90, v51, v155
	v_bfe_i32 v55, v48, 8, 8
	v_add3_u32 v85, v85, v88, v92
	v_bfe_i32 v57, v48, 16, 8
	v_mul_i32_i24_e32 v91, v53, v162
	v_mul_i32_i24_e32 v96, v58, v168
	v_ashrrev_i32_e32 v48, 24, v48
	v_add3_u32 v85, v85, v89, v90
	v_bfe_i32 v70, v49, 0, 8
	v_mul_i32_i24_e32 v93, v55, v164
	v_mul_i32_i24_e32 v94, v57, v165
	v_bfe_i32 v63, v106, 8, 8
	v_add3_u32 v85, v85, v91, v96
	;; [unrolled: 10-line block ×5, first 2 shown]
	v_bfe_i32 v80, v50, 16, 8
	v_bfe_i32 v82, v108, 8, 8
	;; [unrolled: 1-line block ×3, first 2 shown]
	v_ashrrev_i32_e32 v84, 24, v108
	v_mul_i32_i24_e32 v108, v77, v179
	v_mul_i32_i24_e32 v113, v81, v185
	v_add3_u32 v85, v85, v106, v107
	v_ashrrev_i32_e32 v50, 24, v50
	v_mul_i32_i24_e32 v110, v79, v182
	v_mul_i32_i24_e32 v111, v80, v183
	;; [unrolled: 1-line block ×3, first 2 shown]
	v_add3_u32 v85, v85, v108, v113
	v_mul_i32_i24_e32 v112, v50, v184
	v_mul_i32_i24_e32 v255, v83, v174
	;; [unrolled: 1-line block ×3, first 2 shown]
	s_waitcnt lgkmcnt(0)
	v_pk_mul_f16 v86, v152, v19
	v_add3_u32 v85, v85, v110, v111
	v_mul_i32_i24_e32 v87, v42, v192
	v_mul_i32_i24_e32 v88, v44, v193
	v_mul_i32_i24_e32 v92, v54, v196
	v_mul_i32_i24_e32 v89, v47, v194
	v_add3_u32 v85, v85, v112, v254
	v_mul_i32_i24_e32 v90, v51, v187
	v_mul_i32_i24_e32 v91, v53, v195
	v_mul_i32_i24_e32 v96, v58, v201
	v_mul_i32_i24_e32 v93, v55, v197
	;; [unrolled: 5-line block ×3, first 2 shown]
	v_cvt_f32_i32_e32 v85, v85
	v_mul_i32_i24_e32 v98, v67, v191
	v_mul_i32_i24_e32 v99, v69, v203
	;; [unrolled: 1-line block ×4, first 2 shown]
	v_fma_mix_f32 v85, v86, v85, v86 op_sel:[0,0,1] op_sel_hi:[1,0,1]
	v_mul_i32_i24_e32 v86, v34, v190
	v_mul_i32_i24_e32 v102, v72, v208
	v_mul_i32_i24_e32 v103, v49, v209
	v_mul_i32_i24_e32 v105, v75, v211
	v_add_f32_e32 v60, v60, v85
	v_mul_i32_i24_e32 v85, v33, v189
	v_mul_i32_i24_e32 v108, v78, v213
	;; [unrolled: 1-line block ×5, first 2 shown]
	v_mad_i32_i24 v85, v45, v170, v85
	v_mul_i32_i24_e32 v109, v79, v214
	v_mul_i32_i24_e32 v110, v80, v215
	;; [unrolled: 1-line block ×4, first 2 shown]
	v_add3_u32 v85, v85, v86, v87
	v_mul_i32_i24_e32 v254, v83, v207
	v_mul_i32_i24_e32 v255, v84, v220
	v_pk_mul_f16 v86, v154, v19
	v_mul_i32_i24_e32 v87, v42, v224
	v_add3_u32 v85, v85, v88, v92
	v_mul_i32_i24_e32 v88, v44, v225
	v_mul_i32_i24_e32 v42, v42, v253
	v_mul_i32_i24_e32 v44, v44, v126
	s_delay_alu instid0(VALU_DEP_4)
	v_add3_u32 v85, v85, v89, v90
	v_mul_i32_i24_e32 v89, v47, v226
	v_mul_i32_i24_e32 v90, v51, v219
	v_mul_i32_i24_e32 v47, v47, v127
	v_mul_i32_i24_e32 v51, v51, v124
	v_add3_u32 v85, v85, v91, v96
	v_mul_i32_i24_e32 v91, v53, v227
	v_mul_i32_i24_e32 v96, v58, v233
	v_mul_i32_i24_e32 v53, v53, v128
	v_mul_i32_i24_e32 v58, v58, v134
	;; [unrolled: 5-line block ×13, first 2 shown]
	v_cvt_f32_i32_e32 v85, v85
	s_delay_alu instid0(VALU_DEP_1) | instskip(SKIP_2) | instid1(VALU_DEP_3)
	v_fma_mix_f32 v85, v86, v85, v86 op_sel:[0,0,1] op_sel_hi:[1,0,1]
	v_mul_i32_i24_e32 v86, v34, v222
	v_mul_i32_i24_e32 v34, v34, v252
	v_add_f32_e32 v59, v59, v85
	v_mul_i32_i24_e32 v85, v33, v221
	v_mul_i32_i24_e32 v92, v54, v228
	;; [unrolled: 1-line block ×3, first 2 shown]
	s_delay_alu instid0(VALU_DEP_3) | instskip(NEXT) | instid1(VALU_DEP_2)
	v_mad_i32_i24 v85, v45, v204, v85
	v_mad_i32_i24 v33, v45, v123, v33
	s_delay_alu instid0(VALU_DEP_2) | instskip(SKIP_1) | instid1(VALU_DEP_3)
	v_add3_u32 v85, v85, v86, v87
	v_pk_mul_f16 v86, v180, v19
	v_add3_u32 v33, v33, v34, v42
	v_pk_mul_f16 v19, v122, v19
	s_delay_alu instid0(VALU_DEP_4) | instskip(NEXT) | instid1(VALU_DEP_1)
	v_add3_u32 v85, v85, v88, v92
	v_add3_u32 v85, v85, v89, v90
	s_delay_alu instid0(VALU_DEP_1) | instskip(NEXT) | instid1(VALU_DEP_1)
	v_add3_u32 v85, v85, v91, v96
	v_add3_u32 v85, v85, v93, v94
	s_delay_alu instid0(VALU_DEP_1) | instskip(NEXT) | instid1(VALU_DEP_1)
	;; [unrolled: 3-line block ×7, first 2 shown]
	v_cvt_f32_i32_e32 v85, v85
	v_fma_mix_f32 v85, v86, v85, v86 op_sel:[0,0,1] op_sel_hi:[1,0,1]
	s_delay_alu instid0(VALU_DEP_1) | instskip(SKIP_1) | instid1(VALU_DEP_1)
	v_add_f32_e32 v56, v56, v85
	v_mul_i32_i24_e32 v54, v54, v129
	v_add3_u32 v33, v33, v44, v54
	s_delay_alu instid0(VALU_DEP_1) | instskip(NEXT) | instid1(VALU_DEP_1)
	v_add3_u32 v33, v33, v47, v51
	v_add3_u32 v33, v33, v53, v58
	s_delay_alu instid0(VALU_DEP_1) | instskip(NEXT) | instid1(VALU_DEP_1)
	v_add3_u32 v33, v33, v55, v57
	;; [unrolled: 3-line block ×6, first 2 shown]
	v_add3_u32 v33, v33, v50, v82
	ds_load_b128 v[47:50], v116 offset:3072
	ds_load_b128 v[105:108], v116 offset:3088
	v_add3_u32 v33, v33, v83, v84
	s_delay_alu instid0(VALU_DEP_1) | instskip(NEXT) | instid1(VALU_DEP_1)
	v_cvt_f32_i32_e32 v33, v33
	v_fma_mix_f32 v19, v19, v33, v19 op_sel:[0,0,1] op_sel_hi:[1,0,1]
	s_delay_alu instid0(VALU_DEP_1)
	v_add_f32_e32 v52, v52, v19
	s_waitcnt lgkmcnt(1)
	v_bfe_i32 v19, v47, 0, 8
	v_bfe_i32 v33, v47, 8, 8
	;; [unrolled: 1-line block ×3, first 2 shown]
	s_waitcnt lgkmcnt(0)
	v_bfe_i32 v44, v105, 0, 8
	v_ashrrev_i32_e32 v42, 24, v47
	v_mul_i32_i24_e32 v84, v19, v156
	v_bfe_i32 v53, v48, 0, 8
	v_mul_i32_i24_e32 v85, v33, v157
	v_mul_i32_i24_e32 v86, v34, v159
	v_bfe_i32 v45, v105, 8, 8
	v_mad_i32_i24 v84, v44, v153, v84
	v_bfe_i32 v47, v105, 16, 8
	v_mul_i32_i24_e32 v87, v42, v160
	v_mul_i32_i24_e32 v91, v53, v163
	v_ashrrev_i32_e32 v51, 24, v105
	v_add3_u32 v84, v84, v85, v86
	v_bfe_i32 v57, v106, 0, 8
	v_mul_i32_i24_e32 v88, v45, v161
	v_mul_i32_i24_e32 v89, v47, v155
	v_bfe_i32 v54, v48, 8, 8
	v_add3_u32 v84, v84, v87, v91
	v_bfe_i32 v55, v48, 16, 8
	v_mul_i32_i24_e32 v90, v51, v162
	v_mul_i32_i24_e32 v95, v57, v168
	v_ashrrev_i32_e32 v48, 24, v48
	v_add3_u32 v84, v84, v88, v89
	v_bfe_i32 v69, v49, 0, 8
	v_mul_i32_i24_e32 v92, v54, v164
	v_mul_i32_i24_e32 v93, v55, v165
	v_bfe_i32 v58, v106, 8, 8
	v_add3_u32 v84, v84, v90, v95
	;; [unrolled: 10-line block ×4, first 2 shown]
	v_bfe_i32 v75, v107, 16, 8
	v_ashrrev_i32_e32 v76, 24, v107
	v_mul_i32_i24_e32 v102, v49, v176
	v_mul_i32_i24_e32 v107, v77, v181
	v_add3_u32 v84, v84, v100, v101
	v_bfe_i32 v80, v108, 0, 8
	v_mul_i32_i24_e32 v104, v73, v178
	v_mul_i32_i24_e32 v105, v75, v166
	v_bfe_i32 v78, v50, 8, 8
	v_add3_u32 v84, v84, v102, v107
	v_bfe_i32 v79, v50, 16, 8
	v_mul_i32_i24_e32 v106, v76, v179
	v_mul_i32_i24_e32 v111, v80, v185
	v_ashrrev_i32_e32 v50, 24, v50
	v_add3_u32 v84, v84, v104, v105
	v_bfe_i32 v81, v108, 8, 8
	v_bfe_i32 v82, v108, 16, 8
	v_ashrrev_i32_e32 v83, 24, v108
	v_mul_i32_i24_e32 v108, v78, v182
	v_mul_i32_i24_e32 v109, v79, v183
	v_add3_u32 v84, v84, v106, v111
	v_mul_i32_i24_e32 v110, v50, v184
	v_mul_i32_i24_e32 v112, v81, v186
	;; [unrolled: 1-line block ×4, first 2 shown]
	v_add3_u32 v84, v84, v108, v109
	v_pk_mul_f16 v85, v152, v20
	v_mul_i32_i24_e32 v86, v34, v192
	v_mul_i32_i24_e32 v87, v42, v193
	v_mul_i32_i24_e32 v91, v53, v196
	v_add3_u32 v84, v84, v110, v112
	v_mul_i32_i24_e32 v88, v45, v194
	v_mul_i32_i24_e32 v89, v47, v187
	;; [unrolled: 1-line block ×4, first 2 shown]
	v_add3_u32 v84, v84, v113, v254
	v_mul_i32_i24_e32 v92, v54, v197
	v_mul_i32_i24_e32 v93, v55, v198
	;; [unrolled: 1-line block ×4, first 2 shown]
	v_cvt_f32_i32_e32 v84, v84
	v_mul_i32_i24_e32 v96, v58, v202
	v_mul_i32_i24_e32 v97, v63, v191
	;; [unrolled: 1-line block ×4, first 2 shown]
	v_fma_mix_f32 v84, v85, v84, v85 op_sel:[0,0,1] op_sel_hi:[1,0,1]
	v_mul_i32_i24_e32 v85, v33, v190
	v_mul_i32_i24_e32 v100, v70, v206
	v_mul_i32_i24_e32 v101, v71, v208
	v_mul_i32_i24_e32 v102, v49, v209
	v_add_f32_e32 v46, v46, v84
	v_mul_i32_i24_e32 v84, v19, v189
	v_mul_i32_i24_e32 v107, v77, v213
	;; [unrolled: 1-line block ×5, first 2 shown]
	v_mad_i32_i24 v84, v44, v170, v84
	v_mul_i32_i24_e32 v111, v80, v217
	v_mul_i32_i24_e32 v108, v78, v214
	v_mul_i32_i24_e32 v109, v79, v215
	v_mul_i32_i24_e32 v110, v50, v216
	v_add3_u32 v84, v84, v85, v86
	v_mul_i32_i24_e32 v112, v81, v218
	v_mul_i32_i24_e32 v113, v82, v207
	;; [unrolled: 1-line block ×3, first 2 shown]
	v_pk_mul_f16 v85, v154, v20
	v_add3_u32 v84, v84, v87, v91
	v_mul_i32_i24_e32 v86, v34, v224
	v_mul_i32_i24_e32 v34, v34, v253
	v_mul_i32_i24_e32 v87, v42, v225
	v_mul_i32_i24_e32 v91, v53, v228
	v_add3_u32 v84, v84, v88, v89
	v_mul_i32_i24_e32 v42, v42, v126
	v_mul_i32_i24_e32 v53, v53, v129
	v_mul_i32_i24_e32 v88, v45, v226
	v_mul_i32_i24_e32 v89, v47, v219
	v_add3_u32 v84, v84, v90, v95
	v_mul_i32_i24_e32 v45, v45, v127
	v_mul_i32_i24_e32 v47, v47, v124
	v_mul_i32_i24_e32 v90, v51, v227
	v_mul_i32_i24_e32 v95, v57, v233
	v_add3_u32 v84, v84, v92, v93
	v_mul_i32_i24_e32 v51, v51, v128
	v_mul_i32_i24_e32 v57, v57, v134
	v_mul_i32_i24_e32 v92, v54, v229
	v_mul_i32_i24_e32 v93, v55, v230
	v_add3_u32 v84, v84, v94, v99
	v_mul_i32_i24_e32 v54, v54, v130
	v_mul_i32_i24_e32 v55, v55, v131
	v_mul_i32_i24_e32 v94, v48, v231
	v_mul_i32_i24_e32 v48, v48, v132
	v_add3_u32 v84, v84, v96, v97
	v_mul_i32_i24_e32 v96, v58, v234
	v_mul_i32_i24_e32 v97, v63, v223
	v_mul_i32_i24_e32 v58, v58, v135
	v_mul_i32_i24_e32 v63, v63, v125
	v_add3_u32 v84, v84, v98, v103
	v_mul_i32_i24_e32 v98, v67, v235
	v_mul_i32_i24_e32 v103, v72, v241
	v_mul_i32_i24_e32 v67, v67, v136
	v_mul_i32_i24_e32 v72, v72, v142
	v_add3_u32 v84, v84, v100, v101
	v_mul_i32_i24_e32 v100, v70, v237
	v_mul_i32_i24_e32 v101, v71, v239
	v_mul_i32_i24_e32 v70, v70, v138
	v_mul_i32_i24_e32 v71, v71, v140
	v_add3_u32 v84, v84, v102, v107
	v_mul_i32_i24_e32 v102, v49, v240
	v_mul_i32_i24_e32 v107, v77, v244
	v_mul_i32_i24_e32 v49, v49, v141
	v_mul_i32_i24_e32 v77, v77, v145
	v_add3_u32 v84, v84, v104, v105
	v_mul_i32_i24_e32 v104, v73, v242
	v_mul_i32_i24_e32 v105, v75, v232
	v_mul_i32_i24_e32 v73, v73, v143
	v_mul_i32_i24_e32 v75, v75, v133
	v_add3_u32 v84, v84, v106, v111
	v_mul_i32_i24_e32 v106, v76, v243
	v_mul_i32_i24_e32 v111, v80, v248
	v_mul_i32_i24_e32 v76, v76, v144
	v_mul_i32_i24_e32 v80, v80, v149
	v_add3_u32 v84, v84, v108, v109
	v_mul_i32_i24_e32 v108, v78, v245
	v_mul_i32_i24_e32 v109, v79, v246
	v_mul_i32_i24_e32 v78, v78, v146
	v_mul_i32_i24_e32 v79, v79, v147
	v_add3_u32 v84, v84, v110, v112
	v_mul_i32_i24_e32 v110, v50, v247
	v_mul_i32_i24_e32 v112, v81, v249
	v_mul_i32_i24_e32 v50, v50, v148
	v_mul_i32_i24_e32 v81, v81, v150
	v_add3_u32 v84, v84, v113, v254
	v_mul_i32_i24_e32 v113, v82, v238
	v_mul_i32_i24_e32 v254, v83, v250
	v_mul_i32_i24_e32 v82, v82, v139
	v_mul_i32_i24_e32 v83, v83, v151
	v_cvt_f32_i32_e32 v84, v84
	s_delay_alu instid0(VALU_DEP_1) | instskip(SKIP_2) | instid1(VALU_DEP_3)
	v_fma_mix_f32 v84, v85, v84, v85 op_sel:[0,0,1] op_sel_hi:[1,0,1]
	v_mul_i32_i24_e32 v85, v33, v222
	v_mul_i32_i24_e32 v33, v33, v252
	v_add_f32_e32 v43, v43, v84
	v_mul_i32_i24_e32 v84, v19, v221
	v_mul_i32_i24_e32 v19, v19, v251
	v_mul_i32_i24_e32 v99, v69, v236
	v_mul_i32_i24_e32 v69, v69, v137
	s_delay_alu instid0(VALU_DEP_4) | instskip(NEXT) | instid1(VALU_DEP_4)
	v_mad_i32_i24 v84, v44, v204, v84
	v_mad_i32_i24 v19, v44, v123, v19
	s_delay_alu instid0(VALU_DEP_2) | instskip(NEXT) | instid1(VALU_DEP_2)
	v_add3_u32 v84, v84, v85, v86
	v_add3_u32 v19, v19, v33, v34
	v_pk_mul_f16 v85, v180, v20
	v_pk_mul_f16 v20, v122, v20
	s_delay_alu instid0(VALU_DEP_4) | instskip(NEXT) | instid1(VALU_DEP_4)
	v_add3_u32 v84, v84, v87, v91
	v_add3_u32 v19, v19, v42, v53
	s_delay_alu instid0(VALU_DEP_2) | instskip(NEXT) | instid1(VALU_DEP_2)
	v_add3_u32 v84, v84, v88, v89
	v_add3_u32 v19, v19, v45, v47
	s_delay_alu instid0(VALU_DEP_2) | instskip(NEXT) | instid1(VALU_DEP_2)
	v_add3_u32 v84, v84, v90, v95
	v_add3_u32 v19, v19, v51, v57
	s_delay_alu instid0(VALU_DEP_2) | instskip(NEXT) | instid1(VALU_DEP_2)
	v_add3_u32 v84, v84, v92, v93
	v_add3_u32 v19, v19, v54, v55
	s_delay_alu instid0(VALU_DEP_2) | instskip(NEXT) | instid1(VALU_DEP_2)
	v_add3_u32 v84, v84, v94, v99
	v_add3_u32 v19, v19, v48, v69
	s_delay_alu instid0(VALU_DEP_2) | instskip(NEXT) | instid1(VALU_DEP_2)
	v_add3_u32 v84, v84, v96, v97
	v_add3_u32 v19, v19, v58, v63
	s_delay_alu instid0(VALU_DEP_2) | instskip(NEXT) | instid1(VALU_DEP_2)
	v_add3_u32 v84, v84, v98, v103
	v_add3_u32 v19, v19, v67, v72
	s_delay_alu instid0(VALU_DEP_2) | instskip(NEXT) | instid1(VALU_DEP_2)
	v_add3_u32 v84, v84, v100, v101
	v_add3_u32 v19, v19, v70, v71
	s_delay_alu instid0(VALU_DEP_2) | instskip(NEXT) | instid1(VALU_DEP_2)
	v_add3_u32 v84, v84, v102, v107
	v_add3_u32 v19, v19, v49, v77
	s_delay_alu instid0(VALU_DEP_2) | instskip(NEXT) | instid1(VALU_DEP_2)
	v_add3_u32 v84, v84, v104, v105
	v_add3_u32 v19, v19, v73, v75
	s_delay_alu instid0(VALU_DEP_2) | instskip(NEXT) | instid1(VALU_DEP_2)
	v_add3_u32 v84, v84, v106, v111
	v_add3_u32 v19, v19, v76, v80
	s_delay_alu instid0(VALU_DEP_2) | instskip(NEXT) | instid1(VALU_DEP_2)
	v_add3_u32 v84, v84, v108, v109
	v_add3_u32 v19, v19, v78, v79
	s_delay_alu instid0(VALU_DEP_2) | instskip(NEXT) | instid1(VALU_DEP_2)
	v_add3_u32 v84, v84, v110, v112
	v_add3_u32 v19, v19, v50, v81
	s_delay_alu instid0(VALU_DEP_2) | instskip(NEXT) | instid1(VALU_DEP_2)
	v_add3_u32 v84, v84, v113, v254
	v_add3_u32 v19, v19, v82, v83
	s_delay_alu instid0(VALU_DEP_2) | instskip(NEXT) | instid1(VALU_DEP_2)
	v_cvt_f32_i32_e32 v84, v84
	v_cvt_f32_i32_e32 v19, v19
	s_delay_alu instid0(VALU_DEP_2) | instskip(NEXT) | instid1(VALU_DEP_2)
	v_fma_mix_f32 v84, v85, v84, v85 op_sel:[0,0,1] op_sel_hi:[1,0,1]
	v_fma_mix_f32 v19, v20, v19, v20 op_sel:[0,0,1] op_sel_hi:[1,0,1]
	s_delay_alu instid0(VALU_DEP_1)
	v_dual_add_f32 v41, v41, v84 :: v_dual_add_f32 v40, v40, v19
	ds_load_b128 v[47:50], v116 offset:4096
	ds_load_b128 v[105:108], v116 offset:4112
	ds_load_2addr_b32 v[19:20], v115 offset0:128 offset1:160
	s_waitcnt lgkmcnt(2)
	v_bfe_i32 v33, v47, 0, 8
	v_bfe_i32 v34, v47, 8, 8
	;; [unrolled: 1-line block ×3, first 2 shown]
	s_waitcnt lgkmcnt(1)
	v_bfe_i32 v45, v105, 0, 8
	v_ashrrev_i32_e32 v44, 24, v47
	v_mul_i32_i24_e32 v85, v33, v156
	v_bfe_i32 v54, v48, 0, 8
	v_mul_i32_i24_e32 v86, v34, v157
	v_mul_i32_i24_e32 v87, v42, v159
	v_bfe_i32 v47, v105, 8, 8
	v_mad_i32_i24 v85, v45, v153, v85
	v_bfe_i32 v51, v105, 16, 8
	v_mul_i32_i24_e32 v88, v44, v160
	v_mul_i32_i24_e32 v92, v54, v163
	v_ashrrev_i32_e32 v53, 24, v105
	v_add3_u32 v85, v85, v86, v87
	v_bfe_i32 v58, v106, 0, 8
	v_mul_i32_i24_e32 v89, v47, v161
	v_mul_i32_i24_e32 v90, v51, v155
	v_bfe_i32 v55, v48, 8, 8
	v_add3_u32 v85, v85, v88, v92
	v_bfe_i32 v57, v48, 16, 8
	v_mul_i32_i24_e32 v91, v53, v162
	v_mul_i32_i24_e32 v96, v58, v168
	v_ashrrev_i32_e32 v48, 24, v48
	v_add3_u32 v85, v85, v89, v90
	v_bfe_i32 v70, v49, 0, 8
	v_mul_i32_i24_e32 v93, v55, v164
	v_mul_i32_i24_e32 v94, v57, v165
	v_bfe_i32 v63, v106, 8, 8
	v_add3_u32 v85, v85, v91, v96
	;; [unrolled: 10-line block ×4, first 2 shown]
	v_bfe_i32 v76, v107, 16, 8
	v_bfe_i32 v81, v108, 0, 8
	;; [unrolled: 1-line block ×4, first 2 shown]
	v_ashrrev_i32_e32 v84, 24, v108
	v_mul_i32_i24_e32 v103, v49, v176
	v_mul_i32_i24_e32 v108, v78, v181
	v_add3_u32 v85, v85, v101, v102
	v_ashrrev_i32_e32 v77, 24, v107
	v_mul_i32_i24_e32 v105, v75, v178
	v_mul_i32_i24_e32 v106, v76, v166
	v_bfe_i32 v79, v50, 8, 8
	v_add3_u32 v85, v85, v103, v108
	v_bfe_i32 v80, v50, 16, 8
	v_mul_i32_i24_e32 v107, v77, v179
	v_mul_i32_i24_e32 v112, v81, v185
	v_ashrrev_i32_e32 v50, 24, v50
	v_add3_u32 v85, v85, v105, v106
	v_mul_i32_i24_e32 v109, v79, v182
	v_mul_i32_i24_e32 v110, v80, v183
	;; [unrolled: 1-line block ×4, first 2 shown]
	v_add3_u32 v85, v85, v107, v112
	v_mul_i32_i24_e32 v254, v83, v174
	v_mul_i32_i24_e32 v255, v84, v188
	s_waitcnt lgkmcnt(0)
	v_pk_mul_f16 v86, v152, v19
	v_mul_i32_i24_e32 v87, v42, v192
	v_add3_u32 v85, v85, v109, v110
	v_mul_i32_i24_e32 v88, v44, v193
	v_mul_i32_i24_e32 v92, v54, v196
	v_mul_i32_i24_e32 v89, v47, v194
	v_mul_i32_i24_e32 v90, v51, v187
	v_add3_u32 v85, v85, v111, v113
	v_mul_i32_i24_e32 v91, v53, v195
	v_mul_i32_i24_e32 v96, v58, v201
	v_mul_i32_i24_e32 v93, v55, v197
	;; [unrolled: 5-line block ×3, first 2 shown]
	v_mul_i32_i24_e32 v98, v67, v191
	v_cvt_f32_i32_e32 v85, v85
	v_mul_i32_i24_e32 v99, v69, v203
	v_mul_i32_i24_e32 v104, v73, v210
	;; [unrolled: 1-line block ×4, first 2 shown]
	v_fma_mix_f32 v85, v86, v85, v86 op_sel:[0,0,1] op_sel_hi:[1,0,1]
	v_mul_i32_i24_e32 v86, v34, v190
	v_mul_i32_i24_e32 v103, v49, v209
	;; [unrolled: 1-line block ×4, first 2 shown]
	v_add_f32_e32 v39, v39, v85
	v_mul_i32_i24_e32 v85, v33, v189
	v_mul_i32_i24_e32 v106, v76, v200
	;; [unrolled: 1-line block ×5, first 2 shown]
	v_mad_i32_i24 v85, v45, v170, v85
	v_mul_i32_i24_e32 v110, v80, v215
	v_mul_i32_i24_e32 v111, v50, v216
	;; [unrolled: 1-line block ×4, first 2 shown]
	v_add3_u32 v85, v85, v86, v87
	v_mul_i32_i24_e32 v255, v84, v220
	v_pk_mul_f16 v86, v154, v19
	v_mul_i32_i24_e32 v87, v42, v224
	v_mul_i32_i24_e32 v42, v42, v253
	v_add3_u32 v85, v85, v88, v92
	v_mul_i32_i24_e32 v88, v44, v225
	v_mul_i32_i24_e32 v92, v54, v228
	v_mul_i32_i24_e32 v44, v44, v126
	v_mul_i32_i24_e32 v54, v54, v129
	v_add3_u32 v85, v85, v89, v90
	v_mul_i32_i24_e32 v89, v47, v226
	v_mul_i32_i24_e32 v90, v51, v219
	;; [unrolled: 5-line block ×9, first 2 shown]
	v_mul_i32_i24_e32 v49, v49, v141
	s_delay_alu instid0(VALU_DEP_4)
	v_add3_u32 v85, v85, v105, v106
	v_mul_i32_i24_e32 v105, v75, v242
	v_mul_i32_i24_e32 v106, v76, v232
	v_mul_i32_i24_e32 v75, v75, v143
	v_mul_i32_i24_e32 v76, v76, v133
	v_add3_u32 v85, v85, v107, v112
	v_mul_i32_i24_e32 v107, v77, v243
	v_mul_i32_i24_e32 v112, v81, v248
	v_mul_i32_i24_e32 v77, v77, v144
	v_mul_i32_i24_e32 v81, v81, v149
	;; [unrolled: 5-line block ×5, first 2 shown]
	v_cvt_f32_i32_e32 v85, v85
	s_delay_alu instid0(VALU_DEP_1) | instskip(SKIP_2) | instid1(VALU_DEP_3)
	v_fma_mix_f32 v85, v86, v85, v86 op_sel:[0,0,1] op_sel_hi:[1,0,1]
	v_mul_i32_i24_e32 v86, v34, v222
	v_mul_i32_i24_e32 v34, v34, v252
	v_add_f32_e32 v38, v38, v85
	v_mul_i32_i24_e32 v85, v33, v221
	v_mul_i32_i24_e32 v33, v33, v251
	;; [unrolled: 1-line block ×3, first 2 shown]
	s_delay_alu instid0(VALU_DEP_3) | instskip(NEXT) | instid1(VALU_DEP_3)
	v_mad_i32_i24 v85, v45, v204, v85
	v_mad_i32_i24 v33, v45, v123, v33
	s_delay_alu instid0(VALU_DEP_2) | instskip(NEXT) | instid1(VALU_DEP_2)
	v_add3_u32 v85, v85, v86, v87
	v_add3_u32 v33, v33, v34, v42
	v_pk_mul_f16 v86, v180, v19
	v_pk_mul_f16 v19, v122, v19
	s_delay_alu instid0(VALU_DEP_4) | instskip(NEXT) | instid1(VALU_DEP_4)
	v_add3_u32 v85, v85, v88, v92
	v_add3_u32 v33, v33, v44, v54
	s_delay_alu instid0(VALU_DEP_2) | instskip(NEXT) | instid1(VALU_DEP_2)
	v_add3_u32 v85, v85, v89, v90
	v_add3_u32 v33, v33, v47, v51
	s_delay_alu instid0(VALU_DEP_2) | instskip(NEXT) | instid1(VALU_DEP_2)
	;; [unrolled: 3-line block ×12, first 2 shown]
	v_add3_u32 v85, v85, v111, v113
	v_add3_u32 v33, v33, v50, v82
	ds_load_b128 v[47:50], v116 offset:5120
	ds_load_b128 v[105:108], v116 offset:5136
	v_add3_u32 v85, v85, v254, v255
	v_add3_u32 v33, v33, v83, v84
	s_delay_alu instid0(VALU_DEP_2) | instskip(NEXT) | instid1(VALU_DEP_2)
	v_cvt_f32_i32_e32 v85, v85
	v_cvt_f32_i32_e32 v33, v33
	s_delay_alu instid0(VALU_DEP_2) | instskip(NEXT) | instid1(VALU_DEP_2)
	v_fma_mix_f32 v85, v86, v85, v86 op_sel:[0,0,1] op_sel_hi:[1,0,1]
	v_fma_mix_f32 v19, v19, v33, v19 op_sel:[0,0,1] op_sel_hi:[1,0,1]
	s_delay_alu instid0(VALU_DEP_1)
	v_dual_add_f32 v37, v37, v85 :: v_dual_add_f32 v36, v36, v19
	s_waitcnt lgkmcnt(1)
	v_bfe_i32 v19, v47, 0, 8
	v_bfe_i32 v33, v47, 8, 8
	;; [unrolled: 1-line block ×3, first 2 shown]
	s_waitcnt lgkmcnt(0)
	v_bfe_i32 v44, v105, 0, 8
	v_ashrrev_i32_e32 v42, 24, v47
	v_mul_i32_i24_e32 v84, v19, v156
	v_bfe_i32 v53, v48, 0, 8
	v_mul_i32_i24_e32 v85, v33, v157
	v_mul_i32_i24_e32 v86, v34, v159
	v_bfe_i32 v45, v105, 8, 8
	v_mad_i32_i24 v84, v44, v153, v84
	v_bfe_i32 v47, v105, 16, 8
	v_mul_i32_i24_e32 v87, v42, v160
	v_mul_i32_i24_e32 v91, v53, v163
	v_ashrrev_i32_e32 v51, 24, v105
	v_add3_u32 v84, v84, v85, v86
	v_bfe_i32 v57, v106, 0, 8
	v_mul_i32_i24_e32 v88, v45, v161
	v_mul_i32_i24_e32 v89, v47, v155
	v_bfe_i32 v54, v48, 8, 8
	v_add3_u32 v84, v84, v87, v91
	v_bfe_i32 v55, v48, 16, 8
	v_mul_i32_i24_e32 v90, v51, v162
	v_mul_i32_i24_e32 v95, v57, v168
	v_ashrrev_i32_e32 v48, 24, v48
	v_add3_u32 v84, v84, v88, v89
	v_bfe_i32 v69, v49, 0, 8
	v_mul_i32_i24_e32 v92, v54, v164
	v_mul_i32_i24_e32 v93, v55, v165
	v_bfe_i32 v58, v106, 8, 8
	v_add3_u32 v84, v84, v90, v95
	;; [unrolled: 10-line block ×4, first 2 shown]
	v_bfe_i32 v75, v107, 16, 8
	v_ashrrev_i32_e32 v76, 24, v107
	v_mul_i32_i24_e32 v102, v49, v176
	v_mul_i32_i24_e32 v107, v77, v181
	v_add3_u32 v84, v84, v100, v101
	v_bfe_i32 v80, v108, 0, 8
	v_mul_i32_i24_e32 v104, v73, v178
	v_mul_i32_i24_e32 v105, v75, v166
	v_bfe_i32 v78, v50, 8, 8
	v_add3_u32 v84, v84, v102, v107
	v_bfe_i32 v79, v50, 16, 8
	v_mul_i32_i24_e32 v106, v76, v179
	v_mul_i32_i24_e32 v111, v80, v185
	v_ashrrev_i32_e32 v50, 24, v50
	v_add3_u32 v84, v84, v104, v105
	v_bfe_i32 v81, v108, 8, 8
	v_bfe_i32 v82, v108, 16, 8
	v_ashrrev_i32_e32 v83, 24, v108
	v_mul_i32_i24_e32 v108, v78, v182
	v_mul_i32_i24_e32 v109, v79, v183
	v_add3_u32 v84, v84, v106, v111
	v_mul_i32_i24_e32 v110, v50, v184
	v_mul_i32_i24_e32 v112, v81, v186
	;; [unrolled: 1-line block ×4, first 2 shown]
	v_add3_u32 v84, v84, v108, v109
	v_pk_mul_f16 v85, v152, v20
	v_mul_i32_i24_e32 v86, v34, v192
	v_mul_i32_i24_e32 v87, v42, v193
	;; [unrolled: 1-line block ×3, first 2 shown]
	v_add3_u32 v84, v84, v110, v112
	v_mul_i32_i24_e32 v88, v45, v194
	v_mul_i32_i24_e32 v89, v47, v187
	;; [unrolled: 1-line block ×4, first 2 shown]
	v_add3_u32 v84, v84, v113, v254
	v_mul_i32_i24_e32 v92, v54, v197
	v_mul_i32_i24_e32 v93, v55, v198
	;; [unrolled: 1-line block ×4, first 2 shown]
	v_cvt_f32_i32_e32 v84, v84
	v_mul_i32_i24_e32 v96, v58, v202
	v_mul_i32_i24_e32 v97, v63, v191
	;; [unrolled: 1-line block ×4, first 2 shown]
	v_fma_mix_f32 v84, v85, v84, v85 op_sel:[0,0,1] op_sel_hi:[1,0,1]
	v_mul_i32_i24_e32 v85, v33, v190
	v_mul_i32_i24_e32 v100, v70, v206
	;; [unrolled: 1-line block ×4, first 2 shown]
	v_add_f32_e32 v32, v32, v84
	v_mul_i32_i24_e32 v84, v19, v189
	v_mul_i32_i24_e32 v107, v77, v213
	;; [unrolled: 1-line block ×5, first 2 shown]
	v_mad_i32_i24 v84, v44, v170, v84
	v_mul_i32_i24_e32 v111, v80, v217
	v_mul_i32_i24_e32 v108, v78, v214
	;; [unrolled: 1-line block ×4, first 2 shown]
	v_add3_u32 v84, v84, v85, v86
	v_mul_i32_i24_e32 v112, v81, v218
	v_mul_i32_i24_e32 v113, v82, v207
	;; [unrolled: 1-line block ×3, first 2 shown]
	v_pk_mul_f16 v85, v154, v20
	v_add3_u32 v84, v84, v87, v91
	v_mul_i32_i24_e32 v86, v34, v224
	v_mul_i32_i24_e32 v87, v42, v225
	v_mul_i32_i24_e32 v91, v53, v228
	v_mul_i32_i24_e32 v34, v34, v253
	v_add3_u32 v84, v84, v88, v89
	v_mul_i32_i24_e32 v88, v45, v226
	v_mul_i32_i24_e32 v89, v47, v219
	v_mul_i32_i24_e32 v42, v42, v126
	v_mul_i32_i24_e32 v53, v53, v129
	;; [unrolled: 5-line block ×14, first 2 shown]
	v_cvt_f32_i32_e32 v84, v84
	v_mul_i32_i24_e32 v82, v82, v139
	v_mul_i32_i24_e32 v83, v83, v151
	s_delay_alu instid0(VALU_DEP_3) | instskip(SKIP_2) | instid1(VALU_DEP_3)
	v_fma_mix_f32 v84, v85, v84, v85 op_sel:[0,0,1] op_sel_hi:[1,0,1]
	v_mul_i32_i24_e32 v85, v33, v222
	v_mul_i32_i24_e32 v33, v33, v252
	v_add_f32_e32 v31, v31, v84
	v_mul_i32_i24_e32 v84, v19, v221
	s_delay_alu instid0(VALU_DEP_1) | instskip(NEXT) | instid1(VALU_DEP_1)
	v_mad_i32_i24 v84, v44, v204, v84
	v_add3_u32 v84, v84, v85, v86
	v_pk_mul_f16 v85, v180, v20
	v_pk_mul_f16 v20, v122, v20
	s_delay_alu instid0(VALU_DEP_3) | instskip(NEXT) | instid1(VALU_DEP_1)
	v_add3_u32 v84, v84, v87, v91
	v_add3_u32 v84, v84, v88, v89
	s_delay_alu instid0(VALU_DEP_1) | instskip(NEXT) | instid1(VALU_DEP_1)
	v_add3_u32 v84, v84, v90, v95
	v_add3_u32 v84, v84, v92, v93
	s_delay_alu instid0(VALU_DEP_1) | instskip(NEXT) | instid1(VALU_DEP_1)
	;; [unrolled: 3-line block ×7, first 2 shown]
	v_cvt_f32_i32_e32 v84, v84
	v_fma_mix_f32 v84, v85, v84, v85 op_sel:[0,0,1] op_sel_hi:[1,0,1]
	s_delay_alu instid0(VALU_DEP_1) | instskip(SKIP_1) | instid1(VALU_DEP_1)
	v_add_f32_e32 v30, v30, v84
	v_mul_i32_i24_e32 v19, v19, v251
	v_mad_i32_i24 v19, v44, v123, v19
	s_delay_alu instid0(VALU_DEP_1) | instskip(NEXT) | instid1(VALU_DEP_1)
	v_add3_u32 v19, v19, v33, v34
	v_add3_u32 v19, v19, v42, v53
	s_delay_alu instid0(VALU_DEP_1) | instskip(NEXT) | instid1(VALU_DEP_1)
	v_add3_u32 v19, v19, v45, v47
	v_add3_u32 v19, v19, v51, v57
	;; [unrolled: 3-line block ×7, first 2 shown]
	s_delay_alu instid0(VALU_DEP_1) | instskip(NEXT) | instid1(VALU_DEP_1)
	v_add3_u32 v19, v19, v82, v83
	v_cvt_f32_i32_e32 v19, v19
	s_delay_alu instid0(VALU_DEP_1) | instskip(NEXT) | instid1(VALU_DEP_1)
	v_fma_mix_f32 v19, v20, v19, v20 op_sel:[0,0,1] op_sel_hi:[1,0,1]
	v_add_f32_e32 v29, v29, v19
	ds_load_b128 v[47:50], v116 offset:6144
	ds_load_b128 v[105:108], v116 offset:6160
	ds_load_2addr_b32 v[19:20], v115 offset0:192 offset1:224
	v_add_nc_u32_e32 v115, 4, v115
	s_waitcnt lgkmcnt(2)
	v_bfe_i32 v33, v47, 0, 8
	v_bfe_i32 v34, v47, 8, 8
	;; [unrolled: 1-line block ×3, first 2 shown]
	s_waitcnt lgkmcnt(1)
	v_bfe_i32 v45, v105, 0, 8
	v_ashrrev_i32_e32 v44, 24, v47
	v_mul_i32_i24_e32 v85, v33, v156
	v_bfe_i32 v54, v48, 0, 8
	v_mul_i32_i24_e32 v86, v34, v157
	v_mul_i32_i24_e32 v87, v42, v159
	v_bfe_i32 v47, v105, 8, 8
	v_mad_i32_i24 v85, v45, v153, v85
	v_bfe_i32 v51, v105, 16, 8
	v_mul_i32_i24_e32 v88, v44, v160
	v_mul_i32_i24_e32 v92, v54, v163
	v_ashrrev_i32_e32 v53, 24, v105
	v_add3_u32 v85, v85, v86, v87
	v_bfe_i32 v58, v106, 0, 8
	v_mul_i32_i24_e32 v89, v47, v161
	v_mul_i32_i24_e32 v90, v51, v155
	v_bfe_i32 v55, v48, 8, 8
	v_add3_u32 v85, v85, v88, v92
	v_bfe_i32 v57, v48, 16, 8
	v_mul_i32_i24_e32 v91, v53, v162
	v_mul_i32_i24_e32 v96, v58, v168
	v_ashrrev_i32_e32 v48, 24, v48
	v_add3_u32 v85, v85, v89, v90
	v_bfe_i32 v70, v49, 0, 8
	v_mul_i32_i24_e32 v93, v55, v164
	v_mul_i32_i24_e32 v94, v57, v165
	v_bfe_i32 v63, v106, 8, 8
	v_add3_u32 v85, v85, v91, v96
	;; [unrolled: 10-line block ×4, first 2 shown]
	v_bfe_i32 v76, v107, 16, 8
	v_bfe_i32 v81, v108, 0, 8
	;; [unrolled: 1-line block ×4, first 2 shown]
	v_ashrrev_i32_e32 v84, 24, v108
	v_mul_i32_i24_e32 v103, v49, v176
	v_mul_i32_i24_e32 v108, v78, v181
	v_add3_u32 v85, v85, v101, v102
	v_ashrrev_i32_e32 v77, 24, v107
	v_mul_i32_i24_e32 v105, v75, v178
	v_mul_i32_i24_e32 v106, v76, v166
	v_bfe_i32 v79, v50, 8, 8
	v_add3_u32 v85, v85, v103, v108
	v_bfe_i32 v80, v50, 16, 8
	v_mul_i32_i24_e32 v107, v77, v179
	v_mul_i32_i24_e32 v112, v81, v185
	v_ashrrev_i32_e32 v50, 24, v50
	v_add3_u32 v85, v85, v105, v106
	v_mul_i32_i24_e32 v109, v79, v182
	v_mul_i32_i24_e32 v110, v80, v183
	;; [unrolled: 1-line block ×4, first 2 shown]
	v_add3_u32 v85, v85, v107, v112
	v_mul_i32_i24_e32 v254, v83, v174
	v_mul_i32_i24_e32 v255, v84, v188
	s_waitcnt lgkmcnt(0)
	v_pk_mul_f16 v86, v152, v19
	v_mul_i32_i24_e32 v87, v42, v192
	v_add3_u32 v85, v85, v109, v110
	v_mul_i32_i24_e32 v88, v44, v193
	v_mul_i32_i24_e32 v92, v54, v196
	v_mul_i32_i24_e32 v89, v47, v194
	v_mul_i32_i24_e32 v90, v51, v187
	v_add3_u32 v85, v85, v111, v113
	v_mul_i32_i24_e32 v91, v53, v195
	v_mul_i32_i24_e32 v96, v58, v201
	v_mul_i32_i24_e32 v93, v55, v197
	;; [unrolled: 5-line block ×3, first 2 shown]
	v_mul_i32_i24_e32 v98, v67, v191
	v_cvt_f32_i32_e32 v85, v85
	v_mul_i32_i24_e32 v99, v69, v203
	v_mul_i32_i24_e32 v104, v73, v210
	;; [unrolled: 1-line block ×4, first 2 shown]
	v_fma_mix_f32 v85, v86, v85, v86 op_sel:[0,0,1] op_sel_hi:[1,0,1]
	v_mul_i32_i24_e32 v86, v34, v190
	v_mul_i32_i24_e32 v103, v49, v209
	v_mul_i32_i24_e32 v108, v78, v213
	v_mul_i32_i24_e32 v105, v75, v211
	v_add_f32_e32 v28, v28, v85
	v_mul_i32_i24_e32 v85, v33, v189
	v_mul_i32_i24_e32 v106, v76, v200
	;; [unrolled: 1-line block ×5, first 2 shown]
	v_mad_i32_i24 v85, v45, v170, v85
	v_mul_i32_i24_e32 v110, v80, v215
	v_mul_i32_i24_e32 v111, v50, v216
	;; [unrolled: 1-line block ×4, first 2 shown]
	v_add3_u32 v85, v85, v86, v87
	v_mul_i32_i24_e32 v255, v84, v220
	v_pk_mul_f16 v86, v154, v19
	v_mul_i32_i24_e32 v87, v42, v224
	v_mul_i32_i24_e32 v42, v42, v253
	v_add3_u32 v85, v85, v88, v92
	v_mul_i32_i24_e32 v88, v44, v225
	v_mul_i32_i24_e32 v92, v54, v228
	v_mul_i32_i24_e32 v44, v44, v126
	v_mul_i32_i24_e32 v54, v54, v129
	v_add3_u32 v85, v85, v89, v90
	v_mul_i32_i24_e32 v89, v47, v226
	v_mul_i32_i24_e32 v90, v51, v219
	;; [unrolled: 5-line block ×14, first 2 shown]
	v_mul_i32_i24_e32 v83, v83, v139
	v_mul_i32_i24_e32 v84, v84, v151
	v_cvt_f32_i32_e32 v85, v85
	s_delay_alu instid0(VALU_DEP_1) | instskip(SKIP_2) | instid1(VALU_DEP_3)
	v_fma_mix_f32 v85, v86, v85, v86 op_sel:[0,0,1] op_sel_hi:[1,0,1]
	v_mul_i32_i24_e32 v86, v34, v222
	v_mul_i32_i24_e32 v34, v34, v252
	v_add_f32_e32 v27, v27, v85
	v_mul_i32_i24_e32 v85, v33, v221
	v_mul_i32_i24_e32 v33, v33, v251
	s_delay_alu instid0(VALU_DEP_2) | instskip(NEXT) | instid1(VALU_DEP_2)
	v_mad_i32_i24 v85, v45, v204, v85
	v_mad_i32_i24 v33, v45, v123, v33
	s_delay_alu instid0(VALU_DEP_2) | instskip(NEXT) | instid1(VALU_DEP_2)
	v_add3_u32 v85, v85, v86, v87
	v_add3_u32 v33, v33, v34, v42
	v_pk_mul_f16 v86, v180, v19
	v_pk_mul_f16 v19, v122, v19
	s_delay_alu instid0(VALU_DEP_4) | instskip(NEXT) | instid1(VALU_DEP_4)
	v_add3_u32 v85, v85, v88, v92
	v_add3_u32 v33, v33, v44, v54
	s_delay_alu instid0(VALU_DEP_2) | instskip(NEXT) | instid1(VALU_DEP_2)
	v_add3_u32 v85, v85, v89, v90
	v_add3_u32 v33, v33, v47, v51
	s_delay_alu instid0(VALU_DEP_2) | instskip(NEXT) | instid1(VALU_DEP_2)
	;; [unrolled: 3-line block ×11, first 2 shown]
	v_add3_u32 v85, v85, v109, v110
	v_add3_u32 v33, v33, v79, v80
	s_delay_alu instid0(VALU_DEP_2)
	v_add3_u32 v85, v85, v111, v113
	ds_load_b128 v[76:79], v116 offset:7168
	ds_load_b128 v[110:113], v116 offset:7184
	v_add_nc_u32_e32 v116, 32, v116
	v_add3_u32 v33, v33, v50, v82
	v_add3_u32 v85, v85, v254, v255
	s_delay_alu instid0(VALU_DEP_2) | instskip(NEXT) | instid1(VALU_DEP_2)
	v_add3_u32 v33, v33, v83, v84
	v_cvt_f32_i32_e32 v85, v85
	s_delay_alu instid0(VALU_DEP_2) | instskip(NEXT) | instid1(VALU_DEP_2)
	v_cvt_f32_i32_e32 v33, v33
	v_fma_mix_f32 v85, v86, v85, v86 op_sel:[0,0,1] op_sel_hi:[1,0,1]
	s_delay_alu instid0(VALU_DEP_2)
	v_fma_mix_f32 v19, v19, v33, v19 op_sel:[0,0,1] op_sel_hi:[1,0,1]
	s_waitcnt lgkmcnt(1)
	v_bfe_i32 v42, v76, 0, 8
	v_bfe_i32 v70, v76, 8, 8
	;; [unrolled: 1-line block ×3, first 2 shown]
	v_add_f32_e32 v25, v25, v19
	v_ashrrev_i32_e32 v254, 24, v76
	s_waitcnt lgkmcnt(0)
	v_bfe_i32 v19, v110, 0, 8
	v_mul_i32_i24_e32 v76, v42, v156
	v_bfe_i32 v105, v77, 0, 8
	v_bfe_i32 v106, v77, 8, 8
	;; [unrolled: 1-line block ×3, first 2 shown]
	v_ashrrev_i32_e32 v108, 24, v77
	v_bfe_i32 v47, v78, 0, 8
	v_bfe_i32 v48, v78, 8, 8
	;; [unrolled: 1-line block ×3, first 2 shown]
	v_ashrrev_i32_e32 v50, 24, v78
	v_mul_i32_i24_e32 v77, v70, v157
	v_mul_i32_i24_e32 v78, v75, v159
	v_mad_i32_i24 v76, v19, v153, v76
	v_bfe_i32 v255, v110, 8, 8
	v_bfe_i32 v34, v110, 16, 8
	;; [unrolled: 1-line block ×5, first 2 shown]
	v_ashrrev_i32_e32 v67, 24, v79
	v_mul_i32_i24_e32 v79, v254, v160
	v_mul_i32_i24_e32 v83, v105, v163
	v_add3_u32 v76, v76, v77, v78
	v_ashrrev_i32_e32 v98, 24, v110
	v_bfe_i32 v109, v111, 0, 8
	v_mul_i32_i24_e32 v80, v255, v161
	v_mul_i32_i24_e32 v81, v34, v155
	v_add3_u32 v76, v76, v79, v83
	v_mul_i32_i24_e32 v82, v98, v162
	v_mul_i32_i24_e32 v87, v109, v168
	v_add_f32_e32 v26, v26, v85
	v_mul_i32_i24_e32 v84, v106, v164
	v_add3_u32 v76, v76, v80, v81
	v_mul_i32_i24_e32 v85, v107, v165
	v_bfe_i32 v33, v111, 8, 8
	v_bfe_i32 v44, v111, 16, 8
	v_mul_i32_i24_e32 v86, v108, v167
	v_add3_u32 v76, v76, v82, v87
	v_mul_i32_i24_e32 v91, v47, v172
	v_ashrrev_i32_e32 v45, 24, v111
	v_bfe_i32 v51, v112, 0, 8
	v_mul_i32_i24_e32 v88, v33, v169
	v_add3_u32 v76, v76, v84, v85
	v_mul_i32_i24_e32 v89, v44, v158
	v_mul_i32_i24_e32 v90, v45, v171
	;; [unrolled: 1-line block ×4, first 2 shown]
	v_add3_u32 v76, v76, v86, v91
	v_mul_i32_i24_e32 v93, v49, v175
	v_bfe_i32 v53, v112, 8, 8
	v_bfe_i32 v54, v112, 16, 8
	v_mul_i32_i24_e32 v94, v50, v176
	v_add3_u32 v76, v76, v88, v89
	v_mul_i32_i24_e32 v100, v57, v181
	v_ashrrev_i32_e32 v55, 24, v112
	v_bfe_i32 v69, v113, 0, 8
	v_mul_i32_i24_e32 v96, v53, v178
	v_add3_u32 v76, v76, v90, v95
	v_mul_i32_i24_e32 v97, v54, v166
	v_mul_i32_i24_e32 v99, v55, v179
	;; [unrolled: 1-line block ×3, first 2 shown]
	v_bfe_i32 v71, v113, 8, 8
	v_add3_u32 v76, v76, v92, v93
	v_mul_i32_i24_e32 v101, v58, v182
	v_mul_i32_i24_e32 v102, v63, v183
	v_bfe_i32 v72, v113, 16, 8
	v_ashrrev_i32_e32 v73, 24, v113
	v_add3_u32 v76, v76, v94, v100
	v_mul_i32_i24_e32 v103, v67, v184
	v_mul_i32_i24_e32 v110, v71, v186
	;; [unrolled: 1-line block ×4, first 2 shown]
	v_add3_u32 v76, v76, v96, v97
	v_pk_mul_f16 v77, v152, v20
	v_mul_i32_i24_e32 v78, v75, v192
	v_mul_i32_i24_e32 v79, v254, v193
	v_mul_i32_i24_e32 v83, v105, v196
	v_add3_u32 v76, v76, v99, v104
	v_mul_i32_i24_e32 v80, v255, v194
	v_mul_i32_i24_e32 v81, v34, v187
	v_mul_i32_i24_e32 v82, v98, v195
	v_mul_i32_i24_e32 v87, v109, v201
	v_add3_u32 v76, v76, v101, v102
	v_mul_i32_i24_e32 v84, v106, v197
	;; [unrolled: 5-line block ×4, first 2 shown]
	v_mul_i32_i24_e32 v93, v49, v208
	v_mul_i32_i24_e32 v94, v50, v209
	;; [unrolled: 1-line block ×3, first 2 shown]
	v_cvt_f32_i32_e32 v76, v76
	v_mul_i32_i24_e32 v96, v53, v211
	v_mul_i32_i24_e32 v97, v54, v200
	;; [unrolled: 1-line block ×4, first 2 shown]
	v_fma_mix_f32 v76, v77, v76, v77 op_sel:[0,0,1] op_sel_hi:[1,0,1]
	v_mul_i32_i24_e32 v77, v70, v190
	v_mul_i32_i24_e32 v101, v58, v214
	;; [unrolled: 1-line block ×4, first 2 shown]
	v_add_f32_e32 v24, v24, v76
	v_mul_i32_i24_e32 v76, v42, v189
	v_mul_i32_i24_e32 v110, v71, v218
	;; [unrolled: 1-line block ×5, first 2 shown]
	v_mad_i32_i24 v76, v19, v170, v76
	v_mul_i32_i24_e32 v153, v70, v252
	s_delay_alu instid0(VALU_DEP_2)
	v_add3_u32 v76, v76, v77, v78
	v_pk_mul_f16 v77, v154, v20
	v_mul_i32_i24_e32 v78, v75, v224
	v_mul_i32_i24_e32 v154, v75, v253
	;; [unrolled: 1-line block ×3, first 2 shown]
	v_add3_u32 v76, v76, v79, v83
	v_mul_i32_i24_e32 v79, v254, v225
	v_mul_i32_i24_e32 v83, v105, v228
	s_delay_alu instid0(VALU_DEP_3) | instskip(SKIP_3) | instid1(VALU_DEP_4)
	v_add3_u32 v76, v76, v80, v81
	v_mul_i32_i24_e32 v80, v255, v226
	v_mul_i32_i24_e32 v81, v34, v219
	;; [unrolled: 1-line block ×3, first 2 shown]
	v_add3_u32 v76, v76, v82, v87
	v_mul_i32_i24_e32 v82, v98, v227
	v_mul_i32_i24_e32 v87, v109, v233
	s_delay_alu instid0(VALU_DEP_3) | instskip(SKIP_2) | instid1(VALU_DEP_3)
	v_add3_u32 v76, v76, v84, v85
	v_mul_i32_i24_e32 v84, v106, v229
	v_mul_i32_i24_e32 v85, v107, v230
	v_add3_u32 v76, v76, v86, v91
	v_mul_i32_i24_e32 v86, v108, v231
	v_mul_i32_i24_e32 v91, v47, v236
	s_delay_alu instid0(VALU_DEP_3)
	v_add3_u32 v76, v76, v88, v89
	v_mul_i32_i24_e32 v88, v33, v234
	v_mul_i32_i24_e32 v89, v44, v223
	v_mul_i32_i24_e32 v33, v33, v135
	v_mul_i32_i24_e32 v44, v44, v125
	v_add3_u32 v76, v76, v90, v95
	v_mul_i32_i24_e32 v90, v45, v235
	v_mul_i32_i24_e32 v95, v51, v241
	v_mul_i32_i24_e32 v45, v45, v136
	v_mul_i32_i24_e32 v51, v51, v142
	;; [unrolled: 5-line block ×9, first 2 shown]
	v_cvt_f32_i32_e32 v76, v76
	s_delay_alu instid0(VALU_DEP_1) | instskip(SKIP_2) | instid1(VALU_DEP_3)
	v_fma_mix_f32 v76, v77, v76, v77 op_sel:[0,0,1] op_sel_hi:[1,0,1]
	v_mul_i32_i24_e32 v77, v70, v222
	v_mul_i32_i24_e32 v70, v255, v127
	v_add_f32_e32 v23, v23, v76
	v_mul_i32_i24_e32 v76, v42, v221
	v_mul_i32_i24_e32 v42, v254, v126
	s_delay_alu instid0(VALU_DEP_2) | instskip(SKIP_1) | instid1(VALU_DEP_2)
	v_mad_i32_i24 v76, v19, v204, v76
	v_mad_i32_i24 v19, v19, v123, v152
	v_add3_u32 v76, v76, v77, v78
	v_pk_mul_f16 v77, v180, v20
	s_delay_alu instid0(VALU_DEP_3) | instskip(SKIP_4) | instid1(VALU_DEP_2)
	v_add3_u32 v19, v19, v153, v154
	v_mul_i32_i24_e32 v78, v107, v131
	v_pk_mul_f16 v20, v122, v20
	v_add3_u32 v76, v76, v79, v83
	v_mul_i32_i24_e32 v79, v108, v132
	v_add3_u32 v76, v76, v80, v81
	v_mul_i32_i24_e32 v80, v109, v134
	s_delay_alu instid0(VALU_DEP_2) | instskip(NEXT) | instid1(VALU_DEP_1)
	v_add3_u32 v76, v76, v82, v87
	v_add3_u32 v76, v76, v84, v85
	s_delay_alu instid0(VALU_DEP_1) | instskip(NEXT) | instid1(VALU_DEP_1)
	v_add3_u32 v76, v76, v86, v91
	v_add3_u32 v76, v76, v88, v89
	s_delay_alu instid0(VALU_DEP_1) | instskip(NEXT) | instid1(VALU_DEP_1)
	;; [unrolled: 3-line block ×6, first 2 shown]
	v_cvt_f32_i32_e32 v76, v76
	v_fma_mix_f32 v76, v77, v76, v77 op_sel:[0,0,1] op_sel_hi:[1,0,1]
	v_mul_i32_i24_e32 v77, v106, v130
	s_delay_alu instid0(VALU_DEP_2) | instskip(SKIP_2) | instid1(VALU_DEP_2)
	v_add_f32_e32 v22, v22, v76
	v_mul_i32_i24_e32 v76, v105, v129
	v_mul_i32_i24_e32 v47, v47, v137
	v_add3_u32 v19, v19, v42, v76
	s_delay_alu instid0(VALU_DEP_1) | instskip(NEXT) | instid1(VALU_DEP_1)
	v_add3_u32 v19, v19, v70, v34
	v_add3_u32 v19, v19, v75, v80
	s_delay_alu instid0(VALU_DEP_1) | instskip(NEXT) | instid1(VALU_DEP_1)
	v_add3_u32 v19, v19, v77, v78
	;; [unrolled: 3-line block ×7, first 2 shown]
	v_cvt_f32_i32_e32 v19, v19
	s_delay_alu instid0(VALU_DEP_1) | instskip(NEXT) | instid1(VALU_DEP_1)
	v_fma_mix_f32 v19, v20, v19, v20 op_sel:[0,0,1] op_sel_hi:[1,0,1]
	v_add_f32_e32 v21, v21, v19
	s_cbranch_scc1 .LBB140_7
; %bb.8:                                ;   in Loop: Header=BB140_6 Depth=1
	s_or_b32 s7, s5, 4
	s_delay_alu instid0(SALU_CYCLE_1)
	s_cmp_ge_i32 s7, s4
	s_barrier
	buffer_gl0_inv
	s_cbranch_scc1 .LBB140_5
; %bb.9:                                ;   in Loop: Header=BB140_6 Depth=1
	scratch_load_b32 v19, off, off offset:208 ; 4-byte Folded Reload
	s_mov_b32 s7, 12
	s_waitcnt vmcnt(0)
	v_add_nc_u32_e32 v42, s5, v19
	scratch_load_b32 v19, off, off offset:4 ; 4-byte Folded Reload
	s_waitcnt vmcnt(0)
	v_add_nc_u32_e32 v33, v42, v19
	scratch_load_b32 v19, off, off offset:12 ; 4-byte Folded Reload
	;; [unrolled: 3-line block ×4, first 2 shown]
	s_waitcnt vmcnt(0)
	v_add_nc_u32_e32 v49, v42, v19
	v_mad_i64_i32 v[19:20], null, v33, 36, v[16:17]
	v_mad_i64_i32 v[33:34], null, v44, 36, v[16:17]
	;; [unrolled: 1-line block ×3, first 2 shown]
	scratch_load_b32 v47, off, off offset:36 ; 4-byte Folded Reload
	s_waitcnt vmcnt(0)
	v_add_nc_u32_e32 v51, v42, v47
	v_mad_i64_i32 v[47:48], null, v49, 36, v[16:17]
	scratch_load_b32 v49, off, off offset:44 ; 4-byte Folded Reload
	s_waitcnt vmcnt(0)
	v_add_nc_u32_e32 v55, v42, v49
	v_mad_i64_i32 v[49:50], null, v51, 36, v[16:17]
	scratch_load_b32 v51, off, off offset:52 ; 4-byte Folded Reload
	v_mad_i64_i32 v[53:54], null, v55, 36, v[16:17]
	scratch_load_b32 v55, off, off offset:60 ; 4-byte Folded Reload
	s_waitcnt vmcnt(1)
	v_add_nc_u32_e32 v51, v42, v51
	s_waitcnt vmcnt(0)
	v_add_nc_u32_e32 v42, v42, v55
	v_add_nc_u32_e32 v55, 4, v114
	s_delay_alu instid0(VALU_DEP_3) | instskip(NEXT) | instid1(VALU_DEP_3)
	v_mad_i64_i32 v[57:58], null, v51, 36, v[16:17]
	v_mad_i64_i32 v[71:72], null, v42, 36, v[16:17]
	s_delay_alu instid0(VALU_DEP_3)
	v_mad_u64_u32 v[76:77], null, v55, 36, s[2:3]
	s_clause 0x8
	global_load_b32 v19, v[19:20], off offset:4
	global_load_b32 v20, v[33:34], off offset:4
	global_load_b32 v33, v[44:45], off offset:4
	global_load_b32 v34, v[47:48], off offset:4
	global_load_b32 v42, v[49:50], off offset:4
	global_load_b32 v44, v[53:54], off offset:4
	global_load_b32 v45, v[57:58], off offset:4
	global_load_b32 v47, v[71:72], off offset:4
	global_load_b32 v48, v[76:77], off
	s_clause 0x7
	scratch_load_b32 v114, off, off offset:72
	scratch_load_b32 v115, off, off offset:68
	;; [unrolled: 1-line block ×8, first 2 shown]
	s_waitcnt vmcnt(0)
	ds_store_b32 v49, v19
	scratch_load_b32 v19, off, off offset:16 ; 4-byte Folded Reload
	s_waitcnt vmcnt(0)
	ds_store_b32 v19, v20
	scratch_load_b32 v19, off, off offset:24 ; 4-byte Folded Reload
	;; [unrolled: 3-line block ×7, first 2 shown]
	s_waitcnt vmcnt(0)
	ds_store_b32 v19, v47
	scratch_load_b32 v19, off, off          ; 4-byte Folded Reload
	s_waitcnt vmcnt(0)
	ds_store_b32 v19, v48
	s_waitcnt lgkmcnt(0)
	s_barrier
	buffer_gl0_inv
.LBB140_10:                             ;   Parent Loop BB140_6 Depth=1
                                        ; =>  This Inner Loop Header: Depth=2
	ds_load_b128 v[47:50], v115
	ds_load_b128 v[76:79], v115 offset:16
	ds_load_2addr_b32 v[19:20], v114 offset1:32
	ds_load_b32 v151, v116
	ds_load_2addr_b32 v[33:34], v119 offset1:1
	v_add_nc_u32_e32 v116, 4, v116
	s_add_i32 s7, s7, 4
	s_delay_alu instid0(SALU_CYCLE_1)
	s_cmp_lt_u32 s7, 28
	s_waitcnt lgkmcnt(4)
	v_bfe_i32 v42, v47, 0, 8
	s_waitcnt lgkmcnt(3)
	v_bfe_i32 v51, v76, 0, 8
	v_bfe_i32 v57, v48, 0, 8
	s_waitcnt lgkmcnt(0)
	v_bfe_u32 v154, v33, 20, 4
	v_and_b32_e32 v155, 15, v33
	v_bfe_u32 v156, v33, 8, 4
	v_bfe_u32 v158, v33, 16, 4
	v_bfe_u32 v159, v33, 24, 4
	v_bfe_u32 v152, v33, 4, 4
	v_bfe_u32 v160, v33, 12, 4
	v_lshrrev_b32_e32 v161, 28, v33
	v_bfe_u32 v157, v34, 20, 4
	v_and_b32_e32 v162, 15, v34
	v_bfe_u32 v163, v34, 8, 4
	v_bfe_u32 v164, v34, 16, 4
	v_bfe_u32 v166, v34, 24, 4
	v_bfe_u32 v167, v34, 4, 4
	v_bfe_u32 v168, v34, 12, 4
	v_lshrrev_b32_e32 v170, 28, v34
	ds_load_2addr_b32 v[33:34], v119 offset0:2 offset1:3
	v_bfe_i32 v67, v77, 0, 8
	v_mul_i32_i24_e32 v87, v155, v42
	v_bfe_i32 v44, v47, 8, 8
	v_bfe_i32 v72, v49, 0, 8
	v_mul_i32_i24_e32 v94, v162, v57
	v_mul_i32_i24_e32 v98, v167, v67
	v_mad_i32_i24 v87, v152, v51, v87
	v_bfe_i32 v45, v47, 16, 8
	v_ashrrev_i32_e32 v47, 24, v47
	v_mul_i32_i24_e32 v88, v156, v44
	v_bfe_i32 v53, v76, 8, 8
	v_add3_u32 v87, v87, v94, v98
	v_bfe_i32 v54, v76, 16, 8
	v_ashrrev_i32_e32 v55, 24, v76
	v_bfe_i32 v76, v78, 0, 8
	v_bfe_i32 v81, v50, 0, 8
	v_mul_i32_i24_e32 v89, v158, v45
	v_mul_i32_i24_e32 v90, v159, v47
	v_bfe_i32 v58, v48, 8, 8
	s_waitcnt lgkmcnt(0)
	v_and_b32_e32 v171, 15, v33
	v_bfe_u32 v176, v33, 4, 4
	v_and_b32_e32 v180, 15, v34
	v_mul_i32_i24_e32 v91, v160, v53
	v_mul_i32_i24_e32 v92, v154, v54
	;; [unrolled: 1-line block ×5, first 2 shown]
	v_bfe_i32 v63, v48, 16, 8
	v_ashrrev_i32_e32 v48, 24, v48
	v_add3_u32 v87, v87, v102, v88
	v_mul_i32_i24_e32 v93, v161, v55
	v_mul_i32_i24_e32 v95, v163, v58
	v_bfe_i32 v69, v77, 8, 8
	v_bfe_i32 v84, v79, 0, 8
	v_add3_u32 v87, v87, v89, v90
	v_mul_i32_i24_e32 v96, v164, v63
	v_mul_i32_i24_e32 v97, v166, v48
	v_bfe_u32 v184, v34, 4, 4
	v_bfe_i32 v70, v77, 16, 8
	v_add3_u32 v87, v87, v106, v109
	v_ashrrev_i32_e32 v71, 24, v77
	v_mul_i32_i24_e32 v99, v168, v69
	v_mul_i32_i24_e32 v113, v184, v84
	v_bfe_i32 v73, v49, 8, 8
	v_add3_u32 v87, v87, v91, v92
	v_bfe_i32 v75, v49, 16, 8
	v_mul_i32_i24_e32 v100, v157, v70
	v_mul_i32_i24_e32 v101, v170, v71
	v_bfe_u32 v172, v33, 8, 4
	v_add3_u32 v87, v87, v93, v95
	v_bfe_u32 v174, v33, 16, 4
	v_ashrrev_i32_e32 v49, 24, v49
	v_bfe_i32 v77, v78, 8, 8
	v_mul_i32_i24_e32 v103, v172, v73
	v_add3_u32 v87, v87, v96, v97
	v_mul_i32_i24_e32 v104, v174, v75
	v_bfe_u32 v175, v33, 24, 4
	v_bfe_u32 v177, v33, 12, 4
	v_bfe_i32 v80, v78, 16, 8
	v_add3_u32 v87, v87, v113, v99
	v_ashrrev_i32_e32 v78, 24, v78
	v_bfe_u32 v165, v33, 20, 4
	v_mul_i32_i24_e32 v105, v175, v49
	v_mul_i32_i24_e32 v107, v177, v77
	v_add3_u32 v87, v87, v100, v101
	v_lshrrev_b32_e32 v178, 28, v33
	v_bfe_i32 v82, v50, 8, 8
	v_bfe_i32 v83, v50, 16, 8
	v_mul_i32_i24_e32 v108, v165, v80
	v_add3_u32 v87, v87, v103, v104
	v_mul_i32_i24_e32 v33, v178, v78
	v_bfe_u32 v181, v34, 8, 4
	v_bfe_u32 v182, v34, 16, 4
	v_ashrrev_i32_e32 v50, 24, v50
	v_add3_u32 v87, v87, v105, v107
	v_bfe_i32 v85, v79, 8, 8
	v_mul_i32_i24_e32 v110, v181, v82
	v_mul_i32_i24_e32 v111, v182, v83
	v_bfe_u32 v183, v34, 24, 4
	v_bfe_u32 v185, v34, 12, 4
	v_add3_u32 v33, v87, v108, v33
	v_bfe_i32 v86, v79, 16, 8
	v_ashrrev_i32_e32 v79, 24, v79
	v_bfe_u32 v173, v34, 20, 4
	v_mul_i32_i24_e32 v112, v183, v50
	v_mul_i32_i24_e32 v121, v185, v85
	v_lshrrev_b32_e32 v187, 28, v34
	v_add3_u32 v33, v33, v110, v111
	v_mul_i32_i24_e32 v122, v173, v86
	s_delay_alu instid0(VALU_DEP_3) | instskip(NEXT) | instid1(VALU_DEP_3)
	v_mul_i32_i24_e32 v34, v187, v79
	v_add3_u32 v33, v33, v112, v121
	s_delay_alu instid0(VALU_DEP_1) | instskip(SKIP_1) | instid1(VALU_DEP_2)
	v_add3_u32 v33, v33, v122, v34
	v_pk_mul_f16 v34, v19, v151
	v_cvt_f32_i32_e32 v33, v33
	s_delay_alu instid0(VALU_DEP_1) | instskip(NEXT) | instid1(VALU_DEP_1)
	v_fma_mix_f32 v33, v34, v33, v34 op_sel:[0,0,1] op_sel_hi:[1,0,1]
	v_add_f32_e32 v35, v35, v33
	v_add_nc_u32_e32 v33, 0x1080, v119
	ds_load_b32 v153, v117
	ds_load_2addr_b32 v[33:34], v33 offset1:1
	v_add_nc_u32_e32 v117, 4, v117
	s_waitcnt lgkmcnt(0)
	v_bfe_u32 v186, v33, 20, 4
	v_and_b32_e32 v188, 15, v33
	v_bfe_u32 v189, v33, 8, 4
	v_bfe_u32 v191, v33, 16, 4
	;; [unrolled: 1-line block ×5, first 2 shown]
	v_lshrrev_b32_e32 v194, 28, v33
	v_add_nc_u32_e32 v33, 0x1088, v119
	v_bfe_u32 v190, v34, 20, 4
	v_and_b32_e32 v195, 15, v34
	v_bfe_u32 v196, v34, 8, 4
	v_bfe_u32 v197, v34, 16, 4
	;; [unrolled: 1-line block ×5, first 2 shown]
	v_lshrrev_b32_e32 v202, 28, v34
	ds_load_2addr_b32 v[33:34], v33 offset1:1
	v_mul_i32_i24_e32 v87, v188, v42
	v_mul_i32_i24_e32 v94, v195, v57
	;; [unrolled: 1-line block ×5, first 2 shown]
	v_mad_i32_i24 v87, v169, v51, v87
	v_mul_i32_i24_e32 v90, v192, v47
	v_mul_i32_i24_e32 v91, v193, v53
	;; [unrolled: 1-line block ×4, first 2 shown]
	v_add3_u32 v87, v87, v94, v98
	v_mul_i32_i24_e32 v95, v196, v58
	v_mul_i32_i24_e32 v96, v197, v63
	;; [unrolled: 1-line block ×6, first 2 shown]
	s_waitcnt lgkmcnt(0)
	v_and_b32_e32 v204, 15, v33
	v_bfe_u32 v209, v33, 4, 4
	v_and_b32_e32 v212, 15, v34
	v_bfe_u32 v216, v34, 4, 4
	v_bfe_u32 v205, v33, 8, 4
	v_mul_i32_i24_e32 v102, v204, v72
	v_mul_i32_i24_e32 v106, v209, v76
	;; [unrolled: 1-line block ×4, first 2 shown]
	v_bfe_u32 v207, v33, 16, 4
	v_add3_u32 v87, v87, v102, v88
	v_mul_i32_i24_e32 v103, v205, v73
	v_bfe_u32 v208, v33, 24, 4
	v_bfe_u32 v210, v33, 12, 4
	v_mul_i32_i24_e32 v104, v207, v75
	v_add3_u32 v87, v87, v89, v90
	v_bfe_u32 v199, v33, 20, 4
	v_mul_i32_i24_e32 v105, v208, v49
	v_mul_i32_i24_e32 v107, v210, v77
	v_lshrrev_b32_e32 v211, 28, v33
	v_add3_u32 v87, v87, v106, v109
	v_mul_i32_i24_e32 v108, v199, v80
	v_bfe_u32 v213, v34, 8, 4
	v_bfe_u32 v214, v34, 16, 4
	v_mul_i32_i24_e32 v33, v211, v78
	v_add3_u32 v87, v87, v91, v92
	v_bfe_u32 v215, v34, 24, 4
	v_mul_i32_i24_e32 v110, v213, v82
	v_mul_i32_i24_e32 v111, v214, v83
	v_bfe_u32 v217, v34, 12, 4
	v_add3_u32 v87, v87, v93, v95
	v_bfe_u32 v206, v34, 20, 4
	v_mul_i32_i24_e32 v112, v215, v50
	v_lshrrev_b32_e32 v219, 28, v34
	v_mul_i32_i24_e32 v121, v217, v85
	v_add3_u32 v87, v87, v96, v97
	v_mul_i32_i24_e32 v122, v206, v86
	s_delay_alu instid0(VALU_DEP_4) | instskip(NEXT) | instid1(VALU_DEP_3)
	v_mul_i32_i24_e32 v34, v219, v79
	v_add3_u32 v87, v87, v113, v99
	s_delay_alu instid0(VALU_DEP_1) | instskip(NEXT) | instid1(VALU_DEP_1)
	v_add3_u32 v87, v87, v100, v101
	v_add3_u32 v87, v87, v103, v104
	s_delay_alu instid0(VALU_DEP_1) | instskip(NEXT) | instid1(VALU_DEP_1)
	v_add3_u32 v87, v87, v105, v107
	;; [unrolled: 3-line block ×3, first 2 shown]
	v_add3_u32 v33, v33, v112, v121
	s_delay_alu instid0(VALU_DEP_1) | instskip(SKIP_1) | instid1(VALU_DEP_2)
	v_add3_u32 v33, v33, v122, v34
	v_pk_mul_f16 v34, v19, v153
	v_cvt_f32_i32_e32 v33, v33
	s_delay_alu instid0(VALU_DEP_1) | instskip(NEXT) | instid1(VALU_DEP_1)
	v_fma_mix_f32 v33, v34, v33, v34 op_sel:[0,0,1] op_sel_hi:[1,0,1]
	v_dual_add_f32 v74, v74, v33 :: v_dual_add_nc_u32 v33, 0x2100, v119
	ds_load_b32 v179, v118
	ds_load_2addr_b32 v[33:34], v33 offset1:1
	v_add_nc_u32_e32 v118, 4, v118
	s_waitcnt lgkmcnt(0)
	v_bfe_u32 v218, v33, 20, 4
	v_and_b32_e32 v220, 15, v33
	v_bfe_u32 v221, v33, 8, 4
	v_bfe_u32 v223, v33, 16, 4
	;; [unrolled: 1-line block ×5, first 2 shown]
	v_lshrrev_b32_e32 v226, 28, v33
	v_add_nc_u32_e32 v33, 0x2108, v119
	v_bfe_u32 v222, v34, 20, 4
	v_and_b32_e32 v227, 15, v34
	v_bfe_u32 v228, v34, 8, 4
	v_bfe_u32 v229, v34, 16, 4
	;; [unrolled: 1-line block ×5, first 2 shown]
	v_lshrrev_b32_e32 v234, 28, v34
	ds_load_2addr_b32 v[33:34], v33 offset1:1
	v_mul_i32_i24_e32 v87, v220, v42
	v_mul_i32_i24_e32 v94, v227, v57
	;; [unrolled: 1-line block ×5, first 2 shown]
	v_mad_i32_i24 v87, v203, v51, v87
	v_mul_i32_i24_e32 v90, v224, v47
	v_mul_i32_i24_e32 v91, v225, v53
	;; [unrolled: 1-line block ×4, first 2 shown]
	v_add3_u32 v87, v87, v94, v98
	v_mul_i32_i24_e32 v95, v228, v58
	v_mul_i32_i24_e32 v96, v229, v63
	;; [unrolled: 1-line block ×6, first 2 shown]
	s_waitcnt lgkmcnt(0)
	v_and_b32_e32 v235, 15, v33
	v_bfe_u32 v240, v33, 4, 4
	v_and_b32_e32 v243, 15, v34
	v_bfe_u32 v247, v34, 4, 4
	v_bfe_u32 v236, v33, 8, 4
	v_mul_i32_i24_e32 v102, v235, v72
	v_mul_i32_i24_e32 v106, v240, v76
	v_mul_i32_i24_e32 v109, v243, v81
	v_mul_i32_i24_e32 v113, v247, v84
	v_bfe_u32 v238, v33, 16, 4
	v_add3_u32 v87, v87, v102, v88
	v_mul_i32_i24_e32 v103, v236, v73
	v_bfe_u32 v239, v33, 24, 4
	v_bfe_u32 v241, v33, 12, 4
	v_mul_i32_i24_e32 v104, v238, v75
	v_add3_u32 v87, v87, v89, v90
	v_bfe_u32 v231, v33, 20, 4
	v_mul_i32_i24_e32 v105, v239, v49
	v_mul_i32_i24_e32 v107, v241, v77
	v_lshrrev_b32_e32 v242, 28, v33
	v_add3_u32 v87, v87, v106, v109
	v_mul_i32_i24_e32 v108, v231, v80
	v_bfe_u32 v244, v34, 8, 4
	v_bfe_u32 v245, v34, 16, 4
	v_mul_i32_i24_e32 v33, v242, v78
	v_add3_u32 v87, v87, v91, v92
	v_bfe_u32 v246, v34, 24, 4
	v_mul_i32_i24_e32 v110, v244, v82
	v_mul_i32_i24_e32 v111, v245, v83
	v_bfe_u32 v248, v34, 12, 4
	v_add3_u32 v87, v87, v93, v95
	v_bfe_u32 v237, v34, 20, 4
	v_mul_i32_i24_e32 v112, v246, v50
	v_lshrrev_b32_e32 v249, 28, v34
	v_mul_i32_i24_e32 v121, v248, v85
	v_add3_u32 v87, v87, v96, v97
	v_mul_i32_i24_e32 v122, v237, v86
	s_delay_alu instid0(VALU_DEP_4) | instskip(NEXT) | instid1(VALU_DEP_3)
	v_mul_i32_i24_e32 v34, v249, v79
	v_add3_u32 v87, v87, v113, v99
	s_delay_alu instid0(VALU_DEP_1) | instskip(NEXT) | instid1(VALU_DEP_1)
	v_add3_u32 v87, v87, v100, v101
	v_add3_u32 v87, v87, v103, v104
	s_delay_alu instid0(VALU_DEP_1) | instskip(NEXT) | instid1(VALU_DEP_1)
	v_add3_u32 v87, v87, v105, v107
	;; [unrolled: 3-line block ×3, first 2 shown]
	v_add3_u32 v33, v33, v112, v121
	s_delay_alu instid0(VALU_DEP_1) | instskip(SKIP_1) | instid1(VALU_DEP_2)
	v_add3_u32 v33, v33, v122, v34
	v_pk_mul_f16 v34, v19, v179
	v_cvt_f32_i32_e32 v33, v33
	s_delay_alu instid0(VALU_DEP_1) | instskip(NEXT) | instid1(VALU_DEP_1)
	v_fma_mix_f32 v33, v34, v33, v34 op_sel:[0,0,1] op_sel_hi:[1,0,1]
	v_dual_add_f32 v68, v68, v33 :: v_dual_add_nc_u32 v33, 0x3180, v119
	ds_load_b32 v121, v120
	ds_load_2addr_b32 v[33:34], v33 offset1:1
	v_add_nc_u32_e32 v120, 4, v120
	s_waitcnt lgkmcnt(1)
	v_pk_mul_f16 v19, v19, v121
	s_waitcnt lgkmcnt(0)
	v_bfe_u32 v123, v33, 20, 4
	v_and_b32_e32 v250, 15, v33
	v_bfe_u32 v251, v33, 8, 4
	v_bfe_u32 v252, v33, 16, 4
	;; [unrolled: 1-line block ×5, first 2 shown]
	v_lshrrev_b32_e32 v127, 28, v33
	v_add_nc_u32_e32 v33, 0x3188, v119
	v_bfe_u32 v124, v34, 20, 4
	v_and_b32_e32 v128, 15, v34
	v_bfe_u32 v129, v34, 8, 4
	v_bfe_u32 v130, v34, 16, 4
	;; [unrolled: 1-line block ×5, first 2 shown]
	v_lshrrev_b32_e32 v135, 28, v34
	ds_load_2addr_b32 v[33:34], v33 offset1:1
	v_mul_i32_i24_e32 v42, v250, v42
	v_mul_i32_i24_e32 v57, v128, v57
	;; [unrolled: 1-line block ×5, first 2 shown]
	v_mad_i32_i24 v42, v122, v51, v42
	v_mul_i32_i24_e32 v47, v125, v47
	v_mul_i32_i24_e32 v53, v126, v53
	;; [unrolled: 1-line block ×4, first 2 shown]
	v_add3_u32 v42, v42, v57, v67
	v_mul_i32_i24_e32 v58, v129, v58
	v_mul_i32_i24_e32 v63, v130, v63
	;; [unrolled: 1-line block ×6, first 2 shown]
	v_add_nc_u32_e32 v119, 16, v119
	s_waitcnt lgkmcnt(0)
	v_and_b32_e32 v136, 15, v33
	v_bfe_u32 v141, v33, 4, 4
	v_lshrrev_b32_e32 v143, 28, v33
	v_and_b32_e32 v144, 15, v34
	v_bfe_u32 v132, v33, 20, 4
	v_mul_i32_i24_e32 v72, v136, v72
	v_bfe_u32 v137, v33, 8, 4
	v_bfe_u32 v139, v33, 16, 4
	;; [unrolled: 1-line block ×3, first 2 shown]
	v_mul_i32_i24_e32 v76, v141, v76
	v_add3_u32 v42, v42, v72, v44
	v_bfe_u32 v142, v33, 12, 4
	v_mul_i32_i24_e32 v33, v143, v78
	v_mul_i32_i24_e32 v78, v144, v81
	v_bfe_u32 v145, v34, 8, 4
	v_add3_u32 v42, v42, v45, v47
	v_bfe_u32 v146, v34, 16, 4
	v_bfe_u32 v148, v34, 4, 4
	v_mul_i32_i24_e32 v73, v137, v73
	v_mul_i32_i24_e32 v81, v145, v82
	v_add3_u32 v42, v42, v76, v78
	v_mul_i32_i24_e32 v82, v146, v83
	v_mul_i32_i24_e32 v83, v148, v84
	;; [unrolled: 1-line block ×4, first 2 shown]
	v_add3_u32 v42, v42, v53, v54
	v_mul_i32_i24_e32 v77, v142, v77
	v_mul_i32_i24_e32 v80, v132, v80
	v_bfe_u32 v147, v34, 24, 4
	v_bfe_u32 v149, v34, 12, 4
	v_add3_u32 v42, v42, v55, v58
	v_bfe_u32 v138, v34, 20, 4
	v_lshrrev_b32_e32 v150, 28, v34
	v_mul_i32_i24_e32 v50, v147, v50
	v_mul_i32_i24_e32 v84, v149, v85
	v_add3_u32 v42, v42, v63, v48
	v_mul_i32_i24_e32 v85, v138, v86
	v_mul_i32_i24_e32 v34, v150, v79
	s_delay_alu instid0(VALU_DEP_3) | instskip(NEXT) | instid1(VALU_DEP_1)
	v_add3_u32 v42, v42, v83, v69
	v_add3_u32 v42, v42, v70, v71
	s_delay_alu instid0(VALU_DEP_1) | instskip(NEXT) | instid1(VALU_DEP_1)
	v_add3_u32 v42, v42, v73, v75
	v_add3_u32 v42, v42, v49, v77
	s_delay_alu instid0(VALU_DEP_1) | instskip(NEXT) | instid1(VALU_DEP_1)
	v_add3_u32 v33, v42, v80, v33
	v_add3_u32 v33, v33, v81, v82
	s_delay_alu instid0(VALU_DEP_1) | instskip(SKIP_3) | instid1(VALU_DEP_1)
	v_add3_u32 v33, v33, v50, v84
	ds_load_b128 v[47:50], v115 offset:1024
	ds_load_b128 v[76:79], v115 offset:1040
	v_add3_u32 v33, v33, v85, v34
	v_cvt_f32_i32_e32 v33, v33
	s_delay_alu instid0(VALU_DEP_1) | instskip(NEXT) | instid1(VALU_DEP_1)
	v_fma_mix_f32 v19, v19, v33, v19 op_sel:[0,0,1] op_sel_hi:[1,0,1]
	v_add_f32_e32 v66, v66, v19
	s_waitcnt lgkmcnt(1)
	v_bfe_i32 v19, v47, 0, 8
	v_bfe_i32 v33, v47, 8, 8
	;; [unrolled: 1-line block ×3, first 2 shown]
	s_waitcnt lgkmcnt(0)
	v_bfe_i32 v44, v76, 0, 8
	v_ashrrev_i32_e32 v42, 24, v47
	v_mul_i32_i24_e32 v84, v19, v155
	v_bfe_i32 v53, v48, 0, 8
	v_mul_i32_i24_e32 v85, v33, v156
	v_mul_i32_i24_e32 v86, v34, v158
	v_bfe_i32 v45, v76, 8, 8
	v_mad_i32_i24 v84, v44, v152, v84
	v_bfe_i32 v47, v76, 16, 8
	v_mul_i32_i24_e32 v87, v42, v159
	v_mul_i32_i24_e32 v91, v53, v162
	v_ashrrev_i32_e32 v51, 24, v76
	v_add3_u32 v84, v84, v85, v86
	v_bfe_i32 v57, v77, 0, 8
	v_mul_i32_i24_e32 v88, v45, v160
	v_mul_i32_i24_e32 v89, v47, v154
	v_bfe_i32 v54, v48, 8, 8
	v_add3_u32 v84, v84, v87, v91
	v_bfe_i32 v55, v48, 16, 8
	v_mul_i32_i24_e32 v90, v51, v161
	v_mul_i32_i24_e32 v95, v57, v167
	v_ashrrev_i32_e32 v48, 24, v48
	v_add3_u32 v84, v84, v88, v89
	v_bfe_i32 v69, v49, 0, 8
	v_mul_i32_i24_e32 v92, v54, v163
	v_mul_i32_i24_e32 v93, v55, v164
	v_bfe_i32 v58, v77, 8, 8
	v_add3_u32 v84, v84, v90, v95
	;; [unrolled: 10-line block ×6, first 2 shown]
	v_ashrrev_i32_e32 v79, 24, v79
	v_mul_i32_i24_e32 v110, v50, v183
	v_mul_i32_i24_e32 v112, v82, v185
	;; [unrolled: 1-line block ×3, first 2 shown]
	v_add3_u32 v84, v84, v108, v109
	v_mul_i32_i24_e32 v253, v79, v187
	v_pk_mul_f16 v85, v151, v20
	v_mul_i32_i24_e32 v86, v34, v191
	v_mul_i32_i24_e32 v87, v42, v192
	v_add3_u32 v84, v84, v110, v112
	v_mul_i32_i24_e32 v91, v53, v195
	v_mul_i32_i24_e32 v88, v45, v193
	;; [unrolled: 1-line block ×4, first 2 shown]
	v_add3_u32 v84, v84, v113, v253
	v_mul_i32_i24_e32 v95, v57, v200
	v_mul_i32_i24_e32 v92, v54, v196
	;; [unrolled: 1-line block ×4, first 2 shown]
	v_cvt_f32_i32_e32 v84, v84
	v_mul_i32_i24_e32 v99, v69, v204
	v_mul_i32_i24_e32 v96, v58, v201
	;; [unrolled: 1-line block ×4, first 2 shown]
	v_fma_mix_f32 v84, v85, v84, v85 op_sel:[0,0,1] op_sel_hi:[1,0,1]
	v_mul_i32_i24_e32 v85, v33, v189
	v_mul_i32_i24_e32 v103, v72, v209
	;; [unrolled: 1-line block ×4, first 2 shown]
	v_add_f32_e32 v65, v65, v84
	v_mul_i32_i24_e32 v84, v19, v188
	v_mul_i32_i24_e32 v102, v49, v208
	;; [unrolled: 1-line block ×5, first 2 shown]
	v_mad_i32_i24 v84, v44, v169, v84
	v_mul_i32_i24_e32 v106, v76, v211
	v_mul_i32_i24_e32 v111, v81, v216
	;; [unrolled: 1-line block ×4, first 2 shown]
	v_add3_u32 v84, v84, v85, v86
	v_mul_i32_i24_e32 v110, v50, v215
	v_mul_i32_i24_e32 v112, v82, v217
	;; [unrolled: 1-line block ×4, first 2 shown]
	v_add3_u32 v84, v84, v87, v91
	v_pk_mul_f16 v85, v153, v20
	v_mul_i32_i24_e32 v86, v34, v223
	v_mul_i32_i24_e32 v34, v34, v252
	v_mul_i32_i24_e32 v87, v42, v224
	v_add3_u32 v84, v84, v88, v89
	v_mul_i32_i24_e32 v91, v53, v227
	v_mul_i32_i24_e32 v42, v42, v125
	v_mul_i32_i24_e32 v53, v53, v128
	v_mul_i32_i24_e32 v88, v45, v225
	v_add3_u32 v84, v84, v90, v95
	v_mul_i32_i24_e32 v89, v47, v218
	;; [unrolled: 5-line block ×13, first 2 shown]
	v_mul_i32_i24_e32 v50, v50, v147
	v_mul_i32_i24_e32 v82, v82, v149
	;; [unrolled: 1-line block ×3, first 2 shown]
	v_cvt_f32_i32_e32 v84, v84
	v_mul_i32_i24_e32 v253, v79, v249
	v_mul_i32_i24_e32 v83, v83, v138
	;; [unrolled: 1-line block ×3, first 2 shown]
	s_delay_alu instid0(VALU_DEP_4) | instskip(SKIP_2) | instid1(VALU_DEP_3)
	v_fma_mix_f32 v84, v85, v84, v85 op_sel:[0,0,1] op_sel_hi:[1,0,1]
	v_mul_i32_i24_e32 v85, v33, v221
	v_mul_i32_i24_e32 v33, v33, v251
	v_add_f32_e32 v64, v64, v84
	v_mul_i32_i24_e32 v84, v19, v220
	v_mul_i32_i24_e32 v19, v19, v250
	s_delay_alu instid0(VALU_DEP_2) | instskip(NEXT) | instid1(VALU_DEP_2)
	v_mad_i32_i24 v84, v44, v203, v84
	v_mad_i32_i24 v19, v44, v122, v19
	s_delay_alu instid0(VALU_DEP_2) | instskip(NEXT) | instid1(VALU_DEP_2)
	v_add3_u32 v84, v84, v85, v86
	v_add3_u32 v19, v19, v33, v34
	v_pk_mul_f16 v85, v179, v20
	v_pk_mul_f16 v20, v121, v20
	s_delay_alu instid0(VALU_DEP_4) | instskip(NEXT) | instid1(VALU_DEP_4)
	v_add3_u32 v84, v84, v87, v91
	v_add3_u32 v19, v19, v42, v53
	s_delay_alu instid0(VALU_DEP_2) | instskip(NEXT) | instid1(VALU_DEP_2)
	v_add3_u32 v84, v84, v88, v89
	v_add3_u32 v19, v19, v45, v47
	s_delay_alu instid0(VALU_DEP_2) | instskip(NEXT) | instid1(VALU_DEP_2)
	;; [unrolled: 3-line block ×14, first 2 shown]
	v_cvt_f32_i32_e32 v84, v84
	v_cvt_f32_i32_e32 v19, v19
	s_delay_alu instid0(VALU_DEP_2) | instskip(NEXT) | instid1(VALU_DEP_2)
	v_fma_mix_f32 v84, v85, v84, v85 op_sel:[0,0,1] op_sel_hi:[1,0,1]
	v_fma_mix_f32 v19, v20, v19, v20 op_sel:[0,0,1] op_sel_hi:[1,0,1]
	s_delay_alu instid0(VALU_DEP_1)
	v_dual_add_f32 v62, v62, v84 :: v_dual_add_f32 v61, v61, v19
	ds_load_b128 v[47:50], v115 offset:2048
	ds_load_b128 v[76:79], v115 offset:2064
	ds_load_2addr_b32 v[19:20], v114 offset0:64 offset1:96
	s_waitcnt lgkmcnt(2)
	v_bfe_i32 v33, v47, 0, 8
	v_bfe_i32 v34, v47, 8, 8
	;; [unrolled: 1-line block ×3, first 2 shown]
	s_waitcnt lgkmcnt(1)
	v_bfe_i32 v45, v76, 0, 8
	v_ashrrev_i32_e32 v44, 24, v47
	v_mul_i32_i24_e32 v85, v33, v155
	v_bfe_i32 v54, v48, 0, 8
	v_mul_i32_i24_e32 v86, v34, v156
	v_mul_i32_i24_e32 v87, v42, v158
	v_bfe_i32 v47, v76, 8, 8
	v_mad_i32_i24 v85, v45, v152, v85
	v_bfe_i32 v51, v76, 16, 8
	v_mul_i32_i24_e32 v88, v44, v159
	v_mul_i32_i24_e32 v92, v54, v162
	v_ashrrev_i32_e32 v53, 24, v76
	v_add3_u32 v85, v85, v86, v87
	v_bfe_i32 v58, v77, 0, 8
	v_mul_i32_i24_e32 v89, v47, v160
	v_mul_i32_i24_e32 v90, v51, v154
	v_bfe_i32 v55, v48, 8, 8
	v_add3_u32 v85, v85, v88, v92
	v_bfe_i32 v57, v48, 16, 8
	v_mul_i32_i24_e32 v91, v53, v161
	v_mul_i32_i24_e32 v96, v58, v167
	v_ashrrev_i32_e32 v48, 24, v48
	v_add3_u32 v85, v85, v89, v90
	v_bfe_i32 v70, v49, 0, 8
	v_mul_i32_i24_e32 v93, v55, v163
	v_mul_i32_i24_e32 v94, v57, v164
	v_bfe_i32 v63, v77, 8, 8
	v_add3_u32 v85, v85, v91, v96
	;; [unrolled: 10-line block ×3, first 2 shown]
	v_bfe_i32 v72, v49, 16, 8
	v_mul_i32_i24_e32 v99, v69, v170
	v_mul_i32_i24_e32 v104, v73, v176
	v_ashrrev_i32_e32 v49, 24, v49
	v_add3_u32 v85, v85, v97, v98
	v_bfe_i32 v75, v78, 8, 8
	v_bfe_i32 v76, v78, 16, 8
	v_ashrrev_i32_e32 v77, 24, v78
	v_bfe_i32 v78, v50, 0, 8
	v_mul_i32_i24_e32 v101, v71, v172
	v_mul_i32_i24_e32 v102, v72, v174
	v_add3_u32 v85, v85, v99, v104
	v_mul_i32_i24_e32 v103, v49, v175
	v_mul_i32_i24_e32 v108, v78, v180
	v_bfe_i32 v82, v79, 0, 8
	v_mul_i32_i24_e32 v105, v75, v177
	v_add3_u32 v85, v85, v101, v102
	v_mul_i32_i24_e32 v106, v76, v165
	v_bfe_i32 v80, v50, 8, 8
	v_bfe_i32 v81, v50, 16, 8
	v_mul_i32_i24_e32 v107, v77, v178
	v_add3_u32 v85, v85, v103, v108
	v_mul_i32_i24_e32 v112, v82, v184
	v_ashrrev_i32_e32 v50, 24, v50
	v_bfe_i32 v83, v79, 8, 8
	v_mul_i32_i24_e32 v109, v80, v181
	v_add3_u32 v85, v85, v105, v106
	v_mul_i32_i24_e32 v110, v81, v182
	v_bfe_i32 v84, v79, 16, 8
	v_ashrrev_i32_e32 v79, 24, v79
	v_mul_i32_i24_e32 v111, v50, v183
	v_add3_u32 v85, v85, v107, v112
	v_mul_i32_i24_e32 v113, v83, v185
	v_mul_i32_i24_e32 v253, v84, v173
	;; [unrolled: 1-line block ×3, first 2 shown]
	s_waitcnt lgkmcnt(0)
	v_pk_mul_f16 v86, v151, v19
	v_add3_u32 v85, v85, v109, v110
	v_mul_i32_i24_e32 v87, v42, v191
	v_mul_i32_i24_e32 v88, v44, v192
	v_mul_i32_i24_e32 v92, v54, v195
	v_mul_i32_i24_e32 v89, v47, v193
	v_add3_u32 v85, v85, v111, v113
	v_mul_i32_i24_e32 v90, v51, v186
	v_mul_i32_i24_e32 v91, v53, v194
	v_mul_i32_i24_e32 v96, v58, v200
	v_mul_i32_i24_e32 v93, v55, v196
	;; [unrolled: 5-line block ×3, first 2 shown]
	v_cvt_f32_i32_e32 v85, v85
	v_mul_i32_i24_e32 v98, v67, v190
	v_mul_i32_i24_e32 v99, v69, v202
	v_mul_i32_i24_e32 v104, v73, v209
	v_mul_i32_i24_e32 v101, v71, v205
	v_fma_mix_f32 v85, v86, v85, v86 op_sel:[0,0,1] op_sel_hi:[1,0,1]
	v_mul_i32_i24_e32 v86, v34, v189
	v_mul_i32_i24_e32 v102, v72, v207
	;; [unrolled: 1-line block ×4, first 2 shown]
	v_add_f32_e32 v60, v60, v85
	v_mul_i32_i24_e32 v85, v33, v188
	v_mul_i32_i24_e32 v105, v75, v210
	;; [unrolled: 1-line block ×5, first 2 shown]
	v_mad_i32_i24 v85, v45, v169, v85
	v_mul_i32_i24_e32 v109, v80, v213
	v_mul_i32_i24_e32 v110, v81, v214
	;; [unrolled: 1-line block ×4, first 2 shown]
	v_add3_u32 v85, v85, v86, v87
	v_mul_i32_i24_e32 v253, v84, v206
	v_mul_i32_i24_e32 v254, v79, v219
	v_pk_mul_f16 v86, v153, v19
	v_mul_i32_i24_e32 v87, v42, v223
	v_add3_u32 v85, v85, v88, v92
	v_mul_i32_i24_e32 v42, v42, v252
	v_mul_i32_i24_e32 v88, v44, v224
	v_mul_i32_i24_e32 v92, v54, v227
	v_mul_i32_i24_e32 v44, v44, v125
	v_add3_u32 v85, v85, v89, v90
	v_mul_i32_i24_e32 v54, v54, v128
	v_mul_i32_i24_e32 v89, v47, v225
	v_mul_i32_i24_e32 v90, v51, v218
	;; [unrolled: 5-line block ×14, first 2 shown]
	v_mul_i32_i24_e32 v84, v84, v138
	v_cvt_f32_i32_e32 v85, v85
	v_mul_i32_i24_e32 v79, v79, v150
	s_delay_alu instid0(VALU_DEP_2) | instskip(SKIP_2) | instid1(VALU_DEP_3)
	v_fma_mix_f32 v85, v86, v85, v86 op_sel:[0,0,1] op_sel_hi:[1,0,1]
	v_mul_i32_i24_e32 v86, v34, v221
	v_mul_i32_i24_e32 v34, v34, v251
	v_add_f32_e32 v59, v59, v85
	v_mul_i32_i24_e32 v85, v33, v220
	v_mul_i32_i24_e32 v33, v33, v250
	s_delay_alu instid0(VALU_DEP_2) | instskip(NEXT) | instid1(VALU_DEP_2)
	v_mad_i32_i24 v85, v45, v203, v85
	v_mad_i32_i24 v33, v45, v122, v33
	s_delay_alu instid0(VALU_DEP_2) | instskip(NEXT) | instid1(VALU_DEP_2)
	v_add3_u32 v85, v85, v86, v87
	v_add3_u32 v33, v33, v34, v42
	v_pk_mul_f16 v86, v179, v19
	v_pk_mul_f16 v19, v121, v19
	s_delay_alu instid0(VALU_DEP_4) | instskip(NEXT) | instid1(VALU_DEP_4)
	v_add3_u32 v85, v85, v88, v92
	v_add3_u32 v33, v33, v44, v54
	s_delay_alu instid0(VALU_DEP_2) | instskip(NEXT) | instid1(VALU_DEP_2)
	v_add3_u32 v85, v85, v89, v90
	v_add3_u32 v33, v33, v47, v51
	s_delay_alu instid0(VALU_DEP_2) | instskip(NEXT) | instid1(VALU_DEP_2)
	;; [unrolled: 3-line block ×13, first 2 shown]
	v_add3_u32 v85, v85, v253, v254
	v_add3_u32 v33, v33, v84, v79
	ds_load_b128 v[47:50], v115 offset:3072
	ds_load_b128 v[76:79], v115 offset:3088
	v_cvt_f32_i32_e32 v85, v85
	v_cvt_f32_i32_e32 v33, v33
	s_delay_alu instid0(VALU_DEP_2) | instskip(NEXT) | instid1(VALU_DEP_2)
	v_fma_mix_f32 v85, v86, v85, v86 op_sel:[0,0,1] op_sel_hi:[1,0,1]
	v_fma_mix_f32 v19, v19, v33, v19 op_sel:[0,0,1] op_sel_hi:[1,0,1]
	s_delay_alu instid0(VALU_DEP_2) | instskip(NEXT) | instid1(VALU_DEP_2)
	v_add_f32_e32 v56, v56, v85
	v_add_f32_e32 v52, v52, v19
	s_waitcnt lgkmcnt(1)
	v_bfe_i32 v19, v47, 0, 8
	v_bfe_i32 v33, v47, 8, 8
	v_bfe_i32 v34, v47, 16, 8
	s_waitcnt lgkmcnt(0)
	v_bfe_i32 v44, v76, 0, 8
	v_ashrrev_i32_e32 v42, 24, v47
	v_mul_i32_i24_e32 v84, v19, v155
	v_bfe_i32 v53, v48, 0, 8
	v_mul_i32_i24_e32 v85, v33, v156
	v_mul_i32_i24_e32 v86, v34, v158
	v_bfe_i32 v45, v76, 8, 8
	v_mad_i32_i24 v84, v44, v152, v84
	v_bfe_i32 v47, v76, 16, 8
	v_mul_i32_i24_e32 v87, v42, v159
	v_mul_i32_i24_e32 v91, v53, v162
	v_ashrrev_i32_e32 v51, 24, v76
	v_add3_u32 v84, v84, v85, v86
	v_bfe_i32 v57, v77, 0, 8
	v_mul_i32_i24_e32 v88, v45, v160
	v_mul_i32_i24_e32 v89, v47, v154
	v_bfe_i32 v54, v48, 8, 8
	v_add3_u32 v84, v84, v87, v91
	v_bfe_i32 v55, v48, 16, 8
	v_mul_i32_i24_e32 v90, v51, v161
	v_mul_i32_i24_e32 v95, v57, v167
	v_ashrrev_i32_e32 v48, 24, v48
	v_add3_u32 v84, v84, v88, v89
	v_bfe_i32 v69, v49, 0, 8
	v_mul_i32_i24_e32 v92, v54, v163
	v_mul_i32_i24_e32 v93, v55, v164
	v_bfe_i32 v58, v77, 8, 8
	v_add3_u32 v84, v84, v90, v95
	;; [unrolled: 10-line block ×6, first 2 shown]
	v_ashrrev_i32_e32 v79, 24, v79
	v_mul_i32_i24_e32 v110, v50, v183
	v_mul_i32_i24_e32 v112, v82, v185
	;; [unrolled: 1-line block ×3, first 2 shown]
	v_add3_u32 v84, v84, v108, v109
	v_mul_i32_i24_e32 v253, v79, v187
	v_pk_mul_f16 v85, v151, v20
	v_mul_i32_i24_e32 v86, v34, v191
	v_mul_i32_i24_e32 v87, v42, v192
	v_add3_u32 v84, v84, v110, v112
	v_mul_i32_i24_e32 v91, v53, v195
	v_mul_i32_i24_e32 v88, v45, v193
	;; [unrolled: 1-line block ×4, first 2 shown]
	v_add3_u32 v84, v84, v113, v253
	v_mul_i32_i24_e32 v95, v57, v200
	v_mul_i32_i24_e32 v92, v54, v196
	;; [unrolled: 1-line block ×4, first 2 shown]
	v_cvt_f32_i32_e32 v84, v84
	v_mul_i32_i24_e32 v99, v69, v204
	v_mul_i32_i24_e32 v96, v58, v201
	;; [unrolled: 1-line block ×4, first 2 shown]
	v_fma_mix_f32 v84, v85, v84, v85 op_sel:[0,0,1] op_sel_hi:[1,0,1]
	v_mul_i32_i24_e32 v85, v33, v189
	v_mul_i32_i24_e32 v103, v72, v209
	;; [unrolled: 1-line block ×4, first 2 shown]
	v_add_f32_e32 v46, v46, v84
	v_mul_i32_i24_e32 v84, v19, v188
	v_mul_i32_i24_e32 v102, v49, v208
	v_mul_i32_i24_e32 v107, v77, v212
	v_mul_i32_i24_e32 v104, v73, v210
	v_mul_i32_i24_e32 v105, v75, v199
	v_mad_i32_i24 v84, v44, v169, v84
	v_mul_i32_i24_e32 v106, v76, v211
	v_mul_i32_i24_e32 v111, v81, v216
	;; [unrolled: 1-line block ×4, first 2 shown]
	v_add3_u32 v84, v84, v85, v86
	v_mul_i32_i24_e32 v110, v50, v215
	v_mul_i32_i24_e32 v112, v82, v217
	;; [unrolled: 1-line block ×4, first 2 shown]
	v_add3_u32 v84, v84, v87, v91
	v_pk_mul_f16 v85, v153, v20
	v_mul_i32_i24_e32 v86, v34, v223
	v_mul_i32_i24_e32 v34, v34, v252
	v_mul_i32_i24_e32 v87, v42, v224
	v_add3_u32 v84, v84, v88, v89
	v_mul_i32_i24_e32 v91, v53, v227
	v_mul_i32_i24_e32 v42, v42, v125
	v_mul_i32_i24_e32 v53, v53, v128
	v_mul_i32_i24_e32 v88, v45, v225
	v_add3_u32 v84, v84, v90, v95
	v_mul_i32_i24_e32 v89, v47, v218
	;; [unrolled: 5-line block ×13, first 2 shown]
	v_mul_i32_i24_e32 v50, v50, v147
	v_mul_i32_i24_e32 v82, v82, v149
	;; [unrolled: 1-line block ×3, first 2 shown]
	v_cvt_f32_i32_e32 v84, v84
	v_mul_i32_i24_e32 v253, v79, v249
	v_mul_i32_i24_e32 v83, v83, v138
	;; [unrolled: 1-line block ×3, first 2 shown]
	s_delay_alu instid0(VALU_DEP_4) | instskip(SKIP_2) | instid1(VALU_DEP_3)
	v_fma_mix_f32 v84, v85, v84, v85 op_sel:[0,0,1] op_sel_hi:[1,0,1]
	v_mul_i32_i24_e32 v85, v33, v221
	v_mul_i32_i24_e32 v33, v33, v251
	v_add_f32_e32 v43, v43, v84
	v_mul_i32_i24_e32 v84, v19, v220
	v_mul_i32_i24_e32 v19, v19, v250
	s_delay_alu instid0(VALU_DEP_2) | instskip(NEXT) | instid1(VALU_DEP_2)
	v_mad_i32_i24 v84, v44, v203, v84
	v_mad_i32_i24 v19, v44, v122, v19
	s_delay_alu instid0(VALU_DEP_2) | instskip(NEXT) | instid1(VALU_DEP_2)
	v_add3_u32 v84, v84, v85, v86
	v_add3_u32 v19, v19, v33, v34
	v_pk_mul_f16 v85, v179, v20
	v_pk_mul_f16 v20, v121, v20
	s_delay_alu instid0(VALU_DEP_4) | instskip(NEXT) | instid1(VALU_DEP_4)
	v_add3_u32 v84, v84, v87, v91
	v_add3_u32 v19, v19, v42, v53
	s_delay_alu instid0(VALU_DEP_2) | instskip(NEXT) | instid1(VALU_DEP_2)
	v_add3_u32 v84, v84, v88, v89
	v_add3_u32 v19, v19, v45, v47
	s_delay_alu instid0(VALU_DEP_2) | instskip(NEXT) | instid1(VALU_DEP_2)
	;; [unrolled: 3-line block ×14, first 2 shown]
	v_cvt_f32_i32_e32 v84, v84
	v_cvt_f32_i32_e32 v19, v19
	s_delay_alu instid0(VALU_DEP_2) | instskip(NEXT) | instid1(VALU_DEP_2)
	v_fma_mix_f32 v84, v85, v84, v85 op_sel:[0,0,1] op_sel_hi:[1,0,1]
	v_fma_mix_f32 v19, v20, v19, v20 op_sel:[0,0,1] op_sel_hi:[1,0,1]
	s_delay_alu instid0(VALU_DEP_1)
	v_dual_add_f32 v41, v41, v84 :: v_dual_add_f32 v40, v40, v19
	ds_load_b128 v[47:50], v115 offset:4096
	ds_load_b128 v[76:79], v115 offset:4112
	ds_load_2addr_b32 v[19:20], v114 offset0:128 offset1:160
	s_waitcnt lgkmcnt(2)
	v_bfe_i32 v33, v47, 0, 8
	v_bfe_i32 v34, v47, 8, 8
	;; [unrolled: 1-line block ×3, first 2 shown]
	s_waitcnt lgkmcnt(1)
	v_bfe_i32 v45, v76, 0, 8
	v_ashrrev_i32_e32 v44, 24, v47
	v_mul_i32_i24_e32 v85, v33, v155
	v_bfe_i32 v54, v48, 0, 8
	v_mul_i32_i24_e32 v86, v34, v156
	v_mul_i32_i24_e32 v87, v42, v158
	v_bfe_i32 v47, v76, 8, 8
	v_mad_i32_i24 v85, v45, v152, v85
	v_bfe_i32 v51, v76, 16, 8
	v_mul_i32_i24_e32 v88, v44, v159
	v_mul_i32_i24_e32 v92, v54, v162
	v_ashrrev_i32_e32 v53, 24, v76
	v_add3_u32 v85, v85, v86, v87
	v_bfe_i32 v58, v77, 0, 8
	v_mul_i32_i24_e32 v89, v47, v160
	v_mul_i32_i24_e32 v90, v51, v154
	v_bfe_i32 v55, v48, 8, 8
	v_add3_u32 v85, v85, v88, v92
	v_bfe_i32 v57, v48, 16, 8
	v_mul_i32_i24_e32 v91, v53, v161
	v_mul_i32_i24_e32 v96, v58, v167
	v_ashrrev_i32_e32 v48, 24, v48
	v_add3_u32 v85, v85, v89, v90
	v_bfe_i32 v70, v49, 0, 8
	v_mul_i32_i24_e32 v93, v55, v163
	v_mul_i32_i24_e32 v94, v57, v164
	v_bfe_i32 v63, v77, 8, 8
	v_add3_u32 v85, v85, v91, v96
	;; [unrolled: 10-line block ×3, first 2 shown]
	v_bfe_i32 v72, v49, 16, 8
	v_mul_i32_i24_e32 v99, v69, v170
	v_mul_i32_i24_e32 v104, v73, v176
	v_ashrrev_i32_e32 v49, 24, v49
	v_add3_u32 v85, v85, v97, v98
	v_bfe_i32 v75, v78, 8, 8
	v_bfe_i32 v76, v78, 16, 8
	v_ashrrev_i32_e32 v77, 24, v78
	v_bfe_i32 v78, v50, 0, 8
	v_mul_i32_i24_e32 v101, v71, v172
	v_mul_i32_i24_e32 v102, v72, v174
	v_add3_u32 v85, v85, v99, v104
	v_mul_i32_i24_e32 v103, v49, v175
	v_mul_i32_i24_e32 v108, v78, v180
	v_bfe_i32 v82, v79, 0, 8
	v_mul_i32_i24_e32 v105, v75, v177
	v_add3_u32 v85, v85, v101, v102
	v_mul_i32_i24_e32 v106, v76, v165
	v_bfe_i32 v80, v50, 8, 8
	v_bfe_i32 v81, v50, 16, 8
	v_mul_i32_i24_e32 v107, v77, v178
	v_add3_u32 v85, v85, v103, v108
	v_mul_i32_i24_e32 v112, v82, v184
	v_ashrrev_i32_e32 v50, 24, v50
	v_bfe_i32 v83, v79, 8, 8
	v_mul_i32_i24_e32 v109, v80, v181
	v_add3_u32 v85, v85, v105, v106
	v_mul_i32_i24_e32 v110, v81, v182
	v_bfe_i32 v84, v79, 16, 8
	v_ashrrev_i32_e32 v79, 24, v79
	v_mul_i32_i24_e32 v111, v50, v183
	v_add3_u32 v85, v85, v107, v112
	v_mul_i32_i24_e32 v113, v83, v185
	v_mul_i32_i24_e32 v253, v84, v173
	;; [unrolled: 1-line block ×3, first 2 shown]
	s_waitcnt lgkmcnt(0)
	v_pk_mul_f16 v86, v151, v19
	v_add3_u32 v85, v85, v109, v110
	v_mul_i32_i24_e32 v87, v42, v191
	v_mul_i32_i24_e32 v88, v44, v192
	v_mul_i32_i24_e32 v92, v54, v195
	v_mul_i32_i24_e32 v89, v47, v193
	v_add3_u32 v85, v85, v111, v113
	v_mul_i32_i24_e32 v90, v51, v186
	v_mul_i32_i24_e32 v91, v53, v194
	v_mul_i32_i24_e32 v96, v58, v200
	v_mul_i32_i24_e32 v93, v55, v196
	;; [unrolled: 5-line block ×3, first 2 shown]
	v_cvt_f32_i32_e32 v85, v85
	v_mul_i32_i24_e32 v98, v67, v190
	v_mul_i32_i24_e32 v99, v69, v202
	;; [unrolled: 1-line block ×4, first 2 shown]
	v_fma_mix_f32 v85, v86, v85, v86 op_sel:[0,0,1] op_sel_hi:[1,0,1]
	v_mul_i32_i24_e32 v86, v34, v189
	v_mul_i32_i24_e32 v102, v72, v207
	;; [unrolled: 1-line block ×4, first 2 shown]
	v_add_f32_e32 v39, v39, v85
	v_mul_i32_i24_e32 v85, v33, v188
	v_mul_i32_i24_e32 v105, v75, v210
	;; [unrolled: 1-line block ×5, first 2 shown]
	v_mad_i32_i24 v85, v45, v169, v85
	v_mul_i32_i24_e32 v109, v80, v213
	v_mul_i32_i24_e32 v110, v81, v214
	;; [unrolled: 1-line block ×4, first 2 shown]
	v_add3_u32 v85, v85, v86, v87
	v_mul_i32_i24_e32 v253, v84, v206
	v_mul_i32_i24_e32 v254, v79, v219
	v_pk_mul_f16 v86, v153, v19
	v_mul_i32_i24_e32 v87, v42, v223
	v_add3_u32 v85, v85, v88, v92
	v_mul_i32_i24_e32 v88, v44, v224
	v_mul_i32_i24_e32 v92, v54, v227
	v_mul_i32_i24_e32 v42, v42, v252
	v_mul_i32_i24_e32 v44, v44, v125
	v_add3_u32 v85, v85, v89, v90
	v_mul_i32_i24_e32 v89, v47, v225
	v_mul_i32_i24_e32 v90, v51, v218
	v_mul_i32_i24_e32 v54, v54, v128
	;; [unrolled: 5-line block ×14, first 2 shown]
	v_mul_i32_i24_e32 v79, v79, v150
	v_cvt_f32_i32_e32 v85, v85
	s_delay_alu instid0(VALU_DEP_1) | instskip(SKIP_2) | instid1(VALU_DEP_3)
	v_fma_mix_f32 v85, v86, v85, v86 op_sel:[0,0,1] op_sel_hi:[1,0,1]
	v_mul_i32_i24_e32 v86, v34, v221
	v_mul_i32_i24_e32 v34, v34, v251
	v_add_f32_e32 v38, v38, v85
	v_mul_i32_i24_e32 v85, v33, v220
	v_mul_i32_i24_e32 v33, v33, v250
	s_delay_alu instid0(VALU_DEP_2) | instskip(NEXT) | instid1(VALU_DEP_2)
	v_mad_i32_i24 v85, v45, v203, v85
	v_mad_i32_i24 v33, v45, v122, v33
	s_delay_alu instid0(VALU_DEP_2) | instskip(NEXT) | instid1(VALU_DEP_2)
	v_add3_u32 v85, v85, v86, v87
	v_add3_u32 v33, v33, v34, v42
	v_pk_mul_f16 v86, v179, v19
	v_pk_mul_f16 v19, v121, v19
	s_delay_alu instid0(VALU_DEP_4) | instskip(NEXT) | instid1(VALU_DEP_4)
	v_add3_u32 v85, v85, v88, v92
	v_add3_u32 v33, v33, v44, v54
	s_delay_alu instid0(VALU_DEP_2) | instskip(NEXT) | instid1(VALU_DEP_2)
	v_add3_u32 v85, v85, v89, v90
	v_add3_u32 v33, v33, v47, v51
	s_delay_alu instid0(VALU_DEP_2) | instskip(NEXT) | instid1(VALU_DEP_2)
	;; [unrolled: 3-line block ×7, first 2 shown]
	v_add3_u32 v85, v85, v101, v102
	v_add3_u32 v33, v33, v71, v72
	s_delay_alu instid0(VALU_DEP_2) | instskip(NEXT) | instid1(VALU_DEP_1)
	v_add3_u32 v85, v85, v103, v108
	v_add3_u32 v85, v85, v105, v106
	s_delay_alu instid0(VALU_DEP_1) | instskip(NEXT) | instid1(VALU_DEP_1)
	v_add3_u32 v85, v85, v107, v112
	v_add3_u32 v85, v85, v109, v110
	s_delay_alu instid0(VALU_DEP_1) | instskip(NEXT) | instid1(VALU_DEP_1)
	;; [unrolled: 3-line block ×3, first 2 shown]
	v_cvt_f32_i32_e32 v85, v85
	v_fma_mix_f32 v85, v86, v85, v86 op_sel:[0,0,1] op_sel_hi:[1,0,1]
	s_delay_alu instid0(VALU_DEP_1) | instskip(SKIP_1) | instid1(VALU_DEP_1)
	v_add_f32_e32 v37, v37, v85
	v_mul_i32_i24_e32 v78, v78, v144
	v_add3_u32 v33, v33, v49, v78
	s_delay_alu instid0(VALU_DEP_1) | instskip(NEXT) | instid1(VALU_DEP_1)
	v_add3_u32 v33, v33, v75, v76
	v_add3_u32 v33, v33, v77, v82
	s_delay_alu instid0(VALU_DEP_1) | instskip(NEXT) | instid1(VALU_DEP_1)
	v_add3_u32 v33, v33, v80, v81
	v_add3_u32 v33, v33, v50, v83
	s_delay_alu instid0(VALU_DEP_1) | instskip(SKIP_3) | instid1(VALU_DEP_1)
	v_add3_u32 v33, v33, v84, v79
	ds_load_b128 v[47:50], v115 offset:5120
	ds_load_b128 v[76:79], v115 offset:5136
	v_cvt_f32_i32_e32 v33, v33
	v_fma_mix_f32 v19, v19, v33, v19 op_sel:[0,0,1] op_sel_hi:[1,0,1]
	s_delay_alu instid0(VALU_DEP_1)
	v_add_f32_e32 v36, v36, v19
	s_waitcnt lgkmcnt(1)
	v_bfe_i32 v19, v47, 0, 8
	v_bfe_i32 v33, v47, 8, 8
	;; [unrolled: 1-line block ×3, first 2 shown]
	s_waitcnt lgkmcnt(0)
	v_bfe_i32 v44, v76, 0, 8
	v_ashrrev_i32_e32 v42, 24, v47
	v_mul_i32_i24_e32 v84, v19, v155
	v_bfe_i32 v53, v48, 0, 8
	v_mul_i32_i24_e32 v85, v33, v156
	v_mul_i32_i24_e32 v86, v34, v158
	v_bfe_i32 v45, v76, 8, 8
	v_mad_i32_i24 v84, v44, v152, v84
	v_bfe_i32 v47, v76, 16, 8
	v_mul_i32_i24_e32 v87, v42, v159
	v_mul_i32_i24_e32 v91, v53, v162
	v_ashrrev_i32_e32 v51, 24, v76
	v_add3_u32 v84, v84, v85, v86
	v_bfe_i32 v57, v77, 0, 8
	v_mul_i32_i24_e32 v88, v45, v160
	v_mul_i32_i24_e32 v89, v47, v154
	v_bfe_i32 v54, v48, 8, 8
	v_add3_u32 v84, v84, v87, v91
	v_bfe_i32 v55, v48, 16, 8
	v_mul_i32_i24_e32 v90, v51, v161
	v_mul_i32_i24_e32 v95, v57, v167
	v_ashrrev_i32_e32 v48, 24, v48
	v_add3_u32 v84, v84, v88, v89
	v_bfe_i32 v69, v49, 0, 8
	v_mul_i32_i24_e32 v92, v54, v163
	v_mul_i32_i24_e32 v93, v55, v164
	v_bfe_i32 v58, v77, 8, 8
	v_add3_u32 v84, v84, v90, v95
	;; [unrolled: 10-line block ×6, first 2 shown]
	v_ashrrev_i32_e32 v79, 24, v79
	v_mul_i32_i24_e32 v110, v50, v183
	v_mul_i32_i24_e32 v112, v82, v185
	v_mul_i32_i24_e32 v113, v83, v173
	v_add3_u32 v84, v84, v108, v109
	v_mul_i32_i24_e32 v253, v79, v187
	v_pk_mul_f16 v85, v151, v20
	v_mul_i32_i24_e32 v86, v34, v191
	v_mul_i32_i24_e32 v87, v42, v192
	v_add3_u32 v84, v84, v110, v112
	v_mul_i32_i24_e32 v91, v53, v195
	v_mul_i32_i24_e32 v88, v45, v193
	;; [unrolled: 1-line block ×4, first 2 shown]
	v_add3_u32 v84, v84, v113, v253
	v_mul_i32_i24_e32 v95, v57, v200
	v_mul_i32_i24_e32 v92, v54, v196
	;; [unrolled: 1-line block ×4, first 2 shown]
	v_cvt_f32_i32_e32 v84, v84
	v_mul_i32_i24_e32 v99, v69, v204
	v_mul_i32_i24_e32 v96, v58, v201
	;; [unrolled: 1-line block ×4, first 2 shown]
	v_fma_mix_f32 v84, v85, v84, v85 op_sel:[0,0,1] op_sel_hi:[1,0,1]
	v_mul_i32_i24_e32 v85, v33, v189
	v_mul_i32_i24_e32 v103, v72, v209
	;; [unrolled: 1-line block ×4, first 2 shown]
	v_add_f32_e32 v32, v32, v84
	v_mul_i32_i24_e32 v84, v19, v188
	v_mul_i32_i24_e32 v102, v49, v208
	;; [unrolled: 1-line block ×5, first 2 shown]
	v_mad_i32_i24 v84, v44, v169, v84
	v_mul_i32_i24_e32 v106, v76, v211
	v_mul_i32_i24_e32 v111, v81, v216
	;; [unrolled: 1-line block ×4, first 2 shown]
	v_add3_u32 v84, v84, v85, v86
	v_mul_i32_i24_e32 v110, v50, v215
	v_mul_i32_i24_e32 v112, v82, v217
	;; [unrolled: 1-line block ×4, first 2 shown]
	v_add3_u32 v84, v84, v87, v91
	v_pk_mul_f16 v85, v153, v20
	v_mul_i32_i24_e32 v86, v34, v223
	v_mul_i32_i24_e32 v34, v34, v252
	v_mul_i32_i24_e32 v87, v42, v224
	v_add3_u32 v84, v84, v88, v89
	v_mul_i32_i24_e32 v91, v53, v227
	v_mul_i32_i24_e32 v42, v42, v125
	v_mul_i32_i24_e32 v53, v53, v128
	v_mul_i32_i24_e32 v88, v45, v225
	v_add3_u32 v84, v84, v90, v95
	v_mul_i32_i24_e32 v89, v47, v218
	;; [unrolled: 5-line block ×13, first 2 shown]
	v_mul_i32_i24_e32 v50, v50, v147
	v_mul_i32_i24_e32 v82, v82, v149
	;; [unrolled: 1-line block ×3, first 2 shown]
	v_cvt_f32_i32_e32 v84, v84
	v_mul_i32_i24_e32 v253, v79, v249
	v_mul_i32_i24_e32 v83, v83, v138
	;; [unrolled: 1-line block ×3, first 2 shown]
	s_delay_alu instid0(VALU_DEP_4) | instskip(SKIP_2) | instid1(VALU_DEP_3)
	v_fma_mix_f32 v84, v85, v84, v85 op_sel:[0,0,1] op_sel_hi:[1,0,1]
	v_mul_i32_i24_e32 v85, v33, v221
	v_mul_i32_i24_e32 v33, v33, v251
	v_add_f32_e32 v31, v31, v84
	v_mul_i32_i24_e32 v84, v19, v220
	v_mul_i32_i24_e32 v19, v19, v250
	s_delay_alu instid0(VALU_DEP_2) | instskip(NEXT) | instid1(VALU_DEP_2)
	v_mad_i32_i24 v84, v44, v203, v84
	v_mad_i32_i24 v19, v44, v122, v19
	s_delay_alu instid0(VALU_DEP_2) | instskip(NEXT) | instid1(VALU_DEP_2)
	v_add3_u32 v84, v84, v85, v86
	v_add3_u32 v19, v19, v33, v34
	v_pk_mul_f16 v85, v179, v20
	v_pk_mul_f16 v20, v121, v20
	s_delay_alu instid0(VALU_DEP_4) | instskip(NEXT) | instid1(VALU_DEP_4)
	v_add3_u32 v84, v84, v87, v91
	v_add3_u32 v19, v19, v42, v53
	s_delay_alu instid0(VALU_DEP_2) | instskip(NEXT) | instid1(VALU_DEP_2)
	v_add3_u32 v84, v84, v88, v89
	v_add3_u32 v19, v19, v45, v47
	s_delay_alu instid0(VALU_DEP_2) | instskip(NEXT) | instid1(VALU_DEP_2)
	;; [unrolled: 3-line block ×14, first 2 shown]
	v_cvt_f32_i32_e32 v84, v84
	v_cvt_f32_i32_e32 v19, v19
	s_delay_alu instid0(VALU_DEP_2) | instskip(NEXT) | instid1(VALU_DEP_2)
	v_fma_mix_f32 v84, v85, v84, v85 op_sel:[0,0,1] op_sel_hi:[1,0,1]
	v_fma_mix_f32 v19, v20, v19, v20 op_sel:[0,0,1] op_sel_hi:[1,0,1]
	s_delay_alu instid0(VALU_DEP_1)
	v_dual_add_f32 v30, v30, v84 :: v_dual_add_f32 v29, v29, v19
	ds_load_b128 v[47:50], v115 offset:6144
	ds_load_b128 v[76:79], v115 offset:6160
	ds_load_2addr_b32 v[19:20], v114 offset0:192 offset1:224
	v_add_nc_u32_e32 v114, 4, v114
	s_waitcnt lgkmcnt(2)
	v_bfe_i32 v33, v47, 0, 8
	v_bfe_i32 v34, v47, 8, 8
	;; [unrolled: 1-line block ×3, first 2 shown]
	s_waitcnt lgkmcnt(1)
	v_bfe_i32 v45, v76, 0, 8
	v_ashrrev_i32_e32 v44, 24, v47
	v_mul_i32_i24_e32 v85, v33, v155
	v_bfe_i32 v54, v48, 0, 8
	v_mul_i32_i24_e32 v86, v34, v156
	v_mul_i32_i24_e32 v87, v42, v158
	v_bfe_i32 v47, v76, 8, 8
	v_mad_i32_i24 v85, v45, v152, v85
	v_bfe_i32 v51, v76, 16, 8
	v_mul_i32_i24_e32 v88, v44, v159
	v_mul_i32_i24_e32 v92, v54, v162
	v_ashrrev_i32_e32 v53, 24, v76
	v_add3_u32 v85, v85, v86, v87
	v_bfe_i32 v58, v77, 0, 8
	v_mul_i32_i24_e32 v89, v47, v160
	v_mul_i32_i24_e32 v90, v51, v154
	v_bfe_i32 v55, v48, 8, 8
	v_add3_u32 v85, v85, v88, v92
	v_bfe_i32 v57, v48, 16, 8
	v_mul_i32_i24_e32 v91, v53, v161
	v_mul_i32_i24_e32 v96, v58, v167
	v_ashrrev_i32_e32 v48, 24, v48
	v_add3_u32 v85, v85, v89, v90
	v_bfe_i32 v70, v49, 0, 8
	v_mul_i32_i24_e32 v93, v55, v163
	v_mul_i32_i24_e32 v94, v57, v164
	v_bfe_i32 v63, v77, 8, 8
	v_add3_u32 v85, v85, v91, v96
	;; [unrolled: 10-line block ×3, first 2 shown]
	v_bfe_i32 v72, v49, 16, 8
	v_mul_i32_i24_e32 v99, v69, v170
	v_mul_i32_i24_e32 v104, v73, v176
	v_ashrrev_i32_e32 v49, 24, v49
	v_add3_u32 v85, v85, v97, v98
	v_bfe_i32 v75, v78, 8, 8
	v_bfe_i32 v76, v78, 16, 8
	v_ashrrev_i32_e32 v77, 24, v78
	v_bfe_i32 v78, v50, 0, 8
	v_mul_i32_i24_e32 v101, v71, v172
	v_mul_i32_i24_e32 v102, v72, v174
	v_add3_u32 v85, v85, v99, v104
	v_mul_i32_i24_e32 v103, v49, v175
	v_mul_i32_i24_e32 v108, v78, v180
	v_bfe_i32 v82, v79, 0, 8
	v_mul_i32_i24_e32 v105, v75, v177
	v_add3_u32 v85, v85, v101, v102
	v_mul_i32_i24_e32 v106, v76, v165
	v_bfe_i32 v80, v50, 8, 8
	v_bfe_i32 v81, v50, 16, 8
	v_mul_i32_i24_e32 v107, v77, v178
	v_add3_u32 v85, v85, v103, v108
	v_mul_i32_i24_e32 v112, v82, v184
	v_ashrrev_i32_e32 v50, 24, v50
	v_bfe_i32 v83, v79, 8, 8
	v_mul_i32_i24_e32 v109, v80, v181
	v_add3_u32 v85, v85, v105, v106
	v_mul_i32_i24_e32 v110, v81, v182
	v_bfe_i32 v84, v79, 16, 8
	v_ashrrev_i32_e32 v79, 24, v79
	v_mul_i32_i24_e32 v111, v50, v183
	v_add3_u32 v85, v85, v107, v112
	v_mul_i32_i24_e32 v113, v83, v185
	v_mul_i32_i24_e32 v253, v84, v173
	;; [unrolled: 1-line block ×3, first 2 shown]
	s_waitcnt lgkmcnt(0)
	v_pk_mul_f16 v86, v151, v19
	v_add3_u32 v85, v85, v109, v110
	v_mul_i32_i24_e32 v87, v42, v191
	v_mul_i32_i24_e32 v88, v44, v192
	v_mul_i32_i24_e32 v92, v54, v195
	v_mul_i32_i24_e32 v89, v47, v193
	v_add3_u32 v85, v85, v111, v113
	v_mul_i32_i24_e32 v90, v51, v186
	v_mul_i32_i24_e32 v91, v53, v194
	v_mul_i32_i24_e32 v96, v58, v200
	v_mul_i32_i24_e32 v93, v55, v196
	;; [unrolled: 5-line block ×3, first 2 shown]
	v_cvt_f32_i32_e32 v85, v85
	v_mul_i32_i24_e32 v98, v67, v190
	v_mul_i32_i24_e32 v99, v69, v202
	;; [unrolled: 1-line block ×4, first 2 shown]
	v_fma_mix_f32 v85, v86, v85, v86 op_sel:[0,0,1] op_sel_hi:[1,0,1]
	v_mul_i32_i24_e32 v86, v34, v189
	v_mul_i32_i24_e32 v102, v72, v207
	;; [unrolled: 1-line block ×4, first 2 shown]
	v_add_f32_e32 v28, v28, v85
	v_mul_i32_i24_e32 v85, v33, v188
	v_mul_i32_i24_e32 v105, v75, v210
	;; [unrolled: 1-line block ×5, first 2 shown]
	v_mad_i32_i24 v85, v45, v169, v85
	v_mul_i32_i24_e32 v109, v80, v213
	v_mul_i32_i24_e32 v110, v81, v214
	;; [unrolled: 1-line block ×4, first 2 shown]
	v_add3_u32 v85, v85, v86, v87
	v_mul_i32_i24_e32 v253, v84, v206
	v_mul_i32_i24_e32 v254, v79, v219
	v_pk_mul_f16 v86, v153, v19
	v_mul_i32_i24_e32 v87, v42, v223
	v_add3_u32 v85, v85, v88, v92
	v_mul_i32_i24_e32 v42, v42, v252
	v_mul_i32_i24_e32 v88, v44, v224
	v_mul_i32_i24_e32 v92, v54, v227
	v_mul_i32_i24_e32 v44, v44, v125
	v_add3_u32 v85, v85, v89, v90
	v_mul_i32_i24_e32 v54, v54, v128
	v_mul_i32_i24_e32 v89, v47, v225
	v_mul_i32_i24_e32 v90, v51, v218
	;; [unrolled: 5-line block ×14, first 2 shown]
	v_mul_i32_i24_e32 v84, v84, v138
	v_cvt_f32_i32_e32 v85, v85
	v_mul_i32_i24_e32 v79, v79, v150
	s_delay_alu instid0(VALU_DEP_2) | instskip(SKIP_2) | instid1(VALU_DEP_3)
	v_fma_mix_f32 v85, v86, v85, v86 op_sel:[0,0,1] op_sel_hi:[1,0,1]
	v_mul_i32_i24_e32 v86, v34, v221
	v_mul_i32_i24_e32 v34, v34, v251
	v_add_f32_e32 v27, v27, v85
	v_mul_i32_i24_e32 v85, v33, v220
	v_mul_i32_i24_e32 v33, v33, v250
	s_delay_alu instid0(VALU_DEP_2) | instskip(NEXT) | instid1(VALU_DEP_2)
	v_mad_i32_i24 v85, v45, v203, v85
	v_mad_i32_i24 v33, v45, v122, v33
	s_delay_alu instid0(VALU_DEP_2) | instskip(NEXT) | instid1(VALU_DEP_2)
	v_add3_u32 v85, v85, v86, v87
	v_add3_u32 v33, v33, v34, v42
	v_pk_mul_f16 v86, v179, v19
	v_pk_mul_f16 v19, v121, v19
	s_delay_alu instid0(VALU_DEP_4) | instskip(NEXT) | instid1(VALU_DEP_4)
	v_add3_u32 v85, v85, v88, v92
	v_add3_u32 v33, v33, v44, v54
	s_delay_alu instid0(VALU_DEP_2) | instskip(NEXT) | instid1(VALU_DEP_2)
	v_add3_u32 v85, v85, v89, v90
	v_add3_u32 v33, v33, v47, v51
	s_delay_alu instid0(VALU_DEP_2) | instskip(NEXT) | instid1(VALU_DEP_2)
	;; [unrolled: 3-line block ×13, first 2 shown]
	v_add3_u32 v85, v85, v253, v254
	v_add3_u32 v33, v33, v84, v79
	ds_load_b128 v[76:79], v115 offset:7168
	ds_load_b128 v[108:111], v115 offset:7184
	v_add_nc_u32_e32 v115, 32, v115
	v_cvt_f32_i32_e32 v85, v85
	v_cvt_f32_i32_e32 v33, v33
	s_delay_alu instid0(VALU_DEP_2) | instskip(NEXT) | instid1(VALU_DEP_2)
	v_fma_mix_f32 v85, v86, v85, v86 op_sel:[0,0,1] op_sel_hi:[1,0,1]
	v_fma_mix_f32 v19, v19, v33, v19 op_sel:[0,0,1] op_sel_hi:[1,0,1]
	s_delay_alu instid0(VALU_DEP_1)
	v_dual_add_f32 v26, v26, v85 :: v_dual_add_f32 v25, v25, v19
	s_waitcnt lgkmcnt(1)
	v_bfe_i32 v42, v76, 0, 8
	v_bfe_i32 v70, v76, 8, 8
	;; [unrolled: 1-line block ×3, first 2 shown]
	v_ashrrev_i32_e32 v253, 24, v76
	s_waitcnt lgkmcnt(0)
	v_bfe_i32 v19, v108, 0, 8
	v_mul_i32_i24_e32 v76, v42, v155
	v_bfe_i32 v33, v77, 0, 8
	v_bfe_i32 v44, v77, 8, 8
	v_bfe_i32 v45, v77, 16, 8
	v_ashrrev_i32_e32 v105, 24, v77
	v_bfe_i32 v47, v78, 0, 8
	v_bfe_i32 v48, v78, 8, 8
	;; [unrolled: 1-line block ×3, first 2 shown]
	v_ashrrev_i32_e32 v50, 24, v78
	v_mul_i32_i24_e32 v77, v70, v156
	v_mul_i32_i24_e32 v78, v75, v158
	v_mad_i32_i24 v76, v19, v152, v76
	v_bfe_i32 v34, v108, 8, 8
	v_bfe_i32 v98, v108, 16, 8
	;; [unrolled: 1-line block ×5, first 2 shown]
	v_ashrrev_i32_e32 v67, 24, v79
	v_mul_i32_i24_e32 v79, v253, v159
	v_mul_i32_i24_e32 v83, v33, v162
	v_add3_u32 v76, v76, v77, v78
	v_ashrrev_i32_e32 v254, 24, v108
	v_bfe_i32 v106, v109, 0, 8
	v_mul_i32_i24_e32 v80, v34, v160
	v_mul_i32_i24_e32 v81, v98, v154
	v_add3_u32 v76, v76, v79, v83
	v_mul_i32_i24_e32 v82, v254, v161
	v_mul_i32_i24_e32 v87, v106, v167
	;; [unrolled: 1-line block ×4, first 2 shown]
	v_add3_u32 v76, v76, v80, v81
	v_bfe_i32 v107, v109, 8, 8
	v_bfe_i32 v108, v109, 16, 8
	v_mul_i32_i24_e32 v86, v105, v166
	v_mul_i32_i24_e32 v91, v47, v171
	v_add3_u32 v76, v76, v82, v87
	v_ashrrev_i32_e32 v109, 24, v109
	v_bfe_i32 v51, v110, 0, 8
	v_mul_i32_i24_e32 v88, v107, v168
	v_mul_i32_i24_e32 v89, v108, v157
	v_add3_u32 v76, v76, v84, v85
	v_mul_i32_i24_e32 v90, v109, v170
	v_mul_i32_i24_e32 v95, v51, v176
	;; [unrolled: 1-line block ×4, first 2 shown]
	v_add3_u32 v76, v76, v86, v91
	v_bfe_i32 v53, v110, 8, 8
	v_bfe_i32 v54, v110, 16, 8
	v_mul_i32_i24_e32 v94, v50, v175
	v_mul_i32_i24_e32 v100, v57, v180
	v_add3_u32 v76, v76, v88, v89
	v_ashrrev_i32_e32 v55, 24, v110
	v_bfe_i32 v69, v111, 0, 8
	v_mul_i32_i24_e32 v96, v53, v177
	v_mul_i32_i24_e32 v97, v54, v165
	v_add3_u32 v76, v76, v90, v95
	v_mul_i32_i24_e32 v99, v55, v178
	v_mul_i32_i24_e32 v104, v69, v184
	v_bfe_i32 v71, v111, 8, 8
	v_mul_i32_i24_e32 v101, v58, v181
	v_add3_u32 v76, v76, v92, v93
	v_mul_i32_i24_e32 v102, v63, v182
	v_bfe_i32 v72, v111, 16, 8
	v_ashrrev_i32_e32 v73, 24, v111
	v_mul_i32_i24_e32 v103, v67, v183
	v_add3_u32 v76, v76, v94, v100
	v_mul_i32_i24_e32 v110, v71, v185
	v_mul_i32_i24_e32 v111, v72, v173
	v_mul_i32_i24_e32 v112, v73, v187
	v_pk_mul_f16 v77, v151, v20
	v_add3_u32 v76, v76, v96, v97
	v_mul_i32_i24_e32 v78, v75, v191
	v_mul_i32_i24_e32 v79, v253, v192
	v_mul_i32_i24_e32 v83, v33, v195
	v_mul_i32_i24_e32 v80, v34, v193
	v_add3_u32 v76, v76, v99, v104
	v_mul_i32_i24_e32 v81, v98, v186
	v_mul_i32_i24_e32 v82, v254, v194
	v_mul_i32_i24_e32 v87, v106, v200
	v_mul_i32_i24_e32 v84, v44, v196
	;; [unrolled: 5-line block ×5, first 2 shown]
	v_cvt_f32_i32_e32 v76, v76
	v_mul_i32_i24_e32 v97, v54, v199
	v_mul_i32_i24_e32 v99, v55, v211
	;; [unrolled: 1-line block ×4, first 2 shown]
	v_fma_mix_f32 v76, v77, v76, v77 op_sel:[0,0,1] op_sel_hi:[1,0,1]
	v_mul_i32_i24_e32 v77, v70, v189
	v_mul_i32_i24_e32 v102, v63, v214
	;; [unrolled: 1-line block ×4, first 2 shown]
	v_add_f32_e32 v24, v24, v76
	v_mul_i32_i24_e32 v76, v42, v188
	v_mul_i32_i24_e32 v111, v72, v206
	;; [unrolled: 1-line block ×5, first 2 shown]
	v_mad_i32_i24 v76, v19, v169, v76
	s_delay_alu instid0(VALU_DEP_1)
	v_add3_u32 v76, v76, v77, v78
	v_pk_mul_f16 v77, v153, v20
	v_mul_i32_i24_e32 v78, v75, v223
	v_mul_i32_i24_e32 v153, v75, v252
	;; [unrolled: 1-line block ×3, first 2 shown]
	v_add3_u32 v76, v76, v79, v83
	v_mul_i32_i24_e32 v79, v253, v224
	v_mul_i32_i24_e32 v83, v33, v227
	;; [unrolled: 1-line block ×3, first 2 shown]
	s_delay_alu instid0(VALU_DEP_4) | instskip(SKIP_3) | instid1(VALU_DEP_4)
	v_add3_u32 v76, v76, v80, v81
	v_mul_i32_i24_e32 v80, v34, v225
	v_mul_i32_i24_e32 v81, v98, v218
	;; [unrolled: 1-line block ×3, first 2 shown]
	v_add3_u32 v76, v76, v82, v87
	v_mul_i32_i24_e32 v82, v254, v226
	v_mul_i32_i24_e32 v87, v106, v232
	s_delay_alu instid0(VALU_DEP_3)
	v_add3_u32 v76, v76, v84, v85
	v_mul_i32_i24_e32 v84, v44, v228
	v_mul_i32_i24_e32 v85, v45, v229
	;; [unrolled: 1-line block ×4, first 2 shown]
	v_add3_u32 v76, v76, v86, v91
	v_mul_i32_i24_e32 v86, v105, v230
	v_mul_i32_i24_e32 v91, v47, v235
	;; [unrolled: 1-line block ×3, first 2 shown]
	s_delay_alu instid0(VALU_DEP_4) | instskip(SKIP_2) | instid1(VALU_DEP_3)
	v_add3_u32 v76, v76, v88, v89
	v_mul_i32_i24_e32 v88, v107, v233
	v_mul_i32_i24_e32 v89, v108, v222
	v_add3_u32 v76, v76, v90, v95
	v_mul_i32_i24_e32 v90, v109, v234
	v_mul_i32_i24_e32 v95, v51, v240
	v_mul_i32_i24_e32 v51, v51, v141
	s_delay_alu instid0(VALU_DEP_4)
	v_add3_u32 v76, v76, v92, v93
	v_mul_i32_i24_e32 v92, v48, v236
	v_mul_i32_i24_e32 v93, v49, v238
	v_mul_i32_i24_e32 v48, v48, v137
	v_mul_i32_i24_e32 v49, v49, v139
	v_add3_u32 v76, v76, v94, v100
	v_mul_i32_i24_e32 v94, v50, v239
	v_mul_i32_i24_e32 v100, v57, v243
	v_mul_i32_i24_e32 v50, v50, v140
	v_mul_i32_i24_e32 v57, v57, v144
	v_add3_u32 v76, v76, v96, v97
	v_mul_i32_i24_e32 v96, v53, v241
	v_mul_i32_i24_e32 v97, v54, v231
	v_mul_i32_i24_e32 v53, v53, v142
	v_mul_i32_i24_e32 v54, v54, v132
	v_add3_u32 v76, v76, v99, v104
	v_mul_i32_i24_e32 v99, v55, v242
	v_mul_i32_i24_e32 v104, v69, v247
	v_mul_i32_i24_e32 v55, v55, v143
	v_mul_i32_i24_e32 v69, v69, v148
	v_add3_u32 v76, v76, v101, v102
	v_mul_i32_i24_e32 v101, v58, v244
	v_mul_i32_i24_e32 v102, v63, v245
	v_mul_i32_i24_e32 v58, v58, v145
	v_mul_i32_i24_e32 v63, v63, v146
	v_add3_u32 v76, v76, v103, v110
	v_mul_i32_i24_e32 v103, v67, v246
	v_mul_i32_i24_e32 v110, v71, v248
	v_mul_i32_i24_e32 v67, v67, v147
	v_mul_i32_i24_e32 v71, v71, v149
	v_add3_u32 v76, v76, v111, v112
	v_mul_i32_i24_e32 v111, v72, v237
	v_mul_i32_i24_e32 v112, v73, v249
	v_mul_i32_i24_e32 v72, v72, v138
	v_mul_i32_i24_e32 v73, v73, v150
	v_cvt_f32_i32_e32 v76, v76
	s_delay_alu instid0(VALU_DEP_1) | instskip(SKIP_2) | instid1(VALU_DEP_3)
	v_fma_mix_f32 v76, v77, v76, v77 op_sel:[0,0,1] op_sel_hi:[1,0,1]
	v_mul_i32_i24_e32 v77, v70, v221
	v_mul_i32_i24_e32 v70, v98, v123
	v_add_f32_e32 v23, v23, v76
	v_mul_i32_i24_e32 v76, v42, v220
	v_mul_i32_i24_e32 v42, v253, v125
	s_delay_alu instid0(VALU_DEP_2) | instskip(SKIP_1) | instid1(VALU_DEP_2)
	v_mad_i32_i24 v76, v19, v203, v76
	v_mad_i32_i24 v19, v19, v122, v151
	v_add3_u32 v76, v76, v77, v78
	s_delay_alu instid0(VALU_DEP_2)
	v_add3_u32 v19, v19, v152, v153
	v_pk_mul_f16 v77, v179, v20
	v_mul_i32_i24_e32 v78, v107, v134
	v_pk_mul_f16 v20, v121, v20
	v_add3_u32 v76, v76, v79, v83
	v_add3_u32 v19, v19, v42, v33
	v_mul_i32_i24_e32 v79, v108, v124
	s_delay_alu instid0(VALU_DEP_3) | instskip(NEXT) | instid1(VALU_DEP_3)
	v_add3_u32 v76, v76, v80, v81
	v_add3_u32 v19, v19, v34, v70
	v_mul_i32_i24_e32 v80, v109, v135
	s_delay_alu instid0(VALU_DEP_3) | instskip(NEXT) | instid1(VALU_DEP_1)
	v_add3_u32 v76, v76, v82, v87
	v_add3_u32 v76, v76, v84, v85
	s_delay_alu instid0(VALU_DEP_1) | instskip(NEXT) | instid1(VALU_DEP_1)
	v_add3_u32 v76, v76, v86, v91
	v_add3_u32 v76, v76, v88, v89
	s_delay_alu instid0(VALU_DEP_1) | instskip(NEXT) | instid1(VALU_DEP_1)
	;; [unrolled: 3-line block ×6, first 2 shown]
	v_cvt_f32_i32_e32 v76, v76
	v_fma_mix_f32 v76, v77, v76, v77 op_sel:[0,0,1] op_sel_hi:[1,0,1]
	v_mul_i32_i24_e32 v77, v106, v133
	s_delay_alu instid0(VALU_DEP_2) | instskip(NEXT) | instid1(VALU_DEP_2)
	v_add_f32_e32 v22, v22, v76
	v_add3_u32 v19, v19, v75, v77
	v_mul_i32_i24_e32 v76, v105, v131
	s_delay_alu instid0(VALU_DEP_2) | instskip(NEXT) | instid1(VALU_DEP_1)
	v_add3_u32 v19, v19, v44, v45
	v_add3_u32 v19, v19, v76, v47
	s_delay_alu instid0(VALU_DEP_1) | instskip(NEXT) | instid1(VALU_DEP_1)
	v_add3_u32 v19, v19, v78, v79
	v_add3_u32 v19, v19, v80, v51
	s_delay_alu instid0(VALU_DEP_1) | instskip(NEXT) | instid1(VALU_DEP_1)
	;; [unrolled: 3-line block ×5, first 2 shown]
	v_add3_u32 v19, v19, v72, v73
	v_cvt_f32_i32_e32 v19, v19
	s_delay_alu instid0(VALU_DEP_1) | instskip(NEXT) | instid1(VALU_DEP_1)
	v_fma_mix_f32 v19, v20, v19, v20 op_sel:[0,0,1] op_sel_hi:[1,0,1]
	v_add_f32_e32 v21, v21, v19
	s_cbranch_scc1 .LBB140_10
; %bb.11:                               ;   in Loop: Header=BB140_6 Depth=1
	s_barrier
	buffer_gl0_inv
	s_branch .LBB140_5
.LBB140_12:
	s_clause 0x2
	scratch_load_b32 v1, off, off offset:232
	scratch_load_b32 v0, off, off offset:236
	;; [unrolled: 1-line block ×3, first 2 shown]
.LBB140_13:
	s_mov_b32 s0, exec_lo
	s_waitcnt vmcnt(0)
	v_cmpx_gt_u32_e64 s6, v4
	s_cbranch_execz .LBB140_64
; %bb.14:
	v_add_nc_u32_e32 v0, s12, v0
	v_mul_lo_u32 v5, v4, s10
	s_delay_alu instid0(VALU_DEP_2)
	v_cmp_gt_u32_e32 vcc_lo, s10, v0
	s_and_saveexec_b32 s1, vcc_lo
	s_cbranch_execz .LBB140_16
; %bb.15:
	s_delay_alu instid0(VALU_DEP_2) | instskip(SKIP_1) | instid1(VALU_DEP_2)
	v_dual_mov_b32 v3, 0 :: v_dual_add_nc_u32 v2, v0, v5
	v_cvt_f16_f32_e32 v4, v35
	v_lshlrev_b64 v[2:3], 1, v[2:3]
	s_waitcnt lgkmcnt(0)
	s_delay_alu instid0(VALU_DEP_1) | instskip(NEXT) | instid1(VALU_DEP_1)
	v_add_co_u32 v2, s0, s8, v2
	v_add_co_ci_u32_e64 v3, s0, s9, v3, s0
	global_store_b16 v[2:3], v4, off
.LBB140_16:
	s_or_b32 exec_lo, exec_lo, s1
	v_add_nc_u32_e32 v2, 32, v0
	s_delay_alu instid0(VALU_DEP_1) | instskip(NEXT) | instid1(VALU_DEP_1)
	v_cmp_gt_u32_e64 s0, s10, v2
	s_and_saveexec_b32 s2, s0
	s_cbranch_execz .LBB140_18
; %bb.17:
	v_dual_mov_b32 v4, 0 :: v_dual_add_nc_u32 v3, v2, v5
	v_cvt_f16_f32_e32 v6, v74
	s_delay_alu instid0(VALU_DEP_2) | instskip(SKIP_1) | instid1(VALU_DEP_1)
	v_lshlrev_b64 v[3:4], 1, v[3:4]
	s_waitcnt lgkmcnt(0)
	v_add_co_u32 v3, s1, s8, v3
	s_delay_alu instid0(VALU_DEP_1)
	v_add_co_ci_u32_e64 v4, s1, s9, v4, s1
	global_store_b16 v[3:4], v6, off
.LBB140_18:
	s_or_b32 exec_lo, exec_lo, s2
	v_add_nc_u32_e32 v3, 64, v0
	s_delay_alu instid0(VALU_DEP_1) | instskip(NEXT) | instid1(VALU_DEP_1)
	v_cmp_gt_u32_e64 s1, s10, v3
	s_and_saveexec_b32 s3, s1
	s_cbranch_execz .LBB140_20
; %bb.19:
	v_dual_mov_b32 v7, 0 :: v_dual_add_nc_u32 v6, v3, v5
	v_cvt_f16_f32_e32 v4, v68
	s_delay_alu instid0(VALU_DEP_2) | instskip(SKIP_1) | instid1(VALU_DEP_1)
	v_lshlrev_b64 v[6:7], 1, v[6:7]
	s_waitcnt lgkmcnt(0)
	v_add_co_u32 v6, s2, s8, v6
	s_delay_alu instid0(VALU_DEP_1)
	v_add_co_ci_u32_e64 v7, s2, s9, v7, s2
	global_store_b16 v[6:7], v4, off
.LBB140_20:
	;; [unrolled: 17-line block ×3, first 2 shown]
	s_or_b32 exec_lo, exec_lo, s4
	v_add3_u32 v5, v1, s11, 8
	s_delay_alu instid0(VALU_DEP_1) | instskip(NEXT) | instid1(VALU_DEP_1)
	v_cmp_gt_u32_e64 s3, s6, v5
	s_and_b32 exec_lo, exec_lo, s3
	s_cbranch_execz .LBB140_64
; %bb.23:
	v_mul_lo_u32 v5, v5, s10
	s_and_saveexec_b32 s4, vcc_lo
	s_cbranch_execnz .LBB140_65
; %bb.24:
	s_or_b32 exec_lo, exec_lo, s4
	s_and_saveexec_b32 s4, s0
	s_cbranch_execnz .LBB140_66
.LBB140_25:
	s_or_b32 exec_lo, exec_lo, s4
	s_and_saveexec_b32 s4, s1
	s_cbranch_execnz .LBB140_67
.LBB140_26:
	s_or_b32 exec_lo, exec_lo, s4
	s_and_saveexec_b32 s4, s2
	s_cbranch_execz .LBB140_28
.LBB140_27:
	v_dual_mov_b32 v6, 0 :: v_dual_add_nc_u32 v5, v5, v4
	v_cvt_f16_f32_e32 v7, v61
	s_delay_alu instid0(VALU_DEP_2) | instskip(SKIP_1) | instid1(VALU_DEP_1)
	v_lshlrev_b64 v[5:6], 1, v[5:6]
	s_waitcnt lgkmcnt(0)
	v_add_co_u32 v5, s3, s8, v5
	s_delay_alu instid0(VALU_DEP_1)
	v_add_co_ci_u32_e64 v6, s3, s9, v6, s3
	global_store_b16 v[5:6], v7, off
.LBB140_28:
	s_or_b32 exec_lo, exec_lo, s4
	v_add3_u32 v5, v1, s11, 16
	s_delay_alu instid0(VALU_DEP_1) | instskip(NEXT) | instid1(VALU_DEP_1)
	v_cmp_gt_u32_e64 s3, s6, v5
	s_and_b32 exec_lo, exec_lo, s3
	s_cbranch_execz .LBB140_64
; %bb.29:
	v_mul_lo_u32 v5, v5, s10
	s_and_saveexec_b32 s4, vcc_lo
	s_cbranch_execnz .LBB140_68
; %bb.30:
	s_or_b32 exec_lo, exec_lo, s4
	s_and_saveexec_b32 s4, s0
	s_cbranch_execnz .LBB140_69
.LBB140_31:
	s_or_b32 exec_lo, exec_lo, s4
	s_and_saveexec_b32 s4, s1
	s_cbranch_execnz .LBB140_70
.LBB140_32:
	s_or_b32 exec_lo, exec_lo, s4
	s_and_saveexec_b32 s4, s2
	s_cbranch_execz .LBB140_34
.LBB140_33:
	v_dual_mov_b32 v6, 0 :: v_dual_add_nc_u32 v5, v5, v4
	v_cvt_f16_f32_e32 v7, v52
	s_delay_alu instid0(VALU_DEP_2) | instskip(SKIP_1) | instid1(VALU_DEP_1)
	v_lshlrev_b64 v[5:6], 1, v[5:6]
	s_waitcnt lgkmcnt(0)
	v_add_co_u32 v5, s3, s8, v5
	s_delay_alu instid0(VALU_DEP_1)
	v_add_co_ci_u32_e64 v6, s3, s9, v6, s3
	global_store_b16 v[5:6], v7, off
.LBB140_34:
	s_or_b32 exec_lo, exec_lo, s4
	v_add3_u32 v5, v1, s11, 24
	s_delay_alu instid0(VALU_DEP_1) | instskip(NEXT) | instid1(VALU_DEP_1)
	v_cmp_gt_u32_e64 s3, s6, v5
	s_and_b32 exec_lo, exec_lo, s3
	s_cbranch_execz .LBB140_64
; %bb.35:
	v_mul_lo_u32 v5, v5, s10
	s_and_saveexec_b32 s4, vcc_lo
	s_cbranch_execnz .LBB140_71
; %bb.36:
	s_or_b32 exec_lo, exec_lo, s4
	s_and_saveexec_b32 s4, s0
	s_cbranch_execnz .LBB140_72
.LBB140_37:
	s_or_b32 exec_lo, exec_lo, s4
	s_and_saveexec_b32 s4, s1
	s_cbranch_execnz .LBB140_73
.LBB140_38:
	s_or_b32 exec_lo, exec_lo, s4
	s_and_saveexec_b32 s4, s2
	s_cbranch_execz .LBB140_40
.LBB140_39:
	v_dual_mov_b32 v6, 0 :: v_dual_add_nc_u32 v5, v5, v4
	v_cvt_f16_f32_e32 v7, v40
	s_delay_alu instid0(VALU_DEP_2) | instskip(SKIP_1) | instid1(VALU_DEP_1)
	v_lshlrev_b64 v[5:6], 1, v[5:6]
	s_waitcnt lgkmcnt(0)
	v_add_co_u32 v5, s3, s8, v5
	s_delay_alu instid0(VALU_DEP_1)
	v_add_co_ci_u32_e64 v6, s3, s9, v6, s3
	global_store_b16 v[5:6], v7, off
.LBB140_40:
	s_or_b32 exec_lo, exec_lo, s4
	v_add3_u32 v5, v1, s11, 32
	s_delay_alu instid0(VALU_DEP_1) | instskip(NEXT) | instid1(VALU_DEP_1)
	v_cmp_gt_u32_e64 s3, s6, v5
	s_and_b32 exec_lo, exec_lo, s3
	s_cbranch_execz .LBB140_64
; %bb.41:
	v_mul_lo_u32 v5, v5, s10
	s_and_saveexec_b32 s4, vcc_lo
	s_cbranch_execnz .LBB140_74
; %bb.42:
	s_or_b32 exec_lo, exec_lo, s4
	s_and_saveexec_b32 s4, s0
	s_cbranch_execnz .LBB140_75
.LBB140_43:
	s_or_b32 exec_lo, exec_lo, s4
	s_and_saveexec_b32 s4, s1
	s_cbranch_execnz .LBB140_76
.LBB140_44:
	s_or_b32 exec_lo, exec_lo, s4
	s_and_saveexec_b32 s4, s2
	s_cbranch_execz .LBB140_46
.LBB140_45:
	v_dual_mov_b32 v6, 0 :: v_dual_add_nc_u32 v5, v5, v4
	v_cvt_f16_f32_e32 v7, v36
	s_delay_alu instid0(VALU_DEP_2) | instskip(SKIP_1) | instid1(VALU_DEP_1)
	v_lshlrev_b64 v[5:6], 1, v[5:6]
	s_waitcnt lgkmcnt(0)
	v_add_co_u32 v5, s3, s8, v5
	s_delay_alu instid0(VALU_DEP_1)
	v_add_co_ci_u32_e64 v6, s3, s9, v6, s3
	global_store_b16 v[5:6], v7, off
.LBB140_46:
	s_or_b32 exec_lo, exec_lo, s4
	v_add3_u32 v5, v1, s11, 40
	s_delay_alu instid0(VALU_DEP_1) | instskip(NEXT) | instid1(VALU_DEP_1)
	v_cmp_gt_u32_e64 s3, s6, v5
	s_and_b32 exec_lo, exec_lo, s3
	s_cbranch_execz .LBB140_64
; %bb.47:
	v_mul_lo_u32 v5, v5, s10
	s_and_saveexec_b32 s4, vcc_lo
	s_cbranch_execnz .LBB140_77
; %bb.48:
	s_or_b32 exec_lo, exec_lo, s4
	s_and_saveexec_b32 s4, s0
	s_cbranch_execnz .LBB140_78
.LBB140_49:
	s_or_b32 exec_lo, exec_lo, s4
	s_and_saveexec_b32 s4, s1
	s_cbranch_execnz .LBB140_79
.LBB140_50:
	s_or_b32 exec_lo, exec_lo, s4
	s_and_saveexec_b32 s4, s2
	s_cbranch_execz .LBB140_52
.LBB140_51:
	v_dual_mov_b32 v6, 0 :: v_dual_add_nc_u32 v5, v5, v4
	v_cvt_f16_f32_e32 v7, v29
	s_delay_alu instid0(VALU_DEP_2) | instskip(SKIP_1) | instid1(VALU_DEP_1)
	v_lshlrev_b64 v[5:6], 1, v[5:6]
	s_waitcnt lgkmcnt(0)
	v_add_co_u32 v5, s3, s8, v5
	s_delay_alu instid0(VALU_DEP_1)
	v_add_co_ci_u32_e64 v6, s3, s9, v6, s3
	global_store_b16 v[5:6], v7, off
.LBB140_52:
	s_or_b32 exec_lo, exec_lo, s4
	v_add3_u32 v5, v1, s11, 48
	s_delay_alu instid0(VALU_DEP_1) | instskip(NEXT) | instid1(VALU_DEP_1)
	v_cmp_gt_u32_e64 s3, s6, v5
	s_and_b32 exec_lo, exec_lo, s3
	s_cbranch_execz .LBB140_64
; %bb.53:
	v_mul_lo_u32 v5, v5, s10
	s_and_saveexec_b32 s4, vcc_lo
	s_cbranch_execnz .LBB140_80
; %bb.54:
	s_or_b32 exec_lo, exec_lo, s4
	s_and_saveexec_b32 s4, s0
	s_cbranch_execnz .LBB140_81
.LBB140_55:
	s_or_b32 exec_lo, exec_lo, s4
	s_and_saveexec_b32 s4, s1
	s_cbranch_execnz .LBB140_82
.LBB140_56:
	s_or_b32 exec_lo, exec_lo, s4
	s_and_saveexec_b32 s4, s2
	s_cbranch_execz .LBB140_58
.LBB140_57:
	v_dual_mov_b32 v6, 0 :: v_dual_add_nc_u32 v5, v5, v4
	v_cvt_f16_f32_e32 v7, v25
	s_delay_alu instid0(VALU_DEP_2) | instskip(SKIP_1) | instid1(VALU_DEP_1)
	v_lshlrev_b64 v[5:6], 1, v[5:6]
	s_waitcnt lgkmcnt(0)
	v_add_co_u32 v5, s3, s8, v5
	s_delay_alu instid0(VALU_DEP_1)
	v_add_co_ci_u32_e64 v6, s3, s9, v6, s3
	global_store_b16 v[5:6], v7, off
.LBB140_58:
	s_or_b32 exec_lo, exec_lo, s4
	v_add3_u32 v1, v1, s11, 56
	s_delay_alu instid0(VALU_DEP_1) | instskip(NEXT) | instid1(VALU_DEP_1)
	v_cmp_gt_u32_e64 s3, s6, v1
	s_and_b32 exec_lo, exec_lo, s3
	s_cbranch_execz .LBB140_64
; %bb.59:
	v_mul_lo_u32 v1, v1, s10
	s_and_saveexec_b32 s3, vcc_lo
	s_cbranch_execnz .LBB140_83
; %bb.60:
	s_or_b32 exec_lo, exec_lo, s3
	s_and_saveexec_b32 s3, s0
	s_cbranch_execnz .LBB140_84
.LBB140_61:
	s_or_b32 exec_lo, exec_lo, s3
	s_and_saveexec_b32 s0, s1
	s_cbranch_execnz .LBB140_85
.LBB140_62:
	s_or_b32 exec_lo, exec_lo, s0
	s_delay_alu instid0(SALU_CYCLE_1)
	s_and_b32 exec_lo, exec_lo, s2
	s_cbranch_execz .LBB140_64
.LBB140_63:
	v_dual_mov_b32 v1, 0 :: v_dual_add_nc_u32 v0, v1, v4
	v_cvt_f16_f32_e32 v2, v21
	s_delay_alu instid0(VALU_DEP_2) | instskip(SKIP_1) | instid1(VALU_DEP_1)
	v_lshlrev_b64 v[0:1], 1, v[0:1]
	s_waitcnt lgkmcnt(0)
	v_add_co_u32 v0, vcc_lo, s8, v0
	s_delay_alu instid0(VALU_DEP_2)
	v_add_co_ci_u32_e32 v1, vcc_lo, s9, v1, vcc_lo
	global_store_b16 v[0:1], v2, off
.LBB140_64:
	s_nop 0
	s_sendmsg sendmsg(MSG_DEALLOC_VGPRS)
	s_endpgm
.LBB140_65:
	s_delay_alu instid0(VALU_DEP_1) | instskip(SKIP_1) | instid1(VALU_DEP_2)
	v_dual_mov_b32 v7, 0 :: v_dual_add_nc_u32 v6, v5, v0
	v_cvt_f16_f32_e32 v8, v65
	v_lshlrev_b64 v[6:7], 1, v[6:7]
	s_waitcnt lgkmcnt(0)
	s_delay_alu instid0(VALU_DEP_1) | instskip(NEXT) | instid1(VALU_DEP_1)
	v_add_co_u32 v6, s3, s8, v6
	v_add_co_ci_u32_e64 v7, s3, s9, v7, s3
	global_store_b16 v[6:7], v8, off
	s_or_b32 exec_lo, exec_lo, s4
	s_and_saveexec_b32 s4, s0
	s_cbranch_execz .LBB140_25
.LBB140_66:
	s_delay_alu instid0(VALU_DEP_1) | instskip(SKIP_1) | instid1(VALU_DEP_2)
	v_dual_mov_b32 v7, 0 :: v_dual_add_nc_u32 v6, v5, v2
	v_cvt_f16_f32_e32 v8, v64
	v_lshlrev_b64 v[6:7], 1, v[6:7]
	s_waitcnt lgkmcnt(0)
	s_delay_alu instid0(VALU_DEP_1) | instskip(NEXT) | instid1(VALU_DEP_1)
	v_add_co_u32 v6, s3, s8, v6
	v_add_co_ci_u32_e64 v7, s3, s9, v7, s3
	global_store_b16 v[6:7], v8, off
	s_or_b32 exec_lo, exec_lo, s4
	s_and_saveexec_b32 s4, s1
	s_cbranch_execz .LBB140_26
.LBB140_67:
	v_dual_mov_b32 v7, 0 :: v_dual_add_nc_u32 v6, v5, v3
	v_cvt_f16_f32_e32 v8, v62
	s_delay_alu instid0(VALU_DEP_2) | instskip(SKIP_1) | instid1(VALU_DEP_1)
	v_lshlrev_b64 v[6:7], 1, v[6:7]
	s_waitcnt lgkmcnt(0)
	v_add_co_u32 v6, s3, s8, v6
	s_delay_alu instid0(VALU_DEP_1)
	v_add_co_ci_u32_e64 v7, s3, s9, v7, s3
	global_store_b16 v[6:7], v8, off
	s_or_b32 exec_lo, exec_lo, s4
	s_and_saveexec_b32 s4, s2
	s_cbranch_execnz .LBB140_27
	s_branch .LBB140_28
.LBB140_68:
	s_delay_alu instid0(VALU_DEP_1) | instskip(SKIP_1) | instid1(VALU_DEP_2)
	v_dual_mov_b32 v7, 0 :: v_dual_add_nc_u32 v6, v5, v0
	v_cvt_f16_f32_e32 v8, v60
	v_lshlrev_b64 v[6:7], 1, v[6:7]
	s_waitcnt lgkmcnt(0)
	s_delay_alu instid0(VALU_DEP_1) | instskip(NEXT) | instid1(VALU_DEP_1)
	v_add_co_u32 v6, s3, s8, v6
	v_add_co_ci_u32_e64 v7, s3, s9, v7, s3
	global_store_b16 v[6:7], v8, off
	s_or_b32 exec_lo, exec_lo, s4
	s_and_saveexec_b32 s4, s0
	s_cbranch_execz .LBB140_31
.LBB140_69:
	s_delay_alu instid0(VALU_DEP_1) | instskip(SKIP_1) | instid1(VALU_DEP_2)
	v_dual_mov_b32 v7, 0 :: v_dual_add_nc_u32 v6, v5, v2
	v_cvt_f16_f32_e32 v8, v59
	v_lshlrev_b64 v[6:7], 1, v[6:7]
	s_waitcnt lgkmcnt(0)
	s_delay_alu instid0(VALU_DEP_1) | instskip(NEXT) | instid1(VALU_DEP_1)
	v_add_co_u32 v6, s3, s8, v6
	v_add_co_ci_u32_e64 v7, s3, s9, v7, s3
	global_store_b16 v[6:7], v8, off
	s_or_b32 exec_lo, exec_lo, s4
	s_and_saveexec_b32 s4, s1
	s_cbranch_execz .LBB140_32
.LBB140_70:
	v_dual_mov_b32 v7, 0 :: v_dual_add_nc_u32 v6, v5, v3
	v_cvt_f16_f32_e32 v8, v56
	s_delay_alu instid0(VALU_DEP_2) | instskip(SKIP_1) | instid1(VALU_DEP_1)
	v_lshlrev_b64 v[6:7], 1, v[6:7]
	s_waitcnt lgkmcnt(0)
	v_add_co_u32 v6, s3, s8, v6
	s_delay_alu instid0(VALU_DEP_1)
	v_add_co_ci_u32_e64 v7, s3, s9, v7, s3
	global_store_b16 v[6:7], v8, off
	s_or_b32 exec_lo, exec_lo, s4
	s_and_saveexec_b32 s4, s2
	s_cbranch_execnz .LBB140_33
	s_branch .LBB140_34
.LBB140_71:
	s_delay_alu instid0(VALU_DEP_1) | instskip(SKIP_1) | instid1(VALU_DEP_2)
	v_dual_mov_b32 v7, 0 :: v_dual_add_nc_u32 v6, v5, v0
	v_cvt_f16_f32_e32 v8, v46
	v_lshlrev_b64 v[6:7], 1, v[6:7]
	s_waitcnt lgkmcnt(0)
	s_delay_alu instid0(VALU_DEP_1) | instskip(NEXT) | instid1(VALU_DEP_1)
	v_add_co_u32 v6, s3, s8, v6
	v_add_co_ci_u32_e64 v7, s3, s9, v7, s3
	global_store_b16 v[6:7], v8, off
	s_or_b32 exec_lo, exec_lo, s4
	s_and_saveexec_b32 s4, s0
	s_cbranch_execz .LBB140_37
.LBB140_72:
	s_delay_alu instid0(VALU_DEP_1) | instskip(SKIP_1) | instid1(VALU_DEP_2)
	v_dual_mov_b32 v7, 0 :: v_dual_add_nc_u32 v6, v5, v2
	v_cvt_f16_f32_e32 v8, v43
	v_lshlrev_b64 v[6:7], 1, v[6:7]
	s_waitcnt lgkmcnt(0)
	s_delay_alu instid0(VALU_DEP_1) | instskip(NEXT) | instid1(VALU_DEP_1)
	v_add_co_u32 v6, s3, s8, v6
	v_add_co_ci_u32_e64 v7, s3, s9, v7, s3
	global_store_b16 v[6:7], v8, off
	s_or_b32 exec_lo, exec_lo, s4
	s_and_saveexec_b32 s4, s1
	s_cbranch_execz .LBB140_38
.LBB140_73:
	v_dual_mov_b32 v7, 0 :: v_dual_add_nc_u32 v6, v5, v3
	v_cvt_f16_f32_e32 v8, v41
	s_delay_alu instid0(VALU_DEP_2) | instskip(SKIP_1) | instid1(VALU_DEP_1)
	v_lshlrev_b64 v[6:7], 1, v[6:7]
	s_waitcnt lgkmcnt(0)
	v_add_co_u32 v6, s3, s8, v6
	s_delay_alu instid0(VALU_DEP_1)
	v_add_co_ci_u32_e64 v7, s3, s9, v7, s3
	global_store_b16 v[6:7], v8, off
	s_or_b32 exec_lo, exec_lo, s4
	s_and_saveexec_b32 s4, s2
	s_cbranch_execnz .LBB140_39
	s_branch .LBB140_40
.LBB140_74:
	s_delay_alu instid0(VALU_DEP_1) | instskip(SKIP_1) | instid1(VALU_DEP_2)
	v_dual_mov_b32 v7, 0 :: v_dual_add_nc_u32 v6, v5, v0
	v_cvt_f16_f32_e32 v8, v39
	v_lshlrev_b64 v[6:7], 1, v[6:7]
	s_waitcnt lgkmcnt(0)
	s_delay_alu instid0(VALU_DEP_1) | instskip(NEXT) | instid1(VALU_DEP_1)
	v_add_co_u32 v6, s3, s8, v6
	v_add_co_ci_u32_e64 v7, s3, s9, v7, s3
	global_store_b16 v[6:7], v8, off
	s_or_b32 exec_lo, exec_lo, s4
	s_and_saveexec_b32 s4, s0
	s_cbranch_execz .LBB140_43
.LBB140_75:
	s_delay_alu instid0(VALU_DEP_1) | instskip(SKIP_1) | instid1(VALU_DEP_2)
	v_dual_mov_b32 v7, 0 :: v_dual_add_nc_u32 v6, v5, v2
	v_cvt_f16_f32_e32 v8, v38
	v_lshlrev_b64 v[6:7], 1, v[6:7]
	s_waitcnt lgkmcnt(0)
	s_delay_alu instid0(VALU_DEP_1) | instskip(NEXT) | instid1(VALU_DEP_1)
	v_add_co_u32 v6, s3, s8, v6
	v_add_co_ci_u32_e64 v7, s3, s9, v7, s3
	global_store_b16 v[6:7], v8, off
	s_or_b32 exec_lo, exec_lo, s4
	s_and_saveexec_b32 s4, s1
	s_cbranch_execz .LBB140_44
.LBB140_76:
	v_dual_mov_b32 v7, 0 :: v_dual_add_nc_u32 v6, v5, v3
	v_cvt_f16_f32_e32 v8, v37
	s_delay_alu instid0(VALU_DEP_2) | instskip(SKIP_1) | instid1(VALU_DEP_1)
	v_lshlrev_b64 v[6:7], 1, v[6:7]
	s_waitcnt lgkmcnt(0)
	v_add_co_u32 v6, s3, s8, v6
	s_delay_alu instid0(VALU_DEP_1)
	v_add_co_ci_u32_e64 v7, s3, s9, v7, s3
	global_store_b16 v[6:7], v8, off
	s_or_b32 exec_lo, exec_lo, s4
	s_and_saveexec_b32 s4, s2
	s_cbranch_execnz .LBB140_45
	s_branch .LBB140_46
.LBB140_77:
	s_delay_alu instid0(VALU_DEP_1) | instskip(SKIP_1) | instid1(VALU_DEP_2)
	v_dual_mov_b32 v7, 0 :: v_dual_add_nc_u32 v6, v5, v0
	v_cvt_f16_f32_e32 v8, v32
	v_lshlrev_b64 v[6:7], 1, v[6:7]
	s_waitcnt lgkmcnt(0)
	s_delay_alu instid0(VALU_DEP_1) | instskip(NEXT) | instid1(VALU_DEP_1)
	v_add_co_u32 v6, s3, s8, v6
	v_add_co_ci_u32_e64 v7, s3, s9, v7, s3
	global_store_b16 v[6:7], v8, off
	s_or_b32 exec_lo, exec_lo, s4
	s_and_saveexec_b32 s4, s0
	s_cbranch_execz .LBB140_49
.LBB140_78:
	s_delay_alu instid0(VALU_DEP_1) | instskip(SKIP_1) | instid1(VALU_DEP_2)
	v_dual_mov_b32 v7, 0 :: v_dual_add_nc_u32 v6, v5, v2
	v_cvt_f16_f32_e32 v8, v31
	v_lshlrev_b64 v[6:7], 1, v[6:7]
	s_waitcnt lgkmcnt(0)
	s_delay_alu instid0(VALU_DEP_1) | instskip(NEXT) | instid1(VALU_DEP_1)
	v_add_co_u32 v6, s3, s8, v6
	v_add_co_ci_u32_e64 v7, s3, s9, v7, s3
	global_store_b16 v[6:7], v8, off
	s_or_b32 exec_lo, exec_lo, s4
	s_and_saveexec_b32 s4, s1
	s_cbranch_execz .LBB140_50
.LBB140_79:
	v_dual_mov_b32 v7, 0 :: v_dual_add_nc_u32 v6, v5, v3
	v_cvt_f16_f32_e32 v8, v30
	s_delay_alu instid0(VALU_DEP_2) | instskip(SKIP_1) | instid1(VALU_DEP_1)
	v_lshlrev_b64 v[6:7], 1, v[6:7]
	s_waitcnt lgkmcnt(0)
	v_add_co_u32 v6, s3, s8, v6
	s_delay_alu instid0(VALU_DEP_1)
	v_add_co_ci_u32_e64 v7, s3, s9, v7, s3
	global_store_b16 v[6:7], v8, off
	s_or_b32 exec_lo, exec_lo, s4
	s_and_saveexec_b32 s4, s2
	s_cbranch_execnz .LBB140_51
	s_branch .LBB140_52
.LBB140_80:
	s_delay_alu instid0(VALU_DEP_1) | instskip(SKIP_1) | instid1(VALU_DEP_2)
	v_dual_mov_b32 v7, 0 :: v_dual_add_nc_u32 v6, v5, v0
	v_cvt_f16_f32_e32 v8, v28
	v_lshlrev_b64 v[6:7], 1, v[6:7]
	s_waitcnt lgkmcnt(0)
	s_delay_alu instid0(VALU_DEP_1) | instskip(NEXT) | instid1(VALU_DEP_1)
	v_add_co_u32 v6, s3, s8, v6
	v_add_co_ci_u32_e64 v7, s3, s9, v7, s3
	global_store_b16 v[6:7], v8, off
	s_or_b32 exec_lo, exec_lo, s4
	s_and_saveexec_b32 s4, s0
	s_cbranch_execz .LBB140_55
.LBB140_81:
	s_delay_alu instid0(VALU_DEP_1) | instskip(SKIP_1) | instid1(VALU_DEP_2)
	v_dual_mov_b32 v7, 0 :: v_dual_add_nc_u32 v6, v5, v2
	v_cvt_f16_f32_e32 v8, v27
	v_lshlrev_b64 v[6:7], 1, v[6:7]
	s_waitcnt lgkmcnt(0)
	s_delay_alu instid0(VALU_DEP_1) | instskip(NEXT) | instid1(VALU_DEP_1)
	v_add_co_u32 v6, s3, s8, v6
	v_add_co_ci_u32_e64 v7, s3, s9, v7, s3
	global_store_b16 v[6:7], v8, off
	s_or_b32 exec_lo, exec_lo, s4
	s_and_saveexec_b32 s4, s1
	s_cbranch_execz .LBB140_56
.LBB140_82:
	v_dual_mov_b32 v7, 0 :: v_dual_add_nc_u32 v6, v5, v3
	v_cvt_f16_f32_e32 v8, v26
	s_delay_alu instid0(VALU_DEP_2) | instskip(SKIP_1) | instid1(VALU_DEP_1)
	v_lshlrev_b64 v[6:7], 1, v[6:7]
	s_waitcnt lgkmcnt(0)
	v_add_co_u32 v6, s3, s8, v6
	s_delay_alu instid0(VALU_DEP_1)
	v_add_co_ci_u32_e64 v7, s3, s9, v7, s3
	global_store_b16 v[6:7], v8, off
	s_or_b32 exec_lo, exec_lo, s4
	s_and_saveexec_b32 s4, s2
	s_cbranch_execnz .LBB140_57
	s_branch .LBB140_58
.LBB140_83:
	s_delay_alu instid0(VALU_DEP_1) | instskip(SKIP_1) | instid1(VALU_DEP_2)
	v_dual_mov_b32 v6, 0 :: v_dual_add_nc_u32 v5, v1, v0
	v_cvt_f16_f32_e32 v0, v24
	v_lshlrev_b64 v[5:6], 1, v[5:6]
	s_waitcnt lgkmcnt(0)
	s_delay_alu instid0(VALU_DEP_1) | instskip(NEXT) | instid1(VALU_DEP_2)
	v_add_co_u32 v5, vcc_lo, s8, v5
	v_add_co_ci_u32_e32 v6, vcc_lo, s9, v6, vcc_lo
	global_store_b16 v[5:6], v0, off
	s_or_b32 exec_lo, exec_lo, s3
	s_and_saveexec_b32 s3, s0
	s_cbranch_execz .LBB140_61
.LBB140_84:
	s_delay_alu instid0(VALU_DEP_1) | instskip(SKIP_1) | instid1(VALU_DEP_2)
	v_dual_mov_b32 v6, 0 :: v_dual_add_nc_u32 v5, v1, v2
	v_cvt_f16_f32_e32 v0, v23
	v_lshlrev_b64 v[5:6], 1, v[5:6]
	s_waitcnt lgkmcnt(0)
	s_delay_alu instid0(VALU_DEP_1) | instskip(NEXT) | instid1(VALU_DEP_2)
	v_add_co_u32 v5, vcc_lo, s8, v5
	v_add_co_ci_u32_e32 v6, vcc_lo, s9, v6, vcc_lo
	global_store_b16 v[5:6], v0, off
	s_or_b32 exec_lo, exec_lo, s3
	s_and_saveexec_b32 s0, s1
	s_cbranch_execz .LBB140_62
.LBB140_85:
	v_dual_mov_b32 v3, 0 :: v_dual_add_nc_u32 v2, v1, v3
	v_cvt_f16_f32_e32 v0, v22
	s_delay_alu instid0(VALU_DEP_2) | instskip(SKIP_1) | instid1(VALU_DEP_1)
	v_lshlrev_b64 v[2:3], 1, v[2:3]
	s_waitcnt lgkmcnt(0)
	v_add_co_u32 v2, vcc_lo, s8, v2
	s_delay_alu instid0(VALU_DEP_2) | instskip(SKIP_2) | instid1(SALU_CYCLE_1)
	v_add_co_ci_u32_e32 v3, vcc_lo, s9, v3, vcc_lo
	global_store_b16 v[2:3], v0, off
	s_or_b32 exec_lo, exec_lo, s0
	s_and_b32 exec_lo, exec_lo, s2
	s_cbranch_execnz .LBB140_63
	s_branch .LBB140_64
	.section	.rodata,"a",@progbits
	.p2align	6, 0x0
	.amdhsa_kernel _ZL12mul_mat_q4_1IN3c104HalfELb1EEvPKvS3_PT_iiiii
		.amdhsa_group_segment_fixed_size 30336
		.amdhsa_private_segment_fixed_size 248
		.amdhsa_kernarg_size 44
		.amdhsa_user_sgpr_count 14
		.amdhsa_user_sgpr_dispatch_ptr 0
		.amdhsa_user_sgpr_queue_ptr 0
		.amdhsa_user_sgpr_kernarg_segment_ptr 1
		.amdhsa_user_sgpr_dispatch_id 0
		.amdhsa_user_sgpr_private_segment_size 0
		.amdhsa_wavefront_size32 1
		.amdhsa_uses_dynamic_stack 0
		.amdhsa_enable_private_segment 1
		.amdhsa_system_sgpr_workgroup_id_x 1
		.amdhsa_system_sgpr_workgroup_id_y 1
		.amdhsa_system_sgpr_workgroup_id_z 0
		.amdhsa_system_sgpr_workgroup_info 0
		.amdhsa_system_vgpr_workitem_id 1
		.amdhsa_next_free_vgpr 256
		.amdhsa_next_free_sgpr 16
		.amdhsa_reserve_vcc 1
		.amdhsa_float_round_mode_32 0
		.amdhsa_float_round_mode_16_64 0
		.amdhsa_float_denorm_mode_32 3
		.amdhsa_float_denorm_mode_16_64 3
		.amdhsa_dx10_clamp 1
		.amdhsa_ieee_mode 1
		.amdhsa_fp16_overflow 0
		.amdhsa_workgroup_processor_mode 1
		.amdhsa_memory_ordered 1
		.amdhsa_forward_progress 0
		.amdhsa_shared_vgpr_count 0
		.amdhsa_exception_fp_ieee_invalid_op 0
		.amdhsa_exception_fp_denorm_src 0
		.amdhsa_exception_fp_ieee_div_zero 0
		.amdhsa_exception_fp_ieee_overflow 0
		.amdhsa_exception_fp_ieee_underflow 0
		.amdhsa_exception_fp_ieee_inexact 0
		.amdhsa_exception_int_div_zero 0
	.end_amdhsa_kernel
	.section	.text._ZL12mul_mat_q4_1IN3c104HalfELb1EEvPKvS3_PT_iiiii,"axG",@progbits,_ZL12mul_mat_q4_1IN3c104HalfELb1EEvPKvS3_PT_iiiii,comdat
.Lfunc_end140:
	.size	_ZL12mul_mat_q4_1IN3c104HalfELb1EEvPKvS3_PT_iiiii, .Lfunc_end140-_ZL12mul_mat_q4_1IN3c104HalfELb1EEvPKvS3_PT_iiiii
                                        ; -- End function
	.section	.AMDGPU.csdata,"",@progbits
; Kernel info:
; codeLenInByte = 32540
; NumSgprs: 18
; NumVgprs: 256
; ScratchSize: 248
; MemoryBound: 0
; FloatMode: 240
; IeeeMode: 1
; LDSByteSize: 30336 bytes/workgroup (compile time only)
; SGPRBlocks: 2
; VGPRBlocks: 31
; NumSGPRsForWavesPerEU: 18
; NumVGPRsForWavesPerEU: 256
; Occupancy: 5
; WaveLimiterHint : 0
; COMPUTE_PGM_RSRC2:SCRATCH_EN: 1
; COMPUTE_PGM_RSRC2:USER_SGPR: 14
; COMPUTE_PGM_RSRC2:TRAP_HANDLER: 0
; COMPUTE_PGM_RSRC2:TGID_X_EN: 1
; COMPUTE_PGM_RSRC2:TGID_Y_EN: 1
; COMPUTE_PGM_RSRC2:TGID_Z_EN: 0
; COMPUTE_PGM_RSRC2:TIDIG_COMP_CNT: 1
	.section	.text._ZL12mul_mat_q5_0IN3c104HalfELb0EEvPKvS3_PT_iiiii,"axG",@progbits,_ZL12mul_mat_q5_0IN3c104HalfELb0EEvPKvS3_PT_iiiii,comdat
	.globl	_ZL12mul_mat_q5_0IN3c104HalfELb0EEvPKvS3_PT_iiiii ; -- Begin function _ZL12mul_mat_q5_0IN3c104HalfELb0EEvPKvS3_PT_iiiii
	.p2align	8
	.type	_ZL12mul_mat_q5_0IN3c104HalfELb0EEvPKvS3_PT_iiiii,@function
_ZL12mul_mat_q5_0IN3c104HalfELb0EEvPKvS3_PT_iiiii: ; @_ZL12mul_mat_q5_0IN3c104HalfELb0EEvPKvS3_PT_iiiii
; %bb.0:
	s_clause 0x1
	s_load_b32 s11, s[0:1], 0x18
	s_load_b128 s[4:7], s[0:1], 0x20
	v_bfe_u32 v25, v0, 10, 10
	v_and_b32_e32 v26, 0x3ff, v0
	s_waitcnt lgkmcnt(0)
	s_lshl_b32 s7, s15, 6
	s_cmp_gt_i32 s11, 31
	s_cbranch_scc1 .LBB141_2
; %bb.1:
	v_bfe_u32 v1, v0, 10, 10
	v_and_b32_e32 v0, 0x3ff, v0
	s_mov_b32 s2, 0
	s_mov_b32 s3, 0
	s_delay_alu instid0(VALU_DEP_2)
	v_add_nc_u32_e32 v30, s7, v1
	s_branch .LBB141_3
.LBB141_2:
	s_mov_b32 s2, -1
                                        ; implicit-def: $sgpr3
                                        ; implicit-def: $vgpr1
                                        ; implicit-def: $vgpr0
                                        ; implicit-def: $vgpr30
.LBB141_3:
	s_load_b64 s[8:9], s[0:1], 0x10
	v_dual_mov_b32 v9, s3 :: v_dual_mov_b32 v32, s3
	v_dual_mov_b32 v13, s3 :: v_dual_mov_b32 v36, s3
	;; [unrolled: 1-line block ×16, first 2 shown]
	s_and_not1_b32 vcc_lo, exec_lo, s2
	s_lshl_b32 s10, s14, 7
	s_cbranch_vccnz .LBB141_13
; %bb.4:
	s_load_b128 s[0:3], s[0:1], 0x0
	s_ashr_i32 s12, s11, 31
	s_ashr_i32 s13, s5, 31
	s_lshr_b32 s12, s12, 27
	s_lshr_b32 s13, s13, 27
	s_add_i32 s14, s11, s12
	v_dual_mov_b32 v37, 0 :: v_dual_add_nc_u32 v30, s7, v25
	s_add_i32 s11, s5, s13
	s_ashr_i32 s5, s14, 5
	s_ashr_i32 s13, s11, 5
	s_mul_i32 s12, s5, s10
	v_dual_mov_b32 v35, 0 :: v_dual_add_nc_u32 v2, 8, v30
	v_dual_mov_b32 v31, 0 :: v_dual_add_nc_u32 v4, 16, v30
	;; [unrolled: 1-line block ×4, first 2 shown]
	s_mul_hi_i32 s15, s12, 22
	s_mul_i32 s12, s12, 22
	v_add_nc_u32_e32 v12, 40, v30
	v_add_nc_u32_e32 v14, 48, v30
	v_add_nc_u32_e32 v16, 56, v30
	s_waitcnt lgkmcnt(0)
	s_add_u32 s11, s0, s12
	s_addc_u32 s12, s1, s15
	s_add_i32 s0, s4, -1
	v_cvt_f64_u32_e32 v[0:1], v30
	v_cvt_f64_u32_e32 v[2:3], v2
	;; [unrolled: 1-line block ×3, first 2 shown]
	v_cvt_f64_i32_e32 v[6:7], s0
	v_cvt_f64_u32_e32 v[8:9], v8
	v_cvt_f64_u32_e32 v[10:11], v10
	;; [unrolled: 1-line block ×5, first 2 shown]
	v_mul_lo_u32 v47, s5, v25
	s_lshl_b32 s1, s5, 3
	v_dual_mov_b32 v40, 0 :: v_dual_lshlrev_b32 v19, 3, v26
	v_lshrrev_b32_e32 v45, 3, v26
	v_lshrrev_b32_e32 v43, 2, v26
	v_and_b32_e32 v18, 3, v26
	s_delay_alu instid0(VALU_DEP_4)
	v_mad_u32_u24 v48, 0x104, v25, v19
	v_add_nc_u32_e32 v49, s1, v47
	v_lshl_add_u32 v19, v25, 2, v45
	v_dual_mov_b32 v33, 0 :: v_dual_and_b32 v44, 7, v26
	v_dual_mov_b32 v41, 0 :: v_dual_and_b32 v20, 31, v26
	v_lshlrev_b32_e32 v22, 7, v25
	v_lshl_add_u32 v24, v25, 3, v43
	v_add_nc_u32_e32 v27, 32, v19
	v_add_nc_u32_e32 v28, 64, v19
	v_lshlrev_b32_e32 v23, 2, v44
	v_lshlrev_b32_e32 v21, 2, v26
	v_and_b32_e32 v24, 63, v24
	v_mul_lo_u32 v71, s5, v19
	s_and_not1_b32 s14, s14, 31
	v_add_nc_u32_e32 v50, 0x820, v48
	v_dual_mov_b32 v52, 0 :: v_dual_add_nc_u32 v51, 0x1040, v48
	v_dual_mov_b32 v34, 0 :: v_dual_add_nc_u32 v53, 0x1860, v48
	v_add_nc_u32_e32 v54, 0x2080, v48
	v_add_nc_u32_e32 v83, s14, v71
	v_dual_mov_b32 v38, 0 :: v_dual_add_nc_u32 v57, 0x28a0, v48
	v_min_f64 v[0:1], v[0:1], v[6:7]
	v_min_f64 v[2:3], v[2:3], v[6:7]
	;; [unrolled: 1-line block ×8, first 2 shown]
	v_and_b32_e32 v16, 0x7fc, v19
	v_dual_mov_b32 v32, 0 :: v_dual_lshlrev_b32 v17, 5, v19
	v_add_nc_u32_e32 v19, 0x60, v19
	v_add_nc_u32_e32 v85, s14, v83
	;; [unrolled: 1-line block ×11, first 2 shown]
	v_dual_mov_b32 v36, 0 :: v_dual_add_nc_u32 v69, 0x79e0, v48
	v_add_nc_u32_e32 v88, s14, v85
	v_mul_u32_u24_e32 v101, 0x104, v26
	v_lshl_add_u32 v108, v25, 4, 0xb280
	v_mov_b32_e32 v42, 0
	v_cvt_i32_f64_e32 v0, v[0:1]
	v_cvt_i32_f64_e32 v1, v[2:3]
	;; [unrolled: 1-line block ×8, first 2 shown]
	v_and_b32_e32 v4, 0xffc, v27
	v_lshlrev_b32_e32 v13, 5, v27
	v_and_b32_e32 v5, 0xffc, v28
	v_mov_b32_e32 v27, 0
	v_lshl_or_b32 v20, v20, 2, v22
	v_lshlrev_b32_e32 v14, 5, v28
	v_or_b32_e32 v7, s7, v24
	v_and_b32_e32 v6, 0xffc, v19
	v_lshlrev_b32_e32 v15, 5, v19
	v_add_nc_u32_e32 v73, 0x8200, v20
	v_add_nc_u32_e32 v75, 0x8600, v20
	;; [unrolled: 1-line block ×8, first 2 shown]
	v_mov_b32_e32 v20, 0
	v_add3_u32 v10, v16, v23, 0xa200
	v_add3_u32 v19, v4, v23, 0xa200
	v_dual_mov_b32 v28, 0 :: v_dual_add_nc_u32 v107, 0x8200, v22
	v_mov_b32_e32 v22, 0
	s_delay_alu instid0(VALU_DEP_4) | instskip(NEXT) | instid1(VALU_DEP_4)
	v_add_nc_u32_e32 v114, v10, v17
	v_dual_mov_b32 v10, 0 :: v_dual_add_nc_u32 v115, v19, v13
	v_mov_b32_e32 v17, 0
	v_mov_b32_e32 v13, 0
	v_mul_lo_u32 v90, s13, v0
	v_mul_lo_u32 v91, s13, v1
	;; [unrolled: 1-line block ×3, first 2 shown]
	v_add_nc_u32_e32 v0, 0x60, v26
	v_add_nc_u32_e32 v1, 64, v26
	v_mul_lo_u32 v95, s13, v9
	v_mul_lo_u32 v97, s13, v11
	;; [unrolled: 1-line block ×3, first 2 shown]
	v_dual_mov_b32 v12, 0 :: v_dual_add_nc_u32 v55, s1, v49
	v_dual_mov_b32 v11, 0 :: v_dual_lshlrev_b32 v46, 2, v18
	v_dual_mov_b32 v9, 0 :: v_dual_add_nc_u32 v2, 32, v26
	s_delay_alu instid0(VALU_DEP_3) | instskip(SKIP_1) | instid1(VALU_DEP_4)
	v_add_nc_u32_e32 v56, s1, v55
	v_mul_lo_u32 v93, s13, v3
	v_lshl_or_b32 v16, v24, 4, v46
	v_add3_u32 v24, v5, v23, 0xa200
	v_add3_u32 v23, v6, v23, 0xa200
	v_add_nc_u32_e32 v60, s1, v56
	v_mul_lo_u32 v94, s13, v8
	v_add_nc_u32_e32 v87, 0xb280, v16
	v_add_nc_u32_e32 v116, v24, v14
	s_delay_alu instid0(VALU_DEP_4) | instskip(SKIP_2) | instid1(VALU_DEP_3)
	v_dual_mov_b32 v14, 0 :: v_dual_add_nc_u32 v65, s1, v60
	v_dual_mov_b32 v24, 0 :: v_dual_and_b32 v21, 28, v21
	v_dual_mov_b32 v16, 0 :: v_dual_lshlrev_b32 v3, 5, v26
	v_add_nc_u32_e32 v70, s1, v65
	v_and_b32_e32 v0, 0x1fc, v0
	s_delay_alu instid0(VALU_DEP_4) | instskip(SKIP_1) | instid1(VALU_DEP_4)
	v_add_co_u32 v4, s15, s2, v21
	v_min_i32_e32 v21, s0, v7
	v_add_nc_u32_e32 v72, s1, v70
	v_and_b32_e32 v1, 0x1fc, v1
	v_and_b32_e32 v8, 0xfc, v26
	v_add_nc_u32_e32 v0, v3, v0
	v_mad_u64_u32 v[6:7], null, v21, s13, v[18:19]
	v_add_nc_u32_e32 v74, s1, v72
	v_and_b32_e32 v7, 0x1fc, v2
	v_add_nc_u32_e32 v1, v3, v1
	s_movk_i32 s0, 0x80
	v_add_co_ci_u32_e64 v5, null, s3, 0, s15
	v_add_nc_u32_e32 v79, s1, v74
	v_add_nc_u32_e32 v7, v3, v7
	v_add_nc_u32_e32 v3, v3, v8
	v_lshrrev_b32_e32 v102, 3, v2
	v_add_nc_u32_e32 v103, 0xae00, v0
	v_add_nc_u32_e32 v80, s1, v79
	;; [unrolled: 1-line block ×10, first 2 shown]
	v_mad_u32_u24 v113, 0x104, v26, s0
	v_add_nc_u32_e32 v82, s1, v81
	v_add_nc_u32_e32 v117, v23, v15
	v_mov_b32_e32 v23, 0
	v_mov_b32_e32 v19, 0
	s_delay_alu instid0(VALU_DEP_4) | instskip(SKIP_2) | instid1(VALU_DEP_2)
	v_dual_mov_b32 v15, 0 :: v_dual_add_nc_u32 v84, s1, v82
	v_dual_mov_b32 v18, 0 :: v_dual_mov_b32 v21, 0
	s_mov_b32 s13, 0
	v_add_nc_u32_e32 v86, s1, v84
	s_delay_alu instid0(VALU_DEP_1)
	v_add_nc_u32_e32 v89, s1, v86
	s_branch .LBB141_6
.LBB141_5:                              ;   in Loop: Header=BB141_6 Depth=1
	s_add_i32 s13, s13, 8
	s_delay_alu instid0(SALU_CYCLE_1)
	s_cmp_ge_i32 s13, s5
	s_cbranch_scc1 .LBB141_12
.LBB141_6:                              ; =>This Loop Header: Depth=1
                                        ;     Child Loop BB141_7 Depth 2
                                        ;     Child Loop BB141_10 Depth 2
	s_mul_i32 s0, s13, 22
	s_mul_hi_u32 s1, s13, 22
	s_add_u32 s0, s11, s0
	s_addc_u32 s1, s12, s1
	s_delay_alu instid0(SALU_CYCLE_1) | instskip(NEXT) | instid1(VALU_DEP_1)
	v_mad_u64_u32 v[0:1], null, v43, 22, s[0:1]
	v_mad_u64_u32 v[2:3], null, v47, 22, v[0:1]
	;; [unrolled: 1-line block ×5, first 2 shown]
	s_delay_alu instid0(VALU_DEP_4)
	v_add_co_u32 v122, vcc_lo, v2, v46
	v_add_co_ci_u32_e32 v123, vcc_lo, 0, v3, vcc_lo
	v_add_co_u32 v124, vcc_lo, v118, v46
	v_add_co_ci_u32_e32 v125, vcc_lo, 0, v119, vcc_lo
	;; [unrolled: 2-line block ×4, first 2 shown]
	s_clause 0x7
	global_load_b32 v127, v[126:127], off offset:6
	global_load_b32 v128, v[120:121], off offset:2
	;; [unrolled: 1-line block ×8, first 2 shown]
	v_mad_u64_u32 v[2:3], null, v60, 22, v[0:1]
	v_mad_u64_u32 v[7:8], null, v65, 22, v[0:1]
	;; [unrolled: 1-line block ×4, first 2 shown]
	s_delay_alu instid0(VALU_DEP_4)
	v_add_co_u32 v135, vcc_lo, v2, v46
	v_add_co_ci_u32_e32 v136, vcc_lo, 0, v3, vcc_lo
	v_add_co_u32 v137, vcc_lo, v7, v46
	v_add_co_ci_u32_e32 v138, vcc_lo, 0, v8, vcc_lo
	s_clause 0x5
	global_load_b32 v123, v[120:121], off offset:2
	global_load_b32 v125, v[118:119], off offset:2
	;; [unrolled: 1-line block ×6, first 2 shown]
	v_add_co_u32 v2, vcc_lo, v118, v46
	v_add_co_ci_u32_e32 v3, vcc_lo, 0, v119, vcc_lo
	v_add_co_u32 v7, vcc_lo, v120, v46
	v_add_co_ci_u32_e32 v8, vcc_lo, 0, v121, vcc_lo
	s_clause 0x1
	global_load_b32 v124, v[2:3], off offset:6
	global_load_b32 v7, v[7:8], off offset:6
	v_mad_u64_u32 v[135:136], null, v74, 22, v[0:1]
	v_mad_u64_u32 v[118:119], null, v80, 22, v[0:1]
	;; [unrolled: 1-line block ×4, first 2 shown]
	s_delay_alu instid0(VALU_DEP_4)
	v_add_co_u32 v139, vcc_lo, v135, v46
	v_add_co_ci_u32_e32 v140, vcc_lo, 0, v136, vcc_lo
	v_add_co_u32 v141, vcc_lo, v118, v46
	v_add_co_ci_u32_e32 v142, vcc_lo, 0, v119, vcc_lo
	;; [unrolled: 2-line block ×4, first 2 shown]
	s_clause 0x7
	global_load_b32 v2, v[2:3], off offset:6
	global_load_b32 v3, v[137:138], off offset:2
	;; [unrolled: 1-line block ×8, first 2 shown]
	s_waitcnt vmcnt(23)
	v_and_b32_e32 v138, 0xf0f0f0f, v127
	s_waitcnt vmcnt(22)
	v_ashrrev_i32_e32 v128, v46, v128
	s_waitcnt vmcnt(21)
	v_and_b32_e32 v137, 0xf0f0f0f, v129
	s_waitcnt vmcnt(20)
	v_ashrrev_i32_e32 v130, v46, v130
	;; [unrolled: 4-line block ×3, first 2 shown]
	v_lshlrev_b32_e32 v165, 4, v128
	s_waitcnt vmcnt(16)
	v_ashrrev_i32_e32 v134, v46, v134
	v_lshlrev_b32_e32 v158, 4, v130
	v_lshlrev_b32_e32 v159, 11, v130
	v_lshrrev_b32_e32 v155, 12, v132
	v_lshrrev_b32_e32 v156, 5, v132
	v_lshlrev_b32_e32 v144, 4, v134
	v_lshrrev_b32_e32 v148, 12, v134
	v_lshrrev_b32_e32 v149, 5, v134
	v_lshlrev_b32_e32 v150, 2, v134
	v_lshlrev_b32_e32 v157, 2, v132
	;; [unrolled: 1-line block ×4, first 2 shown]
	v_lshrrev_b32_e32 v162, 12, v130
	v_lshrrev_b32_e32 v163, 5, v130
	s_waitcnt vmcnt(13)
	v_ashrrev_i32_e32 v142, v46, v145
	s_waitcnt vmcnt(12)
	v_ashrrev_i32_e32 v139, v46, v146
	s_waitcnt vmcnt(11)
	v_and_b32_e32 v140, 0xf0f0f0f, v147
	v_lshrrev_b32_e32 v141, 4, v147
	v_lshlrev_b32_e32 v145, 11, v134
	v_lshlrev_b32_e32 v146, 18, v134
	;; [unrolled: 1-line block ×7, first 2 shown]
	v_and_b32_e32 v135, 0xf0f0f0f, v133
	v_lshrrev_b32_e32 v131, 4, v131
	v_lshrrev_b32_e32 v129, 4, v129
	v_lshlrev_b32_e32 v151, 4, v132
	v_lshlrev_b32_e32 v152, 11, v132
	;; [unrolled: 1-line block ×6, first 2 shown]
	v_and_b32_e32 v144, 16, v144
	v_and_b32_e32 v145, 0x1000, v145
	;; [unrolled: 1-line block ×21, first 2 shown]
	v_lshrrev_b32_e32 v133, 4, v133
	v_lshlrev_b32_e32 v134, 9, v134
	v_and_b32_e32 v131, 0xf0f0f0f, v131
	v_and_b32_e32 v129, 0xf0f0f0f, v129
	;; [unrolled: 1-line block ×8, first 2 shown]
	v_or3_b32 v144, v144, v135, v145
	v_or3_b32 v135, v135, v146, v147
	;; [unrolled: 1-line block ×9, first 2 shown]
	v_and_b32_e32 v133, 0xf0f0f0f, v133
	v_and_b32_e32 v134, 0x10000000, v134
	v_or3_b32 v146, v151, v136, v152
	v_or3_b32 v136, v136, v153, v154
	;; [unrolled: 1-line block ×3, first 2 shown]
	v_lshrrev_b32_e32 v132, 16, v137
	v_or3_b32 v129, v149, v130, v129
	v_lshrrev_b32_e32 v130, 16, v138
	v_lshrrev_b32_e32 v176, 12, v139
	;; [unrolled: 1-line block ×3, first 2 shown]
	v_lshlrev_b32_e32 v178, 2, v139
	v_lshlrev_b32_e32 v179, 4, v142
	;; [unrolled: 1-line block ×5, first 2 shown]
	v_lshrrev_b32_e32 v135, 16, v135
	v_or3_b32 v133, v145, v134, v133
	v_lshrrev_b32_e32 v134, 16, v136
	v_and_b32_e32 v136, 0x1f00, v146
	v_lshlrev_b16 v145, 8, v146
	v_lshlrev_b16 v146, 8, v148
	v_lshlrev_b16 v147, 8, v150
	v_and_b32_e32 v157, 0x1f00, v132
	v_lshlrev_b16 v132, 8, v132
	v_and_b32_e32 v160, 0x1f00, v130
	v_lshlrev_b16 v130, 8, v130
	v_lshrrev_b32_e32 v169, 12, v128
	v_lshrrev_b32_e32 v170, 5, v128
	v_lshlrev_b32_e32 v171, 2, v128
	v_lshlrev_b32_e32 v172, 4, v139
	;; [unrolled: 1-line block ×5, first 2 shown]
	s_waitcnt vmcnt(10)
	v_and_b32_e32 v143, 0xf0f0f0f, v126
	v_lshlrev_b32_e32 v139, 9, v139
	v_and_b32_e32 v176, 16, v176
	v_and_b32_e32 v177, 0x1000, v177
	;; [unrolled: 1-line block ×8, first 2 shown]
	v_lshlrev_b16 v144, 8, v144
	v_and_b32_e32 v138, 0x1f00, v150
	v_and_b32_e32 v150, 0x1f00, v135
	v_lshlrev_b16 v135, 8, v135
	v_add_nc_u16 v146, v146, 0xf000
	v_add_nc_u16 v147, v147, 0xf000
	;; [unrolled: 1-line block ×4, first 2 shown]
	v_lshrrev_b32_e32 v127, 4, v127
	v_lshlrev_b32_e32 v128, 9, v128
	v_and_b32_e32 v169, 16, v169
	v_and_b32_e32 v170, 0x1000, v170
	;; [unrolled: 1-line block ×9, first 2 shown]
	v_or3_b32 v153, v177, v176, v178
	v_or3_b32 v154, v179, v143, v180
	;; [unrolled: 1-line block ×3, first 2 shown]
	v_and_b32_e32 v137, 0x1f00, v148
	v_add_nc_u16 v144, v144, 0xf000
	v_add_nc_u16 v135, v135, 0xf000
	v_lshrrev_b16 v146, 8, v146
	v_lshrrev_b16 v147, 8, v147
	;; [unrolled: 1-line block ×4, first 2 shown]
	v_and_b32_e32 v127, 0xf0f0f0f, v127
	v_and_b32_e32 v128, 0x10000000, v128
	v_or3_b32 v151, v170, v169, v171
	v_or3_b32 v152, v172, v140, v173
	;; [unrolled: 1-line block ×4, first 2 shown]
	v_lshrrev_b32_e32 v141, 16, v143
	v_lshrrev_b16 v144, 8, v144
	v_lshrrev_b16 v135, 8, v135
	v_or_b32_e32 v137, v137, v146
	v_or_b32_e32 v138, v138, v147
	;; [unrolled: 1-line block ×4, first 2 shown]
	v_or3_b32 v127, v151, v128, v127
	v_lshrrev_b32_e32 v128, 16, v140
	v_lshlrev_b16 v148, 8, v152
	v_and_b32_e32 v153, 0x1f00, v134
	v_lshlrev_b16 v134, 8, v134
	v_and_b32_e32 v140, 0x1f00, v152
	v_lshlrev_b16 v149, 8, v154
	v_lshrrev_b32_e32 v151, 16, v133
	v_and_b32_e32 v152, 0x1f00, v133
	v_lshlrev_b16 v133, 8, v133
	v_lshlrev_b16 v166, 8, v141
	v_or_b32_e32 v144, v155, v144
	v_or_b32_e32 v135, v150, v135
	v_add_nc_u16 v137, v137, 0xf000
	v_add_nc_u16 v138, v138, 0xf000
	;; [unrolled: 1-line block ×4, first 2 shown]
	v_and_b32_e32 v143, 0x1f00, v154
	v_add_nc_u16 v145, v145, 0xf000
	v_lshrrev_b32_e32 v154, 16, v131
	v_and_b32_e32 v156, 0x1f00, v131
	v_lshlrev_b16 v131, 8, v131
	v_lshrrev_b32_e32 v158, 16, v129
	v_and_b32_e32 v159, 0x1f00, v129
	v_lshlrev_b16 v129, 8, v129
	;; [unrolled: 3-line block ×3, first 2 shown]
	v_add_nc_u16 v148, v148, 0xf000
	v_and_b32_e32 v163, 0x1f00, v128
	v_lshlrev_b16 v128, 8, v128
	v_lshrrev_b32_e32 v164, 16, v139
	v_and_b32_e32 v165, 0x1f00, v139
	v_lshlrev_b16 v139, 8, v139
	v_add_nc_u16 v134, v134, 0xf000
	v_add_nc_u16 v149, v149, 0xf000
	v_add_nc_i16 v133, v133, 0xf000 clamp
	v_and_b32_e32 v167, 0xffffff00, v151
	v_lshlrev_b16 v151, 8, v151
	v_add_nc_u16 v166, v166, 0xf000
	v_add_nc_u16 v144, v144, 0xf000
	;; [unrolled: 1-line block ×3, first 2 shown]
	v_and_b32_e32 v137, 0xffff, v137
	v_and_b32_e32 v138, 0xffff, v138
	v_lshlrev_b32_e32 v132, 16, v132
	v_lshlrev_b32_e32 v130, 16, v130
	v_lshrrev_b16 v145, 8, v145
	v_add_nc_i16 v131, v131, 0xf000 clamp
	v_and_b32_e32 v168, 0xffffff00, v154
	v_lshlrev_b16 v154, 8, v154
	v_add_nc_i16 v129, v129, 0xf000 clamp
	v_and_b32_e32 v169, 0xffffff00, v158
	v_lshlrev_b16 v158, 8, v158
	;; [unrolled: 3-line block ×3, first 2 shown]
	v_lshrrev_b16 v148, 8, v148
	v_add_nc_u16 v128, v128, 0xf000
	v_add_nc_i16 v139, v139, 0xf000 clamp
	v_and_b32_e32 v171, 0xffffff00, v164
	v_lshlrev_b16 v164, 8, v164
	v_lshrrev_b16 v134, 8, v134
	v_lshrrev_b16 v149, 8, v149
	v_lshrrev_b16 v133, 8, v133
	v_add_nc_i16 v155, v167, 0xf000 clamp
	v_add_nc_i16 v151, v151, 0xf000 clamp
	v_and_b32_e32 v144, 0xffff, v144
	v_lshlrev_b32_e32 v135, 16, v135
	v_or_b32_e32 v132, v137, v132
	v_or_b32_e32 v130, v138, v130
	v_and_b32_e32 v137, 0x1f00, v141
	v_lshrrev_b16 v138, 8, v166
	v_or_b32_e32 v136, v136, v145
	v_lshrrev_b16 v131, 8, v131
	v_add_nc_i16 v145, v168, 0xf000 clamp
	v_add_nc_i16 v154, v154, 0xf000 clamp
	v_lshrrev_b16 v129, 8, v129
	v_add_nc_i16 v146, v169, 0xf000 clamp
	v_add_nc_i16 v158, v158, 0xf000 clamp
	v_lshrrev_b16 v127, 8, v127
	v_add_nc_i16 v147, v170, 0xf000 clamp
	v_add_nc_i16 v161, v161, 0xf000 clamp
	v_or_b32_e32 v140, v140, v148
	v_lshrrev_b16 v128, 8, v128
	v_lshrrev_b16 v139, 8, v139
	v_add_nc_i16 v148, v171, 0xf000 clamp
	v_add_nc_i16 v164, v164, 0xf000 clamp
	v_or_b32_e32 v134, v153, v134
	v_or_b32_e32 v133, v152, v133
	v_and_b32_e32 v150, 0xffffff00, v155
	v_lshrrev_b16 v151, 8, v151
	v_or_b32_e32 v135, v144, v135
	v_or_b32_e32 v141, v143, v149
	v_lshrrev_b32_e32 v143, 12, v142
	v_lshrrev_b32_e32 v144, 5, v142
	v_or_b32_e32 v137, v137, v138
	v_lshlrev_b32_e32 v138, 2, v142
	v_or_b32_e32 v131, v156, v131
	v_and_b32_e32 v145, 0xffffff00, v145
	v_lshrrev_b16 v152, 8, v154
	v_or_b32_e32 v129, v159, v129
	v_and_b32_e32 v146, 0xffffff00, v146
	v_lshrrev_b16 v153, 8, v158
	;; [unrolled: 3-line block ×3, first 2 shown]
	v_add_nc_u16 v136, v136, 0xf000
	v_or_b32_e32 v128, v163, v128
	v_or_b32_e32 v139, v165, v139
	v_and_b32_e32 v148, 0xffffff00, v148
	v_lshrrev_b16 v155, 8, v164
	v_add_nc_u16 v134, v134, 0xf000
	v_add_nc_u16 v133, v133, 0xf000
	v_or_b32_e32 v150, v151, v150
	v_lshrrev_b32_e32 v126, 4, v126
	v_and_b32_e32 v143, 16, v143
	v_and_b32_e32 v144, 0x1000, v144
	v_lshlrev_b32_e32 v142, 9, v142
	v_and_b32_e32 v138, 0x100000, v138
	v_add_nc_u16 v131, v131, 0xf000
	v_or_b32_e32 v145, v152, v145
	v_add_nc_u16 v129, v129, 0xf000
	v_or_b32_e32 v146, v153, v146
	;; [unrolled: 2-line block ×3, first 2 shown]
	v_add_nc_u16 v140, v140, 0xf000
	v_and_b32_e32 v136, 0xffff, v136
	v_add_nc_u16 v128, v128, 0xf000
	v_add_nc_u16 v139, v139, 0xf000
	v_or_b32_e32 v148, v155, v148
	v_lshlrev_b32_e32 v134, 16, v134
	v_and_b32_e32 v133, 0xffff, v133
	v_lshlrev_b32_e32 v150, 16, v150
	v_and_b32_e32 v126, 0xf0f0f0f, v126
	v_and_b32_e32 v142, 0x10000000, v142
	v_or3_b32 v138, v144, v143, v138
	v_and_b32_e32 v131, 0xffff, v131
	v_lshlrev_b32_e32 v145, 16, v145
	v_and_b32_e32 v129, 0xffff, v129
	v_lshlrev_b32_e32 v146, 16, v146
	;; [unrolled: 2-line block ×4, first 2 shown]
	v_or_b32_e32 v134, v136, v134
	v_and_b32_e32 v136, 0xffff, v139
	v_lshlrev_b32_e32 v139, 16, v148
	v_or_b32_e32 v133, v133, v150
	v_or3_b32 v126, v138, v142, v126
	v_ashrrev_i32_e32 v125, v46, v125
	v_or_b32_e32 v131, v131, v145
	v_or_b32_e32 v129, v129, v146
	;; [unrolled: 1-line block ×5, first 2 shown]
	ds_store_2addr_b32 v48, v135, v133 offset1:1
	ds_store_2addr_b32 v50, v134, v131 offset1:1
	;; [unrolled: 1-line block ×5, first 2 shown]
	v_lshlrev_b16 v127, 8, v126
	v_lshrrev_b32_e32 v128, 16, v126
	v_lshlrev_b32_e32 v130, 4, v125
	v_lshlrev_b32_e32 v131, 11, v125
	;; [unrolled: 1-line block ×4, first 2 shown]
	v_add_nc_i16 v127, v127, 0xf000 clamp
	v_and_b32_e32 v129, 0xffffff00, v128
	s_waitcnt vmcnt(9)
	v_and_b32_e32 v134, 0xf0f0f0f, v124
	v_and_b32_e32 v130, 16, v130
	;; [unrolled: 1-line block ×6, first 2 shown]
	v_lshlrev_b16 v128, 8, v128
	v_lshrrev_b16 v127, 8, v127
	v_add_nc_i16 v129, v129, 0xf000 clamp
	v_or3_b32 v130, v130, v134, v131
	v_or3_b32 v131, v134, v132, v133
	v_lshrrev_b32_e32 v132, 12, v125
	v_lshrrev_b32_e32 v133, 5, v125
	v_lshlrev_b32_e32 v134, 2, v125
	v_add_nc_i16 v128, v128, 0xf000 clamp
	v_or_b32_e32 v126, v126, v127
	v_and_b32_e32 v127, 0xffffff00, v129
	v_lshlrev_b16 v129, 8, v130
	v_lshrrev_b32_e32 v124, 4, v124
	v_and_b32_e32 v132, 16, v132
	v_and_b32_e32 v133, 0x1000, v133
	v_lshlrev_b32_e32 v125, 9, v125
	v_and_b32_e32 v134, 0x100000, v134
	v_lshrrev_b32_e32 v131, 16, v131
	v_lshrrev_b16 v128, 8, v128
	v_add_nc_u16 v129, v129, 0xf000
	v_and_b32_e32 v124, 0xf0f0f0f, v124
	v_and_b32_e32 v125, 0x10000000, v125
	v_or3_b32 v132, v133, v132, v134
	v_lshlrev_b16 v135, 8, v131
	v_and_b32_e32 v130, 0x1f00, v130
	v_lshrrev_b16 v129, 8, v129
	v_add_nc_u16 v126, v126, 0xf000
	v_or_b32_e32 v127, v128, v127
	v_or3_b32 v124, v132, v125, v124
	v_add_nc_u16 v133, v135, 0xf000
	v_or_b32_e32 v128, v130, v129
	v_and_b32_e32 v126, 0xffff, v126
	v_lshlrev_b32_e32 v127, 16, v127
	v_lshlrev_b16 v130, 8, v124
	v_and_b32_e32 v125, 0x1f00, v131
	v_lshrrev_b16 v129, 8, v133
	v_add_nc_u16 v141, v141, 0xf000
	v_or_b32_e32 v138, v126, v127
	v_add_nc_i16 v126, v130, 0xf000 clamp
	v_add_nc_u16 v137, v137, 0xf000
	v_or_b32_e32 v125, v125, v129
	v_lshrrev_b32_e32 v129, 16, v124
	v_and_b32_e32 v124, 0x1f00, v124
	v_lshrrev_b16 v126, 8, v126
	v_ashrrev_i32_e32 v140, v46, v123
	v_add_nc_u16 v125, v125, 0xf000
	v_and_b32_e32 v127, 0xffffff00, v129
	v_and_b32_e32 v139, 0xffff, v141
	v_lshlrev_b32_e32 v137, 16, v137
	v_add_nc_u16 v128, v128, 0xf000
	v_or_b32_e32 v142, v124, v126
	v_lshlrev_b32_e32 v124, 4, v140
	v_lshlrev_b32_e32 v126, 11, v140
	;; [unrolled: 1-line block ×3, first 2 shown]
	v_add_nc_i16 v123, v127, 0xf000 clamp
	v_lshlrev_b16 v125, 8, v129
	v_or_b32_e32 v137, v139, v137
	v_and_b32_e32 v139, 0xffff, v128
	s_waitcnt vmcnt(8)
	v_and_b32_e32 v144, 0xf0f0f0f, v7
	v_and_b32_e32 v124, 16, v124
	;; [unrolled: 1-line block ×3, first 2 shown]
	v_lshlrev_b32_e32 v128, 18, v140
	v_and_b32_e32 v143, 0xffffff00, v123
	v_add_nc_i16 v123, v125, 0xf000 clamp
	v_mad_u64_u32 v[125:126], null, v82, 22, v[0:1]
	v_lshlrev_b32_e32 v129, 25, v140
	v_or3_b32 v146, v124, v144, v127
	v_and_b32_e32 v147, 0x100000, v128
	v_mad_u64_u32 v[127:128], null, v86, 22, v[0:1]
	v_lshrrev_b16 v145, 8, v123
	v_mad_u64_u32 v[123:124], null, v89, 22, v[0:1]
	v_and_b32_e32 v148, 0x10000000, v129
	v_add_co_u32 v129, vcc_lo, v125, v46
	v_add_co_ci_u32_e32 v130, vcc_lo, 0, v126, vcc_lo
	v_mad_u64_u32 v[131:132], null, v84, 22, v[0:1]
	v_add_co_u32 v133, vcc_lo, v127, v46
	v_add_co_ci_u32_e32 v134, vcc_lo, 0, v128, vcc_lo
	v_add_co_u32 v0, vcc_lo, v123, v46
	v_add_co_ci_u32_e32 v1, vcc_lo, 0, v124, vcc_lo
	;; [unrolled: 2-line block ×3, first 2 shown]
	s_clause 0x7
	global_load_b32 v0, v[0:1], off offset:6
	global_load_b32 v1, v[123:124], off offset:2
	;; [unrolled: 1-line block ×8, first 2 shown]
	v_lshlrev_b16 v125, 8, v146
	v_or3_b32 v128, v144, v147, v148
	v_lshrrev_b32_e32 v131, 12, v140
	v_lshrrev_b32_e32 v132, 5, v140
	v_lshlrev_b32_e32 v134, 2, v140
	v_add_nc_u16 v125, v125, 0xf000
	v_lshrrev_b32_e32 v128, 16, v128
	v_add_nc_u16 v126, v142, 0xf000
	v_or_b32_e32 v127, v145, v143
	v_and_b32_e32 v130, 0x1f00, v146
	v_lshrrev_b16 v125, 8, v125
	v_lshlrev_b16 v133, 8, v128
	v_lshrrev_b32_e32 v7, 4, v7
	v_and_b32_e32 v131, 16, v131
	v_and_b32_e32 v132, 0x1000, v132
	v_lshlrev_b32_e32 v135, 9, v140
	v_and_b32_e32 v134, 0x100000, v134
	v_and_b32_e32 v126, 0xffff, v126
	v_lshlrev_b32_e32 v127, 16, v127
	v_or_b32_e32 v125, v130, v125
	v_add_nc_u16 v130, v133, 0xf000
	v_and_b32_e32 v7, 0xf0f0f0f, v7
	v_and_b32_e32 v133, 0x10000000, v135
	v_or3_b32 v131, v132, v131, v134
	v_or_b32_e32 v129, v139, v141
	v_and_b32_e32 v128, 0x1f00, v128
	v_lshrrev_b16 v130, 8, v130
	v_or_b32_e32 v126, v126, v127
	v_or3_b32 v7, v131, v133, v7
	s_waitcnt vmcnt(8)
	v_ashrrev_i32_e32 v122, v46, v122
	ds_store_2addr_b32 v57, v137, v138 offset1:1
	v_or_b32_e32 v127, v128, v130
	ds_store_2addr_b32 v58, v129, v126 offset1:1
	v_lshlrev_b16 v126, 8, v7
	v_lshlrev_b32_e32 v130, 18, v122
	v_lshlrev_b32_e32 v131, 25, v122
	v_lshrrev_b32_e32 v128, 16, v7
	v_lshlrev_b32_e32 v129, 4, v122
	v_add_nc_i16 v126, v126, 0xf000 clamp
	v_lshlrev_b32_e32 v132, 11, v122
	v_and_b32_e32 v133, 0xf0f0f0f, v121
	v_and_b32_e32 v130, 0x100000, v130
	;; [unrolled: 1-line block ×7, first 2 shown]
	v_lshlrev_b16 v128, 8, v128
	v_lshrrev_b16 v126, 8, v126
	v_or3_b32 v130, v133, v130, v131
	v_or3_b32 v129, v129, v133, v132
	v_add_nc_i16 v131, v134, 0xf000 clamp
	v_add_nc_i16 v128, v128, 0xf000 clamp
	v_or_b32_e32 v7, v7, v126
	v_lshrrev_b32_e32 v126, 16, v130
	v_lshlrev_b16 v130, 8, v129
	v_and_b32_e32 v131, 0xffffff00, v131
	v_lshrrev_b16 v128, 8, v128
	v_lshrrev_b32_e32 v133, 5, v122
	v_lshlrev_b16 v132, 8, v126
	v_add_nc_u16 v130, v130, 0xf000
	v_lshlrev_b32_e32 v134, 2, v122
	v_or_b32_e32 v128, v128, v131
	v_and_b32_e32 v129, 0x1f00, v129
	v_add_nc_u16 v131, v132, 0xf000
	v_lshrrev_b32_e32 v132, 12, v122
	v_lshrrev_b16 v130, 8, v130
	v_and_b32_e32 v126, 0x1f00, v126
	v_lshrrev_b32_e32 v121, 4, v121
	v_lshrrev_b16 v131, 8, v131
	v_and_b32_e32 v132, 16, v132
	v_and_b32_e32 v133, 0x1000, v133
	v_lshlrev_b32_e32 v122, 9, v122
	v_and_b32_e32 v134, 0x100000, v134
	v_add_nc_u16 v125, v125, 0xf000
	v_add_nc_u16 v127, v127, 0xf000
	;; [unrolled: 1-line block ×3, first 2 shown]
	v_or_b32_e32 v129, v129, v130
	v_or_b32_e32 v126, v126, v131
	v_and_b32_e32 v121, 0xf0f0f0f, v121
	v_and_b32_e32 v122, 0x10000000, v122
	v_or3_b32 v130, v133, v132, v134
	v_and_b32_e32 v125, 0xffff, v125
	v_lshlrev_b32_e32 v127, 16, v127
	v_add_nc_u16 v129, v129, 0xf000
	v_add_nc_u16 v126, v126, 0xf000
	v_and_b32_e32 v7, 0xffff, v7
	v_lshlrev_b32_e32 v128, 16, v128
	v_or3_b32 v121, v130, v122, v121
	v_ashrrev_i32_e32 v120, v46, v120
	v_and_b32_e32 v122, 0xffff, v129
	v_lshlrev_b32_e32 v126, 16, v126
	v_or_b32_e32 v125, v125, v127
	v_or_b32_e32 v127, v7, v128
	v_lshlrev_b16 v7, 8, v121
	v_lshrrev_b32_e32 v128, 16, v121
	v_lshlrev_b32_e32 v129, 4, v120
	v_lshlrev_b32_e32 v130, 11, v120
	v_or_b32_e32 v122, v122, v126
	v_add_nc_i16 v7, v7, 0xf000 clamp
	v_and_b32_e32 v126, 0xffffff00, v128
	v_lshlrev_b32_e32 v131, 18, v120
	v_lshlrev_b32_e32 v132, 25, v120
	v_and_b32_e32 v133, 0xf0f0f0f, v119
	v_and_b32_e32 v129, 16, v129
	;; [unrolled: 1-line block ×6, first 2 shown]
	v_lshrrev_b16 v7, 8, v7
	v_add_nc_i16 v126, v126, 0xf000 clamp
	v_or3_b32 v129, v129, v133, v130
	v_lshlrev_b16 v128, 8, v128
	v_or3_b32 v130, v133, v131, v132
	v_or_b32_e32 v7, v121, v7
	v_and_b32_e32 v121, 0xffffff00, v126
	v_lshlrev_b16 v126, 8, v129
	v_lshrrev_b32_e32 v131, 12, v120
	v_lshrrev_b32_e32 v132, 5, v120
	v_lshlrev_b32_e32 v133, 2, v120
	v_add_nc_i16 v128, v128, 0xf000 clamp
	v_add_nc_u16 v126, v126, 0xf000
	v_lshrrev_b32_e32 v119, 4, v119
	v_and_b32_e32 v131, 16, v131
	v_and_b32_e32 v132, 0x1000, v132
	v_lshlrev_b32_e32 v120, 9, v120
	v_and_b32_e32 v133, 0x100000, v133
	v_lshrrev_b16 v128, 8, v128
	v_lshrrev_b32_e32 v130, 16, v130
	v_and_b32_e32 v129, 0x1f00, v129
	v_lshrrev_b16 v126, 8, v126
	v_and_b32_e32 v119, 0xf0f0f0f, v119
	v_and_b32_e32 v120, 0x10000000, v120
	v_or3_b32 v131, v132, v131, v133
	v_add_nc_u16 v7, v7, 0xf000
	v_lshlrev_b16 v132, 8, v130
	v_or_b32_e32 v121, v128, v121
	v_or_b32_e32 v126, v129, v126
	v_or3_b32 v119, v131, v120, v119
	v_and_b32_e32 v7, 0xffff, v7
	v_add_nc_u16 v120, v132, 0xf000
	v_lshlrev_b32_e32 v121, 16, v121
	v_add_nc_u16 v126, v126, 0xf000
	v_lshlrev_b16 v128, 8, v119
	v_ashrrev_i32_e32 v118, v46, v118
	v_and_b32_e32 v129, 0x1f00, v130
	v_lshrrev_b16 v120, 8, v120
	v_or_b32_e32 v121, v7, v121
	v_and_b32_e32 v7, 0xffff, v126
	v_add_nc_i16 v126, v128, 0xf000 clamp
	v_lshrrev_b32_e32 v128, 16, v119
	v_lshlrev_b32_e32 v130, 18, v118
	v_lshlrev_b32_e32 v131, 25, v118
	v_or_b32_e32 v120, v129, v120
	v_and_b32_e32 v134, 0xf0f0f0f, v8
	v_and_b32_e32 v129, 0xffffff00, v128
	v_lshlrev_b16 v128, 8, v128
	v_and_b32_e32 v130, 0x100000, v130
	v_and_b32_e32 v131, 0x10000000, v131
	v_lshlrev_b32_e32 v132, 4, v118
	v_lshlrev_b32_e32 v133, 11, v118
	v_add_nc_i16 v129, v129, 0xf000 clamp
	v_add_nc_i16 v128, v128, 0xf000 clamp
	v_or3_b32 v130, v134, v130, v131
	v_and_b32_e32 v119, 0x1f00, v119
	v_lshrrev_b16 v126, 8, v126
	v_and_b32_e32 v132, 16, v132
	v_and_b32_e32 v133, 0x1000, v133
	;; [unrolled: 1-line block ×3, first 2 shown]
	v_lshrrev_b16 v128, 8, v128
	v_lshrrev_b32_e32 v130, 16, v130
	v_or_b32_e32 v119, v119, v126
	v_or3_b32 v126, v132, v134, v133
	v_add_nc_u16 v120, v120, 0xf000
	v_or_b32_e32 v128, v128, v129
	v_lshlrev_b16 v129, 8, v130
	v_add_nc_u16 v119, v119, 0xf000
	v_lshlrev_b16 v131, 8, v126
	v_lshlrev_b32_e32 v120, 16, v120
	v_lshlrev_b32_e32 v128, 16, v128
	v_add_nc_u16 v129, v129, 0xf000
	v_and_b32_e32 v119, 0xffff, v119
	v_add_nc_u16 v131, v131, 0xf000
	v_or_b32_e32 v120, v7, v120
	v_and_b32_e32 v7, 0x1f00, v130
	v_lshrrev_b16 v129, 8, v129
	v_and_b32_e32 v126, 0x1f00, v126
	v_lshrrev_b16 v131, 8, v131
	v_or_b32_e32 v119, v119, v128
	v_lshrrev_b32_e32 v128, 12, v118
	v_lshrrev_b32_e32 v130, 5, v118
	v_or_b32_e32 v7, v7, v129
	v_lshlrev_b32_e32 v129, 2, v118
	v_or_b32_e32 v126, v126, v131
	v_lshrrev_b32_e32 v8, 4, v8
	v_and_b32_e32 v128, 16, v128
	v_and_b32_e32 v130, 0x1000, v130
	;; [unrolled: 1-line block ×3, first 2 shown]
	v_add_nc_u16 v7, v7, 0xf000
	v_lshlrev_b32_e32 v118, 9, v118
	v_add_nc_u16 v126, v126, 0xf000
	v_and_b32_e32 v131, 0xf0f0f0f, v8
	v_or3_b32 v128, v130, v128, v129
	v_lshlrev_b32_e32 v129, 16, v7
	v_mad_u64_u32 v[7:8], null, v44, 22, s[0:1]
	v_and_b32_e32 v118, 0x10000000, v118
	v_and_b32_e32 v126, 0xffff, v126
	ds_store_2addr_b32 v59, v125, v127 offset1:1
	ds_store_2addr_b32 v61, v122, v121 offset1:1
	;; [unrolled: 1-line block ×3, first 2 shown]
	v_ashrrev_i32_e32 v3, v46, v3
	s_mov_b32 s0, -4
	v_or3_b32 v130, v128, v118, v131
	v_mad_u64_u32 v[118:119], null, v71, 22, v[7:8]
	v_mad_u64_u32 v[120:121], null, v83, 22, v[7:8]
	v_or_b32_e32 v137, v126, v129
	v_mad_u64_u32 v[125:126], null, v85, 22, v[7:8]
	v_add_nc_u32_e32 v131, s13, v45
	v_mad_u64_u32 v[127:128], null, v88, 22, v[7:8]
	s_clause 0x3
	global_load_u16 v141, v[118:119], off
	global_load_u16 v142, v[120:121], off
	;; [unrolled: 1-line block ×4, first 2 shown]
	v_add_nc_u32_e32 v122, v131, v90
	v_add_nc_u32_e32 v118, s13, v6
	;; [unrolled: 1-line block ×6, first 2 shown]
	v_lshrrev_b32_e32 v138, 16, v130
	v_and_b32_e32 v139, 0x1f00, v130
	v_lshlrev_b16 v140, 8, v130
	v_mad_i64_i32 v[7:8], null, v122, 36, v[4:5]
	v_mad_i64_i32 v[119:120], null, v121, 36, v[4:5]
	;; [unrolled: 1-line block ×5, first 2 shown]
	v_mad_u64_u32 v[129:130], null, v118, 36, s[2:3]
	v_add_nc_u32_e32 v133, v131, v95
	v_add_nc_u32_e32 v135, v131, v97
	;; [unrolled: 1-line block ×3, first 2 shown]
	s_delay_alu instid0(VALU_DEP_3) | instskip(NEXT) | instid1(VALU_DEP_3)
	v_mad_i64_i32 v[131:132], null, v133, 36, v[4:5]
	v_mad_i64_i32 v[133:134], null, v135, 36, v[4:5]
	s_delay_alu instid0(VALU_DEP_3)
	v_mad_i64_i32 v[135:136], null, v145, 36, v[4:5]
	s_clause 0x8
	global_load_b32 v129, v[129:130], off
	global_load_b32 v7, v[7:8], off offset:4
	global_load_b32 v8, v[119:120], off offset:4
	;; [unrolled: 1-line block ×8, first 2 shown]
	v_lshlrev_b32_e32 v131, 4, v3
	v_lshlrev_b32_e32 v132, 11, v3
	;; [unrolled: 1-line block ×4, first 2 shown]
	v_add_nc_i16 v127, v140, 0xf000 clamp
	v_and_b32_e32 v135, 0xf0f0f0f, v2
	v_and_b32_e32 v131, 16, v131
	;; [unrolled: 1-line block ×5, first 2 shown]
	v_lshrrev_b16 v127, 8, v127
	v_lshlrev_b32_e32 v136, 2, v3
	v_or3_b32 v131, v131, v135, v132
	v_and_b32_e32 v128, 0xffffff00, v138
	v_or3_b32 v132, v135, v133, v134
	v_lshrrev_b32_e32 v134, 12, v3
	v_lshrrev_b32_e32 v135, 5, v3
	v_lshlrev_b16 v130, 8, v138
	v_or_b32_e32 v127, v139, v127
	v_lshlrev_b16 v133, 8, v131
	v_lshrrev_b32_e32 v132, 16, v132
	v_lshrrev_b32_e32 v2, 4, v2
	v_and_b32_e32 v134, 16, v134
	v_and_b32_e32 v135, 0x1000, v135
	v_lshlrev_b32_e32 v3, 9, v3
	v_and_b32_e32 v136, 0x100000, v136
	v_add_nc_i16 v128, v128, 0xf000 clamp
	v_add_nc_i16 v130, v130, 0xf000 clamp
	v_add_nc_u16 v133, v133, 0xf000
	v_and_b32_e32 v2, 0xf0f0f0f, v2
	v_and_b32_e32 v3, 0x10000000, v3
	v_or3_b32 v134, v135, v134, v136
	v_add_nc_u16 v127, v127, 0xf000
	v_lshlrev_b16 v135, 8, v132
	v_and_b32_e32 v128, 0xffffff00, v128
	v_lshrrev_b16 v130, 8, v130
	v_and_b32_e32 v131, 0x1f00, v131
	v_lshrrev_b16 v133, 8, v133
	v_or3_b32 v2, v134, v3, v2
	v_and_b32_e32 v3, 0xffff, v127
	v_add_nc_u16 v127, v135, 0xf000
	v_or_b32_e32 v128, v130, v128
	v_or_b32_e32 v130, v131, v133
	v_and_b32_e32 v132, 0x1f00, v132
	v_lshlrev_b16 v131, 8, v2
	v_lshrrev_b16 v127, 8, v127
	v_lshlrev_b32_e32 v128, 16, v128
	v_add_nc_u16 v130, v130, 0xf000
	s_delay_alu instid0(VALU_DEP_3) | instskip(NEXT) | instid1(VALU_DEP_3)
	v_or_b32_e32 v127, v132, v127
	v_or_b32_e32 v3, v3, v128
	s_delay_alu instid0(VALU_DEP_3)
	v_and_b32_e32 v128, 0xffff, v130
	v_add_nc_i16 v130, v131, 0xf000 clamp
	v_lshrrev_b32_e32 v131, 16, v2
	v_and_b32_e32 v2, 0x1f00, v2
	v_add_nc_u16 v127, v127, 0xf000
	ds_store_2addr_b32 v63, v137, v3 offset1:1
	v_lshrrev_b16 v130, 8, v130
	v_and_b32_e32 v133, 0xffffff00, v131
	s_waitcnt vmcnt(13)
	v_ashrrev_i32_e32 v132, v46, v152
	v_lshlrev_b16 v131, 8, v131
	v_and_b32_e32 v139, 0xf0f0f0f, v151
	v_or_b32_e32 v2, v2, v130
	v_add_nc_i16 v133, v133, 0xf000 clamp
	v_lshlrev_b32_e32 v135, 18, v132
	v_lshlrev_b32_e32 v136, 25, v132
	;; [unrolled: 1-line block ×4, first 2 shown]
	v_add_nc_i16 v131, v131, 0xf000 clamp
	v_and_b32_e32 v135, 0x100000, v135
	v_and_b32_e32 v136, 0x10000000, v136
	;; [unrolled: 1-line block ×5, first 2 shown]
	v_lshrrev_b16 v131, 8, v131
	v_or3_b32 v130, v139, v135, v136
	v_lshrrev_b32_e32 v136, 12, v132
	v_or3_b32 v134, v134, v139, v138
	v_lshrrev_b32_e32 v138, 5, v132
	v_or_b32_e32 v131, v131, v133
	v_lshrrev_b32_e32 v130, 16, v130
	v_lshlrev_b32_e32 v139, 2, v132
	v_lshlrev_b16 v135, 8, v134
	v_and_b32_e32 v134, 0x1f00, v134
	v_add_nc_u16 v2, v2, 0xf000
	v_lshlrev_b16 v133, 8, v130
	v_and_b32_e32 v130, 0x1f00, v130
	v_add_nc_u16 v135, v135, 0xf000
	v_lshlrev_b32_e32 v127, 16, v127
	v_lshrrev_b32_e32 v140, 4, v151
	v_add_nc_u16 v133, v133, 0xf000
	v_and_b32_e32 v136, 16, v136
	v_lshrrev_b16 v135, 8, v135
	v_and_b32_e32 v138, 0x1000, v138
	v_lshlrev_b32_e32 v132, 9, v132
	v_lshrrev_b16 v133, 8, v133
	v_and_b32_e32 v139, 0x100000, v139
	v_or_b32_e32 v134, v134, v135
	v_and_b32_e32 v2, 0xffff, v2
	v_lshlrev_b32_e32 v131, 16, v131
	v_or_b32_e32 v130, v130, v133
	v_and_b32_e32 v133, 0xf0f0f0f, v140
	v_and_b32_e32 v132, 0x10000000, v132
	v_or3_b32 v135, v138, v136, v139
	v_or_b32_e32 v127, v128, v127
	v_add_nc_u16 v128, v134, 0xf000
	v_add_nc_u16 v130, v130, 0xf000
	v_or_b32_e32 v2, v2, v131
	v_or3_b32 v131, v135, v132, v133
	v_and_b32_e32 v136, 0xf0f0f0f, v149
	v_and_b32_e32 v3, 0xffff, v128
	v_lshlrev_b32_e32 v128, 16, v130
	v_ashrrev_i32_e32 v130, v46, v150
	ds_store_2addr_b32 v64, v127, v2 offset1:1
	v_lshlrev_b16 v2, 8, v131
	v_lshrrev_b32_e32 v127, 16, v131
	v_or_b32_e32 v3, v3, v128
	v_lshlrev_b32_e32 v133, 18, v130
	v_lshlrev_b32_e32 v134, 25, v130
	v_and_b32_e32 v128, 0x1f00, v131
	v_add_nc_i16 v2, v2, 0xf000 clamp
	v_and_b32_e32 v131, 0xffffff00, v127
	v_lshlrev_b32_e32 v132, 4, v130
	v_lshlrev_b32_e32 v135, 11, v130
	v_and_b32_e32 v133, 0x100000, v133
	v_and_b32_e32 v134, 0x10000000, v134
	v_lshrrev_b16 v2, 8, v2
	v_and_b32_e32 v132, 16, v132
	v_and_b32_e32 v135, 0x1000, v135
	v_add_nc_i16 v131, v131, 0xf000 clamp
	v_or3_b32 v133, v136, v133, v134
	v_or_b32_e32 v2, v128, v2
	v_lshrrev_b32_e32 v134, 12, v130
	v_or3_b32 v132, v132, v136, v135
	v_and_b32_e32 v128, 0xffffff00, v131
	v_lshrrev_b32_e32 v131, 16, v133
	v_lshrrev_b32_e32 v135, 5, v130
	v_lshlrev_b32_e32 v137, 2, v130
	v_lshlrev_b16 v127, 8, v127
	v_and_b32_e32 v133, 0x1f00, v132
	v_lshlrev_b16 v132, 8, v132
	v_lshlrev_b16 v136, 8, v131
	v_lshrrev_b32_e32 v138, 4, v149
	v_and_b32_e32 v134, 16, v134
	v_and_b32_e32 v135, 0x1000, v135
	v_lshlrev_b32_e32 v130, 9, v130
	v_and_b32_e32 v137, 0x100000, v137
	v_add_nc_i16 v127, v127, 0xf000 clamp
	v_add_nc_u16 v132, v132, 0xf000
	v_add_nc_u16 v136, v136, 0xf000
	v_and_b32_e32 v138, 0xf0f0f0f, v138
	v_and_b32_e32 v130, 0x10000000, v130
	v_or3_b32 v134, v135, v134, v137
	v_lshrrev_b16 v132, 8, v132
	v_and_b32_e32 v131, 0x1f00, v131
	v_lshrrev_b16 v135, 8, v136
	v_lshrrev_b16 v127, 8, v127
	v_or3_b32 v130, v134, v130, v138
	v_or_b32_e32 v132, v133, v132
	v_add_nc_u16 v2, v2, 0xf000
	v_or_b32_e32 v131, v131, v135
	v_or_b32_e32 v127, v127, v128
	v_lshlrev_b16 v128, 8, v130
	v_add_nc_u16 v132, v132, 0xf000
	v_lshrrev_b32_e32 v133, 16, v130
	v_add_nc_u16 v131, v131, 0xf000
	v_and_b32_e32 v2, 0xffff, v2
	v_add_nc_i16 v128, v128, 0xf000 clamp
	v_lshlrev_b32_e32 v127, 16, v127
	v_and_b32_e32 v132, 0xffff, v132
	v_lshlrev_b32_e32 v131, 16, v131
	v_and_b32_e32 v130, 0x1f00, v130
	v_lshrrev_b16 v128, 8, v128
	v_and_b32_e32 v134, 0xffffff00, v133
	v_ashrrev_i32_e32 v124, v46, v124
	v_or_b32_e32 v2, v2, v127
	v_or_b32_e32 v127, v132, v131
	;; [unrolled: 1-line block ×3, first 2 shown]
	v_add_nc_i16 v130, v134, 0xf000 clamp
	v_lshlrev_b16 v131, 8, v133
	v_lshlrev_b32_e32 v132, 18, v124
	v_lshlrev_b32_e32 v133, 25, v124
	;; [unrolled: 1-line block ×4, first 2 shown]
	v_and_b32_e32 v136, 0xf0f0f0f, v123
	v_and_b32_e32 v132, 0x100000, v132
	;; [unrolled: 1-line block ×5, first 2 shown]
	v_lshrrev_b32_e32 v123, 4, v123
	v_add_nc_i16 v131, v131, 0xf000 clamp
	v_or3_b32 v132, v136, v132, v133
	v_and_b32_e32 v130, 0xffffff00, v130
	v_or3_b32 v133, v134, v136, v135
	v_lshrrev_b32_e32 v134, 12, v124
	v_lshrrev_b32_e32 v135, 5, v124
	v_lshlrev_b32_e32 v136, 2, v124
	v_lshrrev_b32_e32 v132, 16, v132
	v_lshlrev_b32_e32 v124, 9, v124
	v_and_b32_e32 v134, 16, v134
	v_and_b32_e32 v135, 0x1000, v135
	;; [unrolled: 1-line block ×3, first 2 shown]
	v_lshlrev_b16 v137, 8, v133
	v_lshlrev_b16 v138, 8, v132
	v_and_b32_e32 v123, 0xf0f0f0f, v123
	v_and_b32_e32 v124, 0x10000000, v124
	v_or3_b32 v134, v135, v134, v136
	v_add_nc_u16 v135, v137, 0xf000
	v_lshrrev_b16 v131, 8, v131
	v_add_nc_u16 v136, v138, 0xf000
	v_and_b32_e32 v133, 0x1f00, v133
	v_or3_b32 v123, v134, v124, v123
	v_lshrrev_b16 v124, 8, v135
	v_and_b32_e32 v132, 0x1f00, v132
	v_lshrrev_b16 v134, 8, v136
	v_or_b32_e32 v130, v131, v130
	v_lshlrev_b16 v131, 8, v123
	v_add_nc_u16 v128, v128, 0xf000
	v_or_b32_e32 v124, v133, v124
	v_or_b32_e32 v132, v132, v134
	v_lshrrev_b32_e32 v133, 16, v123
	v_add_nc_i16 v131, v131, 0xf000 clamp
	v_and_b32_e32 v128, 0xffff, v128
	v_lshlrev_b32_e32 v130, 16, v130
	v_add_nc_u16 v124, v124, 0xf000
	v_add_nc_u16 v132, v132, 0xf000
	v_and_b32_e32 v123, 0x1f00, v123
	v_lshrrev_b16 v131, 8, v131
	v_and_b32_e32 v134, 0xffffff00, v133
	v_or_b32_e32 v128, v128, v130
	v_and_b32_e32 v124, 0xffff, v124
	v_lshlrev_b32_e32 v130, 16, v132
	v_or_b32_e32 v123, v123, v131
	v_add_nc_i16 v131, v134, 0xf000 clamp
	v_ashrrev_i32_e32 v1, v46, v1
	v_lshlrev_b16 v132, 8, v133
	v_or_b32_e32 v124, v124, v130
	v_and_b32_e32 v135, 0xf0f0f0f, v0
	v_and_b32_e32 v130, 0xffffff00, v131
	v_lshlrev_b32_e32 v131, 4, v1
	v_lshlrev_b32_e32 v133, 11, v1
	;; [unrolled: 1-line block ×4, first 2 shown]
	v_lshrrev_b32_e32 v137, 12, v1
	v_lshrrev_b32_e32 v138, 5, v1
	v_lshlrev_b32_e32 v139, 2, v1
	v_and_b32_e32 v131, 16, v131
	v_and_b32_e32 v133, 0x1000, v133
	;; [unrolled: 1-line block ×4, first 2 shown]
	v_lshrrev_b32_e32 v0, 4, v0
	v_and_b32_e32 v137, 16, v137
	v_and_b32_e32 v138, 0x1000, v138
	v_lshlrev_b32_e32 v1, 9, v1
	v_and_b32_e32 v139, 0x100000, v139
	v_add_nc_i16 v132, v132, 0xf000 clamp
	v_or3_b32 v131, v131, v135, v133
	v_or3_b32 v133, v135, v134, v136
	v_and_b32_e32 v0, 0xf0f0f0f, v0
	v_and_b32_e32 v1, 0x10000000, v1
	v_or3_b32 v134, v138, v137, v139
	v_lshrrev_b16 v132, 8, v132
	v_lshlrev_b16 v135, 8, v131
	v_lshrrev_b32_e32 v133, 16, v133
	v_and_b32_e32 v131, 0x1f00, v131
	v_or3_b32 v0, v134, v1, v0
	v_or_b32_e32 v1, v132, v130
	v_add_nc_u16 v130, v135, 0xf000
	v_lshlrev_b16 v132, 8, v133
	v_and_b32_e32 v133, 0x1f00, v133
	v_lshlrev_b16 v134, 8, v0
	v_lshrrev_b32_e32 v135, 16, v0
	v_lshrrev_b16 v130, 8, v130
	v_add_nc_u16 v132, v132, 0xf000
	v_and_b32_e32 v0, 0x1f00, v0
	v_add_nc_i16 v134, v134, 0xf000 clamp
	v_and_b32_e32 v136, 0xffffff00, v135
	v_lshlrev_b16 v135, 8, v135
	v_lshrrev_b16 v132, 8, v132
	v_add_nc_u16 v123, v123, 0xf000
	v_lshrrev_b16 v134, 8, v134
	v_add_nc_i16 v136, v136, 0xf000 clamp
	v_add_nc_i16 v135, v135, 0xf000 clamp
	v_or_b32_e32 v130, v131, v130
	v_or_b32_e32 v131, v133, v132
	;; [unrolled: 1-line block ×3, first 2 shown]
	v_and_b32_e32 v132, 0xffffff00, v136
	v_lshrrev_b16 v133, 8, v135
	v_and_b32_e32 v123, 0xffff, v123
	v_lshlrev_b32_e32 v1, 16, v1
	v_add_nc_u16 v130, v130, 0xf000
	v_add_nc_u16 v131, v131, 0xf000
	;; [unrolled: 1-line block ×3, first 2 shown]
	v_or_b32_e32 v132, v133, v132
	v_or_b32_e32 v1, v123, v1
	v_and_b32_e32 v123, 0xffff, v130
	v_lshlrev_b32_e32 v130, 16, v131
	v_and_b32_e32 v0, 0xffff, v0
	v_lshlrev_b32_e32 v131, 16, v132
	ds_store_2addr_b32 v66, v3, v2 offset1:1
	ds_store_2addr_b32 v67, v127, v128 offset1:1
	;; [unrolled: 1-line block ×3, first 2 shown]
	s_waitcnt vmcnt(12)
	v_cvt_f32_f16_e64 v2, v141
	v_or_b32_e32 v1, v123, v130
	s_waitcnt vmcnt(11)
	v_cvt_f32_f16_e64 v3, v142
	v_or_b32_e32 v0, v0, v131
	s_waitcnt vmcnt(10)
	v_cvt_f32_f16_e64 v123, v143
	s_waitcnt vmcnt(9)
	v_cvt_f32_f16_e64 v124, v144
	ds_store_2addr_b32 v69, v1, v0 offset1:1
	ds_store_b32 v114, v2
	ds_store_b32 v115, v3
	;; [unrolled: 1-line block ×4, first 2 shown]
	v_mov_b32_e32 v124, v104
	s_waitcnt vmcnt(8)
	v_cvt_f32_f16_e64 v0, v129
	s_waitcnt vmcnt(6)
	ds_store_b32 v75, v8
	s_waitcnt vmcnt(5)
	ds_store_b32 v76, v119
	;; [unrolled: 2-line block ×7, first 2 shown]
	ds_store_b32 v73, v7
	ds_store_b32 v87, v0
	v_dual_mov_b32 v119, v108 :: v_dual_mov_b32 v120, v107
	v_dual_mov_b32 v121, v101 :: v_dual_mov_b32 v122, v106
	v_mov_b32_e32 v123, v105
	v_mov_b32_e32 v125, v103
	s_waitcnt lgkmcnt(0)
	s_barrier
	buffer_gl0_inv
.LBB141_7:                              ;   Parent Loop BB141_6 Depth=1
                                        ; =>  This Inner Loop Header: Depth=2
	ds_load_2addr_b32 v[7:8], v121 offset1:1
	ds_load_b128 v[0:3], v120
	ds_load_b128 v[126:129], v120 offset:16
	ds_load_2addr_b32 v[158:159], v121 offset0:2 offset1:3
	v_add_nc_u32_e32 v131, 0x2080, v121
	v_add_nc_u32_e32 v132, 0x4100, v121
	;; [unrolled: 1-line block ×3, first 2 shown]
	ds_load_2addr_b32 v[172:173], v121 offset0:4 offset1:5
	ds_load_2addr_b32 v[178:179], v121 offset0:6 offset1:7
	ds_load_2addr_b32 v[160:161], v131 offset1:1
	ds_load_2addr_b32 v[162:163], v132 offset1:1
	;; [unrolled: 1-line block ×3, first 2 shown]
	s_add_i32 s0, s0, 4
	s_delay_alu instid0(SALU_CYCLE_1) | instskip(SKIP_3) | instid1(VALU_DEP_1)
	s_cmp_lt_u32 s0, 12
	s_waitcnt lgkmcnt(7)
	v_dot4_i32_iu8 v130, v7, v0, 0 neg_lo:[1,1,0]
	s_waitcnt lgkmcnt(6)
	v_dot4_i32_iu8 v130, v8, v126, v130 neg_lo:[1,1,0]
	;; [unrolled: 2-line block ×4, first 2 shown]
	v_dot4_i32_iu8 v130, v158, v1, v130 neg_lo:[1,1,0]
	s_waitcnt lgkmcnt(0)
	v_dot4_i32_iu8 v0, v164, v0, 0 neg_lo:[1,1,0]
	v_dot4_i32_iu8 v131, v161, v126, v131 neg_lo:[1,1,0]
	;; [unrolled: 1-line block ×3, first 2 shown]
	s_delay_alu instid0(VALU_DEP_3)
	v_dot4_i32_iu8 v0, v165, v126, v0 neg_lo:[1,1,0]
	v_dot4_i32_iu8 v126, v159, v127, v130 neg_lo:[1,1,0]
	v_add_nc_u32_e32 v130, 0x2088, v121
	ds_load_2addr_b32 v[166:167], v130 offset1:1
	s_waitcnt lgkmcnt(0)
	v_dot4_i32_iu8 v130, v166, v1, v131 neg_lo:[1,1,0]
	v_add_nc_u32_e32 v131, 0x4108, v121
	s_delay_alu instid0(VALU_DEP_2) | instskip(SKIP_4) | instid1(VALU_DEP_2)
	v_dot4_i32_iu8 v130, v167, v127, v130 neg_lo:[1,1,0]
	ds_load_2addr_b32 v[168:169], v131 offset1:1
	s_waitcnt lgkmcnt(0)
	v_dot4_i32_iu8 v131, v168, v1, v132 neg_lo:[1,1,0]
	v_add_nc_u32_e32 v132, 0x6188, v121
	v_dot4_i32_iu8 v131, v169, v127, v131 neg_lo:[1,1,0]
	ds_load_2addr_b32 v[170:171], v132 offset1:1
	v_add_nc_u32_e32 v132, 0x4110, v121
	ds_load_2addr_b32 v[174:175], v132 offset1:1
	v_add_nc_u32_e32 v132, 0x6190, v121
	ds_load_2addr_b32 v[176:177], v132 offset1:1
	s_waitcnt lgkmcnt(2)
	v_dot4_i32_iu8 v0, v170, v1, v0 neg_lo:[1,1,0]
	v_dot4_i32_iu8 v1, v172, v2, v126 neg_lo:[1,1,0]
	v_add_nc_u32_e32 v126, 0x2090, v121
	s_delay_alu instid0(VALU_DEP_3) | instskip(NEXT) | instid1(VALU_DEP_3)
	v_dot4_i32_iu8 v0, v171, v127, v0 neg_lo:[1,1,0]
	v_dot4_i32_iu8 v1, v173, v128, v1 neg_lo:[1,1,0]
	ds_load_2addr_b32 v[126:127], v126 offset1:1
	s_waitcnt lgkmcnt(2)
	v_dot4_i32_iu8 v131, v174, v2, v131 neg_lo:[1,1,0]
	v_dot4_i32_iu8 v186, v178, v3, v1 neg_lo:[1,1,0]
	s_waitcnt lgkmcnt(1)
	v_dot4_i32_iu8 v0, v176, v2, v0 neg_lo:[1,1,0]
	s_delay_alu instid0(VALU_DEP_1) | instskip(SKIP_3) | instid1(VALU_DEP_2)
	v_dot4_i32_iu8 v0, v177, v128, v0 neg_lo:[1,1,0]
	s_waitcnt lgkmcnt(0)
	v_dot4_i32_iu8 v130, v126, v2, v130 neg_lo:[1,1,0]
	v_dot4_i32_iu8 v2, v175, v128, v131 neg_lo:[1,1,0]
	;; [unrolled: 1-line block ×3, first 2 shown]
	v_add_nc_u32_e32 v128, 0x2098, v121
	ds_load_b128 v[130:133], v120 offset:1040
	ds_load_2addr_b32 v[180:181], v128 offset1:1
	s_waitcnt lgkmcnt(0)
	v_dot4_i32_iu8 v128, v180, v3, v1 neg_lo:[1,1,0]
	v_add_nc_u32_e32 v1, 0x4118, v121
	ds_load_2addr_b32 v[182:183], v1 offset1:1
	v_add_nc_u32_e32 v1, 0x6198, v121
	v_add_nc_u32_e32 v121, 32, v121
	ds_load_2addr_b32 v[184:185], v1 offset1:1
	s_waitcnt lgkmcnt(1)
	v_dot4_i32_iu8 v187, v182, v3, v2 neg_lo:[1,1,0]
	s_waitcnt lgkmcnt(0)
	v_dot4_i32_iu8 v188, v184, v3, v0 neg_lo:[1,1,0]
	ds_load_b128 v[0:3], v120 offset:1024
	s_waitcnt lgkmcnt(0)
	v_dot4_i32_iu8 v134, v0, v7, 0 neg_lo:[1,1,0]
	v_dot4_i32_iu8 v135, v0, v160, 0 neg_lo:[1,1,0]
	v_dot4_i32_iu8 v136, v0, v162, 0 neg_lo:[1,1,0]
	v_dot4_i32_iu8 v0, v0, v164, 0 neg_lo:[1,1,0]
	s_delay_alu instid0(VALU_DEP_4) | instskip(NEXT) | instid1(VALU_DEP_4)
	v_dot4_i32_iu8 v134, v130, v8, v134 neg_lo:[1,1,0]
	v_dot4_i32_iu8 v135, v130, v161, v135 neg_lo:[1,1,0]
	s_delay_alu instid0(VALU_DEP_4) | instskip(NEXT) | instid1(VALU_DEP_4)
	v_dot4_i32_iu8 v136, v130, v163, v136 neg_lo:[1,1,0]
	v_dot4_i32_iu8 v0, v130, v165, v0 neg_lo:[1,1,0]
	s_delay_alu instid0(VALU_DEP_4) | instskip(NEXT) | instid1(VALU_DEP_4)
	v_dot4_i32_iu8 v130, v1, v158, v134 neg_lo:[1,1,0]
	v_dot4_i32_iu8 v134, v1, v166, v135 neg_lo:[1,1,0]
	s_delay_alu instid0(VALU_DEP_4) | instskip(NEXT) | instid1(VALU_DEP_4)
	v_dot4_i32_iu8 v135, v1, v168, v136 neg_lo:[1,1,0]
	v_dot4_i32_iu8 v0, v1, v170, v0 neg_lo:[1,1,0]
	s_delay_alu instid0(VALU_DEP_4) | instskip(NEXT) | instid1(VALU_DEP_4)
	v_dot4_i32_iu8 v1, v131, v159, v130 neg_lo:[1,1,0]
	v_dot4_i32_iu8 v130, v131, v167, v134 neg_lo:[1,1,0]
	s_delay_alu instid0(VALU_DEP_4) | instskip(NEXT) | instid1(VALU_DEP_4)
	v_dot4_i32_iu8 v134, v131, v169, v135 neg_lo:[1,1,0]
	v_dot4_i32_iu8 v0, v131, v171, v0 neg_lo:[1,1,0]
	s_delay_alu instid0(VALU_DEP_4) | instskip(NEXT) | instid1(VALU_DEP_4)
	v_dot4_i32_iu8 v1, v2, v172, v1 neg_lo:[1,1,0]
	v_dot4_i32_iu8 v130, v2, v126, v130 neg_lo:[1,1,0]
	s_delay_alu instid0(VALU_DEP_4) | instskip(NEXT) | instid1(VALU_DEP_4)
	v_dot4_i32_iu8 v131, v2, v174, v134 neg_lo:[1,1,0]
	v_dot4_i32_iu8 v0, v2, v176, v0 neg_lo:[1,1,0]
	ds_load_b128 v[134:137], v120 offset:2064
	v_dot4_i32_iu8 v1, v132, v173, v1 neg_lo:[1,1,0]
	v_dot4_i32_iu8 v2, v132, v127, v130 neg_lo:[1,1,0]
	v_dot4_i32_iu8 v130, v132, v175, v131 neg_lo:[1,1,0]
	v_dot4_i32_iu8 v0, v132, v177, v0 neg_lo:[1,1,0]
	s_delay_alu instid0(VALU_DEP_4) | instskip(NEXT) | instid1(VALU_DEP_4)
	v_dot4_i32_iu8 v131, v3, v178, v1 neg_lo:[1,1,0]
	v_dot4_i32_iu8 v132, v3, v180, v2 neg_lo:[1,1,0]
	s_delay_alu instid0(VALU_DEP_4) | instskip(NEXT) | instid1(VALU_DEP_4)
	v_dot4_i32_iu8 v130, v3, v182, v130 neg_lo:[1,1,0]
	v_dot4_i32_iu8 v189, v3, v184, v0 neg_lo:[1,1,0]
	ds_load_b128 v[0:3], v120 offset:2048
	v_dot4_i32_iu8 v130, v133, v183, v130 neg_lo:[1,1,0]
	s_waitcnt lgkmcnt(0)
	v_dot4_i32_iu8 v138, v0, v7, 0 neg_lo:[1,1,0]
	v_dot4_i32_iu8 v139, v0, v160, 0 neg_lo:[1,1,0]
	v_dot4_i32_iu8 v140, v0, v162, 0 neg_lo:[1,1,0]
	v_dot4_i32_iu8 v0, v0, v164, 0 neg_lo:[1,1,0]
	s_delay_alu instid0(VALU_DEP_4) | instskip(NEXT) | instid1(VALU_DEP_4)
	v_dot4_i32_iu8 v138, v134, v8, v138 neg_lo:[1,1,0]
	v_dot4_i32_iu8 v139, v134, v161, v139 neg_lo:[1,1,0]
	s_delay_alu instid0(VALU_DEP_4) | instskip(NEXT) | instid1(VALU_DEP_4)
	v_dot4_i32_iu8 v140, v134, v163, v140 neg_lo:[1,1,0]
	v_dot4_i32_iu8 v0, v134, v165, v0 neg_lo:[1,1,0]
	s_delay_alu instid0(VALU_DEP_4) | instskip(NEXT) | instid1(VALU_DEP_4)
	v_dot4_i32_iu8 v134, v1, v158, v138 neg_lo:[1,1,0]
	v_dot4_i32_iu8 v138, v1, v166, v139 neg_lo:[1,1,0]
	s_delay_alu instid0(VALU_DEP_4) | instskip(NEXT) | instid1(VALU_DEP_4)
	v_dot4_i32_iu8 v139, v1, v168, v140 neg_lo:[1,1,0]
	v_dot4_i32_iu8 v0, v1, v170, v0 neg_lo:[1,1,0]
	s_delay_alu instid0(VALU_DEP_4) | instskip(NEXT) | instid1(VALU_DEP_4)
	v_dot4_i32_iu8 v1, v135, v159, v134 neg_lo:[1,1,0]
	v_dot4_i32_iu8 v134, v135, v167, v138 neg_lo:[1,1,0]
	s_delay_alu instid0(VALU_DEP_4) | instskip(NEXT) | instid1(VALU_DEP_4)
	v_dot4_i32_iu8 v138, v135, v169, v139 neg_lo:[1,1,0]
	v_dot4_i32_iu8 v0, v135, v171, v0 neg_lo:[1,1,0]
	s_delay_alu instid0(VALU_DEP_4) | instskip(NEXT) | instid1(VALU_DEP_4)
	v_dot4_i32_iu8 v1, v2, v172, v1 neg_lo:[1,1,0]
	v_dot4_i32_iu8 v134, v2, v126, v134 neg_lo:[1,1,0]
	s_delay_alu instid0(VALU_DEP_4) | instskip(NEXT) | instid1(VALU_DEP_4)
	v_dot4_i32_iu8 v135, v2, v174, v138 neg_lo:[1,1,0]
	v_dot4_i32_iu8 v0, v2, v176, v0 neg_lo:[1,1,0]
	ds_load_b128 v[138:141], v120 offset:3088
	v_dot4_i32_iu8 v1, v136, v173, v1 neg_lo:[1,1,0]
	v_dot4_i32_iu8 v2, v136, v127, v134 neg_lo:[1,1,0]
	v_dot4_i32_iu8 v134, v136, v175, v135 neg_lo:[1,1,0]
	v_dot4_i32_iu8 v0, v136, v177, v0 neg_lo:[1,1,0]
	s_delay_alu instid0(VALU_DEP_4) | instskip(NEXT) | instid1(VALU_DEP_4)
	v_dot4_i32_iu8 v135, v3, v178, v1 neg_lo:[1,1,0]
	v_dot4_i32_iu8 v136, v3, v180, v2 neg_lo:[1,1,0]
	s_delay_alu instid0(VALU_DEP_4) | instskip(NEXT) | instid1(VALU_DEP_4)
	v_dot4_i32_iu8 v134, v3, v182, v134 neg_lo:[1,1,0]
	v_dot4_i32_iu8 v190, v3, v184, v0 neg_lo:[1,1,0]
	ds_load_b128 v[0:3], v120 offset:3072
	v_dot4_i32_iu8 v134, v137, v183, v134 neg_lo:[1,1,0]
	;; [unrolled: 42-line block ×5, first 2 shown]
	s_waitcnt lgkmcnt(0)
	v_dot4_i32_iu8 v154, v0, v7, 0 neg_lo:[1,1,0]
	v_dot4_i32_iu8 v155, v0, v160, 0 neg_lo:[1,1,0]
	;; [unrolled: 1-line block ×4, first 2 shown]
	s_delay_alu instid0(VALU_DEP_4) | instskip(NEXT) | instid1(VALU_DEP_4)
	v_dot4_i32_iu8 v154, v150, v8, v154 neg_lo:[1,1,0]
	v_dot4_i32_iu8 v155, v150, v161, v155 neg_lo:[1,1,0]
	s_delay_alu instid0(VALU_DEP_4) | instskip(NEXT) | instid1(VALU_DEP_4)
	v_dot4_i32_iu8 v156, v150, v163, v156 neg_lo:[1,1,0]
	v_dot4_i32_iu8 v0, v150, v165, v0 neg_lo:[1,1,0]
	;; [unrolled: 3-line block ×8, first 2 shown]
	ds_load_b128 v[154:157], v120 offset:7184
	v_dot4_i32_iu8 v1, v152, v173, v1 neg_lo:[1,1,0]
	v_dot4_i32_iu8 v2, v152, v127, v150 neg_lo:[1,1,0]
	;; [unrolled: 1-line block ×4, first 2 shown]
	s_delay_alu instid0(VALU_DEP_4) | instskip(NEXT) | instid1(VALU_DEP_4)
	v_dot4_i32_iu8 v151, v3, v178, v1 neg_lo:[1,1,0]
	v_dot4_i32_iu8 v152, v3, v180, v2 neg_lo:[1,1,0]
	s_delay_alu instid0(VALU_DEP_4) | instskip(NEXT) | instid1(VALU_DEP_4)
	v_dot4_i32_iu8 v150, v3, v182, v150 neg_lo:[1,1,0]
	v_dot4_i32_iu8 v194, v3, v184, v0 neg_lo:[1,1,0]
	ds_load_b128 v[0:3], v120 offset:7168
	v_add_nc_u32_e32 v120, 32, v120
	v_dot4_i32_iu8 v150, v153, v183, v150 neg_lo:[1,1,0]
	s_waitcnt lgkmcnt(0)
	v_dot4_i32_iu8 v7, v0, v7, 0 neg_lo:[1,1,0]
	s_delay_alu instid0(VALU_DEP_1) | instskip(SKIP_3) | instid1(VALU_DEP_4)
	v_dot4_i32_iu8 v7, v154, v8, v7 neg_lo:[1,1,0]
	v_dot4_i32_iu8 v8, v0, v160, 0 neg_lo:[1,1,0]
	;; [unrolled: 1-line block ×5, first 2 shown]
	s_delay_alu instid0(VALU_DEP_4) | instskip(NEXT) | instid1(VALU_DEP_4)
	v_dot4_i32_iu8 v8, v154, v161, v8 neg_lo:[1,1,0]
	v_dot4_i32_iu8 v160, v154, v163, v160 neg_lo:[1,1,0]
	s_delay_alu instid0(VALU_DEP_4) | instskip(NEXT) | instid1(VALU_DEP_4)
	v_dot4_i32_iu8 v0, v154, v165, v0 neg_lo:[1,1,0]
	v_dot4_i32_iu8 v7, v155, v159, v7 neg_lo:[1,1,0]
	;; [unrolled: 3-line block ×7, first 2 shown]
	s_delay_alu instid0(VALU_DEP_4)
	v_dot4_i32_iu8 v0, v2, v176, v0 neg_lo:[1,1,0]
	v_dot4_i32_iu8 v126, v183, v129, v187 neg_lo:[1,1,0]
	;; [unrolled: 1-line block ×7, first 2 shown]
	s_delay_alu instid0(VALU_DEP_4) | instskip(NEXT) | instid1(VALU_DEP_4)
	v_dot4_i32_iu8 v2, v3, v180, v7 neg_lo:[1,1,0]
	v_dot4_i32_iu8 v7, v3, v182, v8 neg_lo:[1,1,0]
	s_delay_alu instid0(VALU_DEP_4)
	v_dot4_i32_iu8 v0, v3, v184, v0 neg_lo:[1,1,0]
	v_dot4_i32_iu8 v3, v179, v129, v186 neg_lo:[1,1,0]
	;; [unrolled: 1-line block ×25, first 2 shown]
	ds_load_b32 v154, v122
	ds_load_b32 v155, v123
	;; [unrolled: 1-line block ×4, first 2 shown]
	ds_load_2addr_b32 v[0:1], v119 offset1:32
	v_cvt_f32_i32_e32 v3, v3
	v_add_nc_u32_e32 v125, 4, v125
	v_add_nc_u32_e32 v124, 4, v124
	;; [unrolled: 1-line block ×4, first 2 shown]
	s_waitcnt lgkmcnt(0)
	v_mul_f32_e32 v158, v0, v154
	v_mul_f32_e32 v161, v0, v157
	v_dual_mul_f32 v162, v154, v1 :: v_dual_mul_f32 v159, v0, v155
	s_delay_alu instid0(VALU_DEP_3) | instskip(SKIP_2) | instid1(VALU_DEP_2)
	v_dual_mul_f32 v160, v0, v156 :: v_dual_fmac_f32 v37, v158, v3
	v_cvt_f32_i32_e32 v3, v128
	v_mul_f32_e32 v163, v155, v1
	v_dual_mul_f32 v165, v157, v1 :: v_dual_fmac_f32 v40, v162, v3
	v_cvt_f32_i32_e32 v3, v132
	v_mul_f32_e32 v164, v156, v1
	ds_load_2addr_b32 v[0:1], v119 offset0:64 offset1:96
	s_waitcnt lgkmcnt(0)
	v_mul_f32_e32 v166, v154, v0
	v_dual_mul_f32 v170, v154, v1 :: v_dual_mul_f32 v167, v155, v0
	v_mul_f32_e32 v168, v156, v0
	v_mul_f32_e32 v169, v157, v0
	s_delay_alu instid0(VALU_DEP_4) | instskip(SKIP_2) | instid1(VALU_DEP_2)
	v_fmac_f32_e32 v35, v166, v3
	v_cvt_f32_i32_e32 v3, v136
	v_mul_f32_e32 v171, v155, v1
	v_dual_mul_f32 v172, v156, v1 :: v_dual_fmac_f32 v31, v170, v3
	v_cvt_f32_i32_e32 v3, v140
	v_mul_f32_e32 v173, v157, v1
	ds_load_2addr_b32 v[0:1], v119 offset0:128 offset1:160
	s_waitcnt lgkmcnt(0)
	v_mul_f32_e32 v174, v154, v0
	v_dual_mul_f32 v178, v154, v1 :: v_dual_mul_f32 v175, v155, v0
	v_mul_f32_e32 v176, v156, v0
	s_delay_alu instid0(VALU_DEP_3) | instskip(SKIP_3) | instid1(VALU_DEP_3)
	v_dual_mul_f32 v177, v157, v0 :: v_dual_fmac_f32 v24, v174, v3
	v_cvt_f32_i32_e32 v3, v144
	v_mul_f32_e32 v179, v155, v1
	v_mul_f32_e32 v180, v156, v1
	v_fmac_f32_e32 v20, v178, v3
	v_cvt_f32_i32_e32 v3, v148
	v_mul_f32_e32 v181, v157, v1
	ds_load_2addr_b32 v[0:1], v119 offset0:192 offset1:224
	s_waitcnt lgkmcnt(0)
	v_dual_mul_f32 v182, v154, v0 :: v_dual_add_nc_u32 v119, 4, v119
	v_dual_mul_f32 v154, v154, v1 :: v_dual_mul_f32 v183, v155, v0
	v_mul_f32_e32 v184, v156, v0
	v_mul_f32_e32 v0, v157, v0
	s_delay_alu instid0(VALU_DEP_4) | instskip(SKIP_1) | instid1(VALU_DEP_1)
	v_fmac_f32_e32 v16, v182, v3
	v_cvt_f32_i32_e32 v3, v152
	v_dual_mul_f32 v155, v155, v1 :: v_dual_fmac_f32 v12, v154, v3
	v_cvt_f32_i32_e32 v3, v8
	s_delay_alu instid0(VALU_DEP_1) | instskip(SKIP_1) | instid1(VALU_DEP_1)
	v_fmac_f32_e32 v52, v159, v3
	v_cvt_f32_i32_e32 v3, v126
	v_fmac_f32_e32 v42, v160, v3
	v_cvt_f32_i32_e32 v3, v127
	s_delay_alu instid0(VALU_DEP_1) | instskip(SKIP_1) | instid1(VALU_DEP_1)
	v_fmac_f32_e32 v41, v161, v3
	v_cvt_f32_i32_e32 v3, v129
	v_fmac_f32_e32 v39, v163, v3
	;; [unrolled: 5-line block ×6, first 2 shown]
	v_cvt_f32_i32_e32 v3, v141
	s_delay_alu instid0(VALU_DEP_1) | instskip(SKIP_1) | instid1(VALU_DEP_1)
	v_dual_mul_f32 v156, v156, v1 :: v_dual_fmac_f32 v23, v175, v3
	v_cvt_f32_i32_e32 v3, v142
	v_dual_mul_f32 v1, v157, v1 :: v_dual_fmac_f32 v22, v176, v3
	v_cvt_f32_i32_e32 v3, v143
	s_delay_alu instid0(VALU_DEP_1) | instskip(SKIP_1) | instid1(VALU_DEP_1)
	v_fmac_f32_e32 v21, v177, v3
	v_cvt_f32_i32_e32 v3, v145
	v_fmac_f32_e32 v19, v179, v3
	v_cvt_f32_i32_e32 v3, v146
	s_delay_alu instid0(VALU_DEP_1) | instskip(SKIP_1) | instid1(VALU_DEP_1)
	v_fmac_f32_e32 v18, v180, v3
	v_cvt_f32_i32_e32 v3, v147
	v_fmac_f32_e32 v17, v181, v3
	;; [unrolled: 5-line block ×5, first 2 shown]
	s_cbranch_scc1 .LBB141_7
; %bb.8:                                ;   in Loop: Header=BB141_6 Depth=1
	s_or_b32 s0, s13, 4
	s_delay_alu instid0(SALU_CYCLE_1)
	s_cmp_ge_i32 s0, s5
	s_barrier
	buffer_gl0_inv
	s_cbranch_scc1 .LBB141_5
; %bb.9:                                ;   in Loop: Header=BB141_6 Depth=1
	v_add_nc_u32_e32 v125, s13, v102
	v_add_nc_u32_e32 v118, 4, v118
	s_mov_b32 s0, 12
	s_delay_alu instid0(VALU_DEP_2)
	v_add_nc_u32_e32 v2, v125, v90
	v_add_nc_u32_e32 v7, v125, v91
	;; [unrolled: 1-line block ×5, first 2 shown]
	v_mad_i64_i32 v[0:1], null, v2, 36, v[4:5]
	v_mad_i64_i32 v[2:3], null, v7, 36, v[4:5]
	;; [unrolled: 1-line block ×5, first 2 shown]
	v_add_nc_u32_e32 v127, v125, v95
	v_mad_u64_u32 v[123:124], null, v118, 36, s[2:3]
	v_add_nc_u32_e32 v129, v125, v97
	v_add_nc_u32_e32 v118, v125, v99
	s_delay_alu instid0(VALU_DEP_4) | instskip(NEXT) | instid1(VALU_DEP_3)
	v_mad_i64_i32 v[125:126], null, v127, 36, v[4:5]
	v_mad_i64_i32 v[127:128], null, v129, 36, v[4:5]
	s_delay_alu instid0(VALU_DEP_3)
	v_mad_i64_i32 v[129:130], null, v118, 36, v[4:5]
	s_clause 0x8
	global_load_b32 v131, v[123:124], off
	global_load_b32 v2, v[2:3], off offset:4
	global_load_b32 v3, v[7:8], off offset:4
	;; [unrolled: 1-line block ×8, first 2 shown]
	v_dual_mov_b32 v123, v110 :: v_dual_mov_b32 v118, v108
	v_dual_mov_b32 v119, v107 :: v_dual_mov_b32 v120, v113
	;; [unrolled: 1-line block ×3, first 2 shown]
	v_mov_b32_e32 v124, v109
	s_waitcnt vmcnt(8)
	v_cvt_f32_f16_e64 v1, v131
	s_waitcnt vmcnt(7)
	ds_store_b32 v75, v2
	s_waitcnt vmcnt(6)
	ds_store_b32 v76, v3
	;; [unrolled: 2-line block ×8, first 2 shown]
	ds_store_b32 v87, v1
	s_waitcnt lgkmcnt(0)
	s_barrier
	buffer_gl0_inv
.LBB141_10:                             ;   Parent Loop BB141_6 Depth=1
                                        ; =>  This Inner Loop Header: Depth=2
	ds_load_2addr_b32 v[7:8], v120 offset1:1
	ds_load_b128 v[0:3], v119
	ds_load_b128 v[125:128], v119 offset:16
	ds_load_2addr_b32 v[157:158], v120 offset0:2 offset1:3
	v_add_nc_u32_e32 v130, 0x2080, v120
	v_add_nc_u32_e32 v131, 0x4100, v120
	;; [unrolled: 1-line block ×3, first 2 shown]
	ds_load_2addr_b32 v[171:172], v120 offset0:4 offset1:5
	ds_load_2addr_b32 v[177:178], v120 offset0:6 offset1:7
	ds_load_2addr_b32 v[159:160], v130 offset1:1
	ds_load_2addr_b32 v[161:162], v131 offset1:1
	;; [unrolled: 1-line block ×3, first 2 shown]
	s_add_i32 s0, s0, 4
	s_delay_alu instid0(SALU_CYCLE_1) | instskip(SKIP_3) | instid1(VALU_DEP_1)
	s_cmp_lt_u32 s0, 28
	s_waitcnt lgkmcnt(7)
	v_dot4_i32_iu8 v129, v7, v0, 0 neg_lo:[1,1,0]
	s_waitcnt lgkmcnt(6)
	v_dot4_i32_iu8 v129, v8, v125, v129 neg_lo:[1,1,0]
	;; [unrolled: 2-line block ×4, first 2 shown]
	v_dot4_i32_iu8 v129, v157, v1, v129 neg_lo:[1,1,0]
	s_waitcnt lgkmcnt(0)
	v_dot4_i32_iu8 v0, v163, v0, 0 neg_lo:[1,1,0]
	v_dot4_i32_iu8 v130, v160, v125, v130 neg_lo:[1,1,0]
	;; [unrolled: 1-line block ×3, first 2 shown]
	s_delay_alu instid0(VALU_DEP_3)
	v_dot4_i32_iu8 v0, v164, v125, v0 neg_lo:[1,1,0]
	v_dot4_i32_iu8 v125, v158, v126, v129 neg_lo:[1,1,0]
	v_add_nc_u32_e32 v129, 0x2088, v120
	ds_load_2addr_b32 v[165:166], v129 offset1:1
	s_waitcnt lgkmcnt(0)
	v_dot4_i32_iu8 v129, v165, v1, v130 neg_lo:[1,1,0]
	v_add_nc_u32_e32 v130, 0x4108, v120
	s_delay_alu instid0(VALU_DEP_2) | instskip(SKIP_4) | instid1(VALU_DEP_2)
	v_dot4_i32_iu8 v129, v166, v126, v129 neg_lo:[1,1,0]
	ds_load_2addr_b32 v[167:168], v130 offset1:1
	s_waitcnt lgkmcnt(0)
	v_dot4_i32_iu8 v130, v167, v1, v131 neg_lo:[1,1,0]
	v_add_nc_u32_e32 v131, 0x6188, v120
	v_dot4_i32_iu8 v130, v168, v126, v130 neg_lo:[1,1,0]
	ds_load_2addr_b32 v[169:170], v131 offset1:1
	v_add_nc_u32_e32 v131, 0x4110, v120
	ds_load_2addr_b32 v[173:174], v131 offset1:1
	v_add_nc_u32_e32 v131, 0x6190, v120
	ds_load_2addr_b32 v[175:176], v131 offset1:1
	s_waitcnt lgkmcnt(2)
	v_dot4_i32_iu8 v0, v169, v1, v0 neg_lo:[1,1,0]
	v_dot4_i32_iu8 v1, v171, v2, v125 neg_lo:[1,1,0]
	v_add_nc_u32_e32 v125, 0x2090, v120
	s_delay_alu instid0(VALU_DEP_3) | instskip(NEXT) | instid1(VALU_DEP_3)
	v_dot4_i32_iu8 v0, v170, v126, v0 neg_lo:[1,1,0]
	v_dot4_i32_iu8 v1, v172, v127, v1 neg_lo:[1,1,0]
	ds_load_2addr_b32 v[125:126], v125 offset1:1
	s_waitcnt lgkmcnt(2)
	v_dot4_i32_iu8 v130, v173, v2, v130 neg_lo:[1,1,0]
	v_dot4_i32_iu8 v185, v177, v3, v1 neg_lo:[1,1,0]
	s_waitcnt lgkmcnt(1)
	v_dot4_i32_iu8 v0, v175, v2, v0 neg_lo:[1,1,0]
	s_delay_alu instid0(VALU_DEP_1) | instskip(SKIP_3) | instid1(VALU_DEP_2)
	v_dot4_i32_iu8 v0, v176, v127, v0 neg_lo:[1,1,0]
	s_waitcnt lgkmcnt(0)
	v_dot4_i32_iu8 v129, v125, v2, v129 neg_lo:[1,1,0]
	v_dot4_i32_iu8 v2, v174, v127, v130 neg_lo:[1,1,0]
	;; [unrolled: 1-line block ×3, first 2 shown]
	v_add_nc_u32_e32 v127, 0x2098, v120
	ds_load_b128 v[129:132], v119 offset:1040
	ds_load_2addr_b32 v[179:180], v127 offset1:1
	s_waitcnt lgkmcnt(0)
	v_dot4_i32_iu8 v127, v179, v3, v1 neg_lo:[1,1,0]
	v_add_nc_u32_e32 v1, 0x4118, v120
	ds_load_2addr_b32 v[181:182], v1 offset1:1
	v_add_nc_u32_e32 v1, 0x6198, v120
	v_add_nc_u32_e32 v120, 32, v120
	ds_load_2addr_b32 v[183:184], v1 offset1:1
	s_waitcnt lgkmcnt(1)
	v_dot4_i32_iu8 v186, v181, v3, v2 neg_lo:[1,1,0]
	s_waitcnt lgkmcnt(0)
	v_dot4_i32_iu8 v187, v183, v3, v0 neg_lo:[1,1,0]
	ds_load_b128 v[0:3], v119 offset:1024
	s_waitcnt lgkmcnt(0)
	v_dot4_i32_iu8 v133, v0, v7, 0 neg_lo:[1,1,0]
	v_dot4_i32_iu8 v134, v0, v159, 0 neg_lo:[1,1,0]
	v_dot4_i32_iu8 v135, v0, v161, 0 neg_lo:[1,1,0]
	v_dot4_i32_iu8 v0, v0, v163, 0 neg_lo:[1,1,0]
	s_delay_alu instid0(VALU_DEP_4) | instskip(NEXT) | instid1(VALU_DEP_4)
	v_dot4_i32_iu8 v133, v129, v8, v133 neg_lo:[1,1,0]
	v_dot4_i32_iu8 v134, v129, v160, v134 neg_lo:[1,1,0]
	s_delay_alu instid0(VALU_DEP_4) | instskip(NEXT) | instid1(VALU_DEP_4)
	v_dot4_i32_iu8 v135, v129, v162, v135 neg_lo:[1,1,0]
	v_dot4_i32_iu8 v0, v129, v164, v0 neg_lo:[1,1,0]
	s_delay_alu instid0(VALU_DEP_4) | instskip(NEXT) | instid1(VALU_DEP_4)
	v_dot4_i32_iu8 v129, v1, v157, v133 neg_lo:[1,1,0]
	v_dot4_i32_iu8 v133, v1, v165, v134 neg_lo:[1,1,0]
	s_delay_alu instid0(VALU_DEP_4) | instskip(NEXT) | instid1(VALU_DEP_4)
	v_dot4_i32_iu8 v134, v1, v167, v135 neg_lo:[1,1,0]
	v_dot4_i32_iu8 v0, v1, v169, v0 neg_lo:[1,1,0]
	s_delay_alu instid0(VALU_DEP_4) | instskip(NEXT) | instid1(VALU_DEP_4)
	v_dot4_i32_iu8 v1, v130, v158, v129 neg_lo:[1,1,0]
	v_dot4_i32_iu8 v129, v130, v166, v133 neg_lo:[1,1,0]
	s_delay_alu instid0(VALU_DEP_4) | instskip(NEXT) | instid1(VALU_DEP_4)
	v_dot4_i32_iu8 v133, v130, v168, v134 neg_lo:[1,1,0]
	v_dot4_i32_iu8 v0, v130, v170, v0 neg_lo:[1,1,0]
	s_delay_alu instid0(VALU_DEP_4) | instskip(NEXT) | instid1(VALU_DEP_4)
	v_dot4_i32_iu8 v1, v2, v171, v1 neg_lo:[1,1,0]
	v_dot4_i32_iu8 v129, v2, v125, v129 neg_lo:[1,1,0]
	s_delay_alu instid0(VALU_DEP_4) | instskip(NEXT) | instid1(VALU_DEP_4)
	v_dot4_i32_iu8 v130, v2, v173, v133 neg_lo:[1,1,0]
	v_dot4_i32_iu8 v0, v2, v175, v0 neg_lo:[1,1,0]
	ds_load_b128 v[133:136], v119 offset:2064
	v_dot4_i32_iu8 v1, v131, v172, v1 neg_lo:[1,1,0]
	v_dot4_i32_iu8 v2, v131, v126, v129 neg_lo:[1,1,0]
	v_dot4_i32_iu8 v129, v131, v174, v130 neg_lo:[1,1,0]
	v_dot4_i32_iu8 v0, v131, v176, v0 neg_lo:[1,1,0]
	s_delay_alu instid0(VALU_DEP_4) | instskip(NEXT) | instid1(VALU_DEP_4)
	v_dot4_i32_iu8 v130, v3, v177, v1 neg_lo:[1,1,0]
	v_dot4_i32_iu8 v131, v3, v179, v2 neg_lo:[1,1,0]
	s_delay_alu instid0(VALU_DEP_4) | instskip(NEXT) | instid1(VALU_DEP_4)
	v_dot4_i32_iu8 v129, v3, v181, v129 neg_lo:[1,1,0]
	v_dot4_i32_iu8 v188, v3, v183, v0 neg_lo:[1,1,0]
	ds_load_b128 v[0:3], v119 offset:2048
	v_dot4_i32_iu8 v129, v132, v182, v129 neg_lo:[1,1,0]
	s_waitcnt lgkmcnt(0)
	v_dot4_i32_iu8 v137, v0, v7, 0 neg_lo:[1,1,0]
	v_dot4_i32_iu8 v138, v0, v159, 0 neg_lo:[1,1,0]
	v_dot4_i32_iu8 v139, v0, v161, 0 neg_lo:[1,1,0]
	v_dot4_i32_iu8 v0, v0, v163, 0 neg_lo:[1,1,0]
	s_delay_alu instid0(VALU_DEP_4) | instskip(NEXT) | instid1(VALU_DEP_4)
	v_dot4_i32_iu8 v137, v133, v8, v137 neg_lo:[1,1,0]
	v_dot4_i32_iu8 v138, v133, v160, v138 neg_lo:[1,1,0]
	s_delay_alu instid0(VALU_DEP_4) | instskip(NEXT) | instid1(VALU_DEP_4)
	v_dot4_i32_iu8 v139, v133, v162, v139 neg_lo:[1,1,0]
	v_dot4_i32_iu8 v0, v133, v164, v0 neg_lo:[1,1,0]
	s_delay_alu instid0(VALU_DEP_4) | instskip(NEXT) | instid1(VALU_DEP_4)
	v_dot4_i32_iu8 v133, v1, v157, v137 neg_lo:[1,1,0]
	v_dot4_i32_iu8 v137, v1, v165, v138 neg_lo:[1,1,0]
	s_delay_alu instid0(VALU_DEP_4) | instskip(NEXT) | instid1(VALU_DEP_4)
	v_dot4_i32_iu8 v138, v1, v167, v139 neg_lo:[1,1,0]
	v_dot4_i32_iu8 v0, v1, v169, v0 neg_lo:[1,1,0]
	s_delay_alu instid0(VALU_DEP_4) | instskip(NEXT) | instid1(VALU_DEP_4)
	v_dot4_i32_iu8 v1, v134, v158, v133 neg_lo:[1,1,0]
	v_dot4_i32_iu8 v133, v134, v166, v137 neg_lo:[1,1,0]
	s_delay_alu instid0(VALU_DEP_4) | instskip(NEXT) | instid1(VALU_DEP_4)
	v_dot4_i32_iu8 v137, v134, v168, v138 neg_lo:[1,1,0]
	v_dot4_i32_iu8 v0, v134, v170, v0 neg_lo:[1,1,0]
	s_delay_alu instid0(VALU_DEP_4) | instskip(NEXT) | instid1(VALU_DEP_4)
	v_dot4_i32_iu8 v1, v2, v171, v1 neg_lo:[1,1,0]
	v_dot4_i32_iu8 v133, v2, v125, v133 neg_lo:[1,1,0]
	s_delay_alu instid0(VALU_DEP_4) | instskip(NEXT) | instid1(VALU_DEP_4)
	v_dot4_i32_iu8 v134, v2, v173, v137 neg_lo:[1,1,0]
	v_dot4_i32_iu8 v0, v2, v175, v0 neg_lo:[1,1,0]
	ds_load_b128 v[137:140], v119 offset:3088
	v_dot4_i32_iu8 v1, v135, v172, v1 neg_lo:[1,1,0]
	v_dot4_i32_iu8 v2, v135, v126, v133 neg_lo:[1,1,0]
	v_dot4_i32_iu8 v133, v135, v174, v134 neg_lo:[1,1,0]
	v_dot4_i32_iu8 v0, v135, v176, v0 neg_lo:[1,1,0]
	s_delay_alu instid0(VALU_DEP_4) | instskip(NEXT) | instid1(VALU_DEP_4)
	v_dot4_i32_iu8 v134, v3, v177, v1 neg_lo:[1,1,0]
	v_dot4_i32_iu8 v135, v3, v179, v2 neg_lo:[1,1,0]
	s_delay_alu instid0(VALU_DEP_4) | instskip(NEXT) | instid1(VALU_DEP_4)
	v_dot4_i32_iu8 v133, v3, v181, v133 neg_lo:[1,1,0]
	v_dot4_i32_iu8 v189, v3, v183, v0 neg_lo:[1,1,0]
	ds_load_b128 v[0:3], v119 offset:3072
	v_dot4_i32_iu8 v133, v136, v182, v133 neg_lo:[1,1,0]
	;; [unrolled: 42-line block ×5, first 2 shown]
	s_waitcnt lgkmcnt(0)
	v_dot4_i32_iu8 v153, v0, v7, 0 neg_lo:[1,1,0]
	v_dot4_i32_iu8 v154, v0, v159, 0 neg_lo:[1,1,0]
	;; [unrolled: 1-line block ×4, first 2 shown]
	s_delay_alu instid0(VALU_DEP_4) | instskip(NEXT) | instid1(VALU_DEP_4)
	v_dot4_i32_iu8 v153, v149, v8, v153 neg_lo:[1,1,0]
	v_dot4_i32_iu8 v154, v149, v160, v154 neg_lo:[1,1,0]
	s_delay_alu instid0(VALU_DEP_4) | instskip(NEXT) | instid1(VALU_DEP_4)
	v_dot4_i32_iu8 v155, v149, v162, v155 neg_lo:[1,1,0]
	v_dot4_i32_iu8 v0, v149, v164, v0 neg_lo:[1,1,0]
	;; [unrolled: 3-line block ×8, first 2 shown]
	ds_load_b128 v[153:156], v119 offset:7184
	v_dot4_i32_iu8 v1, v151, v172, v1 neg_lo:[1,1,0]
	v_dot4_i32_iu8 v2, v151, v126, v149 neg_lo:[1,1,0]
	;; [unrolled: 1-line block ×4, first 2 shown]
	s_delay_alu instid0(VALU_DEP_4) | instskip(NEXT) | instid1(VALU_DEP_4)
	v_dot4_i32_iu8 v150, v3, v177, v1 neg_lo:[1,1,0]
	v_dot4_i32_iu8 v151, v3, v179, v2 neg_lo:[1,1,0]
	s_delay_alu instid0(VALU_DEP_4) | instskip(NEXT) | instid1(VALU_DEP_4)
	v_dot4_i32_iu8 v149, v3, v181, v149 neg_lo:[1,1,0]
	v_dot4_i32_iu8 v193, v3, v183, v0 neg_lo:[1,1,0]
	ds_load_b128 v[0:3], v119 offset:7168
	v_add_nc_u32_e32 v119, 32, v119
	v_dot4_i32_iu8 v149, v152, v182, v149 neg_lo:[1,1,0]
	s_waitcnt lgkmcnt(0)
	v_dot4_i32_iu8 v7, v0, v7, 0 neg_lo:[1,1,0]
	s_delay_alu instid0(VALU_DEP_1) | instskip(SKIP_3) | instid1(VALU_DEP_4)
	v_dot4_i32_iu8 v7, v153, v8, v7 neg_lo:[1,1,0]
	v_dot4_i32_iu8 v8, v0, v159, 0 neg_lo:[1,1,0]
	;; [unrolled: 1-line block ×5, first 2 shown]
	s_delay_alu instid0(VALU_DEP_4) | instskip(NEXT) | instid1(VALU_DEP_4)
	v_dot4_i32_iu8 v8, v153, v160, v8 neg_lo:[1,1,0]
	v_dot4_i32_iu8 v159, v153, v162, v159 neg_lo:[1,1,0]
	s_delay_alu instid0(VALU_DEP_4) | instskip(NEXT) | instid1(VALU_DEP_4)
	v_dot4_i32_iu8 v0, v153, v164, v0 neg_lo:[1,1,0]
	v_dot4_i32_iu8 v7, v154, v158, v7 neg_lo:[1,1,0]
	;; [unrolled: 3-line block ×7, first 2 shown]
	s_delay_alu instid0(VALU_DEP_4)
	v_dot4_i32_iu8 v0, v2, v175, v0 neg_lo:[1,1,0]
	v_dot4_i32_iu8 v125, v182, v128, v186 neg_lo:[1,1,0]
	;; [unrolled: 1-line block ×7, first 2 shown]
	s_delay_alu instid0(VALU_DEP_4) | instskip(NEXT) | instid1(VALU_DEP_4)
	v_dot4_i32_iu8 v2, v3, v179, v7 neg_lo:[1,1,0]
	v_dot4_i32_iu8 v7, v3, v181, v8 neg_lo:[1,1,0]
	s_delay_alu instid0(VALU_DEP_4)
	v_dot4_i32_iu8 v0, v3, v183, v0 neg_lo:[1,1,0]
	v_dot4_i32_iu8 v3, v178, v128, v185 neg_lo:[1,1,0]
	v_dot4_i32_iu8 v8, v180, v128, v127 neg_lo:[1,1,0]
	v_dot4_i32_iu8 v127, v132, v178, v130 neg_lo:[1,1,0]
	v_dot4_i32_iu8 v128, v132, v180, v131 neg_lo:[1,1,0]
	v_dot4_i32_iu8 v130, v132, v184, v188 neg_lo:[1,1,0]
	v_dot4_i32_iu8 v131, v136, v178, v134 neg_lo:[1,1,0]
	v_dot4_i32_iu8 v132, v136, v180, v135 neg_lo:[1,1,0]
	v_dot4_i32_iu8 v134, v136, v184, v189 neg_lo:[1,1,0]
	v_dot4_i32_iu8 v135, v140, v178, v138 neg_lo:[1,1,0]
	v_dot4_i32_iu8 v136, v140, v180, v139 neg_lo:[1,1,0]
	v_dot4_i32_iu8 v138, v140, v184, v190 neg_lo:[1,1,0]
	v_dot4_i32_iu8 v139, v144, v178, v142 neg_lo:[1,1,0]
	v_dot4_i32_iu8 v140, v144, v180, v143 neg_lo:[1,1,0]
	v_dot4_i32_iu8 v142, v144, v184, v191 neg_lo:[1,1,0]
	v_dot4_i32_iu8 v143, v148, v178, v146 neg_lo:[1,1,0]
	v_dot4_i32_iu8 v144, v148, v180, v147 neg_lo:[1,1,0]
	v_dot4_i32_iu8 v146, v148, v184, v192 neg_lo:[1,1,0]
	v_dot4_i32_iu8 v147, v152, v178, v150 neg_lo:[1,1,0]
	v_dot4_i32_iu8 v148, v152, v180, v151 neg_lo:[1,1,0]
	v_dot4_i32_iu8 v150, v152, v184, v193 neg_lo:[1,1,0]
	v_dot4_i32_iu8 v151, v156, v178, v1 neg_lo:[1,1,0]
	v_dot4_i32_iu8 v2, v156, v180, v2 neg_lo:[1,1,0]
	v_dot4_i32_iu8 v7, v156, v182, v7 neg_lo:[1,1,0]
	v_dot4_i32_iu8 v152, v156, v184, v0 neg_lo:[1,1,0]
	ds_load_b32 v153, v121
	ds_load_b32 v154, v122
	;; [unrolled: 1-line block ×4, first 2 shown]
	ds_load_2addr_b32 v[0:1], v118 offset1:32
	v_cvt_f32_i32_e32 v3, v3
	v_add_nc_u32_e32 v124, 4, v124
	v_add_nc_u32_e32 v123, 4, v123
	;; [unrolled: 1-line block ×4, first 2 shown]
	s_waitcnt lgkmcnt(0)
	v_mul_f32_e32 v157, v0, v153
	v_mul_f32_e32 v158, v0, v154
	v_mul_f32_e32 v159, v0, v155
	v_dual_mul_f32 v160, v0, v156 :: v_dual_mul_f32 v163, v155, v1
	v_mul_f32_e32 v161, v153, v1
	v_mul_f32_e32 v162, v154, v1
	;; [unrolled: 1-line block ×3, first 2 shown]
	ds_load_2addr_b32 v[0:1], v118 offset0:64 offset1:96
	v_fmac_f32_e32 v37, v157, v3
	v_cvt_f32_i32_e32 v3, v127
	s_delay_alu instid0(VALU_DEP_1)
	v_fmac_f32_e32 v40, v161, v3
	v_cvt_f32_i32_e32 v3, v131
	s_waitcnt lgkmcnt(0)
	v_mul_f32_e32 v165, v153, v0
	v_dual_mul_f32 v166, v154, v0 :: v_dual_mul_f32 v169, v153, v1
	v_mul_f32_e32 v167, v155, v0
	v_dual_mul_f32 v168, v156, v0 :: v_dual_mul_f32 v171, v155, v1
	v_mul_f32_e32 v170, v154, v1
	v_mul_f32_e32 v172, v156, v1
	ds_load_2addr_b32 v[0:1], v118 offset0:128 offset1:160
	s_waitcnt lgkmcnt(0)
	v_mul_f32_e32 v173, v153, v0
	v_dual_mul_f32 v174, v154, v0 :: v_dual_mul_f32 v177, v153, v1
	v_mul_f32_e32 v175, v155, v0
	v_dual_mul_f32 v176, v156, v0 :: v_dual_mul_f32 v179, v155, v1
	v_mul_f32_e32 v178, v154, v1
	v_mul_f32_e32 v180, v156, v1
	ds_load_2addr_b32 v[0:1], v118 offset0:192 offset1:224
	s_waitcnt lgkmcnt(0)
	v_dual_mul_f32 v181, v153, v0 :: v_dual_add_nc_u32 v118, 4, v118
	v_dual_mul_f32 v153, v153, v1 :: v_dual_mul_f32 v182, v154, v0
	v_dual_mul_f32 v154, v154, v1 :: v_dual_fmac_f32 v35, v165, v3
	v_cvt_f32_i32_e32 v3, v135
	s_delay_alu instid0(VALU_DEP_1) | instskip(SKIP_1) | instid1(VALU_DEP_1)
	v_fmac_f32_e32 v31, v169, v3
	v_cvt_f32_i32_e32 v3, v139
	v_fmac_f32_e32 v24, v173, v3
	v_cvt_f32_i32_e32 v3, v143
	s_delay_alu instid0(VALU_DEP_1) | instskip(SKIP_1) | instid1(VALU_DEP_1)
	v_fmac_f32_e32 v20, v177, v3
	v_cvt_f32_i32_e32 v3, v147
	v_fmac_f32_e32 v16, v181, v3
	v_cvt_f32_i32_e32 v3, v151
	v_mul_f32_e32 v183, v155, v0
	v_dual_mul_f32 v155, v155, v1 :: v_dual_mul_f32 v0, v156, v0
	s_delay_alu instid0(VALU_DEP_3) | instskip(SKIP_1) | instid1(VALU_DEP_1)
	v_fmac_f32_e32 v12, v153, v3
	v_cvt_f32_i32_e32 v3, v8
	v_fmac_f32_e32 v52, v158, v3
	v_cvt_f32_i32_e32 v3, v125
	s_delay_alu instid0(VALU_DEP_1) | instskip(SKIP_1) | instid1(VALU_DEP_1)
	v_fmac_f32_e32 v42, v159, v3
	v_cvt_f32_i32_e32 v3, v126
	v_fmac_f32_e32 v41, v160, v3
	v_cvt_f32_i32_e32 v3, v128
	s_delay_alu instid0(VALU_DEP_1) | instskip(SKIP_1) | instid1(VALU_DEP_1)
	v_fmac_f32_e32 v39, v162, v3
	v_cvt_f32_i32_e32 v3, v129
	v_dual_mul_f32 v1, v156, v1 :: v_dual_fmac_f32 v38, v163, v3
	v_cvt_f32_i32_e32 v3, v130
	s_delay_alu instid0(VALU_DEP_1) | instskip(SKIP_1) | instid1(VALU_DEP_1)
	v_fmac_f32_e32 v36, v164, v3
	v_cvt_f32_i32_e32 v3, v132
	v_fmac_f32_e32 v34, v166, v3
	v_cvt_f32_i32_e32 v3, v133
	s_delay_alu instid0(VALU_DEP_1) | instskip(SKIP_1) | instid1(VALU_DEP_1)
	v_fmac_f32_e32 v33, v167, v3
	v_cvt_f32_i32_e32 v3, v134
	v_fmac_f32_e32 v32, v168, v3
	;; [unrolled: 5-line block ×9, first 2 shown]
	v_cvt_f32_i32_e32 v0, v152
	s_delay_alu instid0(VALU_DEP_1)
	v_fmac_f32_e32 v9, v1, v0
	s_cbranch_scc1 .LBB141_10
; %bb.11:                               ;   in Loop: Header=BB141_6 Depth=1
	s_barrier
	buffer_gl0_inv
	s_branch .LBB141_5
.LBB141_12:
	v_dual_mov_b32 v1, v25 :: v_dual_mov_b32 v0, v26
.LBB141_13:
	s_mov_b32 s0, exec_lo
	v_cmpx_gt_u32_e64 s4, v30
	s_cbranch_execz .LBB141_64
; %bb.14:
	s_delay_alu instid0(VALU_DEP_2) | instskip(SKIP_1) | instid1(VALU_DEP_2)
	v_add_nc_u32_e32 v0, s10, v0
	v_mul_lo_u32 v5, v30, s6
	v_cmp_gt_u32_e32 vcc_lo, s6, v0
	s_and_saveexec_b32 s1, vcc_lo
	s_cbranch_execz .LBB141_16
; %bb.15:
	s_delay_alu instid0(VALU_DEP_2) | instskip(SKIP_1) | instid1(VALU_DEP_2)
	v_dual_mov_b32 v3, 0 :: v_dual_add_nc_u32 v2, v0, v5
	v_cvt_f16_f32_e32 v4, v37
	v_lshlrev_b64 v[2:3], 1, v[2:3]
	s_waitcnt lgkmcnt(0)
	s_delay_alu instid0(VALU_DEP_1) | instskip(NEXT) | instid1(VALU_DEP_1)
	v_add_co_u32 v2, s0, s8, v2
	v_add_co_ci_u32_e64 v3, s0, s9, v3, s0
	global_store_b16 v[2:3], v4, off
.LBB141_16:
	s_or_b32 exec_lo, exec_lo, s1
	v_add_nc_u32_e32 v2, 32, v0
	s_delay_alu instid0(VALU_DEP_1) | instskip(NEXT) | instid1(VALU_DEP_1)
	v_cmp_gt_u32_e64 s0, s6, v2
	s_and_saveexec_b32 s2, s0
	s_cbranch_execz .LBB141_18
; %bb.17:
	v_dual_mov_b32 v4, 0 :: v_dual_add_nc_u32 v3, v2, v5
	v_cvt_f16_f32_e32 v6, v52
	s_delay_alu instid0(VALU_DEP_2) | instskip(SKIP_1) | instid1(VALU_DEP_1)
	v_lshlrev_b64 v[3:4], 1, v[3:4]
	s_waitcnt lgkmcnt(0)
	v_add_co_u32 v3, s1, s8, v3
	s_delay_alu instid0(VALU_DEP_1)
	v_add_co_ci_u32_e64 v4, s1, s9, v4, s1
	global_store_b16 v[3:4], v6, off
.LBB141_18:
	s_or_b32 exec_lo, exec_lo, s2
	v_add_nc_u32_e32 v3, 64, v0
	s_delay_alu instid0(VALU_DEP_1) | instskip(NEXT) | instid1(VALU_DEP_1)
	v_cmp_gt_u32_e64 s1, s6, v3
	s_and_saveexec_b32 s3, s1
	s_cbranch_execz .LBB141_20
; %bb.19:
	v_dual_mov_b32 v7, 0 :: v_dual_add_nc_u32 v6, v3, v5
	v_cvt_f16_f32_e32 v4, v42
	s_delay_alu instid0(VALU_DEP_2) | instskip(SKIP_1) | instid1(VALU_DEP_1)
	v_lshlrev_b64 v[6:7], 1, v[6:7]
	s_waitcnt lgkmcnt(0)
	v_add_co_u32 v6, s2, s8, v6
	s_delay_alu instid0(VALU_DEP_1)
	v_add_co_ci_u32_e64 v7, s2, s9, v7, s2
	global_store_b16 v[6:7], v4, off
.LBB141_20:
	;; [unrolled: 17-line block ×3, first 2 shown]
	s_or_b32 exec_lo, exec_lo, s5
	v_add3_u32 v5, v1, s7, 8
	s_delay_alu instid0(VALU_DEP_1) | instskip(NEXT) | instid1(VALU_DEP_1)
	v_cmp_gt_u32_e64 s3, s4, v5
	s_and_b32 exec_lo, exec_lo, s3
	s_cbranch_execz .LBB141_64
; %bb.23:
	v_mul_lo_u32 v5, v5, s6
	s_and_saveexec_b32 s5, vcc_lo
	s_cbranch_execnz .LBB141_65
; %bb.24:
	s_or_b32 exec_lo, exec_lo, s5
	s_and_saveexec_b32 s5, s0
	s_cbranch_execnz .LBB141_66
.LBB141_25:
	s_or_b32 exec_lo, exec_lo, s5
	s_and_saveexec_b32 s5, s1
	s_cbranch_execnz .LBB141_67
.LBB141_26:
	s_or_b32 exec_lo, exec_lo, s5
	s_and_saveexec_b32 s5, s2
	s_cbranch_execz .LBB141_28
.LBB141_27:
	v_dual_mov_b32 v6, 0 :: v_dual_add_nc_u32 v5, v5, v4
	v_cvt_f16_f32_e32 v7, v36
	s_delay_alu instid0(VALU_DEP_2) | instskip(SKIP_1) | instid1(VALU_DEP_1)
	v_lshlrev_b64 v[5:6], 1, v[5:6]
	s_waitcnt lgkmcnt(0)
	v_add_co_u32 v5, s3, s8, v5
	s_delay_alu instid0(VALU_DEP_1)
	v_add_co_ci_u32_e64 v6, s3, s9, v6, s3
	global_store_b16 v[5:6], v7, off
.LBB141_28:
	s_or_b32 exec_lo, exec_lo, s5
	v_add3_u32 v5, v1, s7, 16
	s_delay_alu instid0(VALU_DEP_1) | instskip(NEXT) | instid1(VALU_DEP_1)
	v_cmp_gt_u32_e64 s3, s4, v5
	s_and_b32 exec_lo, exec_lo, s3
	s_cbranch_execz .LBB141_64
; %bb.29:
	v_mul_lo_u32 v5, v5, s6
	s_and_saveexec_b32 s5, vcc_lo
	s_cbranch_execnz .LBB141_68
; %bb.30:
	s_or_b32 exec_lo, exec_lo, s5
	s_and_saveexec_b32 s5, s0
	s_cbranch_execnz .LBB141_69
.LBB141_31:
	s_or_b32 exec_lo, exec_lo, s5
	s_and_saveexec_b32 s5, s1
	s_cbranch_execnz .LBB141_70
.LBB141_32:
	s_or_b32 exec_lo, exec_lo, s5
	s_and_saveexec_b32 s5, s2
	s_cbranch_execz .LBB141_34
.LBB141_33:
	v_dual_mov_b32 v6, 0 :: v_dual_add_nc_u32 v5, v5, v4
	v_cvt_f16_f32_e32 v7, v32
	s_delay_alu instid0(VALU_DEP_2) | instskip(SKIP_1) | instid1(VALU_DEP_1)
	v_lshlrev_b64 v[5:6], 1, v[5:6]
	s_waitcnt lgkmcnt(0)
	v_add_co_u32 v5, s3, s8, v5
	s_delay_alu instid0(VALU_DEP_1)
	v_add_co_ci_u32_e64 v6, s3, s9, v6, s3
	global_store_b16 v[5:6], v7, off
.LBB141_34:
	s_or_b32 exec_lo, exec_lo, s5
	v_add3_u32 v5, v1, s7, 24
	s_delay_alu instid0(VALU_DEP_1) | instskip(NEXT) | instid1(VALU_DEP_1)
	v_cmp_gt_u32_e64 s3, s4, v5
	s_and_b32 exec_lo, exec_lo, s3
	s_cbranch_execz .LBB141_64
; %bb.35:
	v_mul_lo_u32 v5, v5, s6
	s_and_saveexec_b32 s5, vcc_lo
	s_cbranch_execnz .LBB141_71
; %bb.36:
	s_or_b32 exec_lo, exec_lo, s5
	s_and_saveexec_b32 s5, s0
	s_cbranch_execnz .LBB141_72
.LBB141_37:
	s_or_b32 exec_lo, exec_lo, s5
	s_and_saveexec_b32 s5, s1
	s_cbranch_execnz .LBB141_73
.LBB141_38:
	s_or_b32 exec_lo, exec_lo, s5
	s_and_saveexec_b32 s5, s2
	s_cbranch_execz .LBB141_40
.LBB141_39:
	v_dual_mov_b32 v6, 0 :: v_dual_add_nc_u32 v5, v5, v4
	v_cvt_f16_f32_e32 v7, v27
	s_delay_alu instid0(VALU_DEP_2) | instskip(SKIP_1) | instid1(VALU_DEP_1)
	v_lshlrev_b64 v[5:6], 1, v[5:6]
	s_waitcnt lgkmcnt(0)
	v_add_co_u32 v5, s3, s8, v5
	s_delay_alu instid0(VALU_DEP_1)
	v_add_co_ci_u32_e64 v6, s3, s9, v6, s3
	global_store_b16 v[5:6], v7, off
.LBB141_40:
	s_or_b32 exec_lo, exec_lo, s5
	v_add3_u32 v5, v1, s7, 32
	s_delay_alu instid0(VALU_DEP_1) | instskip(NEXT) | instid1(VALU_DEP_1)
	v_cmp_gt_u32_e64 s3, s4, v5
	s_and_b32 exec_lo, exec_lo, s3
	s_cbranch_execz .LBB141_64
; %bb.41:
	v_mul_lo_u32 v5, v5, s6
	s_and_saveexec_b32 s5, vcc_lo
	s_cbranch_execnz .LBB141_74
; %bb.42:
	s_or_b32 exec_lo, exec_lo, s5
	s_and_saveexec_b32 s5, s0
	s_cbranch_execnz .LBB141_75
.LBB141_43:
	s_or_b32 exec_lo, exec_lo, s5
	s_and_saveexec_b32 s5, s1
	s_cbranch_execnz .LBB141_76
.LBB141_44:
	s_or_b32 exec_lo, exec_lo, s5
	s_and_saveexec_b32 s5, s2
	s_cbranch_execz .LBB141_46
.LBB141_45:
	v_dual_mov_b32 v6, 0 :: v_dual_add_nc_u32 v5, v5, v4
	v_cvt_f16_f32_e32 v7, v21
	s_delay_alu instid0(VALU_DEP_2) | instskip(SKIP_1) | instid1(VALU_DEP_1)
	v_lshlrev_b64 v[5:6], 1, v[5:6]
	s_waitcnt lgkmcnt(0)
	v_add_co_u32 v5, s3, s8, v5
	s_delay_alu instid0(VALU_DEP_1)
	v_add_co_ci_u32_e64 v6, s3, s9, v6, s3
	global_store_b16 v[5:6], v7, off
.LBB141_46:
	s_or_b32 exec_lo, exec_lo, s5
	v_add3_u32 v5, v1, s7, 40
	s_delay_alu instid0(VALU_DEP_1) | instskip(NEXT) | instid1(VALU_DEP_1)
	v_cmp_gt_u32_e64 s3, s4, v5
	s_and_b32 exec_lo, exec_lo, s3
	s_cbranch_execz .LBB141_64
; %bb.47:
	v_mul_lo_u32 v5, v5, s6
	s_and_saveexec_b32 s5, vcc_lo
	s_cbranch_execnz .LBB141_77
; %bb.48:
	s_or_b32 exec_lo, exec_lo, s5
	s_and_saveexec_b32 s5, s0
	s_cbranch_execnz .LBB141_78
.LBB141_49:
	s_or_b32 exec_lo, exec_lo, s5
	s_and_saveexec_b32 s5, s1
	s_cbranch_execnz .LBB141_79
.LBB141_50:
	s_or_b32 exec_lo, exec_lo, s5
	s_and_saveexec_b32 s5, s2
	s_cbranch_execz .LBB141_52
.LBB141_51:
	v_dual_mov_b32 v6, 0 :: v_dual_add_nc_u32 v5, v5, v4
	v_cvt_f16_f32_e32 v7, v17
	s_delay_alu instid0(VALU_DEP_2) | instskip(SKIP_1) | instid1(VALU_DEP_1)
	v_lshlrev_b64 v[5:6], 1, v[5:6]
	s_waitcnt lgkmcnt(0)
	v_add_co_u32 v5, s3, s8, v5
	s_delay_alu instid0(VALU_DEP_1)
	v_add_co_ci_u32_e64 v6, s3, s9, v6, s3
	global_store_b16 v[5:6], v7, off
.LBB141_52:
	s_or_b32 exec_lo, exec_lo, s5
	v_add3_u32 v5, v1, s7, 48
	s_delay_alu instid0(VALU_DEP_1) | instskip(NEXT) | instid1(VALU_DEP_1)
	v_cmp_gt_u32_e64 s3, s4, v5
	s_and_b32 exec_lo, exec_lo, s3
	s_cbranch_execz .LBB141_64
; %bb.53:
	v_mul_lo_u32 v5, v5, s6
	s_and_saveexec_b32 s5, vcc_lo
	s_cbranch_execnz .LBB141_80
; %bb.54:
	s_or_b32 exec_lo, exec_lo, s5
	s_and_saveexec_b32 s5, s0
	s_cbranch_execnz .LBB141_81
.LBB141_55:
	s_or_b32 exec_lo, exec_lo, s5
	s_and_saveexec_b32 s5, s1
	s_cbranch_execnz .LBB141_82
.LBB141_56:
	s_or_b32 exec_lo, exec_lo, s5
	s_and_saveexec_b32 s5, s2
	s_cbranch_execz .LBB141_58
.LBB141_57:
	v_dual_mov_b32 v6, 0 :: v_dual_add_nc_u32 v5, v5, v4
	v_cvt_f16_f32_e32 v7, v13
	s_delay_alu instid0(VALU_DEP_2) | instskip(SKIP_1) | instid1(VALU_DEP_1)
	v_lshlrev_b64 v[5:6], 1, v[5:6]
	s_waitcnt lgkmcnt(0)
	v_add_co_u32 v5, s3, s8, v5
	s_delay_alu instid0(VALU_DEP_1)
	v_add_co_ci_u32_e64 v6, s3, s9, v6, s3
	global_store_b16 v[5:6], v7, off
.LBB141_58:
	s_or_b32 exec_lo, exec_lo, s5
	v_add3_u32 v1, v1, s7, 56
	s_delay_alu instid0(VALU_DEP_1) | instskip(NEXT) | instid1(VALU_DEP_1)
	v_cmp_gt_u32_e64 s3, s4, v1
	s_and_b32 exec_lo, exec_lo, s3
	s_cbranch_execz .LBB141_64
; %bb.59:
	v_mul_lo_u32 v1, v1, s6
	s_and_saveexec_b32 s3, vcc_lo
	s_cbranch_execnz .LBB141_83
; %bb.60:
	s_or_b32 exec_lo, exec_lo, s3
	s_and_saveexec_b32 s3, s0
	s_cbranch_execnz .LBB141_84
.LBB141_61:
	s_or_b32 exec_lo, exec_lo, s3
	s_and_saveexec_b32 s0, s1
	s_cbranch_execnz .LBB141_85
.LBB141_62:
	s_or_b32 exec_lo, exec_lo, s0
	s_delay_alu instid0(SALU_CYCLE_1)
	s_and_b32 exec_lo, exec_lo, s2
	s_cbranch_execz .LBB141_64
.LBB141_63:
	v_dual_mov_b32 v1, 0 :: v_dual_add_nc_u32 v0, v1, v4
	v_cvt_f16_f32_e32 v2, v9
	s_delay_alu instid0(VALU_DEP_2) | instskip(SKIP_1) | instid1(VALU_DEP_1)
	v_lshlrev_b64 v[0:1], 1, v[0:1]
	s_waitcnt lgkmcnt(0)
	v_add_co_u32 v0, vcc_lo, s8, v0
	s_delay_alu instid0(VALU_DEP_2)
	v_add_co_ci_u32_e32 v1, vcc_lo, s9, v1, vcc_lo
	global_store_b16 v[0:1], v2, off
.LBB141_64:
	s_nop 0
	s_sendmsg sendmsg(MSG_DEALLOC_VGPRS)
	s_endpgm
.LBB141_65:
	s_delay_alu instid0(VALU_DEP_1) | instskip(SKIP_1) | instid1(VALU_DEP_2)
	v_dual_mov_b32 v7, 0 :: v_dual_add_nc_u32 v6, v5, v0
	v_cvt_f16_f32_e32 v8, v40
	v_lshlrev_b64 v[6:7], 1, v[6:7]
	s_waitcnt lgkmcnt(0)
	s_delay_alu instid0(VALU_DEP_1) | instskip(NEXT) | instid1(VALU_DEP_1)
	v_add_co_u32 v6, s3, s8, v6
	v_add_co_ci_u32_e64 v7, s3, s9, v7, s3
	global_store_b16 v[6:7], v8, off
	s_or_b32 exec_lo, exec_lo, s5
	s_and_saveexec_b32 s5, s0
	s_cbranch_execz .LBB141_25
.LBB141_66:
	s_delay_alu instid0(VALU_DEP_1) | instskip(SKIP_1) | instid1(VALU_DEP_2)
	v_dual_mov_b32 v7, 0 :: v_dual_add_nc_u32 v6, v5, v2
	v_cvt_f16_f32_e32 v8, v39
	v_lshlrev_b64 v[6:7], 1, v[6:7]
	s_waitcnt lgkmcnt(0)
	s_delay_alu instid0(VALU_DEP_1) | instskip(NEXT) | instid1(VALU_DEP_1)
	v_add_co_u32 v6, s3, s8, v6
	v_add_co_ci_u32_e64 v7, s3, s9, v7, s3
	global_store_b16 v[6:7], v8, off
	s_or_b32 exec_lo, exec_lo, s5
	s_and_saveexec_b32 s5, s1
	s_cbranch_execz .LBB141_26
.LBB141_67:
	v_dual_mov_b32 v7, 0 :: v_dual_add_nc_u32 v6, v5, v3
	v_cvt_f16_f32_e32 v8, v38
	s_delay_alu instid0(VALU_DEP_2) | instskip(SKIP_1) | instid1(VALU_DEP_1)
	v_lshlrev_b64 v[6:7], 1, v[6:7]
	s_waitcnt lgkmcnt(0)
	v_add_co_u32 v6, s3, s8, v6
	s_delay_alu instid0(VALU_DEP_1)
	v_add_co_ci_u32_e64 v7, s3, s9, v7, s3
	global_store_b16 v[6:7], v8, off
	s_or_b32 exec_lo, exec_lo, s5
	s_and_saveexec_b32 s5, s2
	s_cbranch_execnz .LBB141_27
	s_branch .LBB141_28
.LBB141_68:
	s_delay_alu instid0(VALU_DEP_1) | instskip(SKIP_1) | instid1(VALU_DEP_2)
	v_dual_mov_b32 v7, 0 :: v_dual_add_nc_u32 v6, v5, v0
	v_cvt_f16_f32_e32 v8, v35
	v_lshlrev_b64 v[6:7], 1, v[6:7]
	s_waitcnt lgkmcnt(0)
	s_delay_alu instid0(VALU_DEP_1) | instskip(NEXT) | instid1(VALU_DEP_1)
	v_add_co_u32 v6, s3, s8, v6
	v_add_co_ci_u32_e64 v7, s3, s9, v7, s3
	global_store_b16 v[6:7], v8, off
	s_or_b32 exec_lo, exec_lo, s5
	s_and_saveexec_b32 s5, s0
	s_cbranch_execz .LBB141_31
.LBB141_69:
	s_delay_alu instid0(VALU_DEP_1) | instskip(SKIP_1) | instid1(VALU_DEP_2)
	v_dual_mov_b32 v7, 0 :: v_dual_add_nc_u32 v6, v5, v2
	v_cvt_f16_f32_e32 v8, v34
	v_lshlrev_b64 v[6:7], 1, v[6:7]
	s_waitcnt lgkmcnt(0)
	s_delay_alu instid0(VALU_DEP_1) | instskip(NEXT) | instid1(VALU_DEP_1)
	v_add_co_u32 v6, s3, s8, v6
	v_add_co_ci_u32_e64 v7, s3, s9, v7, s3
	global_store_b16 v[6:7], v8, off
	s_or_b32 exec_lo, exec_lo, s5
	s_and_saveexec_b32 s5, s1
	s_cbranch_execz .LBB141_32
.LBB141_70:
	v_dual_mov_b32 v7, 0 :: v_dual_add_nc_u32 v6, v5, v3
	v_cvt_f16_f32_e32 v8, v33
	s_delay_alu instid0(VALU_DEP_2) | instskip(SKIP_1) | instid1(VALU_DEP_1)
	v_lshlrev_b64 v[6:7], 1, v[6:7]
	s_waitcnt lgkmcnt(0)
	v_add_co_u32 v6, s3, s8, v6
	s_delay_alu instid0(VALU_DEP_1)
	v_add_co_ci_u32_e64 v7, s3, s9, v7, s3
	global_store_b16 v[6:7], v8, off
	s_or_b32 exec_lo, exec_lo, s5
	s_and_saveexec_b32 s5, s2
	s_cbranch_execnz .LBB141_33
	s_branch .LBB141_34
.LBB141_71:
	s_delay_alu instid0(VALU_DEP_1) | instskip(SKIP_1) | instid1(VALU_DEP_2)
	v_dual_mov_b32 v7, 0 :: v_dual_add_nc_u32 v6, v5, v0
	v_cvt_f16_f32_e32 v8, v31
	v_lshlrev_b64 v[6:7], 1, v[6:7]
	s_waitcnt lgkmcnt(0)
	s_delay_alu instid0(VALU_DEP_1) | instskip(NEXT) | instid1(VALU_DEP_1)
	v_add_co_u32 v6, s3, s8, v6
	v_add_co_ci_u32_e64 v7, s3, s9, v7, s3
	global_store_b16 v[6:7], v8, off
	s_or_b32 exec_lo, exec_lo, s5
	s_and_saveexec_b32 s5, s0
	s_cbranch_execz .LBB141_37
.LBB141_72:
	s_delay_alu instid0(VALU_DEP_1) | instskip(SKIP_1) | instid1(VALU_DEP_2)
	v_dual_mov_b32 v7, 0 :: v_dual_add_nc_u32 v6, v5, v2
	v_cvt_f16_f32_e32 v8, v29
	v_lshlrev_b64 v[6:7], 1, v[6:7]
	s_waitcnt lgkmcnt(0)
	s_delay_alu instid0(VALU_DEP_1) | instskip(NEXT) | instid1(VALU_DEP_1)
	v_add_co_u32 v6, s3, s8, v6
	v_add_co_ci_u32_e64 v7, s3, s9, v7, s3
	global_store_b16 v[6:7], v8, off
	s_or_b32 exec_lo, exec_lo, s5
	s_and_saveexec_b32 s5, s1
	s_cbranch_execz .LBB141_38
.LBB141_73:
	v_dual_mov_b32 v7, 0 :: v_dual_add_nc_u32 v6, v5, v3
	v_cvt_f16_f32_e32 v8, v28
	s_delay_alu instid0(VALU_DEP_2) | instskip(SKIP_1) | instid1(VALU_DEP_1)
	v_lshlrev_b64 v[6:7], 1, v[6:7]
	s_waitcnt lgkmcnt(0)
	v_add_co_u32 v6, s3, s8, v6
	s_delay_alu instid0(VALU_DEP_1)
	v_add_co_ci_u32_e64 v7, s3, s9, v7, s3
	global_store_b16 v[6:7], v8, off
	s_or_b32 exec_lo, exec_lo, s5
	s_and_saveexec_b32 s5, s2
	s_cbranch_execnz .LBB141_39
	s_branch .LBB141_40
.LBB141_74:
	s_delay_alu instid0(VALU_DEP_1) | instskip(SKIP_1) | instid1(VALU_DEP_2)
	v_dual_mov_b32 v7, 0 :: v_dual_add_nc_u32 v6, v5, v0
	v_cvt_f16_f32_e32 v8, v24
	v_lshlrev_b64 v[6:7], 1, v[6:7]
	s_waitcnt lgkmcnt(0)
	s_delay_alu instid0(VALU_DEP_1) | instskip(NEXT) | instid1(VALU_DEP_1)
	v_add_co_u32 v6, s3, s8, v6
	v_add_co_ci_u32_e64 v7, s3, s9, v7, s3
	global_store_b16 v[6:7], v8, off
	s_or_b32 exec_lo, exec_lo, s5
	s_and_saveexec_b32 s5, s0
	s_cbranch_execz .LBB141_43
.LBB141_75:
	s_delay_alu instid0(VALU_DEP_1) | instskip(SKIP_1) | instid1(VALU_DEP_2)
	v_dual_mov_b32 v7, 0 :: v_dual_add_nc_u32 v6, v5, v2
	v_cvt_f16_f32_e32 v8, v23
	v_lshlrev_b64 v[6:7], 1, v[6:7]
	s_waitcnt lgkmcnt(0)
	s_delay_alu instid0(VALU_DEP_1) | instskip(NEXT) | instid1(VALU_DEP_1)
	v_add_co_u32 v6, s3, s8, v6
	v_add_co_ci_u32_e64 v7, s3, s9, v7, s3
	global_store_b16 v[6:7], v8, off
	s_or_b32 exec_lo, exec_lo, s5
	s_and_saveexec_b32 s5, s1
	s_cbranch_execz .LBB141_44
.LBB141_76:
	v_dual_mov_b32 v7, 0 :: v_dual_add_nc_u32 v6, v5, v3
	v_cvt_f16_f32_e32 v8, v22
	s_delay_alu instid0(VALU_DEP_2) | instskip(SKIP_1) | instid1(VALU_DEP_1)
	v_lshlrev_b64 v[6:7], 1, v[6:7]
	s_waitcnt lgkmcnt(0)
	v_add_co_u32 v6, s3, s8, v6
	s_delay_alu instid0(VALU_DEP_1)
	v_add_co_ci_u32_e64 v7, s3, s9, v7, s3
	global_store_b16 v[6:7], v8, off
	s_or_b32 exec_lo, exec_lo, s5
	s_and_saveexec_b32 s5, s2
	s_cbranch_execnz .LBB141_45
	s_branch .LBB141_46
.LBB141_77:
	s_delay_alu instid0(VALU_DEP_1) | instskip(SKIP_1) | instid1(VALU_DEP_2)
	v_dual_mov_b32 v7, 0 :: v_dual_add_nc_u32 v6, v5, v0
	v_cvt_f16_f32_e32 v8, v20
	v_lshlrev_b64 v[6:7], 1, v[6:7]
	s_waitcnt lgkmcnt(0)
	s_delay_alu instid0(VALU_DEP_1) | instskip(NEXT) | instid1(VALU_DEP_1)
	v_add_co_u32 v6, s3, s8, v6
	v_add_co_ci_u32_e64 v7, s3, s9, v7, s3
	global_store_b16 v[6:7], v8, off
	s_or_b32 exec_lo, exec_lo, s5
	s_and_saveexec_b32 s5, s0
	s_cbranch_execz .LBB141_49
.LBB141_78:
	s_delay_alu instid0(VALU_DEP_1) | instskip(SKIP_1) | instid1(VALU_DEP_2)
	v_dual_mov_b32 v7, 0 :: v_dual_add_nc_u32 v6, v5, v2
	v_cvt_f16_f32_e32 v8, v19
	v_lshlrev_b64 v[6:7], 1, v[6:7]
	s_waitcnt lgkmcnt(0)
	s_delay_alu instid0(VALU_DEP_1) | instskip(NEXT) | instid1(VALU_DEP_1)
	v_add_co_u32 v6, s3, s8, v6
	v_add_co_ci_u32_e64 v7, s3, s9, v7, s3
	global_store_b16 v[6:7], v8, off
	s_or_b32 exec_lo, exec_lo, s5
	s_and_saveexec_b32 s5, s1
	s_cbranch_execz .LBB141_50
.LBB141_79:
	v_dual_mov_b32 v7, 0 :: v_dual_add_nc_u32 v6, v5, v3
	v_cvt_f16_f32_e32 v8, v18
	s_delay_alu instid0(VALU_DEP_2) | instskip(SKIP_1) | instid1(VALU_DEP_1)
	v_lshlrev_b64 v[6:7], 1, v[6:7]
	s_waitcnt lgkmcnt(0)
	v_add_co_u32 v6, s3, s8, v6
	s_delay_alu instid0(VALU_DEP_1)
	v_add_co_ci_u32_e64 v7, s3, s9, v7, s3
	global_store_b16 v[6:7], v8, off
	s_or_b32 exec_lo, exec_lo, s5
	s_and_saveexec_b32 s5, s2
	s_cbranch_execnz .LBB141_51
	s_branch .LBB141_52
.LBB141_80:
	s_delay_alu instid0(VALU_DEP_1) | instskip(SKIP_1) | instid1(VALU_DEP_2)
	v_dual_mov_b32 v7, 0 :: v_dual_add_nc_u32 v6, v5, v0
	v_cvt_f16_f32_e32 v8, v16
	v_lshlrev_b64 v[6:7], 1, v[6:7]
	s_waitcnt lgkmcnt(0)
	s_delay_alu instid0(VALU_DEP_1) | instskip(NEXT) | instid1(VALU_DEP_1)
	v_add_co_u32 v6, s3, s8, v6
	v_add_co_ci_u32_e64 v7, s3, s9, v7, s3
	global_store_b16 v[6:7], v8, off
	s_or_b32 exec_lo, exec_lo, s5
	s_and_saveexec_b32 s5, s0
	s_cbranch_execz .LBB141_55
.LBB141_81:
	s_delay_alu instid0(VALU_DEP_1) | instskip(SKIP_1) | instid1(VALU_DEP_2)
	v_dual_mov_b32 v7, 0 :: v_dual_add_nc_u32 v6, v5, v2
	v_cvt_f16_f32_e32 v8, v15
	v_lshlrev_b64 v[6:7], 1, v[6:7]
	s_waitcnt lgkmcnt(0)
	s_delay_alu instid0(VALU_DEP_1) | instskip(NEXT) | instid1(VALU_DEP_1)
	v_add_co_u32 v6, s3, s8, v6
	v_add_co_ci_u32_e64 v7, s3, s9, v7, s3
	global_store_b16 v[6:7], v8, off
	s_or_b32 exec_lo, exec_lo, s5
	s_and_saveexec_b32 s5, s1
	s_cbranch_execz .LBB141_56
.LBB141_82:
	v_dual_mov_b32 v7, 0 :: v_dual_add_nc_u32 v6, v5, v3
	v_cvt_f16_f32_e32 v8, v14
	s_delay_alu instid0(VALU_DEP_2) | instskip(SKIP_1) | instid1(VALU_DEP_1)
	v_lshlrev_b64 v[6:7], 1, v[6:7]
	s_waitcnt lgkmcnt(0)
	v_add_co_u32 v6, s3, s8, v6
	s_delay_alu instid0(VALU_DEP_1)
	v_add_co_ci_u32_e64 v7, s3, s9, v7, s3
	global_store_b16 v[6:7], v8, off
	s_or_b32 exec_lo, exec_lo, s5
	s_and_saveexec_b32 s5, s2
	s_cbranch_execnz .LBB141_57
	s_branch .LBB141_58
.LBB141_83:
	s_delay_alu instid0(VALU_DEP_1) | instskip(SKIP_1) | instid1(VALU_DEP_2)
	v_dual_mov_b32 v6, 0 :: v_dual_add_nc_u32 v5, v1, v0
	v_cvt_f16_f32_e32 v0, v12
	v_lshlrev_b64 v[5:6], 1, v[5:6]
	s_waitcnt lgkmcnt(0)
	s_delay_alu instid0(VALU_DEP_1) | instskip(NEXT) | instid1(VALU_DEP_2)
	v_add_co_u32 v5, vcc_lo, s8, v5
	v_add_co_ci_u32_e32 v6, vcc_lo, s9, v6, vcc_lo
	global_store_b16 v[5:6], v0, off
	s_or_b32 exec_lo, exec_lo, s3
	s_and_saveexec_b32 s3, s0
	s_cbranch_execz .LBB141_61
.LBB141_84:
	s_delay_alu instid0(VALU_DEP_1) | instskip(SKIP_1) | instid1(VALU_DEP_2)
	v_dual_mov_b32 v6, 0 :: v_dual_add_nc_u32 v5, v1, v2
	v_cvt_f16_f32_e32 v0, v11
	v_lshlrev_b64 v[5:6], 1, v[5:6]
	s_waitcnt lgkmcnt(0)
	s_delay_alu instid0(VALU_DEP_1) | instskip(NEXT) | instid1(VALU_DEP_2)
	v_add_co_u32 v5, vcc_lo, s8, v5
	v_add_co_ci_u32_e32 v6, vcc_lo, s9, v6, vcc_lo
	global_store_b16 v[5:6], v0, off
	s_or_b32 exec_lo, exec_lo, s3
	s_and_saveexec_b32 s0, s1
	s_cbranch_execz .LBB141_62
.LBB141_85:
	v_dual_mov_b32 v3, 0 :: v_dual_add_nc_u32 v2, v1, v3
	v_cvt_f16_f32_e32 v0, v10
	s_delay_alu instid0(VALU_DEP_2) | instskip(SKIP_1) | instid1(VALU_DEP_1)
	v_lshlrev_b64 v[2:3], 1, v[2:3]
	s_waitcnt lgkmcnt(0)
	v_add_co_u32 v2, vcc_lo, s8, v2
	s_delay_alu instid0(VALU_DEP_2) | instskip(SKIP_2) | instid1(SALU_CYCLE_1)
	v_add_co_ci_u32_e32 v3, vcc_lo, s9, v3, vcc_lo
	global_store_b16 v[2:3], v0, off
	s_or_b32 exec_lo, exec_lo, s0
	s_and_b32 exec_lo, exec_lo, s2
	s_cbranch_execnz .LBB141_63
	s_branch .LBB141_64
	.section	.rodata,"a",@progbits
	.p2align	6, 0x0
	.amdhsa_kernel _ZL12mul_mat_q5_0IN3c104HalfELb0EEvPKvS3_PT_iiiii
		.amdhsa_group_segment_fixed_size 46720
		.amdhsa_private_segment_fixed_size 0
		.amdhsa_kernarg_size 44
		.amdhsa_user_sgpr_count 14
		.amdhsa_user_sgpr_dispatch_ptr 0
		.amdhsa_user_sgpr_queue_ptr 0
		.amdhsa_user_sgpr_kernarg_segment_ptr 1
		.amdhsa_user_sgpr_dispatch_id 0
		.amdhsa_user_sgpr_private_segment_size 0
		.amdhsa_wavefront_size32 1
		.amdhsa_uses_dynamic_stack 0
		.amdhsa_enable_private_segment 0
		.amdhsa_system_sgpr_workgroup_id_x 1
		.amdhsa_system_sgpr_workgroup_id_y 1
		.amdhsa_system_sgpr_workgroup_id_z 0
		.amdhsa_system_sgpr_workgroup_info 0
		.amdhsa_system_vgpr_workitem_id 1
		.amdhsa_next_free_vgpr 195
		.amdhsa_next_free_sgpr 16
		.amdhsa_reserve_vcc 1
		.amdhsa_float_round_mode_32 0
		.amdhsa_float_round_mode_16_64 0
		.amdhsa_float_denorm_mode_32 3
		.amdhsa_float_denorm_mode_16_64 3
		.amdhsa_dx10_clamp 1
		.amdhsa_ieee_mode 1
		.amdhsa_fp16_overflow 0
		.amdhsa_workgroup_processor_mode 1
		.amdhsa_memory_ordered 1
		.amdhsa_forward_progress 0
		.amdhsa_shared_vgpr_count 0
		.amdhsa_exception_fp_ieee_invalid_op 0
		.amdhsa_exception_fp_denorm_src 0
		.amdhsa_exception_fp_ieee_div_zero 0
		.amdhsa_exception_fp_ieee_overflow 0
		.amdhsa_exception_fp_ieee_underflow 0
		.amdhsa_exception_fp_ieee_inexact 0
		.amdhsa_exception_int_div_zero 0
	.end_amdhsa_kernel
	.section	.text._ZL12mul_mat_q5_0IN3c104HalfELb0EEvPKvS3_PT_iiiii,"axG",@progbits,_ZL12mul_mat_q5_0IN3c104HalfELb0EEvPKvS3_PT_iiiii,comdat
.Lfunc_end141:
	.size	_ZL12mul_mat_q5_0IN3c104HalfELb0EEvPKvS3_PT_iiiii, .Lfunc_end141-_ZL12mul_mat_q5_0IN3c104HalfELb0EEvPKvS3_PT_iiiii
                                        ; -- End function
	.section	.AMDGPU.csdata,"",@progbits
; Kernel info:
; codeLenInByte = 19100
; NumSgprs: 18
; NumVgprs: 195
; ScratchSize: 0
; MemoryBound: 0
; FloatMode: 240
; IeeeMode: 1
; LDSByteSize: 46720 bytes/workgroup (compile time only)
; SGPRBlocks: 2
; VGPRBlocks: 24
; NumSGPRsForWavesPerEU: 18
; NumVGPRsForWavesPerEU: 195
; Occupancy: 4
; WaveLimiterHint : 0
; COMPUTE_PGM_RSRC2:SCRATCH_EN: 0
; COMPUTE_PGM_RSRC2:USER_SGPR: 14
; COMPUTE_PGM_RSRC2:TRAP_HANDLER: 0
; COMPUTE_PGM_RSRC2:TGID_X_EN: 1
; COMPUTE_PGM_RSRC2:TGID_Y_EN: 1
; COMPUTE_PGM_RSRC2:TGID_Z_EN: 0
; COMPUTE_PGM_RSRC2:TIDIG_COMP_CNT: 1
	.section	.text._ZL12mul_mat_q5_0IN3c104HalfELb1EEvPKvS3_PT_iiiii,"axG",@progbits,_ZL12mul_mat_q5_0IN3c104HalfELb1EEvPKvS3_PT_iiiii,comdat
	.globl	_ZL12mul_mat_q5_0IN3c104HalfELb1EEvPKvS3_PT_iiiii ; -- Begin function _ZL12mul_mat_q5_0IN3c104HalfELb1EEvPKvS3_PT_iiiii
	.p2align	8
	.type	_ZL12mul_mat_q5_0IN3c104HalfELb1EEvPKvS3_PT_iiiii,@function
_ZL12mul_mat_q5_0IN3c104HalfELb1EEvPKvS3_PT_iiiii: ; @_ZL12mul_mat_q5_0IN3c104HalfELb1EEvPKvS3_PT_iiiii
; %bb.0:
	s_clause 0x1
	s_load_b128 s[4:7], s[0:1], 0x18
	s_load_b32 s10, s[0:1], 0x28
	v_bfe_u32 v37, v0, 10, 10
	v_and_b32_e32 v38, 0x3ff, v0
	s_lshl_b32 s11, s15, 6
	s_waitcnt lgkmcnt(0)
	s_cmp_gt_i32 s4, 31
	s_cbranch_scc1 .LBB142_2
; %bb.1:
	v_bfe_u32 v1, v0, 10, 10
	v_and_b32_e32 v0, 0x3ff, v0
	s_mov_b32 s2, 0
	s_mov_b32 s3, 0
	s_delay_alu instid0(VALU_DEP_2)
	v_add_nc_u32_e32 v48, s11, v1
	s_branch .LBB142_3
.LBB142_2:
	s_mov_b32 s2, -1
                                        ; implicit-def: $sgpr3
                                        ; implicit-def: $vgpr1
                                        ; implicit-def: $vgpr0
                                        ; implicit-def: $vgpr48
.LBB142_3:
	s_load_b64 s[8:9], s[0:1], 0x10
	v_dual_mov_b32 v25, s3 :: v_dual_mov_b32 v44, s3
	v_dual_mov_b32 v29, s3 :: v_dual_mov_b32 v70, s3
	;; [unrolled: 1-line block ×14, first 2 shown]
	v_mov_b32_e32 v67, s3
	v_mov_b32_e32 v77, s3
	;; [unrolled: 1-line block ×4, first 2 shown]
	s_and_not1_b32 vcc_lo, exec_lo, s2
	s_lshl_b32 s12, s14, 7
	s_cbranch_vccnz .LBB142_13
; %bb.4:
	s_load_b128 s[0:3], s[0:1], 0x0
	s_ashr_i32 s13, s4, 31
	s_ashr_i32 s14, s7, 31
	s_lshr_b32 s13, s13, 27
	v_dual_mov_b32 v68, 0 :: v_dual_add_nc_u32 v39, 8, v37
	s_add_i32 s4, s4, s13
	s_lshr_b32 s13, s14, 27
	s_ashr_i32 s4, s4, 5
	s_add_i32 s7, s7, s13
	s_mul_i32 s13, s4, s12
	s_ashr_i32 s14, s7, 5
	s_mul_i32 s7, s13, 22
	s_mul_hi_i32 s13, s13, 22
	v_dual_mov_b32 v40, 0 :: v_dual_lshlrev_b32 v1, 3, v38
	v_add_nc_u32_e32 v41, 16, v37
	v_add_nc_u32_e32 v42, 24, v37
	;; [unrolled: 1-line block ×3, first 2 shown]
	v_dual_mov_b32 v67, 0 :: v_dual_add_nc_u32 v44, 40, v37
	s_waitcnt lgkmcnt(0)
	s_add_u32 s7, s0, s7
	s_addc_u32 s13, s1, s13
	s_not_b32 s0, s12
	v_add_nc_u32_e32 v45, 48, v37
	s_add_i32 s0, s0, s5
	v_add_nc_u32_e32 v47, 56, v37
	v_min_i32_e32 v2, s0, v37
	v_min_i32_e32 v3, s0, v39
	;; [unrolled: 1-line block ×3, first 2 shown]
	v_add_nc_u32_e32 v12, 0x48, v37
	v_min_i32_e32 v13, s0, v47
	v_mad_u64_u32 v[4:5], null, 0x104, v2, v[1:2]
	v_mul_lo_u32 v51, v2, s4
	v_mad_u64_u32 v[5:6], null, 0x104, v3, v[1:2]
	v_min_i32_e32 v2, s0, v42
	v_mul_lo_u32 v52, v3, s4
	v_mul_lo_u32 v53, v8, s4
	v_min_i32_e32 v3, s0, v43
	v_mul_lo_u32 v60, v13, s4
	v_mad_u64_u32 v[6:7], null, 0x104, v8, v[1:2]
	v_mul_lo_u32 v54, v2, s4
	v_mad_u64_u32 v[7:8], null, 0x104, v2, v[1:2]
	v_min_i32_e32 v2, s0, v44
	v_mul_lo_u32 v56, v3, s4
	s_add_i32 s1, s6, -1
	v_add_nc_u32_e32 v48, s11, v37
	v_dual_mov_b32 v72, 0 :: v_dual_add_nc_u32 v17, 0x58, v37
	v_mad_u64_u32 v[8:9], null, 0x104, v3, v[1:2]
	v_min_i32_e32 v3, s0, v45
	v_mul_lo_u32 v57, v2, s4
	v_mad_u64_u32 v[9:10], null, 0x104, v2, v[1:2]
	v_add_nc_u32_e32 v2, 64, v37
	s_delay_alu instid0(VALU_DEP_4)
	v_mul_lo_u32 v58, v3, s4
	v_add_nc_u32_e32 v15, 16, v48
	v_add_nc_u32_e32 v18, 24, v48
	;; [unrolled: 1-line block ×3, first 2 shown]
	v_mad_u64_u32 v[10:11], null, 0x104, v3, v[1:2]
	v_min_i32_e32 v2, s0, v2
	v_min_i32_e32 v3, s0, v12
	v_cvt_f64_u32_e32 v[23:24], v15
	v_cvt_f64_u32_e32 v[19:20], v48
	;; [unrolled: 1-line block ×3, first 2 shown]
	v_mad_u64_u32 v[11:12], null, 0x104, v13, v[1:2]
	v_mul_lo_u32 v61, v2, s4
	v_mad_u64_u32 v[12:13], null, 0x104, v2, v[1:2]
	v_add_nc_u32_e32 v2, 0x50, v37
	v_mul_lo_u32 v62, v3, s4
	v_cvt_f64_u32_e32 v[27:28], v27
	v_add_nc_u32_e32 v18, 0x60, v37
	v_add_nc_u32_e32 v35, 0x68, v37
	v_mad_u64_u32 v[13:14], null, 0x104, v3, v[1:2]
	v_min_i32_e32 v16, s0, v2
	v_cvt_f64_i32_e32 v[2:3], s1
	v_add_nc_u32_e32 v14, 8, v48
	v_add_nc_u32_e32 v36, 0x70, v37
	v_min_i32_e32 v17, s0, v17
	v_mul_lo_u32 v69, v16, s4
	v_min_i32_e32 v18, s0, v18
	v_cvt_f64_u32_e32 v[21:22], v14
	v_min_i32_e32 v35, s0, v35
	v_min_i32_e32 v49, s0, v36
	v_mul_lo_u32 v71, v17, s4
	v_mul_lo_u32 v73, v18, s4
	v_lshrrev_b32_e32 v74, 3, v38
	v_mul_lo_u32 v75, v35, s4
	v_dual_mov_b32 v70, 0 :: v_dual_add_nc_u32 v59, 0x78, v37
	v_mul_lo_u32 v76, v49, s4
	s_delay_alu instid0(VALU_DEP_4) | instskip(SKIP_3) | instid1(VALU_DEP_4)
	v_lshl_add_u32 v55, v37, 2, v74
	v_and_b32_e32 v79, 7, v38
	v_lshrrev_b32_e32 v46, 2, v38
	v_dual_mov_b32 v77, 0 :: v_dual_and_b32 v0, 3, v38
	v_min_i32_e32 v63, s0, v55
	v_add_nc_u32_e32 v64, 64, v55
	v_mul_u32_u24_e32 v101, 0x104, v38
	s_delay_alu instid0(VALU_DEP_4)
	v_lshlrev_b32_e32 v50, 2, v0
	v_lshl_add_u32 v108, v37, 4, 0xb280
	v_mul_lo_u32 v80, v63, s4
	s_mov_b32 s5, 0
	v_mad_u64_u32 v[14:15], null, 0x104, v16, v[1:2]
	v_add_nc_u32_e32 v15, 40, v48
	v_add_nc_u32_e32 v16, 48, v48
	v_min_f64 v[23:24], v[23:24], v[2:3]
	v_min_f64 v[25:26], v[25:26], v[2:3]
	;; [unrolled: 1-line block ×3, first 2 shown]
	v_cvt_f64_u32_e32 v[29:30], v15
	v_add_nc_u32_e32 v15, 56, v48
	v_cvt_f64_u32_e32 v[31:32], v16
	v_min_f64 v[27:28], v[27:28], v[2:3]
	s_delay_alu instid0(VALU_DEP_3)
	v_cvt_f64_u32_e32 v[33:34], v15
	v_mad_u64_u32 v[15:16], null, 0x104, v17, v[1:2]
	v_mad_u64_u32 v[16:17], null, 0x104, v18, v[1:2]
	;; [unrolled: 1-line block ×3, first 2 shown]
	v_min_f64 v[35:36], v[19:20], v[2:3]
	v_mad_u64_u32 v[18:19], null, 0x104, v49, v[1:2]
	v_add_nc_u32_e32 v19, 32, v55
	v_ashrrev_i32_e32 v20, 31, v63
	v_min_i32_e32 v49, s0, v59
	s_delay_alu instid0(VALU_DEP_3) | instskip(NEXT) | instid1(VALU_DEP_3)
	v_min_i32_e32 v59, s0, v19
	v_lshrrev_b32_e32 v19, 30, v20
	s_delay_alu instid0(VALU_DEP_3) | instskip(NEXT) | instid1(VALU_DEP_3)
	v_mul_lo_u32 v78, v49, s4
	v_ashrrev_i32_e32 v20, 31, v59
	s_delay_alu instid0(VALU_DEP_3) | instskip(SKIP_1) | instid1(VALU_DEP_3)
	v_add_nc_u32_e32 v65, v63, v19
	v_mul_lo_u32 v81, v59, s4
	v_lshrrev_b32_e32 v66, 30, v20
	v_cvt_i32_f64_e32 v24, v[23:24]
	v_cvt_i32_f64_e32 v25, v[25:26]
	v_lshlrev_b32_e32 v23, 2, v38
	v_min_f64 v[29:30], v[29:30], v[2:3]
	v_min_f64 v[31:32], v[31:32], v[2:3]
	v_cvt_i32_f64_e32 v27, v[27:28]
	v_min_f64 v[2:3], v[33:34], v[2:3]
	v_add_nc_u32_e32 v34, v59, v66
	v_mov_b32_e32 v66, 0
	v_cvt_i32_f64_e32 v35, v[35:36]
	v_lshlrev_b32_e32 v36, 5, v59
	v_cvt_i32_f64_e32 v59, v[21:22]
	v_lshl_add_u32 v22, v37, 3, v46
	s_delay_alu instid0(VALU_DEP_1) | instskip(SKIP_3) | instid1(VALU_DEP_4)
	v_and_b32_e32 v22, 63, v22
	v_mul_lo_u32 v89, s14, v24
	v_mul_lo_u32 v91, s14, v25
	v_cvt_i32_f64_e32 v28, v[29:30]
	v_or_b32_e32 v30, s11, v22
	v_cvt_i32_f64_e32 v29, v[31:32]
	v_lshl_or_b32 v32, v22, 4, v50
	v_mul_lo_u32 v93, s14, v27
	v_and_b32_e32 v27, 0xfc, v38
	v_mad_u64_u32 v[19:20], null, 0x104, v49, v[1:2]
	v_and_b32_e32 v1, -4, v65
	v_lshlrev_b32_e32 v20, 2, v79
	v_add_nc_u32_e32 v49, 0x60, v55
	v_lshlrev_b32_e32 v55, 5, v63
	v_cvt_i32_f64_e32 v2, v[2:3]
	v_min_i32_e32 v30, s1, v30
	v_add3_u32 v1, v1, v20, 0xa200
	v_min_i32_e32 v49, s0, v49
	v_add_nc_u32_e32 v84, 0xb280, v32
	v_mov_b32_e32 v32, 0
	v_mul_lo_u32 v85, s14, v35
	v_dual_mov_b32 v55, 0 :: v_dual_add_nc_u32 v114, v1, v55
	v_min_i32_e32 v64, s0, v64
	v_ashrrev_i32_e32 v63, 31, v49
	v_mul_lo_u32 v83, v49, s4
	v_lshlrev_b32_e32 v31, 5, v49
	v_mul_lo_u32 v87, s14, v59
	v_ashrrev_i32_e32 v33, 31, v64
	v_lshrrev_b32_e32 v21, 30, v63
	v_lshlrev_b32_e32 v26, 5, v64
	v_lshlrev_b32_e32 v63, 7, v37
	v_mul_lo_u32 v82, v64, s4
	v_lshrrev_b32_e32 v33, 30, v33
	v_add_nc_u32_e32 v21, v49, v21
	v_mov_b32_e32 v35, 0
	v_add_nc_u32_e32 v107, 0x8200, v63
	v_mov_b32_e32 v59, 0
	v_add_nc_u32_e32 v33, v64, v33
	v_and_b32_e32 v21, -4, v21
	v_mul_lo_u32 v95, s14, v28
	v_mov_b32_e32 v28, 0
	v_mul_lo_u32 v97, s14, v29
	v_and_b32_e32 v33, -4, v33
	v_add3_u32 v3, v21, v20, 0xa200
	v_mov_b32_e32 v29, 0
	v_and_b32_e32 v21, 28, v23
	v_mad_u64_u32 v[22:23], null, v30, s14, v[0:1]
	v_add3_u32 v33, v33, v20, 0xa200
	v_add_nc_u32_e32 v117, v3, v31
	v_mov_b32_e32 v31, 0
	v_mul_lo_u32 v99, s14, v2
	v_add_nc_u32_e32 v2, 0x60, v38
	v_dual_mov_b32 v33, 0 :: v_dual_add_nc_u32 v116, v33, v26
	v_and_b32_e32 v34, -4, v34
	v_mov_b32_e32 v30, 0
	s_delay_alu instid0(VALU_DEP_4) | instskip(SKIP_1) | instid1(VALU_DEP_4)
	v_and_b32_e32 v2, 0x1fc, v2
	v_dual_mov_b32 v26, 0 :: v_dual_mov_b32 v65, 0
	v_add3_u32 v34, v34, v20, 0xa200
	v_and_b32_e32 v20, 31, v38
	s_delay_alu instid0(VALU_DEP_2) | instskip(NEXT) | instid1(VALU_DEP_2)
	v_add_nc_u32_e32 v115, v34, v36
	v_dual_mov_b32 v36, 0 :: v_dual_lshlrev_b32 v49, 2, v20
	v_add_co_u32 v20, s0, s2, v21
	s_delay_alu instid0(VALU_DEP_1) | instskip(NEXT) | instid1(VALU_DEP_3)
	v_add_co_ci_u32_e64 v21, null, s3, 0, s0
	v_or_b32_e32 v64, v63, v49
	v_lshl_or_b32 v0, v39, 7, v49
	v_lshl_or_b32 v24, v45, 7, v49
	s_movk_i32 s0, 0x80
	s_delay_alu instid0(VALU_DEP_3)
	v_dual_mov_b32 v63, 0 :: v_dual_add_nc_u32 v86, 0x8200, v64
	v_mov_b32_e32 v64, 0
	v_lshl_or_b32 v23, v41, 7, v49
	v_add_nc_u32_e32 v88, 0x8200, v0
	v_add_nc_u32_e32 v98, 0x8200, v24
	;; [unrolled: 1-line block ×3, first 2 shown]
	v_mad_u32_u24 v113, 0x104, v38, s0
	v_add_nc_u32_e32 v90, 0x8200, v23
	v_lshl_or_b32 v23, v43, 7, v49
	v_mov_b32_e32 v43, 0
	v_lshl_or_b32 v0, v42, 7, v49
	v_and_b32_e32 v25, 0x1fc, v24
	v_lshrrev_b32_e32 v102, 3, v24
	v_add_nc_u32_e32 v94, 0x8200, v23
	v_add_nc_u32_e32 v23, 64, v38
	;; [unrolled: 1-line block ×3, first 2 shown]
	v_lshl_or_b32 v0, v44, 7, v49
	v_dual_mov_b32 v42, 0 :: v_dual_mov_b32 v45, 0
	s_delay_alu instid0(VALU_DEP_4) | instskip(NEXT) | instid1(VALU_DEP_3)
	v_and_b32_e32 v23, 0x1fc, v23
	v_dual_mov_b32 v41, 0 :: v_dual_add_nc_u32 v96, 0x8200, v0
	v_lshl_or_b32 v0, v47, 7, v49
	v_mov_b32_e32 v49, 0
	v_dual_mov_b32 v47, 0 :: v_dual_mov_b32 v34, 0
	v_mov_b32_e32 v44, 0
	s_delay_alu instid0(VALU_DEP_4) | instskip(SKIP_1) | instid1(VALU_DEP_1)
	v_add_nc_u32_e32 v100, 0x8200, v0
	v_dual_mov_b32 v39, 0 :: v_dual_lshlrev_b32 v0, 5, v38
	v_add_nc_u32_e32 v2, v0, v2
	v_add_nc_u32_e32 v23, v0, v23
	;; [unrolled: 1-line block ×3, first 2 shown]
	v_dual_mov_b32 v27, 0 :: v_dual_add_nc_u32 v0, v0, v27
	s_delay_alu instid0(VALU_DEP_4) | instskip(NEXT) | instid1(VALU_DEP_4)
	v_add_nc_u32_e32 v103, 0xae00, v2
	v_add_nc_u32_e32 v104, 0xaa00, v23
	s_delay_alu instid0(VALU_DEP_4) | instskip(NEXT) | instid1(VALU_DEP_4)
	v_add_nc_u32_e32 v105, 0xa600, v25
	v_add_nc_u32_e32 v106, 0xa200, v0
	v_add_nc_u32_e32 v109, 0xae10, v2
	v_add_nc_u32_e32 v110, 0xaa10, v23
	v_add_nc_u32_e32 v111, 0xa610, v25
	v_dual_mov_b32 v25, 0 :: v_dual_add_nc_u32 v112, 0xa210, v0
	s_branch .LBB142_6
.LBB142_5:                              ;   in Loop: Header=BB142_6 Depth=1
	s_add_i32 s5, s5, 8
	s_delay_alu instid0(SALU_CYCLE_1)
	s_cmp_ge_i32 s5, s4
	s_cbranch_scc1 .LBB142_12
.LBB142_6:                              ; =>This Loop Header: Depth=1
                                        ;     Child Loop BB142_7 Depth 2
                                        ;     Child Loop BB142_10 Depth 2
	s_mul_i32 s0, s5, 22
	s_mul_hi_u32 s1, s5, 22
	s_add_u32 s0, s7, s0
	s_addc_u32 s1, s13, s1
	s_delay_alu instid0(SALU_CYCLE_1) | instskip(NEXT) | instid1(VALU_DEP_1)
	v_mad_u64_u32 v[0:1], null, v46, 22, s[0:1]
	v_mad_i64_i32 v[2:3], null, v51, 22, v[0:1]
	v_mad_i64_i32 v[118:119], null, v53, 22, v[0:1]
	v_mad_i64_i32 v[120:121], null, v54, 22, v[0:1]
	v_mad_i64_i32 v[23:24], null, v52, 22, v[0:1]
	s_delay_alu instid0(VALU_DEP_4)
	v_add_co_u32 v122, vcc_lo, v2, v50
	v_add_co_ci_u32_e32 v123, vcc_lo, 0, v3, vcc_lo
	v_add_co_u32 v124, vcc_lo, v118, v50
	v_add_co_ci_u32_e32 v125, vcc_lo, 0, v119, vcc_lo
	;; [unrolled: 2-line block ×4, first 2 shown]
	s_clause 0x7
	global_load_b32 v127, v[126:127], off offset:6
	global_load_b32 v128, v[120:121], off offset:2
	;; [unrolled: 1-line block ×8, first 2 shown]
	v_mad_i64_i32 v[2:3], null, v56, 22, v[0:1]
	v_mad_i64_i32 v[23:24], null, v57, 22, v[0:1]
	;; [unrolled: 1-line block ×4, first 2 shown]
	s_delay_alu instid0(VALU_DEP_4)
	v_add_co_u32 v135, vcc_lo, v2, v50
	v_add_co_ci_u32_e32 v136, vcc_lo, 0, v3, vcc_lo
	v_add_co_u32 v137, vcc_lo, v23, v50
	v_add_co_ci_u32_e32 v138, vcc_lo, 0, v24, vcc_lo
	s_clause 0x5
	global_load_b32 v123, v[120:121], off offset:2
	global_load_b32 v125, v[118:119], off offset:2
	;; [unrolled: 1-line block ×6, first 2 shown]
	v_add_co_u32 v2, vcc_lo, v118, v50
	v_add_co_ci_u32_e32 v3, vcc_lo, 0, v119, vcc_lo
	v_add_co_u32 v23, vcc_lo, v120, v50
	v_add_co_ci_u32_e32 v24, vcc_lo, 0, v121, vcc_lo
	s_clause 0x1
	global_load_b32 v124, v[2:3], off offset:6
	global_load_b32 v23, v[23:24], off offset:6
	v_mad_i64_i32 v[135:136], null, v61, 22, v[0:1]
	v_mad_i64_i32 v[118:119], null, v69, 22, v[0:1]
	;; [unrolled: 1-line block ×4, first 2 shown]
	s_delay_alu instid0(VALU_DEP_4)
	v_add_co_u32 v139, vcc_lo, v135, v50
	v_add_co_ci_u32_e32 v140, vcc_lo, 0, v136, vcc_lo
	v_add_co_u32 v141, vcc_lo, v118, v50
	v_add_co_ci_u32_e32 v142, vcc_lo, 0, v119, vcc_lo
	v_add_co_u32 v2, vcc_lo, v137, v50
	v_add_co_ci_u32_e32 v3, vcc_lo, 0, v138, vcc_lo
	v_add_co_u32 v143, vcc_lo, v120, v50
	v_add_co_ci_u32_e32 v144, vcc_lo, 0, v121, vcc_lo
	s_clause 0x7
	global_load_b32 v2, v[2:3], off offset:6
	global_load_b32 v3, v[137:138], off offset:2
	;; [unrolled: 1-line block ×8, first 2 shown]
	s_waitcnt vmcnt(23)
	v_and_b32_e32 v138, 0xf0f0f0f, v127
	s_waitcnt vmcnt(22)
	v_ashrrev_i32_e32 v128, v50, v128
	s_waitcnt vmcnt(21)
	v_and_b32_e32 v137, 0xf0f0f0f, v129
	s_waitcnt vmcnt(20)
	v_ashrrev_i32_e32 v130, v50, v130
	;; [unrolled: 4-line block ×4, first 2 shown]
	v_lshlrev_b32_e32 v158, 4, v130
	v_lshlrev_b32_e32 v159, 11, v130
	;; [unrolled: 1-line block ×5, first 2 shown]
	v_lshrrev_b32_e32 v148, 12, v134
	v_lshrrev_b32_e32 v149, 5, v134
	v_lshlrev_b32_e32 v150, 2, v134
	v_lshlrev_b32_e32 v153, 18, v132
	;; [unrolled: 1-line block ×3, first 2 shown]
	v_lshrrev_b32_e32 v155, 12, v132
	v_lshrrev_b32_e32 v156, 5, v132
	v_lshlrev_b32_e32 v157, 2, v132
	s_waitcnt vmcnt(13)
	v_ashrrev_i32_e32 v142, v50, v145
	s_waitcnt vmcnt(12)
	v_ashrrev_i32_e32 v139, v50, v146
	s_waitcnt vmcnt(11)
	v_and_b32_e32 v140, 0xf0f0f0f, v147
	v_lshrrev_b32_e32 v141, 4, v147
	v_lshlrev_b32_e32 v145, 11, v134
	v_lshlrev_b32_e32 v146, 18, v134
	;; [unrolled: 1-line block ×5, first 2 shown]
	v_lshrrev_b32_e32 v162, 12, v130
	v_lshrrev_b32_e32 v163, 5, v130
	v_lshlrev_b32_e32 v164, 2, v130
	v_lshrrev_b32_e32 v133, 4, v133
	v_lshlrev_b32_e32 v134, 9, v134
	v_lshlrev_b32_e32 v165, 4, v128
	;; [unrolled: 1-line block ×5, first 2 shown]
	v_lshrrev_b32_e32 v169, 12, v128
	v_lshrrev_b32_e32 v170, 5, v128
	v_lshlrev_b32_e32 v171, 2, v128
	v_lshlrev_b32_e32 v172, 4, v139
	;; [unrolled: 1-line block ×5, first 2 shown]
	v_and_b32_e32 v144, 16, v144
	v_and_b32_e32 v145, 0x1000, v145
	;; [unrolled: 1-line block ×7, first 2 shown]
	v_lshrrev_b32_e32 v131, 4, v131
	v_lshlrev_b32_e32 v132, 9, v132
	v_lshrrev_b32_e32 v176, 12, v139
	v_lshrrev_b32_e32 v177, 5, v139
	v_lshlrev_b32_e32 v178, 2, v139
	v_lshlrev_b32_e32 v179, 4, v142
	;; [unrolled: 1-line block ×5, first 2 shown]
	v_and_b32_e32 v151, 16, v151
	v_and_b32_e32 v152, 0x1000, v152
	;; [unrolled: 1-line block ×7, first 2 shown]
	v_lshrrev_b32_e32 v129, 4, v129
	v_lshlrev_b32_e32 v130, 9, v130
	v_and_b32_e32 v158, 16, v158
	v_and_b32_e32 v159, 0x1000, v159
	v_and_b32_e32 v160, 0x100000, v160
	v_and_b32_e32 v161, 0x10000000, v161
	v_and_b32_e32 v162, 16, v162
	v_and_b32_e32 v163, 0x1000, v163
	v_and_b32_e32 v164, 0x100000, v164
	v_lshrrev_b32_e32 v127, 4, v127
	v_and_b32_e32 v133, 0xf0f0f0f, v133
	v_lshlrev_b32_e32 v128, 9, v128
	v_and_b32_e32 v134, 0x10000000, v134
	v_and_b32_e32 v165, 16, v165
	v_and_b32_e32 v166, 0x1000, v166
	v_and_b32_e32 v167, 0x100000, v167
	v_and_b32_e32 v168, 0x10000000, v168
	v_and_b32_e32 v169, 16, v169
	v_and_b32_e32 v170, 0x1000, v170
	v_and_b32_e32 v171, 0x100000, v171
	v_and_b32_e32 v172, 16, v172
	v_and_b32_e32 v173, 0x1000, v173
	v_and_b32_e32 v174, 0x100000, v174
	v_and_b32_e32 v175, 0x10000000, v175
	v_or3_b32 v144, v144, v135, v145
	v_or3_b32 v135, v135, v146, v147
	v_or3_b32 v145, v149, v148, v150
	s_waitcnt vmcnt(10)
	v_and_b32_e32 v143, 0xf0f0f0f, v126
	v_and_b32_e32 v131, 0xf0f0f0f, v131
	v_lshlrev_b32_e32 v139, 9, v139
	v_and_b32_e32 v132, 0x10000000, v132
	v_and_b32_e32 v176, 16, v176
	;; [unrolled: 1-line block ×8, first 2 shown]
	v_or3_b32 v146, v151, v136, v152
	v_or3_b32 v136, v136, v153, v154
	;; [unrolled: 1-line block ×3, first 2 shown]
	v_and_b32_e32 v129, 0xf0f0f0f, v129
	v_and_b32_e32 v130, 0x10000000, v130
	v_or3_b32 v148, v158, v137, v159
	v_or3_b32 v137, v137, v160, v161
	;; [unrolled: 1-line block ×3, first 2 shown]
	v_and_b32_e32 v127, 0xf0f0f0f, v127
	v_and_b32_e32 v128, 0x10000000, v128
	v_or3_b32 v150, v165, v138, v166
	v_or3_b32 v138, v138, v167, v168
	;; [unrolled: 1-line block ×5, first 2 shown]
	v_lshrrev_b32_e32 v135, 16, v135
	v_and_b32_e32 v155, 0x1f00, v144
	v_lshlrev_b16 v144, 8, v144
	v_or3_b32 v133, v145, v134, v133
	v_and_b32_e32 v141, 0xf0f0f0f, v141
	v_and_b32_e32 v139, 0x10000000, v139
	v_or3_b32 v153, v177, v176, v178
	v_or3_b32 v154, v179, v143, v180
	;; [unrolled: 1-line block ×3, first 2 shown]
	v_lshrrev_b32_e32 v134, 16, v136
	v_lshlrev_b16 v145, 8, v146
	v_or3_b32 v131, v147, v132, v131
	v_and_b32_e32 v136, 0x1f00, v146
	v_lshrrev_b32_e32 v132, 16, v137
	v_lshlrev_b16 v146, 8, v148
	v_or3_b32 v129, v149, v130, v129
	v_and_b32_e32 v137, 0x1f00, v148
	v_lshrrev_b32_e32 v130, 16, v138
	v_and_b32_e32 v138, 0x1f00, v150
	v_lshlrev_b16 v147, 8, v150
	v_or3_b32 v127, v151, v128, v127
	v_lshrrev_b32_e32 v128, 16, v140
	v_and_b32_e32 v140, 0x1f00, v152
	v_lshlrev_b16 v148, 8, v152
	v_add_nc_u16 v144, v144, 0xf000
	v_and_b32_e32 v150, 0x1f00, v135
	v_lshlrev_b16 v135, 8, v135
	v_lshrrev_b32_e32 v151, 16, v133
	v_and_b32_e32 v152, 0x1f00, v133
	v_lshlrev_b16 v133, 8, v133
	v_or3_b32 v139, v153, v139, v141
	v_lshrrev_b32_e32 v141, 16, v143
	v_and_b32_e32 v143, 0x1f00, v154
	v_lshlrev_b16 v149, 8, v154
	v_add_nc_u16 v145, v145, 0xf000
	v_and_b32_e32 v153, 0x1f00, v134
	v_lshlrev_b16 v134, 8, v134
	v_lshrrev_b32_e32 v154, 16, v131
	v_and_b32_e32 v156, 0x1f00, v131
	v_lshlrev_b16 v131, 8, v131
	v_add_nc_u16 v146, v146, 0xf000
	v_and_b32_e32 v157, 0x1f00, v132
	v_lshlrev_b16 v132, 8, v132
	v_lshrrev_b32_e32 v158, 16, v129
	v_and_b32_e32 v159, 0x1f00, v129
	v_lshlrev_b16 v129, 8, v129
	v_lshrrev_b16 v144, 8, v144
	v_add_nc_u16 v135, v135, 0xf000
	v_add_nc_i16 v133, v133, 0xf000 clamp
	v_and_b32_e32 v167, 0xffffff00, v151
	v_lshlrev_b16 v151, 8, v151
	v_lshrrev_b16 v145, 8, v145
	v_add_nc_u16 v134, v134, 0xf000
	v_add_nc_i16 v131, v131, 0xf000 clamp
	;; [unrolled: 5-line block ×3, first 2 shown]
	v_and_b32_e32 v169, 0xffffff00, v158
	v_lshlrev_b16 v158, 8, v158
	v_or_b32_e32 v144, v155, v144
	v_lshrrev_b16 v135, 8, v135
	v_lshrrev_b16 v133, 8, v133
	v_add_nc_i16 v155, v167, 0xf000 clamp
	v_add_nc_i16 v151, v151, 0xf000 clamp
	v_or_b32_e32 v136, v136, v145
	v_lshrrev_b16 v134, 8, v134
	v_lshrrev_b16 v131, 8, v131
	v_add_nc_i16 v145, v168, 0xf000 clamp
	v_add_nc_i16 v154, v154, 0xf000 clamp
	;; [unrolled: 5-line block ×3, first 2 shown]
	v_or_b32_e32 v135, v150, v135
	v_or_b32_e32 v133, v152, v133
	v_and_b32_e32 v150, 0xffffff00, v155
	v_lshrrev_b16 v151, 8, v151
	v_or_b32_e32 v134, v153, v134
	v_or_b32_e32 v131, v156, v131
	v_and_b32_e32 v145, 0xffffff00, v145
	v_lshrrev_b16 v152, 8, v154
	;; [unrolled: 4-line block ×3, first 2 shown]
	v_add_nc_u16 v147, v147, 0xf000
	v_and_b32_e32 v160, 0x1f00, v130
	v_lshlrev_b16 v130, 8, v130
	v_lshrrev_b32_e32 v161, 16, v127
	v_and_b32_e32 v162, 0x1f00, v127
	v_lshlrev_b16 v127, 8, v127
	v_add_nc_u16 v144, v144, 0xf000
	v_add_nc_u16 v135, v135, 0xf000
	;; [unrolled: 1-line block ×3, first 2 shown]
	v_or_b32_e32 v150, v151, v150
	v_add_nc_u16 v148, v148, 0xf000
	v_and_b32_e32 v163, 0x1f00, v128
	v_lshlrev_b16 v128, 8, v128
	v_lshrrev_b32_e32 v164, 16, v139
	v_and_b32_e32 v165, 0x1f00, v139
	v_lshlrev_b16 v139, 8, v139
	v_add_nc_u16 v136, v136, 0xf000
	v_add_nc_u16 v134, v134, 0xf000
	;; [unrolled: 1-line block ×3, first 2 shown]
	v_or_b32_e32 v145, v152, v145
	v_add_nc_u16 v137, v137, 0xf000
	v_add_nc_u16 v132, v132, 0xf000
	;; [unrolled: 1-line block ×3, first 2 shown]
	v_or_b32_e32 v146, v153, v146
	v_lshlrev_b16 v166, 8, v141
	v_lshrrev_b16 v147, 8, v147
	v_add_nc_u16 v130, v130, 0xf000
	v_add_nc_i16 v127, v127, 0xf000 clamp
	v_and_b32_e32 v170, 0xffffff00, v161
	v_lshlrev_b16 v161, 8, v161
	v_and_b32_e32 v144, 0xffff, v144
	v_lshlrev_b32_e32 v135, 16, v135
	v_and_b32_e32 v133, 0xffff, v133
	v_lshlrev_b32_e32 v150, 16, v150
	v_lshrrev_b16 v148, 8, v148
	v_add_nc_u16 v128, v128, 0xf000
	v_add_nc_i16 v139, v139, 0xf000 clamp
	v_and_b32_e32 v171, 0xffffff00, v164
	v_lshlrev_b16 v164, 8, v164
	v_and_b32_e32 v136, 0xffff, v136
	v_lshlrev_b32_e32 v134, 16, v134
	v_and_b32_e32 v131, 0xffff, v131
	v_lshlrev_b32_e32 v145, 16, v145
	;; [unrolled: 2-line block ×4, first 2 shown]
	v_add_nc_u16 v149, v149, 0xf000
	v_add_nc_u16 v166, v166, 0xf000
	v_or_b32_e32 v138, v138, v147
	v_lshrrev_b16 v130, 8, v130
	v_lshrrev_b16 v127, 8, v127
	v_add_nc_i16 v147, v170, 0xf000 clamp
	v_add_nc_i16 v161, v161, 0xf000 clamp
	v_or_b32_e32 v135, v144, v135
	v_or_b32_e32 v133, v133, v150
	;; [unrolled: 1-line block ×3, first 2 shown]
	v_lshrrev_b16 v128, 8, v128
	v_lshrrev_b16 v139, 8, v139
	v_add_nc_i16 v148, v171, 0xf000 clamp
	v_add_nc_i16 v164, v164, 0xf000 clamp
	v_or_b32_e32 v134, v136, v134
	v_or_b32_e32 v131, v131, v145
	;; [unrolled: 1-line block ×4, first 2 shown]
	v_lshrrev_b16 v149, 8, v149
	v_or_b32_e32 v130, v160, v130
	v_or_b32_e32 v127, v162, v127
	v_and_b32_e32 v147, 0xffffff00, v147
	v_lshrrev_b16 v154, 8, v161
	ds_store_2addr_b32 v4, v135, v133 offset1:1
	ds_store_2addr_b32 v5, v134, v131 offset1:1
	;; [unrolled: 1-line block ×3, first 2 shown]
	v_and_b32_e32 v129, 0x1f00, v141
	v_lshrrev_b32_e32 v131, 12, v142
	v_lshrrev_b32_e32 v132, 5, v142
	v_lshrrev_b16 v133, 8, v166
	v_lshlrev_b32_e32 v134, 2, v142
	v_or_b32_e32 v128, v163, v128
	v_or_b32_e32 v139, v165, v139
	v_and_b32_e32 v148, 0xffffff00, v148
	v_lshrrev_b16 v155, 8, v164
	v_add_nc_u16 v138, v138, 0xf000
	v_add_nc_u16 v130, v130, 0xf000
	;; [unrolled: 1-line block ×3, first 2 shown]
	v_or_b32_e32 v147, v154, v147
	v_lshrrev_b32_e32 v126, 4, v126
	v_and_b32_e32 v131, 16, v131
	v_and_b32_e32 v132, 0x1000, v132
	v_lshlrev_b32_e32 v135, 9, v142
	v_and_b32_e32 v134, 0x100000, v134
	v_or_b32_e32 v136, v143, v149
	v_or_b32_e32 v129, v129, v133
	v_add_nc_u16 v140, v140, 0xf000
	v_add_nc_u16 v128, v128, 0xf000
	;; [unrolled: 1-line block ×3, first 2 shown]
	v_or_b32_e32 v148, v155, v148
	v_and_b32_e32 v138, 0xffff, v138
	v_lshlrev_b32_e32 v130, 16, v130
	v_and_b32_e32 v127, 0xffff, v127
	v_lshlrev_b32_e32 v147, 16, v147
	v_and_b32_e32 v126, 0xf0f0f0f, v126
	v_and_b32_e32 v133, 0x10000000, v135
	v_or3_b32 v131, v132, v131, v134
	v_add_nc_u16 v132, v136, 0xf000
	v_add_nc_u16 v129, v129, 0xf000
	v_and_b32_e32 v140, 0xffff, v140
	v_lshlrev_b32_e32 v128, 16, v128
	v_and_b32_e32 v139, 0xffff, v139
	v_lshlrev_b32_e32 v148, 16, v148
	v_or_b32_e32 v130, v138, v130
	v_or_b32_e32 v127, v127, v147
	v_or3_b32 v126, v131, v133, v126
	v_and_b32_e32 v131, 0xffff, v132
	v_lshlrev_b32_e32 v129, 16, v129
	v_ashrrev_i32_e32 v125, v50, v125
	v_or_b32_e32 v128, v140, v128
	v_or_b32_e32 v134, v139, v148
	ds_store_2addr_b32 v7, v130, v127 offset1:1
	ds_store_2addr_b32 v8, v128, v134 offset1:1
	v_lshlrev_b16 v127, 8, v126
	v_lshrrev_b32_e32 v128, 16, v126
	v_or_b32_e32 v137, v131, v129
	v_lshlrev_b32_e32 v130, 4, v125
	v_lshlrev_b32_e32 v131, 11, v125
	;; [unrolled: 1-line block ×4, first 2 shown]
	v_add_nc_i16 v127, v127, 0xf000 clamp
	v_and_b32_e32 v129, 0xffffff00, v128
	s_waitcnt vmcnt(9)
	v_and_b32_e32 v134, 0xf0f0f0f, v124
	v_and_b32_e32 v130, 16, v130
	;; [unrolled: 1-line block ×6, first 2 shown]
	v_lshlrev_b16 v128, 8, v128
	v_lshrrev_b16 v127, 8, v127
	v_add_nc_i16 v129, v129, 0xf000 clamp
	v_or3_b32 v130, v130, v134, v131
	v_or3_b32 v131, v134, v132, v133
	v_lshrrev_b32_e32 v132, 12, v125
	v_lshrrev_b32_e32 v133, 5, v125
	v_lshlrev_b32_e32 v134, 2, v125
	v_add_nc_i16 v128, v128, 0xf000 clamp
	v_or_b32_e32 v126, v126, v127
	v_and_b32_e32 v127, 0xffffff00, v129
	v_lshlrev_b16 v129, 8, v130
	v_lshrrev_b32_e32 v124, 4, v124
	v_and_b32_e32 v132, 16, v132
	v_and_b32_e32 v133, 0x1000, v133
	v_lshlrev_b32_e32 v125, 9, v125
	v_and_b32_e32 v134, 0x100000, v134
	v_lshrrev_b32_e32 v131, 16, v131
	v_lshrrev_b16 v128, 8, v128
	v_add_nc_u16 v129, v129, 0xf000
	v_and_b32_e32 v124, 0xf0f0f0f, v124
	v_and_b32_e32 v125, 0x10000000, v125
	v_or3_b32 v132, v133, v132, v134
	v_lshlrev_b16 v135, 8, v131
	v_and_b32_e32 v130, 0x1f00, v130
	v_lshrrev_b16 v129, 8, v129
	v_add_nc_u16 v126, v126, 0xf000
	v_or_b32_e32 v127, v128, v127
	v_or3_b32 v124, v132, v125, v124
	v_add_nc_u16 v133, v135, 0xf000
	v_or_b32_e32 v128, v130, v129
	v_and_b32_e32 v126, 0xffff, v126
	v_lshlrev_b32_e32 v127, 16, v127
	v_lshlrev_b16 v130, 8, v124
	v_and_b32_e32 v125, 0x1f00, v131
	v_lshrrev_b16 v129, 8, v133
	v_ashrrev_i32_e32 v140, v50, v123
	v_or_b32_e32 v138, v126, v127
	v_add_nc_i16 v126, v130, 0xf000 clamp
	v_add_nc_u16 v128, v128, 0xf000
	v_or_b32_e32 v125, v125, v129
	v_lshrrev_b32_e32 v129, 16, v124
	v_and_b32_e32 v124, 0x1f00, v124
	v_lshrrev_b16 v126, 8, v126
	v_and_b32_e32 v139, 0xffff, v128
	v_add_nc_u16 v125, v125, 0xf000
	v_and_b32_e32 v127, 0xffffff00, v129
	s_waitcnt vmcnt(8)
	v_and_b32_e32 v144, 0xf0f0f0f, v23
	v_or_b32_e32 v142, v124, v126
	v_lshlrev_b32_e32 v124, 4, v140
	v_lshlrev_b32_e32 v126, 11, v140
	;; [unrolled: 1-line block ×3, first 2 shown]
	v_add_nc_i16 v123, v127, 0xf000 clamp
	v_lshlrev_b16 v125, 8, v129
	v_and_b32_e32 v124, 16, v124
	v_and_b32_e32 v127, 0x1000, v126
	v_lshlrev_b32_e32 v128, 18, v140
	v_and_b32_e32 v143, 0xffffff00, v123
	v_add_nc_i16 v123, v125, 0xf000 clamp
	v_mad_i64_i32 v[125:126], null, v73, 22, v[0:1]
	v_lshlrev_b32_e32 v129, 25, v140
	v_or3_b32 v146, v124, v144, v127
	v_and_b32_e32 v147, 0x100000, v128
	v_mad_i64_i32 v[127:128], null, v76, 22, v[0:1]
	v_lshrrev_b16 v145, 8, v123
	v_mad_i64_i32 v[123:124], null, v78, 22, v[0:1]
	v_and_b32_e32 v148, 0x10000000, v129
	v_add_co_u32 v129, vcc_lo, v125, v50
	v_add_co_ci_u32_e32 v130, vcc_lo, 0, v126, vcc_lo
	v_mad_i64_i32 v[131:132], null, v75, 22, v[0:1]
	v_add_co_u32 v133, vcc_lo, v127, v50
	v_add_co_ci_u32_e32 v134, vcc_lo, 0, v128, vcc_lo
	v_add_co_u32 v0, vcc_lo, v123, v50
	v_add_co_ci_u32_e32 v1, vcc_lo, 0, v124, vcc_lo
	;; [unrolled: 2-line block ×3, first 2 shown]
	s_clause 0x7
	global_load_b32 v0, v[0:1], off offset:6
	global_load_b32 v1, v[123:124], off offset:2
	;; [unrolled: 1-line block ×8, first 2 shown]
	v_lshlrev_b16 v125, 8, v146
	v_or3_b32 v128, v144, v147, v148
	v_lshrrev_b32_e32 v131, 12, v140
	v_lshrrev_b32_e32 v132, 5, v140
	v_lshlrev_b32_e32 v134, 2, v140
	v_add_nc_u16 v125, v125, 0xf000
	v_lshrrev_b32_e32 v128, 16, v128
	v_add_nc_u16 v126, v142, 0xf000
	v_or_b32_e32 v127, v145, v143
	v_and_b32_e32 v130, 0x1f00, v146
	v_lshrrev_b16 v125, 8, v125
	v_lshlrev_b16 v133, 8, v128
	v_lshrrev_b32_e32 v23, 4, v23
	v_and_b32_e32 v131, 16, v131
	v_and_b32_e32 v132, 0x1000, v132
	v_lshlrev_b32_e32 v135, 9, v140
	v_and_b32_e32 v134, 0x100000, v134
	v_and_b32_e32 v126, 0xffff, v126
	v_lshlrev_b32_e32 v127, 16, v127
	v_or_b32_e32 v125, v130, v125
	v_add_nc_u16 v130, v133, 0xf000
	v_and_b32_e32 v23, 0xf0f0f0f, v23
	v_and_b32_e32 v133, 0x10000000, v135
	v_or3_b32 v131, v132, v131, v134
	v_or_b32_e32 v129, v139, v141
	v_and_b32_e32 v128, 0x1f00, v128
	v_lshrrev_b16 v130, 8, v130
	v_or_b32_e32 v126, v126, v127
	v_or3_b32 v23, v131, v133, v23
	s_waitcnt vmcnt(8)
	v_ashrrev_i32_e32 v122, v50, v122
	ds_store_2addr_b32 v9, v137, v138 offset1:1
	v_or_b32_e32 v127, v128, v130
	ds_store_2addr_b32 v10, v129, v126 offset1:1
	v_lshlrev_b16 v126, 8, v23
	v_lshlrev_b32_e32 v130, 18, v122
	v_lshlrev_b32_e32 v131, 25, v122
	v_lshrrev_b32_e32 v128, 16, v23
	v_lshlrev_b32_e32 v129, 4, v122
	v_add_nc_i16 v126, v126, 0xf000 clamp
	v_lshlrev_b32_e32 v132, 11, v122
	v_and_b32_e32 v133, 0xf0f0f0f, v121
	v_and_b32_e32 v130, 0x100000, v130
	;; [unrolled: 1-line block ×7, first 2 shown]
	v_lshlrev_b16 v128, 8, v128
	v_lshrrev_b16 v126, 8, v126
	v_or3_b32 v130, v133, v130, v131
	v_or3_b32 v129, v129, v133, v132
	v_add_nc_i16 v131, v134, 0xf000 clamp
	v_add_nc_i16 v128, v128, 0xf000 clamp
	v_or_b32_e32 v23, v23, v126
	v_lshrrev_b32_e32 v126, 16, v130
	v_lshlrev_b16 v130, 8, v129
	v_and_b32_e32 v131, 0xffffff00, v131
	v_lshrrev_b16 v128, 8, v128
	v_lshrrev_b32_e32 v133, 5, v122
	v_lshlrev_b16 v132, 8, v126
	v_add_nc_u16 v130, v130, 0xf000
	v_lshlrev_b32_e32 v134, 2, v122
	v_or_b32_e32 v128, v128, v131
	v_and_b32_e32 v129, 0x1f00, v129
	v_add_nc_u16 v131, v132, 0xf000
	v_lshrrev_b32_e32 v132, 12, v122
	v_lshrrev_b16 v130, 8, v130
	v_and_b32_e32 v126, 0x1f00, v126
	v_lshrrev_b32_e32 v121, 4, v121
	v_lshrrev_b16 v131, 8, v131
	v_and_b32_e32 v132, 16, v132
	v_and_b32_e32 v133, 0x1000, v133
	v_lshlrev_b32_e32 v122, 9, v122
	v_and_b32_e32 v134, 0x100000, v134
	v_add_nc_u16 v125, v125, 0xf000
	v_add_nc_u16 v127, v127, 0xf000
	;; [unrolled: 1-line block ×3, first 2 shown]
	v_or_b32_e32 v129, v129, v130
	v_or_b32_e32 v126, v126, v131
	v_and_b32_e32 v121, 0xf0f0f0f, v121
	v_and_b32_e32 v122, 0x10000000, v122
	v_or3_b32 v130, v133, v132, v134
	v_and_b32_e32 v125, 0xffff, v125
	v_lshlrev_b32_e32 v127, 16, v127
	v_add_nc_u16 v129, v129, 0xf000
	v_add_nc_u16 v126, v126, 0xf000
	v_and_b32_e32 v23, 0xffff, v23
	v_lshlrev_b32_e32 v128, 16, v128
	v_or3_b32 v121, v130, v122, v121
	v_ashrrev_i32_e32 v120, v50, v120
	v_and_b32_e32 v122, 0xffff, v129
	v_lshlrev_b32_e32 v126, 16, v126
	v_or_b32_e32 v125, v125, v127
	v_or_b32_e32 v127, v23, v128
	v_lshlrev_b16 v23, 8, v121
	v_lshrrev_b32_e32 v128, 16, v121
	v_lshlrev_b32_e32 v129, 4, v120
	v_lshlrev_b32_e32 v130, 11, v120
	v_or_b32_e32 v122, v122, v126
	v_add_nc_i16 v23, v23, 0xf000 clamp
	v_and_b32_e32 v126, 0xffffff00, v128
	v_lshlrev_b32_e32 v131, 18, v120
	v_lshlrev_b32_e32 v132, 25, v120
	v_and_b32_e32 v133, 0xf0f0f0f, v119
	v_and_b32_e32 v129, 16, v129
	;; [unrolled: 1-line block ×6, first 2 shown]
	v_lshrrev_b16 v23, 8, v23
	v_add_nc_i16 v126, v126, 0xf000 clamp
	v_or3_b32 v129, v129, v133, v130
	v_lshlrev_b16 v128, 8, v128
	v_or3_b32 v130, v133, v131, v132
	v_or_b32_e32 v23, v121, v23
	v_and_b32_e32 v121, 0xffffff00, v126
	v_lshlrev_b16 v126, 8, v129
	v_lshrrev_b32_e32 v131, 12, v120
	v_lshrrev_b32_e32 v132, 5, v120
	v_lshlrev_b32_e32 v133, 2, v120
	v_add_nc_i16 v128, v128, 0xf000 clamp
	v_add_nc_u16 v126, v126, 0xf000
	v_lshrrev_b32_e32 v119, 4, v119
	v_and_b32_e32 v131, 16, v131
	v_and_b32_e32 v132, 0x1000, v132
	v_lshlrev_b32_e32 v120, 9, v120
	v_and_b32_e32 v133, 0x100000, v133
	v_lshrrev_b16 v128, 8, v128
	v_lshrrev_b32_e32 v130, 16, v130
	v_and_b32_e32 v129, 0x1f00, v129
	v_lshrrev_b16 v126, 8, v126
	v_and_b32_e32 v119, 0xf0f0f0f, v119
	v_and_b32_e32 v120, 0x10000000, v120
	v_or3_b32 v131, v132, v131, v133
	v_add_nc_u16 v23, v23, 0xf000
	v_lshlrev_b16 v132, 8, v130
	v_or_b32_e32 v121, v128, v121
	v_or_b32_e32 v126, v129, v126
	v_or3_b32 v119, v131, v120, v119
	v_and_b32_e32 v23, 0xffff, v23
	v_add_nc_u16 v120, v132, 0xf000
	v_lshlrev_b32_e32 v121, 16, v121
	v_add_nc_u16 v126, v126, 0xf000
	v_lshlrev_b16 v128, 8, v119
	v_ashrrev_i32_e32 v118, v50, v118
	v_and_b32_e32 v129, 0x1f00, v130
	v_lshrrev_b16 v120, 8, v120
	v_or_b32_e32 v121, v23, v121
	v_and_b32_e32 v23, 0xffff, v126
	v_add_nc_i16 v126, v128, 0xf000 clamp
	v_lshrrev_b32_e32 v128, 16, v119
	v_lshlrev_b32_e32 v130, 18, v118
	v_lshlrev_b32_e32 v131, 25, v118
	v_or_b32_e32 v120, v129, v120
	v_and_b32_e32 v134, 0xf0f0f0f, v24
	v_and_b32_e32 v129, 0xffffff00, v128
	v_lshlrev_b16 v128, 8, v128
	v_and_b32_e32 v130, 0x100000, v130
	v_and_b32_e32 v131, 0x10000000, v131
	v_lshlrev_b32_e32 v132, 4, v118
	v_lshlrev_b32_e32 v133, 11, v118
	v_add_nc_i16 v129, v129, 0xf000 clamp
	v_add_nc_i16 v128, v128, 0xf000 clamp
	v_or3_b32 v130, v134, v130, v131
	v_and_b32_e32 v119, 0x1f00, v119
	v_lshrrev_b16 v126, 8, v126
	v_and_b32_e32 v132, 16, v132
	v_and_b32_e32 v133, 0x1000, v133
	;; [unrolled: 1-line block ×3, first 2 shown]
	v_lshrrev_b16 v128, 8, v128
	v_lshrrev_b32_e32 v130, 16, v130
	v_or_b32_e32 v119, v119, v126
	v_or3_b32 v126, v132, v134, v133
	v_add_nc_u16 v120, v120, 0xf000
	v_or_b32_e32 v128, v128, v129
	v_lshlrev_b16 v129, 8, v130
	v_add_nc_u16 v119, v119, 0xf000
	v_lshlrev_b16 v131, 8, v126
	v_lshlrev_b32_e32 v120, 16, v120
	v_lshlrev_b32_e32 v128, 16, v128
	v_add_nc_u16 v129, v129, 0xf000
	v_and_b32_e32 v119, 0xffff, v119
	v_add_nc_u16 v131, v131, 0xf000
	v_or_b32_e32 v120, v23, v120
	v_and_b32_e32 v23, 0x1f00, v130
	v_lshrrev_b16 v129, 8, v129
	v_and_b32_e32 v126, 0x1f00, v126
	v_lshrrev_b16 v131, 8, v131
	v_or_b32_e32 v119, v119, v128
	v_lshrrev_b32_e32 v128, 12, v118
	v_lshrrev_b32_e32 v130, 5, v118
	v_or_b32_e32 v23, v23, v129
	v_lshlrev_b32_e32 v129, 2, v118
	v_or_b32_e32 v126, v126, v131
	v_lshrrev_b32_e32 v24, 4, v24
	v_and_b32_e32 v128, 16, v128
	v_and_b32_e32 v130, 0x1000, v130
	;; [unrolled: 1-line block ×3, first 2 shown]
	v_add_nc_u16 v23, v23, 0xf000
	v_lshlrev_b32_e32 v118, 9, v118
	v_add_nc_u16 v126, v126, 0xf000
	v_and_b32_e32 v131, 0xf0f0f0f, v24
	v_or3_b32 v128, v130, v128, v129
	v_lshlrev_b32_e32 v129, 16, v23
	v_mad_u64_u32 v[23:24], null, v79, 22, s[0:1]
	v_and_b32_e32 v118, 0x10000000, v118
	v_and_b32_e32 v126, 0xffff, v126
	ds_store_2addr_b32 v11, v125, v127 offset1:1
	ds_store_2addr_b32 v12, v122, v121 offset1:1
	;; [unrolled: 1-line block ×3, first 2 shown]
	v_ashrrev_i32_e32 v3, v50, v3
	s_mov_b32 s0, -4
	v_or3_b32 v130, v128, v118, v131
	v_mad_i64_i32 v[118:119], null, v80, 22, v[23:24]
	v_mad_i64_i32 v[120:121], null, v81, 22, v[23:24]
	v_or_b32_e32 v137, v126, v129
	v_mad_i64_i32 v[125:126], null, v82, 22, v[23:24]
	v_add_nc_u32_e32 v131, s5, v74
	v_mad_i64_i32 v[127:128], null, v83, 22, v[23:24]
	s_clause 0x3
	global_load_u16 v141, v[118:119], off
	global_load_u16 v142, v[120:121], off
	;; [unrolled: 1-line block ×4, first 2 shown]
	v_add_nc_u32_e32 v122, v131, v85
	v_add_nc_u32_e32 v118, s5, v22
	;; [unrolled: 1-line block ×6, first 2 shown]
	v_lshrrev_b32_e32 v138, 16, v130
	v_and_b32_e32 v139, 0x1f00, v130
	v_lshlrev_b16 v140, 8, v130
	v_mad_i64_i32 v[23:24], null, v122, 36, v[20:21]
	v_mad_i64_i32 v[119:120], null, v121, 36, v[20:21]
	;; [unrolled: 1-line block ×5, first 2 shown]
	v_mad_u64_u32 v[129:130], null, v118, 36, s[2:3]
	v_add_nc_u32_e32 v133, v131, v95
	v_add_nc_u32_e32 v135, v131, v97
	;; [unrolled: 1-line block ×3, first 2 shown]
	s_delay_alu instid0(VALU_DEP_3) | instskip(NEXT) | instid1(VALU_DEP_3)
	v_mad_i64_i32 v[131:132], null, v133, 36, v[20:21]
	v_mad_i64_i32 v[133:134], null, v135, 36, v[20:21]
	s_delay_alu instid0(VALU_DEP_3)
	v_mad_i64_i32 v[135:136], null, v145, 36, v[20:21]
	s_clause 0x8
	global_load_b32 v129, v[129:130], off
	global_load_b32 v23, v[23:24], off offset:4
	global_load_b32 v24, v[119:120], off offset:4
	;; [unrolled: 1-line block ×8, first 2 shown]
	v_lshlrev_b32_e32 v131, 4, v3
	v_lshlrev_b32_e32 v132, 11, v3
	;; [unrolled: 1-line block ×4, first 2 shown]
	v_add_nc_i16 v127, v140, 0xf000 clamp
	v_and_b32_e32 v135, 0xf0f0f0f, v2
	v_and_b32_e32 v131, 16, v131
	;; [unrolled: 1-line block ×5, first 2 shown]
	v_lshrrev_b16 v127, 8, v127
	v_lshlrev_b32_e32 v136, 2, v3
	v_or3_b32 v131, v131, v135, v132
	v_and_b32_e32 v128, 0xffffff00, v138
	v_or3_b32 v132, v135, v133, v134
	v_lshrrev_b32_e32 v134, 12, v3
	v_lshrrev_b32_e32 v135, 5, v3
	v_lshlrev_b16 v130, 8, v138
	v_or_b32_e32 v127, v139, v127
	v_lshlrev_b16 v133, 8, v131
	v_lshrrev_b32_e32 v132, 16, v132
	v_lshrrev_b32_e32 v2, 4, v2
	v_and_b32_e32 v134, 16, v134
	v_and_b32_e32 v135, 0x1000, v135
	v_lshlrev_b32_e32 v3, 9, v3
	v_and_b32_e32 v136, 0x100000, v136
	v_add_nc_i16 v128, v128, 0xf000 clamp
	v_add_nc_i16 v130, v130, 0xf000 clamp
	v_add_nc_u16 v133, v133, 0xf000
	v_and_b32_e32 v2, 0xf0f0f0f, v2
	v_and_b32_e32 v3, 0x10000000, v3
	v_or3_b32 v134, v135, v134, v136
	v_add_nc_u16 v127, v127, 0xf000
	v_lshlrev_b16 v135, 8, v132
	v_and_b32_e32 v128, 0xffffff00, v128
	v_lshrrev_b16 v130, 8, v130
	v_and_b32_e32 v131, 0x1f00, v131
	v_lshrrev_b16 v133, 8, v133
	v_or3_b32 v2, v134, v3, v2
	v_and_b32_e32 v3, 0xffff, v127
	v_add_nc_u16 v127, v135, 0xf000
	v_or_b32_e32 v128, v130, v128
	v_or_b32_e32 v130, v131, v133
	v_and_b32_e32 v132, 0x1f00, v132
	v_lshlrev_b16 v131, 8, v2
	v_lshrrev_b16 v127, 8, v127
	v_lshlrev_b32_e32 v128, 16, v128
	v_add_nc_u16 v130, v130, 0xf000
	s_delay_alu instid0(VALU_DEP_3) | instskip(NEXT) | instid1(VALU_DEP_3)
	v_or_b32_e32 v127, v132, v127
	v_or_b32_e32 v3, v3, v128
	s_delay_alu instid0(VALU_DEP_3)
	v_and_b32_e32 v128, 0xffff, v130
	v_add_nc_i16 v130, v131, 0xf000 clamp
	v_lshrrev_b32_e32 v131, 16, v2
	v_and_b32_e32 v2, 0x1f00, v2
	v_add_nc_u16 v127, v127, 0xf000
	ds_store_2addr_b32 v14, v137, v3 offset1:1
	v_lshrrev_b16 v130, 8, v130
	v_and_b32_e32 v133, 0xffffff00, v131
	s_waitcnt vmcnt(13)
	v_ashrrev_i32_e32 v132, v50, v152
	v_lshlrev_b16 v131, 8, v131
	v_and_b32_e32 v139, 0xf0f0f0f, v151
	v_or_b32_e32 v2, v2, v130
	v_add_nc_i16 v133, v133, 0xf000 clamp
	v_lshlrev_b32_e32 v135, 18, v132
	v_lshlrev_b32_e32 v136, 25, v132
	;; [unrolled: 1-line block ×4, first 2 shown]
	v_add_nc_i16 v131, v131, 0xf000 clamp
	v_and_b32_e32 v135, 0x100000, v135
	v_and_b32_e32 v136, 0x10000000, v136
	;; [unrolled: 1-line block ×5, first 2 shown]
	v_lshrrev_b16 v131, 8, v131
	v_or3_b32 v130, v139, v135, v136
	v_lshrrev_b32_e32 v136, 12, v132
	v_or3_b32 v134, v134, v139, v138
	v_lshrrev_b32_e32 v138, 5, v132
	v_or_b32_e32 v131, v131, v133
	v_lshrrev_b32_e32 v130, 16, v130
	v_lshlrev_b32_e32 v139, 2, v132
	v_lshlrev_b16 v135, 8, v134
	v_and_b32_e32 v134, 0x1f00, v134
	v_add_nc_u16 v2, v2, 0xf000
	v_lshlrev_b16 v133, 8, v130
	v_and_b32_e32 v130, 0x1f00, v130
	v_add_nc_u16 v135, v135, 0xf000
	v_lshlrev_b32_e32 v127, 16, v127
	v_lshrrev_b32_e32 v140, 4, v151
	v_add_nc_u16 v133, v133, 0xf000
	v_and_b32_e32 v136, 16, v136
	v_lshrrev_b16 v135, 8, v135
	v_and_b32_e32 v138, 0x1000, v138
	v_lshlrev_b32_e32 v132, 9, v132
	v_lshrrev_b16 v133, 8, v133
	v_and_b32_e32 v139, 0x100000, v139
	v_or_b32_e32 v134, v134, v135
	v_and_b32_e32 v2, 0xffff, v2
	v_lshlrev_b32_e32 v131, 16, v131
	v_or_b32_e32 v130, v130, v133
	v_and_b32_e32 v133, 0xf0f0f0f, v140
	v_and_b32_e32 v132, 0x10000000, v132
	v_or3_b32 v135, v138, v136, v139
	v_or_b32_e32 v127, v128, v127
	v_add_nc_u16 v128, v134, 0xf000
	v_add_nc_u16 v130, v130, 0xf000
	v_or_b32_e32 v2, v2, v131
	v_or3_b32 v131, v135, v132, v133
	v_and_b32_e32 v136, 0xf0f0f0f, v149
	v_and_b32_e32 v3, 0xffff, v128
	v_lshlrev_b32_e32 v128, 16, v130
	v_ashrrev_i32_e32 v130, v50, v150
	ds_store_2addr_b32 v15, v127, v2 offset1:1
	v_lshlrev_b16 v2, 8, v131
	v_lshrrev_b32_e32 v127, 16, v131
	v_or_b32_e32 v3, v3, v128
	v_lshlrev_b32_e32 v133, 18, v130
	v_lshlrev_b32_e32 v134, 25, v130
	v_and_b32_e32 v128, 0x1f00, v131
	v_add_nc_i16 v2, v2, 0xf000 clamp
	v_and_b32_e32 v131, 0xffffff00, v127
	v_lshlrev_b32_e32 v132, 4, v130
	v_lshlrev_b32_e32 v135, 11, v130
	v_and_b32_e32 v133, 0x100000, v133
	v_and_b32_e32 v134, 0x10000000, v134
	v_lshrrev_b16 v2, 8, v2
	v_and_b32_e32 v132, 16, v132
	v_and_b32_e32 v135, 0x1000, v135
	v_add_nc_i16 v131, v131, 0xf000 clamp
	v_or3_b32 v133, v136, v133, v134
	v_or_b32_e32 v2, v128, v2
	v_lshrrev_b32_e32 v134, 12, v130
	v_or3_b32 v132, v132, v136, v135
	v_and_b32_e32 v128, 0xffffff00, v131
	v_lshrrev_b32_e32 v131, 16, v133
	v_lshrrev_b32_e32 v135, 5, v130
	v_lshlrev_b32_e32 v137, 2, v130
	v_lshlrev_b16 v127, 8, v127
	v_and_b32_e32 v133, 0x1f00, v132
	v_lshlrev_b16 v132, 8, v132
	v_lshlrev_b16 v136, 8, v131
	v_lshrrev_b32_e32 v138, 4, v149
	v_and_b32_e32 v134, 16, v134
	v_and_b32_e32 v135, 0x1000, v135
	v_lshlrev_b32_e32 v130, 9, v130
	v_and_b32_e32 v137, 0x100000, v137
	v_add_nc_i16 v127, v127, 0xf000 clamp
	v_add_nc_u16 v132, v132, 0xf000
	v_add_nc_u16 v136, v136, 0xf000
	v_and_b32_e32 v138, 0xf0f0f0f, v138
	v_and_b32_e32 v130, 0x10000000, v130
	v_or3_b32 v134, v135, v134, v137
	v_lshrrev_b16 v132, 8, v132
	v_and_b32_e32 v131, 0x1f00, v131
	v_lshrrev_b16 v135, 8, v136
	v_lshrrev_b16 v127, 8, v127
	v_or3_b32 v130, v134, v130, v138
	v_or_b32_e32 v132, v133, v132
	v_add_nc_u16 v2, v2, 0xf000
	v_or_b32_e32 v131, v131, v135
	v_or_b32_e32 v127, v127, v128
	v_lshlrev_b16 v128, 8, v130
	v_add_nc_u16 v132, v132, 0xf000
	v_lshrrev_b32_e32 v133, 16, v130
	v_add_nc_u16 v131, v131, 0xf000
	v_and_b32_e32 v2, 0xffff, v2
	v_add_nc_i16 v128, v128, 0xf000 clamp
	v_lshlrev_b32_e32 v127, 16, v127
	v_and_b32_e32 v132, 0xffff, v132
	v_lshlrev_b32_e32 v131, 16, v131
	v_and_b32_e32 v130, 0x1f00, v130
	v_lshrrev_b16 v128, 8, v128
	v_and_b32_e32 v134, 0xffffff00, v133
	v_ashrrev_i32_e32 v124, v50, v124
	v_or_b32_e32 v2, v2, v127
	v_or_b32_e32 v127, v132, v131
	v_or_b32_e32 v128, v130, v128
	v_add_nc_i16 v130, v134, 0xf000 clamp
	v_lshlrev_b16 v131, 8, v133
	v_lshlrev_b32_e32 v132, 18, v124
	v_lshlrev_b32_e32 v133, 25, v124
	;; [unrolled: 1-line block ×4, first 2 shown]
	v_and_b32_e32 v136, 0xf0f0f0f, v123
	v_and_b32_e32 v132, 0x100000, v132
	;; [unrolled: 1-line block ×5, first 2 shown]
	v_lshrrev_b32_e32 v123, 4, v123
	v_add_nc_i16 v131, v131, 0xf000 clamp
	v_or3_b32 v132, v136, v132, v133
	v_and_b32_e32 v130, 0xffffff00, v130
	v_or3_b32 v133, v134, v136, v135
	v_lshrrev_b32_e32 v134, 12, v124
	v_lshrrev_b32_e32 v135, 5, v124
	v_lshlrev_b32_e32 v136, 2, v124
	v_lshrrev_b32_e32 v132, 16, v132
	v_lshlrev_b32_e32 v124, 9, v124
	v_and_b32_e32 v134, 16, v134
	v_and_b32_e32 v135, 0x1000, v135
	;; [unrolled: 1-line block ×3, first 2 shown]
	v_lshlrev_b16 v137, 8, v133
	v_lshlrev_b16 v138, 8, v132
	v_and_b32_e32 v123, 0xf0f0f0f, v123
	v_and_b32_e32 v124, 0x10000000, v124
	v_or3_b32 v134, v135, v134, v136
	v_add_nc_u16 v135, v137, 0xf000
	v_lshrrev_b16 v131, 8, v131
	v_add_nc_u16 v136, v138, 0xf000
	v_and_b32_e32 v133, 0x1f00, v133
	v_or3_b32 v123, v134, v124, v123
	v_lshrrev_b16 v124, 8, v135
	v_and_b32_e32 v132, 0x1f00, v132
	v_lshrrev_b16 v134, 8, v136
	v_or_b32_e32 v130, v131, v130
	v_lshlrev_b16 v131, 8, v123
	v_add_nc_u16 v128, v128, 0xf000
	v_or_b32_e32 v124, v133, v124
	v_or_b32_e32 v132, v132, v134
	v_lshrrev_b32_e32 v133, 16, v123
	v_add_nc_i16 v131, v131, 0xf000 clamp
	v_and_b32_e32 v128, 0xffff, v128
	v_lshlrev_b32_e32 v130, 16, v130
	v_add_nc_u16 v124, v124, 0xf000
	v_add_nc_u16 v132, v132, 0xf000
	v_and_b32_e32 v123, 0x1f00, v123
	v_lshrrev_b16 v131, 8, v131
	v_and_b32_e32 v134, 0xffffff00, v133
	v_or_b32_e32 v128, v128, v130
	v_and_b32_e32 v124, 0xffff, v124
	v_lshlrev_b32_e32 v130, 16, v132
	v_or_b32_e32 v123, v123, v131
	v_add_nc_i16 v131, v134, 0xf000 clamp
	v_ashrrev_i32_e32 v1, v50, v1
	v_lshlrev_b16 v132, 8, v133
	v_or_b32_e32 v124, v124, v130
	v_and_b32_e32 v135, 0xf0f0f0f, v0
	v_and_b32_e32 v130, 0xffffff00, v131
	v_lshlrev_b32_e32 v131, 4, v1
	v_lshlrev_b32_e32 v133, 11, v1
	;; [unrolled: 1-line block ×4, first 2 shown]
	v_lshrrev_b32_e32 v137, 12, v1
	v_lshrrev_b32_e32 v138, 5, v1
	v_lshlrev_b32_e32 v139, 2, v1
	v_and_b32_e32 v131, 16, v131
	v_and_b32_e32 v133, 0x1000, v133
	;; [unrolled: 1-line block ×4, first 2 shown]
	v_lshrrev_b32_e32 v0, 4, v0
	v_and_b32_e32 v137, 16, v137
	v_and_b32_e32 v138, 0x1000, v138
	v_lshlrev_b32_e32 v1, 9, v1
	v_and_b32_e32 v139, 0x100000, v139
	v_add_nc_i16 v132, v132, 0xf000 clamp
	v_or3_b32 v131, v131, v135, v133
	v_or3_b32 v133, v135, v134, v136
	v_and_b32_e32 v0, 0xf0f0f0f, v0
	v_and_b32_e32 v1, 0x10000000, v1
	v_or3_b32 v134, v138, v137, v139
	v_lshrrev_b16 v132, 8, v132
	v_lshlrev_b16 v135, 8, v131
	v_lshrrev_b32_e32 v133, 16, v133
	v_and_b32_e32 v131, 0x1f00, v131
	v_or3_b32 v0, v134, v1, v0
	v_or_b32_e32 v1, v132, v130
	v_add_nc_u16 v130, v135, 0xf000
	v_lshlrev_b16 v132, 8, v133
	v_and_b32_e32 v133, 0x1f00, v133
	v_lshlrev_b16 v134, 8, v0
	v_lshrrev_b32_e32 v135, 16, v0
	v_lshrrev_b16 v130, 8, v130
	v_add_nc_u16 v132, v132, 0xf000
	v_and_b32_e32 v0, 0x1f00, v0
	v_add_nc_i16 v134, v134, 0xf000 clamp
	v_and_b32_e32 v136, 0xffffff00, v135
	v_lshlrev_b16 v135, 8, v135
	v_lshrrev_b16 v132, 8, v132
	v_add_nc_u16 v123, v123, 0xf000
	v_lshrrev_b16 v134, 8, v134
	v_add_nc_i16 v136, v136, 0xf000 clamp
	v_add_nc_i16 v135, v135, 0xf000 clamp
	v_or_b32_e32 v130, v131, v130
	v_or_b32_e32 v131, v133, v132
	;; [unrolled: 1-line block ×3, first 2 shown]
	v_and_b32_e32 v132, 0xffffff00, v136
	v_lshrrev_b16 v133, 8, v135
	v_and_b32_e32 v123, 0xffff, v123
	v_lshlrev_b32_e32 v1, 16, v1
	v_add_nc_u16 v130, v130, 0xf000
	v_add_nc_u16 v131, v131, 0xf000
	v_add_nc_u16 v0, v0, 0xf000
	v_or_b32_e32 v132, v133, v132
	v_or_b32_e32 v1, v123, v1
	v_and_b32_e32 v123, 0xffff, v130
	v_lshlrev_b32_e32 v130, 16, v131
	v_and_b32_e32 v0, 0xffff, v0
	v_lshlrev_b32_e32 v131, 16, v132
	ds_store_2addr_b32 v16, v3, v2 offset1:1
	ds_store_2addr_b32 v17, v127, v128 offset1:1
	;; [unrolled: 1-line block ×3, first 2 shown]
	s_waitcnt vmcnt(12)
	v_cvt_f32_f16_e64 v2, v141
	v_or_b32_e32 v1, v123, v130
	s_waitcnt vmcnt(11)
	v_cvt_f32_f16_e64 v3, v142
	v_or_b32_e32 v0, v0, v131
	s_waitcnt vmcnt(10)
	v_cvt_f32_f16_e64 v123, v143
	s_waitcnt vmcnt(9)
	v_cvt_f32_f16_e64 v124, v144
	ds_store_2addr_b32 v19, v1, v0 offset1:1
	ds_store_b32 v114, v2
	ds_store_b32 v115, v3
	;; [unrolled: 1-line block ×4, first 2 shown]
	v_mov_b32_e32 v124, v104
	s_waitcnt vmcnt(8)
	v_cvt_f32_f16_e64 v0, v129
	s_waitcnt vmcnt(6)
	ds_store_b32 v88, v24
	s_waitcnt vmcnt(5)
	ds_store_b32 v90, v119
	;; [unrolled: 2-line block ×7, first 2 shown]
	ds_store_b32 v86, v23
	ds_store_b32 v84, v0
	v_dual_mov_b32 v119, v108 :: v_dual_mov_b32 v120, v107
	v_dual_mov_b32 v121, v101 :: v_dual_mov_b32 v122, v106
	v_mov_b32_e32 v123, v105
	v_mov_b32_e32 v125, v103
	s_waitcnt lgkmcnt(0)
	s_barrier
	buffer_gl0_inv
.LBB142_7:                              ;   Parent Loop BB142_6 Depth=1
                                        ; =>  This Inner Loop Header: Depth=2
	ds_load_2addr_b32 v[23:24], v121 offset1:1
	ds_load_b128 v[0:3], v120
	ds_load_b128 v[126:129], v120 offset:16
	ds_load_2addr_b32 v[158:159], v121 offset0:2 offset1:3
	v_add_nc_u32_e32 v131, 0x2080, v121
	v_add_nc_u32_e32 v132, 0x4100, v121
	;; [unrolled: 1-line block ×3, first 2 shown]
	ds_load_2addr_b32 v[172:173], v121 offset0:4 offset1:5
	ds_load_2addr_b32 v[178:179], v121 offset0:6 offset1:7
	ds_load_2addr_b32 v[160:161], v131 offset1:1
	ds_load_2addr_b32 v[162:163], v132 offset1:1
	;; [unrolled: 1-line block ×3, first 2 shown]
	s_add_i32 s0, s0, 4
	s_delay_alu instid0(SALU_CYCLE_1) | instskip(SKIP_3) | instid1(VALU_DEP_1)
	s_cmp_lt_u32 s0, 12
	s_waitcnt lgkmcnt(7)
	v_dot4_i32_iu8 v130, v23, v0, 0 neg_lo:[1,1,0]
	s_waitcnt lgkmcnt(6)
	v_dot4_i32_iu8 v130, v24, v126, v130 neg_lo:[1,1,0]
	;; [unrolled: 2-line block ×4, first 2 shown]
	v_dot4_i32_iu8 v130, v158, v1, v130 neg_lo:[1,1,0]
	s_waitcnt lgkmcnt(0)
	v_dot4_i32_iu8 v0, v164, v0, 0 neg_lo:[1,1,0]
	v_dot4_i32_iu8 v131, v161, v126, v131 neg_lo:[1,1,0]
	;; [unrolled: 1-line block ×3, first 2 shown]
	s_delay_alu instid0(VALU_DEP_3)
	v_dot4_i32_iu8 v0, v165, v126, v0 neg_lo:[1,1,0]
	v_dot4_i32_iu8 v126, v159, v127, v130 neg_lo:[1,1,0]
	v_add_nc_u32_e32 v130, 0x2088, v121
	ds_load_2addr_b32 v[166:167], v130 offset1:1
	s_waitcnt lgkmcnt(0)
	v_dot4_i32_iu8 v130, v166, v1, v131 neg_lo:[1,1,0]
	v_add_nc_u32_e32 v131, 0x4108, v121
	s_delay_alu instid0(VALU_DEP_2) | instskip(SKIP_4) | instid1(VALU_DEP_2)
	v_dot4_i32_iu8 v130, v167, v127, v130 neg_lo:[1,1,0]
	ds_load_2addr_b32 v[168:169], v131 offset1:1
	s_waitcnt lgkmcnt(0)
	v_dot4_i32_iu8 v131, v168, v1, v132 neg_lo:[1,1,0]
	v_add_nc_u32_e32 v132, 0x6188, v121
	v_dot4_i32_iu8 v131, v169, v127, v131 neg_lo:[1,1,0]
	ds_load_2addr_b32 v[170:171], v132 offset1:1
	v_add_nc_u32_e32 v132, 0x4110, v121
	ds_load_2addr_b32 v[174:175], v132 offset1:1
	v_add_nc_u32_e32 v132, 0x6190, v121
	ds_load_2addr_b32 v[176:177], v132 offset1:1
	s_waitcnt lgkmcnt(2)
	v_dot4_i32_iu8 v0, v170, v1, v0 neg_lo:[1,1,0]
	v_dot4_i32_iu8 v1, v172, v2, v126 neg_lo:[1,1,0]
	v_add_nc_u32_e32 v126, 0x2090, v121
	s_delay_alu instid0(VALU_DEP_3) | instskip(NEXT) | instid1(VALU_DEP_3)
	v_dot4_i32_iu8 v0, v171, v127, v0 neg_lo:[1,1,0]
	v_dot4_i32_iu8 v1, v173, v128, v1 neg_lo:[1,1,0]
	ds_load_2addr_b32 v[126:127], v126 offset1:1
	s_waitcnt lgkmcnt(2)
	v_dot4_i32_iu8 v131, v174, v2, v131 neg_lo:[1,1,0]
	v_dot4_i32_iu8 v186, v178, v3, v1 neg_lo:[1,1,0]
	s_waitcnt lgkmcnt(1)
	v_dot4_i32_iu8 v0, v176, v2, v0 neg_lo:[1,1,0]
	s_delay_alu instid0(VALU_DEP_1) | instskip(SKIP_3) | instid1(VALU_DEP_2)
	v_dot4_i32_iu8 v0, v177, v128, v0 neg_lo:[1,1,0]
	s_waitcnt lgkmcnt(0)
	v_dot4_i32_iu8 v130, v126, v2, v130 neg_lo:[1,1,0]
	v_dot4_i32_iu8 v2, v175, v128, v131 neg_lo:[1,1,0]
	;; [unrolled: 1-line block ×3, first 2 shown]
	v_add_nc_u32_e32 v128, 0x2098, v121
	ds_load_b128 v[130:133], v120 offset:1040
	ds_load_2addr_b32 v[180:181], v128 offset1:1
	s_waitcnt lgkmcnt(0)
	v_dot4_i32_iu8 v128, v180, v3, v1 neg_lo:[1,1,0]
	v_add_nc_u32_e32 v1, 0x4118, v121
	ds_load_2addr_b32 v[182:183], v1 offset1:1
	v_add_nc_u32_e32 v1, 0x6198, v121
	v_add_nc_u32_e32 v121, 32, v121
	ds_load_2addr_b32 v[184:185], v1 offset1:1
	s_waitcnt lgkmcnt(1)
	v_dot4_i32_iu8 v187, v182, v3, v2 neg_lo:[1,1,0]
	s_waitcnt lgkmcnt(0)
	v_dot4_i32_iu8 v188, v184, v3, v0 neg_lo:[1,1,0]
	ds_load_b128 v[0:3], v120 offset:1024
	s_waitcnt lgkmcnt(0)
	v_dot4_i32_iu8 v134, v0, v23, 0 neg_lo:[1,1,0]
	v_dot4_i32_iu8 v135, v0, v160, 0 neg_lo:[1,1,0]
	v_dot4_i32_iu8 v136, v0, v162, 0 neg_lo:[1,1,0]
	v_dot4_i32_iu8 v0, v0, v164, 0 neg_lo:[1,1,0]
	s_delay_alu instid0(VALU_DEP_4) | instskip(NEXT) | instid1(VALU_DEP_4)
	v_dot4_i32_iu8 v134, v130, v24, v134 neg_lo:[1,1,0]
	v_dot4_i32_iu8 v135, v130, v161, v135 neg_lo:[1,1,0]
	s_delay_alu instid0(VALU_DEP_4) | instskip(NEXT) | instid1(VALU_DEP_4)
	v_dot4_i32_iu8 v136, v130, v163, v136 neg_lo:[1,1,0]
	v_dot4_i32_iu8 v0, v130, v165, v0 neg_lo:[1,1,0]
	s_delay_alu instid0(VALU_DEP_4) | instskip(NEXT) | instid1(VALU_DEP_4)
	v_dot4_i32_iu8 v130, v1, v158, v134 neg_lo:[1,1,0]
	v_dot4_i32_iu8 v134, v1, v166, v135 neg_lo:[1,1,0]
	s_delay_alu instid0(VALU_DEP_4) | instskip(NEXT) | instid1(VALU_DEP_4)
	v_dot4_i32_iu8 v135, v1, v168, v136 neg_lo:[1,1,0]
	v_dot4_i32_iu8 v0, v1, v170, v0 neg_lo:[1,1,0]
	s_delay_alu instid0(VALU_DEP_4) | instskip(NEXT) | instid1(VALU_DEP_4)
	v_dot4_i32_iu8 v1, v131, v159, v130 neg_lo:[1,1,0]
	v_dot4_i32_iu8 v130, v131, v167, v134 neg_lo:[1,1,0]
	s_delay_alu instid0(VALU_DEP_4) | instskip(NEXT) | instid1(VALU_DEP_4)
	v_dot4_i32_iu8 v134, v131, v169, v135 neg_lo:[1,1,0]
	v_dot4_i32_iu8 v0, v131, v171, v0 neg_lo:[1,1,0]
	s_delay_alu instid0(VALU_DEP_4) | instskip(NEXT) | instid1(VALU_DEP_4)
	v_dot4_i32_iu8 v1, v2, v172, v1 neg_lo:[1,1,0]
	v_dot4_i32_iu8 v130, v2, v126, v130 neg_lo:[1,1,0]
	s_delay_alu instid0(VALU_DEP_4) | instskip(NEXT) | instid1(VALU_DEP_4)
	v_dot4_i32_iu8 v131, v2, v174, v134 neg_lo:[1,1,0]
	v_dot4_i32_iu8 v0, v2, v176, v0 neg_lo:[1,1,0]
	ds_load_b128 v[134:137], v120 offset:2064
	v_dot4_i32_iu8 v1, v132, v173, v1 neg_lo:[1,1,0]
	v_dot4_i32_iu8 v2, v132, v127, v130 neg_lo:[1,1,0]
	v_dot4_i32_iu8 v130, v132, v175, v131 neg_lo:[1,1,0]
	v_dot4_i32_iu8 v0, v132, v177, v0 neg_lo:[1,1,0]
	s_delay_alu instid0(VALU_DEP_4) | instskip(NEXT) | instid1(VALU_DEP_4)
	v_dot4_i32_iu8 v131, v3, v178, v1 neg_lo:[1,1,0]
	v_dot4_i32_iu8 v132, v3, v180, v2 neg_lo:[1,1,0]
	s_delay_alu instid0(VALU_DEP_4) | instskip(NEXT) | instid1(VALU_DEP_4)
	v_dot4_i32_iu8 v130, v3, v182, v130 neg_lo:[1,1,0]
	v_dot4_i32_iu8 v189, v3, v184, v0 neg_lo:[1,1,0]
	ds_load_b128 v[0:3], v120 offset:2048
	v_dot4_i32_iu8 v130, v133, v183, v130 neg_lo:[1,1,0]
	s_waitcnt lgkmcnt(0)
	v_dot4_i32_iu8 v138, v0, v23, 0 neg_lo:[1,1,0]
	v_dot4_i32_iu8 v139, v0, v160, 0 neg_lo:[1,1,0]
	v_dot4_i32_iu8 v140, v0, v162, 0 neg_lo:[1,1,0]
	v_dot4_i32_iu8 v0, v0, v164, 0 neg_lo:[1,1,0]
	s_delay_alu instid0(VALU_DEP_4) | instskip(NEXT) | instid1(VALU_DEP_4)
	v_dot4_i32_iu8 v138, v134, v24, v138 neg_lo:[1,1,0]
	v_dot4_i32_iu8 v139, v134, v161, v139 neg_lo:[1,1,0]
	s_delay_alu instid0(VALU_DEP_4) | instskip(NEXT) | instid1(VALU_DEP_4)
	v_dot4_i32_iu8 v140, v134, v163, v140 neg_lo:[1,1,0]
	v_dot4_i32_iu8 v0, v134, v165, v0 neg_lo:[1,1,0]
	s_delay_alu instid0(VALU_DEP_4) | instskip(NEXT) | instid1(VALU_DEP_4)
	v_dot4_i32_iu8 v134, v1, v158, v138 neg_lo:[1,1,0]
	v_dot4_i32_iu8 v138, v1, v166, v139 neg_lo:[1,1,0]
	s_delay_alu instid0(VALU_DEP_4) | instskip(NEXT) | instid1(VALU_DEP_4)
	v_dot4_i32_iu8 v139, v1, v168, v140 neg_lo:[1,1,0]
	v_dot4_i32_iu8 v0, v1, v170, v0 neg_lo:[1,1,0]
	s_delay_alu instid0(VALU_DEP_4) | instskip(NEXT) | instid1(VALU_DEP_4)
	v_dot4_i32_iu8 v1, v135, v159, v134 neg_lo:[1,1,0]
	v_dot4_i32_iu8 v134, v135, v167, v138 neg_lo:[1,1,0]
	s_delay_alu instid0(VALU_DEP_4) | instskip(NEXT) | instid1(VALU_DEP_4)
	v_dot4_i32_iu8 v138, v135, v169, v139 neg_lo:[1,1,0]
	v_dot4_i32_iu8 v0, v135, v171, v0 neg_lo:[1,1,0]
	s_delay_alu instid0(VALU_DEP_4) | instskip(NEXT) | instid1(VALU_DEP_4)
	v_dot4_i32_iu8 v1, v2, v172, v1 neg_lo:[1,1,0]
	v_dot4_i32_iu8 v134, v2, v126, v134 neg_lo:[1,1,0]
	s_delay_alu instid0(VALU_DEP_4) | instskip(NEXT) | instid1(VALU_DEP_4)
	v_dot4_i32_iu8 v135, v2, v174, v138 neg_lo:[1,1,0]
	v_dot4_i32_iu8 v0, v2, v176, v0 neg_lo:[1,1,0]
	ds_load_b128 v[138:141], v120 offset:3088
	v_dot4_i32_iu8 v1, v136, v173, v1 neg_lo:[1,1,0]
	v_dot4_i32_iu8 v2, v136, v127, v134 neg_lo:[1,1,0]
	v_dot4_i32_iu8 v134, v136, v175, v135 neg_lo:[1,1,0]
	v_dot4_i32_iu8 v0, v136, v177, v0 neg_lo:[1,1,0]
	s_delay_alu instid0(VALU_DEP_4) | instskip(NEXT) | instid1(VALU_DEP_4)
	v_dot4_i32_iu8 v135, v3, v178, v1 neg_lo:[1,1,0]
	v_dot4_i32_iu8 v136, v3, v180, v2 neg_lo:[1,1,0]
	s_delay_alu instid0(VALU_DEP_4) | instskip(NEXT) | instid1(VALU_DEP_4)
	v_dot4_i32_iu8 v134, v3, v182, v134 neg_lo:[1,1,0]
	v_dot4_i32_iu8 v190, v3, v184, v0 neg_lo:[1,1,0]
	ds_load_b128 v[0:3], v120 offset:3072
	v_dot4_i32_iu8 v134, v137, v183, v134 neg_lo:[1,1,0]
	s_waitcnt lgkmcnt(0)
	v_dot4_i32_iu8 v142, v0, v23, 0 neg_lo:[1,1,0]
	v_dot4_i32_iu8 v143, v0, v160, 0 neg_lo:[1,1,0]
	v_dot4_i32_iu8 v144, v0, v162, 0 neg_lo:[1,1,0]
	v_dot4_i32_iu8 v0, v0, v164, 0 neg_lo:[1,1,0]
	s_delay_alu instid0(VALU_DEP_4) | instskip(NEXT) | instid1(VALU_DEP_4)
	v_dot4_i32_iu8 v142, v138, v24, v142 neg_lo:[1,1,0]
	v_dot4_i32_iu8 v143, v138, v161, v143 neg_lo:[1,1,0]
	s_delay_alu instid0(VALU_DEP_4) | instskip(NEXT) | instid1(VALU_DEP_4)
	v_dot4_i32_iu8 v144, v138, v163, v144 neg_lo:[1,1,0]
	v_dot4_i32_iu8 v0, v138, v165, v0 neg_lo:[1,1,0]
	s_delay_alu instid0(VALU_DEP_4) | instskip(NEXT) | instid1(VALU_DEP_4)
	v_dot4_i32_iu8 v138, v1, v158, v142 neg_lo:[1,1,0]
	v_dot4_i32_iu8 v142, v1, v166, v143 neg_lo:[1,1,0]
	s_delay_alu instid0(VALU_DEP_4) | instskip(NEXT) | instid1(VALU_DEP_4)
	v_dot4_i32_iu8 v143, v1, v168, v144 neg_lo:[1,1,0]
	v_dot4_i32_iu8 v0, v1, v170, v0 neg_lo:[1,1,0]
	s_delay_alu instid0(VALU_DEP_4) | instskip(NEXT) | instid1(VALU_DEP_4)
	v_dot4_i32_iu8 v1, v139, v159, v138 neg_lo:[1,1,0]
	v_dot4_i32_iu8 v138, v139, v167, v142 neg_lo:[1,1,0]
	s_delay_alu instid0(VALU_DEP_4) | instskip(NEXT) | instid1(VALU_DEP_4)
	v_dot4_i32_iu8 v142, v139, v169, v143 neg_lo:[1,1,0]
	v_dot4_i32_iu8 v0, v139, v171, v0 neg_lo:[1,1,0]
	s_delay_alu instid0(VALU_DEP_4) | instskip(NEXT) | instid1(VALU_DEP_4)
	v_dot4_i32_iu8 v1, v2, v172, v1 neg_lo:[1,1,0]
	v_dot4_i32_iu8 v138, v2, v126, v138 neg_lo:[1,1,0]
	s_delay_alu instid0(VALU_DEP_4) | instskip(NEXT) | instid1(VALU_DEP_4)
	v_dot4_i32_iu8 v139, v2, v174, v142 neg_lo:[1,1,0]
	v_dot4_i32_iu8 v0, v2, v176, v0 neg_lo:[1,1,0]
	ds_load_b128 v[142:145], v120 offset:4112
	v_dot4_i32_iu8 v1, v140, v173, v1 neg_lo:[1,1,0]
	v_dot4_i32_iu8 v2, v140, v127, v138 neg_lo:[1,1,0]
	v_dot4_i32_iu8 v138, v140, v175, v139 neg_lo:[1,1,0]
	v_dot4_i32_iu8 v0, v140, v177, v0 neg_lo:[1,1,0]
	s_delay_alu instid0(VALU_DEP_4) | instskip(NEXT) | instid1(VALU_DEP_4)
	v_dot4_i32_iu8 v139, v3, v178, v1 neg_lo:[1,1,0]
	v_dot4_i32_iu8 v140, v3, v180, v2 neg_lo:[1,1,0]
	s_delay_alu instid0(VALU_DEP_4) | instskip(NEXT) | instid1(VALU_DEP_4)
	v_dot4_i32_iu8 v138, v3, v182, v138 neg_lo:[1,1,0]
	v_dot4_i32_iu8 v191, v3, v184, v0 neg_lo:[1,1,0]
	ds_load_b128 v[0:3], v120 offset:4096
	v_dot4_i32_iu8 v138, v141, v183, v138 neg_lo:[1,1,0]
	s_waitcnt lgkmcnt(0)
	v_dot4_i32_iu8 v146, v0, v23, 0 neg_lo:[1,1,0]
	v_dot4_i32_iu8 v147, v0, v160, 0 neg_lo:[1,1,0]
	v_dot4_i32_iu8 v148, v0, v162, 0 neg_lo:[1,1,0]
	v_dot4_i32_iu8 v0, v0, v164, 0 neg_lo:[1,1,0]
	s_delay_alu instid0(VALU_DEP_4) | instskip(NEXT) | instid1(VALU_DEP_4)
	v_dot4_i32_iu8 v146, v142, v24, v146 neg_lo:[1,1,0]
	v_dot4_i32_iu8 v147, v142, v161, v147 neg_lo:[1,1,0]
	s_delay_alu instid0(VALU_DEP_4) | instskip(NEXT) | instid1(VALU_DEP_4)
	v_dot4_i32_iu8 v148, v142, v163, v148 neg_lo:[1,1,0]
	v_dot4_i32_iu8 v0, v142, v165, v0 neg_lo:[1,1,0]
	s_delay_alu instid0(VALU_DEP_4) | instskip(NEXT) | instid1(VALU_DEP_4)
	v_dot4_i32_iu8 v142, v1, v158, v146 neg_lo:[1,1,0]
	v_dot4_i32_iu8 v146, v1, v166, v147 neg_lo:[1,1,0]
	s_delay_alu instid0(VALU_DEP_4) | instskip(NEXT) | instid1(VALU_DEP_4)
	v_dot4_i32_iu8 v147, v1, v168, v148 neg_lo:[1,1,0]
	v_dot4_i32_iu8 v0, v1, v170, v0 neg_lo:[1,1,0]
	s_delay_alu instid0(VALU_DEP_4) | instskip(NEXT) | instid1(VALU_DEP_4)
	v_dot4_i32_iu8 v1, v143, v159, v142 neg_lo:[1,1,0]
	v_dot4_i32_iu8 v142, v143, v167, v146 neg_lo:[1,1,0]
	s_delay_alu instid0(VALU_DEP_4) | instskip(NEXT) | instid1(VALU_DEP_4)
	v_dot4_i32_iu8 v146, v143, v169, v147 neg_lo:[1,1,0]
	v_dot4_i32_iu8 v0, v143, v171, v0 neg_lo:[1,1,0]
	s_delay_alu instid0(VALU_DEP_4) | instskip(NEXT) | instid1(VALU_DEP_4)
	v_dot4_i32_iu8 v1, v2, v172, v1 neg_lo:[1,1,0]
	v_dot4_i32_iu8 v142, v2, v126, v142 neg_lo:[1,1,0]
	s_delay_alu instid0(VALU_DEP_4) | instskip(NEXT) | instid1(VALU_DEP_4)
	v_dot4_i32_iu8 v143, v2, v174, v146 neg_lo:[1,1,0]
	v_dot4_i32_iu8 v0, v2, v176, v0 neg_lo:[1,1,0]
	ds_load_b128 v[146:149], v120 offset:5136
	v_dot4_i32_iu8 v1, v144, v173, v1 neg_lo:[1,1,0]
	v_dot4_i32_iu8 v2, v144, v127, v142 neg_lo:[1,1,0]
	v_dot4_i32_iu8 v142, v144, v175, v143 neg_lo:[1,1,0]
	v_dot4_i32_iu8 v0, v144, v177, v0 neg_lo:[1,1,0]
	s_delay_alu instid0(VALU_DEP_4) | instskip(NEXT) | instid1(VALU_DEP_4)
	v_dot4_i32_iu8 v143, v3, v178, v1 neg_lo:[1,1,0]
	v_dot4_i32_iu8 v144, v3, v180, v2 neg_lo:[1,1,0]
	s_delay_alu instid0(VALU_DEP_4) | instskip(NEXT) | instid1(VALU_DEP_4)
	v_dot4_i32_iu8 v142, v3, v182, v142 neg_lo:[1,1,0]
	v_dot4_i32_iu8 v192, v3, v184, v0 neg_lo:[1,1,0]
	ds_load_b128 v[0:3], v120 offset:5120
	v_dot4_i32_iu8 v142, v145, v183, v142 neg_lo:[1,1,0]
	s_waitcnt lgkmcnt(0)
	v_dot4_i32_iu8 v150, v0, v23, 0 neg_lo:[1,1,0]
	v_dot4_i32_iu8 v151, v0, v160, 0 neg_lo:[1,1,0]
	v_dot4_i32_iu8 v152, v0, v162, 0 neg_lo:[1,1,0]
	v_dot4_i32_iu8 v0, v0, v164, 0 neg_lo:[1,1,0]
	s_delay_alu instid0(VALU_DEP_4) | instskip(NEXT) | instid1(VALU_DEP_4)
	v_dot4_i32_iu8 v150, v146, v24, v150 neg_lo:[1,1,0]
	v_dot4_i32_iu8 v151, v146, v161, v151 neg_lo:[1,1,0]
	s_delay_alu instid0(VALU_DEP_4) | instskip(NEXT) | instid1(VALU_DEP_4)
	v_dot4_i32_iu8 v152, v146, v163, v152 neg_lo:[1,1,0]
	v_dot4_i32_iu8 v0, v146, v165, v0 neg_lo:[1,1,0]
	s_delay_alu instid0(VALU_DEP_4) | instskip(NEXT) | instid1(VALU_DEP_4)
	v_dot4_i32_iu8 v146, v1, v158, v150 neg_lo:[1,1,0]
	v_dot4_i32_iu8 v150, v1, v166, v151 neg_lo:[1,1,0]
	s_delay_alu instid0(VALU_DEP_4) | instskip(NEXT) | instid1(VALU_DEP_4)
	v_dot4_i32_iu8 v151, v1, v168, v152 neg_lo:[1,1,0]
	v_dot4_i32_iu8 v0, v1, v170, v0 neg_lo:[1,1,0]
	s_delay_alu instid0(VALU_DEP_4) | instskip(NEXT) | instid1(VALU_DEP_4)
	v_dot4_i32_iu8 v1, v147, v159, v146 neg_lo:[1,1,0]
	v_dot4_i32_iu8 v146, v147, v167, v150 neg_lo:[1,1,0]
	s_delay_alu instid0(VALU_DEP_4) | instskip(NEXT) | instid1(VALU_DEP_4)
	v_dot4_i32_iu8 v150, v147, v169, v151 neg_lo:[1,1,0]
	v_dot4_i32_iu8 v0, v147, v171, v0 neg_lo:[1,1,0]
	s_delay_alu instid0(VALU_DEP_4) | instskip(NEXT) | instid1(VALU_DEP_4)
	v_dot4_i32_iu8 v1, v2, v172, v1 neg_lo:[1,1,0]
	v_dot4_i32_iu8 v146, v2, v126, v146 neg_lo:[1,1,0]
	s_delay_alu instid0(VALU_DEP_4) | instskip(NEXT) | instid1(VALU_DEP_4)
	v_dot4_i32_iu8 v147, v2, v174, v150 neg_lo:[1,1,0]
	v_dot4_i32_iu8 v0, v2, v176, v0 neg_lo:[1,1,0]
	ds_load_b128 v[150:153], v120 offset:6160
	v_dot4_i32_iu8 v1, v148, v173, v1 neg_lo:[1,1,0]
	v_dot4_i32_iu8 v2, v148, v127, v146 neg_lo:[1,1,0]
	v_dot4_i32_iu8 v146, v148, v175, v147 neg_lo:[1,1,0]
	v_dot4_i32_iu8 v0, v148, v177, v0 neg_lo:[1,1,0]
	s_delay_alu instid0(VALU_DEP_4) | instskip(NEXT) | instid1(VALU_DEP_4)
	v_dot4_i32_iu8 v147, v3, v178, v1 neg_lo:[1,1,0]
	v_dot4_i32_iu8 v148, v3, v180, v2 neg_lo:[1,1,0]
	s_delay_alu instid0(VALU_DEP_4) | instskip(NEXT) | instid1(VALU_DEP_4)
	v_dot4_i32_iu8 v146, v3, v182, v146 neg_lo:[1,1,0]
	v_dot4_i32_iu8 v193, v3, v184, v0 neg_lo:[1,1,0]
	ds_load_b128 v[0:3], v120 offset:6144
	v_dot4_i32_iu8 v146, v149, v183, v146 neg_lo:[1,1,0]
	s_waitcnt lgkmcnt(0)
	v_dot4_i32_iu8 v154, v0, v23, 0 neg_lo:[1,1,0]
	v_dot4_i32_iu8 v155, v0, v160, 0 neg_lo:[1,1,0]
	;; [unrolled: 1-line block ×4, first 2 shown]
	s_delay_alu instid0(VALU_DEP_4) | instskip(NEXT) | instid1(VALU_DEP_4)
	v_dot4_i32_iu8 v154, v150, v24, v154 neg_lo:[1,1,0]
	v_dot4_i32_iu8 v155, v150, v161, v155 neg_lo:[1,1,0]
	s_delay_alu instid0(VALU_DEP_4) | instskip(NEXT) | instid1(VALU_DEP_4)
	v_dot4_i32_iu8 v156, v150, v163, v156 neg_lo:[1,1,0]
	v_dot4_i32_iu8 v0, v150, v165, v0 neg_lo:[1,1,0]
	;; [unrolled: 3-line block ×8, first 2 shown]
	ds_load_b128 v[154:157], v120 offset:7184
	v_dot4_i32_iu8 v1, v152, v173, v1 neg_lo:[1,1,0]
	v_dot4_i32_iu8 v2, v152, v127, v150 neg_lo:[1,1,0]
	;; [unrolled: 1-line block ×4, first 2 shown]
	s_delay_alu instid0(VALU_DEP_4) | instskip(NEXT) | instid1(VALU_DEP_4)
	v_dot4_i32_iu8 v151, v3, v178, v1 neg_lo:[1,1,0]
	v_dot4_i32_iu8 v152, v3, v180, v2 neg_lo:[1,1,0]
	s_delay_alu instid0(VALU_DEP_4) | instskip(NEXT) | instid1(VALU_DEP_4)
	v_dot4_i32_iu8 v150, v3, v182, v150 neg_lo:[1,1,0]
	v_dot4_i32_iu8 v194, v3, v184, v0 neg_lo:[1,1,0]
	ds_load_b128 v[0:3], v120 offset:7168
	v_add_nc_u32_e32 v120, 32, v120
	v_dot4_i32_iu8 v150, v153, v183, v150 neg_lo:[1,1,0]
	s_waitcnt lgkmcnt(0)
	v_dot4_i32_iu8 v23, v0, v23, 0 neg_lo:[1,1,0]
	s_delay_alu instid0(VALU_DEP_1) | instskip(SKIP_3) | instid1(VALU_DEP_4)
	v_dot4_i32_iu8 v23, v154, v24, v23 neg_lo:[1,1,0]
	v_dot4_i32_iu8 v24, v0, v160, 0 neg_lo:[1,1,0]
	;; [unrolled: 1-line block ×5, first 2 shown]
	s_delay_alu instid0(VALU_DEP_4) | instskip(NEXT) | instid1(VALU_DEP_4)
	v_dot4_i32_iu8 v24, v154, v161, v24 neg_lo:[1,1,0]
	v_dot4_i32_iu8 v160, v154, v163, v160 neg_lo:[1,1,0]
	s_delay_alu instid0(VALU_DEP_4) | instskip(NEXT) | instid1(VALU_DEP_4)
	v_dot4_i32_iu8 v0, v154, v165, v0 neg_lo:[1,1,0]
	v_dot4_i32_iu8 v23, v155, v159, v23 neg_lo:[1,1,0]
	;; [unrolled: 3-line block ×7, first 2 shown]
	s_delay_alu instid0(VALU_DEP_4)
	v_dot4_i32_iu8 v0, v2, v176, v0 neg_lo:[1,1,0]
	v_dot4_i32_iu8 v126, v183, v129, v187 neg_lo:[1,1,0]
	;; [unrolled: 1-line block ×7, first 2 shown]
	s_delay_alu instid0(VALU_DEP_4) | instskip(NEXT) | instid1(VALU_DEP_4)
	v_dot4_i32_iu8 v2, v3, v180, v23 neg_lo:[1,1,0]
	v_dot4_i32_iu8 v23, v3, v182, v24 neg_lo:[1,1,0]
	s_delay_alu instid0(VALU_DEP_4)
	v_dot4_i32_iu8 v0, v3, v184, v0 neg_lo:[1,1,0]
	v_dot4_i32_iu8 v3, v179, v129, v186 neg_lo:[1,1,0]
	;; [unrolled: 1-line block ×25, first 2 shown]
	ds_load_b32 v154, v122
	ds_load_b32 v155, v123
	;; [unrolled: 1-line block ×4, first 2 shown]
	ds_load_2addr_b32 v[0:1], v119 offset1:32
	v_cvt_f32_i32_e32 v3, v3
	v_add_nc_u32_e32 v125, 4, v125
	v_add_nc_u32_e32 v124, 4, v124
	;; [unrolled: 1-line block ×4, first 2 shown]
	s_waitcnt lgkmcnt(0)
	v_mul_f32_e32 v158, v0, v154
	v_mul_f32_e32 v159, v0, v155
	;; [unrolled: 1-line block ×8, first 2 shown]
	ds_load_2addr_b32 v[0:1], v119 offset0:64 offset1:96
	v_fmac_f32_e32 v40, v158, v3
	v_cvt_f32_i32_e32 v3, v128
	s_delay_alu instid0(VALU_DEP_1)
	v_fmac_f32_e32 v68, v162, v3
	v_cvt_f32_i32_e32 v3, v132
	s_waitcnt lgkmcnt(0)
	v_mul_f32_e32 v166, v154, v0
	v_mul_f32_e32 v167, v155, v0
	;; [unrolled: 1-line block ×3, first 2 shown]
	v_dual_mul_f32 v169, v157, v0 :: v_dual_mul_f32 v170, v154, v1
	v_mul_f32_e32 v171, v155, v1
	v_mul_f32_e32 v172, v156, v1
	;; [unrolled: 1-line block ×3, first 2 shown]
	ds_load_2addr_b32 v[0:1], v119 offset0:128 offset1:160
	v_fmac_f32_e32 v64, v166, v3
	v_cvt_f32_i32_e32 v3, v136
	s_delay_alu instid0(VALU_DEP_1)
	v_fmac_f32_e32 v49, v170, v3
	v_cvt_f32_i32_e32 v3, v140
	s_waitcnt lgkmcnt(0)
	v_mul_f32_e32 v174, v154, v0
	v_mul_f32_e32 v175, v155, v0
	;; [unrolled: 1-line block ×3, first 2 shown]
	v_dual_mul_f32 v177, v157, v0 :: v_dual_mul_f32 v178, v154, v1
	v_mul_f32_e32 v179, v155, v1
	v_mul_f32_e32 v180, v156, v1
	;; [unrolled: 1-line block ×3, first 2 shown]
	ds_load_2addr_b32 v[0:1], v119 offset0:192 offset1:224
	v_fmac_f32_e32 v43, v174, v3
	v_cvt_f32_i32_e32 v3, v144
	v_add_nc_u32_e32 v119, 4, v119
	s_delay_alu instid0(VALU_DEP_2)
	v_fmac_f32_e32 v36, v178, v3
	v_cvt_f32_i32_e32 v3, v148
	s_waitcnt lgkmcnt(0)
	v_mul_f32_e32 v182, v154, v0
	v_mul_f32_e32 v183, v155, v0
	;; [unrolled: 1-line block ×5, first 2 shown]
	v_fmac_f32_e32 v32, v182, v3
	v_cvt_f32_i32_e32 v3, v152
	v_mul_f32_e32 v0, v157, v0
	s_delay_alu instid0(VALU_DEP_2) | instskip(SKIP_1) | instid1(VALU_DEP_1)
	v_fmac_f32_e32 v28, v154, v3
	v_cvt_f32_i32_e32 v3, v24
	v_fmac_f32_e32 v77, v159, v3
	v_cvt_f32_i32_e32 v3, v126
	s_delay_alu instid0(VALU_DEP_1) | instskip(SKIP_1) | instid1(VALU_DEP_1)
	v_fmac_f32_e32 v72, v160, v3
	v_cvt_f32_i32_e32 v3, v127
	v_fmac_f32_e32 v70, v161, v3
	v_cvt_f32_i32_e32 v3, v129
	s_delay_alu instid0(VALU_DEP_1) | instskip(SKIP_1) | instid1(VALU_DEP_1)
	;; [unrolled: 5-line block ×5, first 2 shown]
	v_dual_mul_f32 v156, v156, v1 :: v_dual_fmac_f32 v47, v171, v3
	v_cvt_f32_i32_e32 v3, v138
	v_fmac_f32_e32 v45, v172, v3
	v_cvt_f32_i32_e32 v3, v139
	s_delay_alu instid0(VALU_DEP_1) | instskip(SKIP_1) | instid1(VALU_DEP_1)
	v_fmac_f32_e32 v44, v173, v3
	v_cvt_f32_i32_e32 v3, v141
	v_dual_mul_f32 v1, v157, v1 :: v_dual_fmac_f32 v42, v175, v3
	v_cvt_f32_i32_e32 v3, v142
	s_delay_alu instid0(VALU_DEP_1) | instskip(SKIP_1) | instid1(VALU_DEP_1)
	v_fmac_f32_e32 v41, v176, v3
	v_cvt_f32_i32_e32 v3, v143
	v_fmac_f32_e32 v39, v177, v3
	v_cvt_f32_i32_e32 v3, v145
	s_delay_alu instid0(VALU_DEP_1) | instskip(SKIP_1) | instid1(VALU_DEP_1)
	v_fmac_f32_e32 v35, v179, v3
	v_cvt_f32_i32_e32 v3, v146
	v_fmac_f32_e32 v34, v180, v3
	;; [unrolled: 5-line block ×5, first 2 shown]
	v_cvt_f32_i32_e32 v0, v153
	s_delay_alu instid0(VALU_DEP_1)
	v_fmac_f32_e32 v25, v1, v0
	s_cbranch_scc1 .LBB142_7
; %bb.8:                                ;   in Loop: Header=BB142_6 Depth=1
	s_or_b32 s0, s5, 4
	s_delay_alu instid0(SALU_CYCLE_1)
	s_cmp_ge_i32 s0, s4
	s_barrier
	buffer_gl0_inv
	s_cbranch_scc1 .LBB142_5
; %bb.9:                                ;   in Loop: Header=BB142_6 Depth=1
	v_add_nc_u32_e32 v125, s5, v102
	v_add_nc_u32_e32 v118, 4, v118
	s_mov_b32 s0, 12
	s_delay_alu instid0(VALU_DEP_2)
	v_add_nc_u32_e32 v2, v125, v85
	v_add_nc_u32_e32 v23, v125, v87
	;; [unrolled: 1-line block ×5, first 2 shown]
	v_mad_i64_i32 v[0:1], null, v2, 36, v[20:21]
	v_mad_i64_i32 v[2:3], null, v23, 36, v[20:21]
	;; [unrolled: 1-line block ×5, first 2 shown]
	v_add_nc_u32_e32 v127, v125, v95
	v_mad_u64_u32 v[123:124], null, v118, 36, s[2:3]
	v_add_nc_u32_e32 v129, v125, v97
	v_add_nc_u32_e32 v118, v125, v99
	s_delay_alu instid0(VALU_DEP_4) | instskip(NEXT) | instid1(VALU_DEP_3)
	v_mad_i64_i32 v[125:126], null, v127, 36, v[20:21]
	v_mad_i64_i32 v[127:128], null, v129, 36, v[20:21]
	s_delay_alu instid0(VALU_DEP_3)
	v_mad_i64_i32 v[129:130], null, v118, 36, v[20:21]
	s_clause 0x8
	global_load_b32 v131, v[123:124], off
	global_load_b32 v2, v[2:3], off offset:4
	global_load_b32 v3, v[23:24], off offset:4
	;; [unrolled: 1-line block ×8, first 2 shown]
	v_dual_mov_b32 v123, v110 :: v_dual_mov_b32 v118, v108
	v_dual_mov_b32 v119, v107 :: v_dual_mov_b32 v120, v113
	;; [unrolled: 1-line block ×3, first 2 shown]
	v_mov_b32_e32 v124, v109
	s_waitcnt vmcnt(8)
	v_cvt_f32_f16_e64 v1, v131
	s_waitcnt vmcnt(7)
	ds_store_b32 v88, v2
	s_waitcnt vmcnt(6)
	ds_store_b32 v90, v3
	;; [unrolled: 2-line block ×8, first 2 shown]
	ds_store_b32 v84, v1
	s_waitcnt lgkmcnt(0)
	s_barrier
	buffer_gl0_inv
.LBB142_10:                             ;   Parent Loop BB142_6 Depth=1
                                        ; =>  This Inner Loop Header: Depth=2
	ds_load_2addr_b32 v[23:24], v120 offset1:1
	ds_load_b128 v[0:3], v119
	ds_load_b128 v[125:128], v119 offset:16
	ds_load_2addr_b32 v[157:158], v120 offset0:2 offset1:3
	v_add_nc_u32_e32 v130, 0x2080, v120
	v_add_nc_u32_e32 v131, 0x4100, v120
	;; [unrolled: 1-line block ×3, first 2 shown]
	ds_load_2addr_b32 v[171:172], v120 offset0:4 offset1:5
	ds_load_2addr_b32 v[177:178], v120 offset0:6 offset1:7
	ds_load_2addr_b32 v[159:160], v130 offset1:1
	ds_load_2addr_b32 v[161:162], v131 offset1:1
	;; [unrolled: 1-line block ×3, first 2 shown]
	s_add_i32 s0, s0, 4
	s_delay_alu instid0(SALU_CYCLE_1) | instskip(SKIP_3) | instid1(VALU_DEP_1)
	s_cmp_lt_u32 s0, 28
	s_waitcnt lgkmcnt(7)
	v_dot4_i32_iu8 v129, v23, v0, 0 neg_lo:[1,1,0]
	s_waitcnt lgkmcnt(6)
	v_dot4_i32_iu8 v129, v24, v125, v129 neg_lo:[1,1,0]
	s_waitcnt lgkmcnt(2)
	v_dot4_i32_iu8 v130, v159, v0, 0 neg_lo:[1,1,0]
	s_waitcnt lgkmcnt(1)
	v_dot4_i32_iu8 v131, v161, v0, 0 neg_lo:[1,1,0]
	v_dot4_i32_iu8 v129, v157, v1, v129 neg_lo:[1,1,0]
	s_waitcnt lgkmcnt(0)
	v_dot4_i32_iu8 v0, v163, v0, 0 neg_lo:[1,1,0]
	v_dot4_i32_iu8 v130, v160, v125, v130 neg_lo:[1,1,0]
	;; [unrolled: 1-line block ×3, first 2 shown]
	s_delay_alu instid0(VALU_DEP_3)
	v_dot4_i32_iu8 v0, v164, v125, v0 neg_lo:[1,1,0]
	v_dot4_i32_iu8 v125, v158, v126, v129 neg_lo:[1,1,0]
	v_add_nc_u32_e32 v129, 0x2088, v120
	ds_load_2addr_b32 v[165:166], v129 offset1:1
	s_waitcnt lgkmcnt(0)
	v_dot4_i32_iu8 v129, v165, v1, v130 neg_lo:[1,1,0]
	v_add_nc_u32_e32 v130, 0x4108, v120
	s_delay_alu instid0(VALU_DEP_2) | instskip(SKIP_4) | instid1(VALU_DEP_2)
	v_dot4_i32_iu8 v129, v166, v126, v129 neg_lo:[1,1,0]
	ds_load_2addr_b32 v[167:168], v130 offset1:1
	s_waitcnt lgkmcnt(0)
	v_dot4_i32_iu8 v130, v167, v1, v131 neg_lo:[1,1,0]
	v_add_nc_u32_e32 v131, 0x6188, v120
	v_dot4_i32_iu8 v130, v168, v126, v130 neg_lo:[1,1,0]
	ds_load_2addr_b32 v[169:170], v131 offset1:1
	v_add_nc_u32_e32 v131, 0x4110, v120
	ds_load_2addr_b32 v[173:174], v131 offset1:1
	v_add_nc_u32_e32 v131, 0x6190, v120
	ds_load_2addr_b32 v[175:176], v131 offset1:1
	s_waitcnt lgkmcnt(2)
	v_dot4_i32_iu8 v0, v169, v1, v0 neg_lo:[1,1,0]
	v_dot4_i32_iu8 v1, v171, v2, v125 neg_lo:[1,1,0]
	v_add_nc_u32_e32 v125, 0x2090, v120
	s_delay_alu instid0(VALU_DEP_3) | instskip(NEXT) | instid1(VALU_DEP_3)
	v_dot4_i32_iu8 v0, v170, v126, v0 neg_lo:[1,1,0]
	v_dot4_i32_iu8 v1, v172, v127, v1 neg_lo:[1,1,0]
	ds_load_2addr_b32 v[125:126], v125 offset1:1
	s_waitcnt lgkmcnt(2)
	v_dot4_i32_iu8 v130, v173, v2, v130 neg_lo:[1,1,0]
	v_dot4_i32_iu8 v185, v177, v3, v1 neg_lo:[1,1,0]
	s_waitcnt lgkmcnt(1)
	v_dot4_i32_iu8 v0, v175, v2, v0 neg_lo:[1,1,0]
	s_delay_alu instid0(VALU_DEP_1) | instskip(SKIP_3) | instid1(VALU_DEP_2)
	v_dot4_i32_iu8 v0, v176, v127, v0 neg_lo:[1,1,0]
	s_waitcnt lgkmcnt(0)
	v_dot4_i32_iu8 v129, v125, v2, v129 neg_lo:[1,1,0]
	v_dot4_i32_iu8 v2, v174, v127, v130 neg_lo:[1,1,0]
	;; [unrolled: 1-line block ×3, first 2 shown]
	v_add_nc_u32_e32 v127, 0x2098, v120
	ds_load_b128 v[129:132], v119 offset:1040
	ds_load_2addr_b32 v[179:180], v127 offset1:1
	s_waitcnt lgkmcnt(0)
	v_dot4_i32_iu8 v127, v179, v3, v1 neg_lo:[1,1,0]
	v_add_nc_u32_e32 v1, 0x4118, v120
	ds_load_2addr_b32 v[181:182], v1 offset1:1
	v_add_nc_u32_e32 v1, 0x6198, v120
	v_add_nc_u32_e32 v120, 32, v120
	ds_load_2addr_b32 v[183:184], v1 offset1:1
	s_waitcnt lgkmcnt(1)
	v_dot4_i32_iu8 v186, v181, v3, v2 neg_lo:[1,1,0]
	s_waitcnt lgkmcnt(0)
	v_dot4_i32_iu8 v187, v183, v3, v0 neg_lo:[1,1,0]
	ds_load_b128 v[0:3], v119 offset:1024
	s_waitcnt lgkmcnt(0)
	v_dot4_i32_iu8 v133, v0, v23, 0 neg_lo:[1,1,0]
	v_dot4_i32_iu8 v134, v0, v159, 0 neg_lo:[1,1,0]
	v_dot4_i32_iu8 v135, v0, v161, 0 neg_lo:[1,1,0]
	v_dot4_i32_iu8 v0, v0, v163, 0 neg_lo:[1,1,0]
	s_delay_alu instid0(VALU_DEP_4) | instskip(NEXT) | instid1(VALU_DEP_4)
	v_dot4_i32_iu8 v133, v129, v24, v133 neg_lo:[1,1,0]
	v_dot4_i32_iu8 v134, v129, v160, v134 neg_lo:[1,1,0]
	s_delay_alu instid0(VALU_DEP_4) | instskip(NEXT) | instid1(VALU_DEP_4)
	v_dot4_i32_iu8 v135, v129, v162, v135 neg_lo:[1,1,0]
	v_dot4_i32_iu8 v0, v129, v164, v0 neg_lo:[1,1,0]
	s_delay_alu instid0(VALU_DEP_4) | instskip(NEXT) | instid1(VALU_DEP_4)
	v_dot4_i32_iu8 v129, v1, v157, v133 neg_lo:[1,1,0]
	v_dot4_i32_iu8 v133, v1, v165, v134 neg_lo:[1,1,0]
	s_delay_alu instid0(VALU_DEP_4) | instskip(NEXT) | instid1(VALU_DEP_4)
	v_dot4_i32_iu8 v134, v1, v167, v135 neg_lo:[1,1,0]
	v_dot4_i32_iu8 v0, v1, v169, v0 neg_lo:[1,1,0]
	s_delay_alu instid0(VALU_DEP_4) | instskip(NEXT) | instid1(VALU_DEP_4)
	v_dot4_i32_iu8 v1, v130, v158, v129 neg_lo:[1,1,0]
	v_dot4_i32_iu8 v129, v130, v166, v133 neg_lo:[1,1,0]
	s_delay_alu instid0(VALU_DEP_4) | instskip(NEXT) | instid1(VALU_DEP_4)
	v_dot4_i32_iu8 v133, v130, v168, v134 neg_lo:[1,1,0]
	v_dot4_i32_iu8 v0, v130, v170, v0 neg_lo:[1,1,0]
	s_delay_alu instid0(VALU_DEP_4) | instskip(NEXT) | instid1(VALU_DEP_4)
	v_dot4_i32_iu8 v1, v2, v171, v1 neg_lo:[1,1,0]
	v_dot4_i32_iu8 v129, v2, v125, v129 neg_lo:[1,1,0]
	s_delay_alu instid0(VALU_DEP_4) | instskip(NEXT) | instid1(VALU_DEP_4)
	v_dot4_i32_iu8 v130, v2, v173, v133 neg_lo:[1,1,0]
	v_dot4_i32_iu8 v0, v2, v175, v0 neg_lo:[1,1,0]
	ds_load_b128 v[133:136], v119 offset:2064
	v_dot4_i32_iu8 v1, v131, v172, v1 neg_lo:[1,1,0]
	v_dot4_i32_iu8 v2, v131, v126, v129 neg_lo:[1,1,0]
	v_dot4_i32_iu8 v129, v131, v174, v130 neg_lo:[1,1,0]
	v_dot4_i32_iu8 v0, v131, v176, v0 neg_lo:[1,1,0]
	s_delay_alu instid0(VALU_DEP_4) | instskip(NEXT) | instid1(VALU_DEP_4)
	v_dot4_i32_iu8 v130, v3, v177, v1 neg_lo:[1,1,0]
	v_dot4_i32_iu8 v131, v3, v179, v2 neg_lo:[1,1,0]
	s_delay_alu instid0(VALU_DEP_4) | instskip(NEXT) | instid1(VALU_DEP_4)
	v_dot4_i32_iu8 v129, v3, v181, v129 neg_lo:[1,1,0]
	v_dot4_i32_iu8 v188, v3, v183, v0 neg_lo:[1,1,0]
	ds_load_b128 v[0:3], v119 offset:2048
	v_dot4_i32_iu8 v129, v132, v182, v129 neg_lo:[1,1,0]
	s_waitcnt lgkmcnt(0)
	v_dot4_i32_iu8 v137, v0, v23, 0 neg_lo:[1,1,0]
	v_dot4_i32_iu8 v138, v0, v159, 0 neg_lo:[1,1,0]
	v_dot4_i32_iu8 v139, v0, v161, 0 neg_lo:[1,1,0]
	v_dot4_i32_iu8 v0, v0, v163, 0 neg_lo:[1,1,0]
	s_delay_alu instid0(VALU_DEP_4) | instskip(NEXT) | instid1(VALU_DEP_4)
	v_dot4_i32_iu8 v137, v133, v24, v137 neg_lo:[1,1,0]
	v_dot4_i32_iu8 v138, v133, v160, v138 neg_lo:[1,1,0]
	s_delay_alu instid0(VALU_DEP_4) | instskip(NEXT) | instid1(VALU_DEP_4)
	v_dot4_i32_iu8 v139, v133, v162, v139 neg_lo:[1,1,0]
	v_dot4_i32_iu8 v0, v133, v164, v0 neg_lo:[1,1,0]
	s_delay_alu instid0(VALU_DEP_4) | instskip(NEXT) | instid1(VALU_DEP_4)
	v_dot4_i32_iu8 v133, v1, v157, v137 neg_lo:[1,1,0]
	v_dot4_i32_iu8 v137, v1, v165, v138 neg_lo:[1,1,0]
	s_delay_alu instid0(VALU_DEP_4) | instskip(NEXT) | instid1(VALU_DEP_4)
	v_dot4_i32_iu8 v138, v1, v167, v139 neg_lo:[1,1,0]
	v_dot4_i32_iu8 v0, v1, v169, v0 neg_lo:[1,1,0]
	s_delay_alu instid0(VALU_DEP_4) | instskip(NEXT) | instid1(VALU_DEP_4)
	v_dot4_i32_iu8 v1, v134, v158, v133 neg_lo:[1,1,0]
	v_dot4_i32_iu8 v133, v134, v166, v137 neg_lo:[1,1,0]
	s_delay_alu instid0(VALU_DEP_4) | instskip(NEXT) | instid1(VALU_DEP_4)
	v_dot4_i32_iu8 v137, v134, v168, v138 neg_lo:[1,1,0]
	v_dot4_i32_iu8 v0, v134, v170, v0 neg_lo:[1,1,0]
	s_delay_alu instid0(VALU_DEP_4) | instskip(NEXT) | instid1(VALU_DEP_4)
	v_dot4_i32_iu8 v1, v2, v171, v1 neg_lo:[1,1,0]
	v_dot4_i32_iu8 v133, v2, v125, v133 neg_lo:[1,1,0]
	s_delay_alu instid0(VALU_DEP_4) | instskip(NEXT) | instid1(VALU_DEP_4)
	v_dot4_i32_iu8 v134, v2, v173, v137 neg_lo:[1,1,0]
	v_dot4_i32_iu8 v0, v2, v175, v0 neg_lo:[1,1,0]
	ds_load_b128 v[137:140], v119 offset:3088
	v_dot4_i32_iu8 v1, v135, v172, v1 neg_lo:[1,1,0]
	v_dot4_i32_iu8 v2, v135, v126, v133 neg_lo:[1,1,0]
	v_dot4_i32_iu8 v133, v135, v174, v134 neg_lo:[1,1,0]
	v_dot4_i32_iu8 v0, v135, v176, v0 neg_lo:[1,1,0]
	s_delay_alu instid0(VALU_DEP_4) | instskip(NEXT) | instid1(VALU_DEP_4)
	v_dot4_i32_iu8 v134, v3, v177, v1 neg_lo:[1,1,0]
	v_dot4_i32_iu8 v135, v3, v179, v2 neg_lo:[1,1,0]
	s_delay_alu instid0(VALU_DEP_4) | instskip(NEXT) | instid1(VALU_DEP_4)
	v_dot4_i32_iu8 v133, v3, v181, v133 neg_lo:[1,1,0]
	v_dot4_i32_iu8 v189, v3, v183, v0 neg_lo:[1,1,0]
	ds_load_b128 v[0:3], v119 offset:3072
	v_dot4_i32_iu8 v133, v136, v182, v133 neg_lo:[1,1,0]
	s_waitcnt lgkmcnt(0)
	v_dot4_i32_iu8 v141, v0, v23, 0 neg_lo:[1,1,0]
	v_dot4_i32_iu8 v142, v0, v159, 0 neg_lo:[1,1,0]
	v_dot4_i32_iu8 v143, v0, v161, 0 neg_lo:[1,1,0]
	v_dot4_i32_iu8 v0, v0, v163, 0 neg_lo:[1,1,0]
	s_delay_alu instid0(VALU_DEP_4) | instskip(NEXT) | instid1(VALU_DEP_4)
	v_dot4_i32_iu8 v141, v137, v24, v141 neg_lo:[1,1,0]
	v_dot4_i32_iu8 v142, v137, v160, v142 neg_lo:[1,1,0]
	s_delay_alu instid0(VALU_DEP_4) | instskip(NEXT) | instid1(VALU_DEP_4)
	v_dot4_i32_iu8 v143, v137, v162, v143 neg_lo:[1,1,0]
	v_dot4_i32_iu8 v0, v137, v164, v0 neg_lo:[1,1,0]
	s_delay_alu instid0(VALU_DEP_4) | instskip(NEXT) | instid1(VALU_DEP_4)
	v_dot4_i32_iu8 v137, v1, v157, v141 neg_lo:[1,1,0]
	v_dot4_i32_iu8 v141, v1, v165, v142 neg_lo:[1,1,0]
	s_delay_alu instid0(VALU_DEP_4) | instskip(NEXT) | instid1(VALU_DEP_4)
	v_dot4_i32_iu8 v142, v1, v167, v143 neg_lo:[1,1,0]
	v_dot4_i32_iu8 v0, v1, v169, v0 neg_lo:[1,1,0]
	s_delay_alu instid0(VALU_DEP_4) | instskip(NEXT) | instid1(VALU_DEP_4)
	v_dot4_i32_iu8 v1, v138, v158, v137 neg_lo:[1,1,0]
	v_dot4_i32_iu8 v137, v138, v166, v141 neg_lo:[1,1,0]
	s_delay_alu instid0(VALU_DEP_4) | instskip(NEXT) | instid1(VALU_DEP_4)
	v_dot4_i32_iu8 v141, v138, v168, v142 neg_lo:[1,1,0]
	v_dot4_i32_iu8 v0, v138, v170, v0 neg_lo:[1,1,0]
	s_delay_alu instid0(VALU_DEP_4) | instskip(NEXT) | instid1(VALU_DEP_4)
	v_dot4_i32_iu8 v1, v2, v171, v1 neg_lo:[1,1,0]
	v_dot4_i32_iu8 v137, v2, v125, v137 neg_lo:[1,1,0]
	s_delay_alu instid0(VALU_DEP_4) | instskip(NEXT) | instid1(VALU_DEP_4)
	v_dot4_i32_iu8 v138, v2, v173, v141 neg_lo:[1,1,0]
	v_dot4_i32_iu8 v0, v2, v175, v0 neg_lo:[1,1,0]
	ds_load_b128 v[141:144], v119 offset:4112
	v_dot4_i32_iu8 v1, v139, v172, v1 neg_lo:[1,1,0]
	v_dot4_i32_iu8 v2, v139, v126, v137 neg_lo:[1,1,0]
	v_dot4_i32_iu8 v137, v139, v174, v138 neg_lo:[1,1,0]
	v_dot4_i32_iu8 v0, v139, v176, v0 neg_lo:[1,1,0]
	s_delay_alu instid0(VALU_DEP_4) | instskip(NEXT) | instid1(VALU_DEP_4)
	v_dot4_i32_iu8 v138, v3, v177, v1 neg_lo:[1,1,0]
	v_dot4_i32_iu8 v139, v3, v179, v2 neg_lo:[1,1,0]
	s_delay_alu instid0(VALU_DEP_4) | instskip(NEXT) | instid1(VALU_DEP_4)
	v_dot4_i32_iu8 v137, v3, v181, v137 neg_lo:[1,1,0]
	v_dot4_i32_iu8 v190, v3, v183, v0 neg_lo:[1,1,0]
	ds_load_b128 v[0:3], v119 offset:4096
	v_dot4_i32_iu8 v137, v140, v182, v137 neg_lo:[1,1,0]
	s_waitcnt lgkmcnt(0)
	v_dot4_i32_iu8 v145, v0, v23, 0 neg_lo:[1,1,0]
	v_dot4_i32_iu8 v146, v0, v159, 0 neg_lo:[1,1,0]
	v_dot4_i32_iu8 v147, v0, v161, 0 neg_lo:[1,1,0]
	v_dot4_i32_iu8 v0, v0, v163, 0 neg_lo:[1,1,0]
	s_delay_alu instid0(VALU_DEP_4) | instskip(NEXT) | instid1(VALU_DEP_4)
	v_dot4_i32_iu8 v145, v141, v24, v145 neg_lo:[1,1,0]
	v_dot4_i32_iu8 v146, v141, v160, v146 neg_lo:[1,1,0]
	s_delay_alu instid0(VALU_DEP_4) | instskip(NEXT) | instid1(VALU_DEP_4)
	v_dot4_i32_iu8 v147, v141, v162, v147 neg_lo:[1,1,0]
	v_dot4_i32_iu8 v0, v141, v164, v0 neg_lo:[1,1,0]
	s_delay_alu instid0(VALU_DEP_4) | instskip(NEXT) | instid1(VALU_DEP_4)
	v_dot4_i32_iu8 v141, v1, v157, v145 neg_lo:[1,1,0]
	v_dot4_i32_iu8 v145, v1, v165, v146 neg_lo:[1,1,0]
	s_delay_alu instid0(VALU_DEP_4) | instskip(NEXT) | instid1(VALU_DEP_4)
	v_dot4_i32_iu8 v146, v1, v167, v147 neg_lo:[1,1,0]
	v_dot4_i32_iu8 v0, v1, v169, v0 neg_lo:[1,1,0]
	s_delay_alu instid0(VALU_DEP_4) | instskip(NEXT) | instid1(VALU_DEP_4)
	v_dot4_i32_iu8 v1, v142, v158, v141 neg_lo:[1,1,0]
	v_dot4_i32_iu8 v141, v142, v166, v145 neg_lo:[1,1,0]
	s_delay_alu instid0(VALU_DEP_4) | instskip(NEXT) | instid1(VALU_DEP_4)
	v_dot4_i32_iu8 v145, v142, v168, v146 neg_lo:[1,1,0]
	v_dot4_i32_iu8 v0, v142, v170, v0 neg_lo:[1,1,0]
	s_delay_alu instid0(VALU_DEP_4) | instskip(NEXT) | instid1(VALU_DEP_4)
	v_dot4_i32_iu8 v1, v2, v171, v1 neg_lo:[1,1,0]
	v_dot4_i32_iu8 v141, v2, v125, v141 neg_lo:[1,1,0]
	s_delay_alu instid0(VALU_DEP_4) | instskip(NEXT) | instid1(VALU_DEP_4)
	v_dot4_i32_iu8 v142, v2, v173, v145 neg_lo:[1,1,0]
	v_dot4_i32_iu8 v0, v2, v175, v0 neg_lo:[1,1,0]
	ds_load_b128 v[145:148], v119 offset:5136
	v_dot4_i32_iu8 v1, v143, v172, v1 neg_lo:[1,1,0]
	v_dot4_i32_iu8 v2, v143, v126, v141 neg_lo:[1,1,0]
	v_dot4_i32_iu8 v141, v143, v174, v142 neg_lo:[1,1,0]
	v_dot4_i32_iu8 v0, v143, v176, v0 neg_lo:[1,1,0]
	s_delay_alu instid0(VALU_DEP_4) | instskip(NEXT) | instid1(VALU_DEP_4)
	v_dot4_i32_iu8 v142, v3, v177, v1 neg_lo:[1,1,0]
	v_dot4_i32_iu8 v143, v3, v179, v2 neg_lo:[1,1,0]
	s_delay_alu instid0(VALU_DEP_4) | instskip(NEXT) | instid1(VALU_DEP_4)
	v_dot4_i32_iu8 v141, v3, v181, v141 neg_lo:[1,1,0]
	v_dot4_i32_iu8 v191, v3, v183, v0 neg_lo:[1,1,0]
	ds_load_b128 v[0:3], v119 offset:5120
	v_dot4_i32_iu8 v141, v144, v182, v141 neg_lo:[1,1,0]
	s_waitcnt lgkmcnt(0)
	v_dot4_i32_iu8 v149, v0, v23, 0 neg_lo:[1,1,0]
	v_dot4_i32_iu8 v150, v0, v159, 0 neg_lo:[1,1,0]
	v_dot4_i32_iu8 v151, v0, v161, 0 neg_lo:[1,1,0]
	v_dot4_i32_iu8 v0, v0, v163, 0 neg_lo:[1,1,0]
	s_delay_alu instid0(VALU_DEP_4) | instskip(NEXT) | instid1(VALU_DEP_4)
	v_dot4_i32_iu8 v149, v145, v24, v149 neg_lo:[1,1,0]
	v_dot4_i32_iu8 v150, v145, v160, v150 neg_lo:[1,1,0]
	s_delay_alu instid0(VALU_DEP_4) | instskip(NEXT) | instid1(VALU_DEP_4)
	v_dot4_i32_iu8 v151, v145, v162, v151 neg_lo:[1,1,0]
	v_dot4_i32_iu8 v0, v145, v164, v0 neg_lo:[1,1,0]
	s_delay_alu instid0(VALU_DEP_4) | instskip(NEXT) | instid1(VALU_DEP_4)
	v_dot4_i32_iu8 v145, v1, v157, v149 neg_lo:[1,1,0]
	v_dot4_i32_iu8 v149, v1, v165, v150 neg_lo:[1,1,0]
	s_delay_alu instid0(VALU_DEP_4) | instskip(NEXT) | instid1(VALU_DEP_4)
	v_dot4_i32_iu8 v150, v1, v167, v151 neg_lo:[1,1,0]
	v_dot4_i32_iu8 v0, v1, v169, v0 neg_lo:[1,1,0]
	s_delay_alu instid0(VALU_DEP_4) | instskip(NEXT) | instid1(VALU_DEP_4)
	v_dot4_i32_iu8 v1, v146, v158, v145 neg_lo:[1,1,0]
	v_dot4_i32_iu8 v145, v146, v166, v149 neg_lo:[1,1,0]
	s_delay_alu instid0(VALU_DEP_4) | instskip(NEXT) | instid1(VALU_DEP_4)
	v_dot4_i32_iu8 v149, v146, v168, v150 neg_lo:[1,1,0]
	v_dot4_i32_iu8 v0, v146, v170, v0 neg_lo:[1,1,0]
	s_delay_alu instid0(VALU_DEP_4) | instskip(NEXT) | instid1(VALU_DEP_4)
	v_dot4_i32_iu8 v1, v2, v171, v1 neg_lo:[1,1,0]
	v_dot4_i32_iu8 v145, v2, v125, v145 neg_lo:[1,1,0]
	s_delay_alu instid0(VALU_DEP_4) | instskip(NEXT) | instid1(VALU_DEP_4)
	v_dot4_i32_iu8 v146, v2, v173, v149 neg_lo:[1,1,0]
	v_dot4_i32_iu8 v0, v2, v175, v0 neg_lo:[1,1,0]
	ds_load_b128 v[149:152], v119 offset:6160
	v_dot4_i32_iu8 v1, v147, v172, v1 neg_lo:[1,1,0]
	v_dot4_i32_iu8 v2, v147, v126, v145 neg_lo:[1,1,0]
	v_dot4_i32_iu8 v145, v147, v174, v146 neg_lo:[1,1,0]
	v_dot4_i32_iu8 v0, v147, v176, v0 neg_lo:[1,1,0]
	s_delay_alu instid0(VALU_DEP_4) | instskip(NEXT) | instid1(VALU_DEP_4)
	v_dot4_i32_iu8 v146, v3, v177, v1 neg_lo:[1,1,0]
	v_dot4_i32_iu8 v147, v3, v179, v2 neg_lo:[1,1,0]
	s_delay_alu instid0(VALU_DEP_4) | instskip(NEXT) | instid1(VALU_DEP_4)
	v_dot4_i32_iu8 v145, v3, v181, v145 neg_lo:[1,1,0]
	v_dot4_i32_iu8 v192, v3, v183, v0 neg_lo:[1,1,0]
	ds_load_b128 v[0:3], v119 offset:6144
	v_dot4_i32_iu8 v145, v148, v182, v145 neg_lo:[1,1,0]
	s_waitcnt lgkmcnt(0)
	v_dot4_i32_iu8 v153, v0, v23, 0 neg_lo:[1,1,0]
	v_dot4_i32_iu8 v154, v0, v159, 0 neg_lo:[1,1,0]
	;; [unrolled: 1-line block ×4, first 2 shown]
	s_delay_alu instid0(VALU_DEP_4) | instskip(NEXT) | instid1(VALU_DEP_4)
	v_dot4_i32_iu8 v153, v149, v24, v153 neg_lo:[1,1,0]
	v_dot4_i32_iu8 v154, v149, v160, v154 neg_lo:[1,1,0]
	s_delay_alu instid0(VALU_DEP_4) | instskip(NEXT) | instid1(VALU_DEP_4)
	v_dot4_i32_iu8 v155, v149, v162, v155 neg_lo:[1,1,0]
	v_dot4_i32_iu8 v0, v149, v164, v0 neg_lo:[1,1,0]
	;; [unrolled: 3-line block ×8, first 2 shown]
	ds_load_b128 v[153:156], v119 offset:7184
	v_dot4_i32_iu8 v1, v151, v172, v1 neg_lo:[1,1,0]
	v_dot4_i32_iu8 v2, v151, v126, v149 neg_lo:[1,1,0]
	;; [unrolled: 1-line block ×4, first 2 shown]
	s_delay_alu instid0(VALU_DEP_4) | instskip(NEXT) | instid1(VALU_DEP_4)
	v_dot4_i32_iu8 v150, v3, v177, v1 neg_lo:[1,1,0]
	v_dot4_i32_iu8 v151, v3, v179, v2 neg_lo:[1,1,0]
	s_delay_alu instid0(VALU_DEP_4) | instskip(NEXT) | instid1(VALU_DEP_4)
	v_dot4_i32_iu8 v149, v3, v181, v149 neg_lo:[1,1,0]
	v_dot4_i32_iu8 v193, v3, v183, v0 neg_lo:[1,1,0]
	ds_load_b128 v[0:3], v119 offset:7168
	v_add_nc_u32_e32 v119, 32, v119
	v_dot4_i32_iu8 v149, v152, v182, v149 neg_lo:[1,1,0]
	s_waitcnt lgkmcnt(0)
	v_dot4_i32_iu8 v23, v0, v23, 0 neg_lo:[1,1,0]
	s_delay_alu instid0(VALU_DEP_1) | instskip(SKIP_3) | instid1(VALU_DEP_4)
	v_dot4_i32_iu8 v23, v153, v24, v23 neg_lo:[1,1,0]
	v_dot4_i32_iu8 v24, v0, v159, 0 neg_lo:[1,1,0]
	;; [unrolled: 1-line block ×5, first 2 shown]
	s_delay_alu instid0(VALU_DEP_4) | instskip(NEXT) | instid1(VALU_DEP_4)
	v_dot4_i32_iu8 v24, v153, v160, v24 neg_lo:[1,1,0]
	v_dot4_i32_iu8 v159, v153, v162, v159 neg_lo:[1,1,0]
	s_delay_alu instid0(VALU_DEP_4) | instskip(NEXT) | instid1(VALU_DEP_4)
	v_dot4_i32_iu8 v0, v153, v164, v0 neg_lo:[1,1,0]
	v_dot4_i32_iu8 v23, v154, v158, v23 neg_lo:[1,1,0]
	s_delay_alu instid0(VALU_DEP_4) | instskip(NEXT) | instid1(VALU_DEP_4)
	v_dot4_i32_iu8 v24, v1, v165, v24 neg_lo:[1,1,0]
	v_dot4_i32_iu8 v153, v1, v167, v159 neg_lo:[1,1,0]
	s_delay_alu instid0(VALU_DEP_4) | instskip(NEXT) | instid1(VALU_DEP_4)
	v_dot4_i32_iu8 v0, v1, v169, v0 neg_lo:[1,1,0]
	v_dot4_i32_iu8 v1, v2, v171, v23 neg_lo:[1,1,0]
	s_delay_alu instid0(VALU_DEP_4) | instskip(NEXT) | instid1(VALU_DEP_4)
	v_dot4_i32_iu8 v24, v154, v166, v24 neg_lo:[1,1,0]
	v_dot4_i32_iu8 v153, v154, v168, v153 neg_lo:[1,1,0]
	s_delay_alu instid0(VALU_DEP_4) | instskip(NEXT) | instid1(VALU_DEP_4)
	v_dot4_i32_iu8 v0, v154, v170, v0 neg_lo:[1,1,0]
	v_dot4_i32_iu8 v1, v155, v172, v1 neg_lo:[1,1,0]
	s_delay_alu instid0(VALU_DEP_4) | instskip(NEXT) | instid1(VALU_DEP_4)
	v_dot4_i32_iu8 v23, v2, v125, v24 neg_lo:[1,1,0]
	v_dot4_i32_iu8 v24, v2, v173, v153 neg_lo:[1,1,0]
	s_delay_alu instid0(VALU_DEP_4)
	v_dot4_i32_iu8 v0, v2, v175, v0 neg_lo:[1,1,0]
	v_dot4_i32_iu8 v125, v182, v128, v186 neg_lo:[1,1,0]
	;; [unrolled: 1-line block ×7, first 2 shown]
	s_delay_alu instid0(VALU_DEP_4) | instskip(NEXT) | instid1(VALU_DEP_4)
	v_dot4_i32_iu8 v2, v3, v179, v23 neg_lo:[1,1,0]
	v_dot4_i32_iu8 v23, v3, v181, v24 neg_lo:[1,1,0]
	s_delay_alu instid0(VALU_DEP_4)
	v_dot4_i32_iu8 v0, v3, v183, v0 neg_lo:[1,1,0]
	v_dot4_i32_iu8 v3, v178, v128, v185 neg_lo:[1,1,0]
	;; [unrolled: 1-line block ×25, first 2 shown]
	ds_load_b32 v153, v121
	ds_load_b32 v154, v122
	;; [unrolled: 1-line block ×4, first 2 shown]
	ds_load_2addr_b32 v[0:1], v118 offset1:32
	v_cvt_f32_i32_e32 v3, v3
	v_add_nc_u32_e32 v124, 4, v124
	v_add_nc_u32_e32 v123, 4, v123
	v_add_nc_u32_e32 v122, 4, v122
	v_add_nc_u32_e32 v121, 4, v121
	s_waitcnt lgkmcnt(0)
	v_mul_f32_e32 v157, v0, v153
	v_mul_f32_e32 v158, v0, v154
	;; [unrolled: 1-line block ×3, first 2 shown]
	v_dual_mul_f32 v160, v0, v156 :: v_dual_mul_f32 v163, v155, v1
	v_mul_f32_e32 v161, v153, v1
	v_mul_f32_e32 v162, v154, v1
	;; [unrolled: 1-line block ×3, first 2 shown]
	ds_load_2addr_b32 v[0:1], v118 offset0:64 offset1:96
	v_fmac_f32_e32 v40, v157, v3
	v_cvt_f32_i32_e32 v3, v127
	s_delay_alu instid0(VALU_DEP_1)
	v_fmac_f32_e32 v68, v161, v3
	v_cvt_f32_i32_e32 v3, v131
	s_waitcnt lgkmcnt(0)
	v_mul_f32_e32 v165, v153, v0
	v_dual_mul_f32 v166, v154, v0 :: v_dual_mul_f32 v169, v153, v1
	v_mul_f32_e32 v167, v155, v0
	v_dual_mul_f32 v168, v156, v0 :: v_dual_mul_f32 v171, v155, v1
	v_mul_f32_e32 v170, v154, v1
	v_mul_f32_e32 v172, v156, v1
	ds_load_2addr_b32 v[0:1], v118 offset0:128 offset1:160
	s_waitcnt lgkmcnt(0)
	v_mul_f32_e32 v173, v153, v0
	v_dual_mul_f32 v174, v154, v0 :: v_dual_mul_f32 v177, v153, v1
	v_mul_f32_e32 v175, v155, v0
	v_dual_mul_f32 v176, v156, v0 :: v_dual_mul_f32 v179, v155, v1
	v_mul_f32_e32 v178, v154, v1
	v_mul_f32_e32 v180, v156, v1
	ds_load_2addr_b32 v[0:1], v118 offset0:192 offset1:224
	s_waitcnt lgkmcnt(0)
	v_dual_mul_f32 v181, v153, v0 :: v_dual_add_nc_u32 v118, 4, v118
	v_dual_mul_f32 v153, v153, v1 :: v_dual_mul_f32 v182, v154, v0
	v_mul_f32_e32 v154, v154, v1
	v_fmac_f32_e32 v64, v165, v3
	v_cvt_f32_i32_e32 v3, v135
	s_delay_alu instid0(VALU_DEP_1) | instskip(SKIP_1) | instid1(VALU_DEP_1)
	v_fmac_f32_e32 v49, v169, v3
	v_cvt_f32_i32_e32 v3, v139
	v_fmac_f32_e32 v43, v173, v3
	v_cvt_f32_i32_e32 v3, v143
	s_delay_alu instid0(VALU_DEP_1) | instskip(SKIP_3) | instid1(VALU_DEP_3)
	v_fmac_f32_e32 v36, v177, v3
	v_cvt_f32_i32_e32 v3, v147
	v_mul_f32_e32 v183, v155, v0
	v_dual_mul_f32 v155, v155, v1 :: v_dual_mul_f32 v0, v156, v0
	v_fmac_f32_e32 v32, v181, v3
	v_cvt_f32_i32_e32 v3, v151
	s_delay_alu instid0(VALU_DEP_1) | instskip(SKIP_1) | instid1(VALU_DEP_1)
	v_dual_mul_f32 v1, v156, v1 :: v_dual_fmac_f32 v28, v153, v3
	v_cvt_f32_i32_e32 v3, v24
	v_fmac_f32_e32 v77, v158, v3
	v_cvt_f32_i32_e32 v3, v125
	s_delay_alu instid0(VALU_DEP_1) | instskip(SKIP_1) | instid1(VALU_DEP_1)
	v_fmac_f32_e32 v72, v159, v3
	v_cvt_f32_i32_e32 v3, v126
	v_fmac_f32_e32 v70, v160, v3
	v_cvt_f32_i32_e32 v3, v128
	s_delay_alu instid0(VALU_DEP_1) | instskip(SKIP_1) | instid1(VALU_DEP_1)
	v_fmac_f32_e32 v67, v162, v3
	;; [unrolled: 5-line block ×11, first 2 shown]
	v_cvt_f32_i32_e32 v0, v23
	v_fmac_f32_e32 v26, v155, v0
	v_cvt_f32_i32_e32 v0, v152
	s_delay_alu instid0(VALU_DEP_1)
	v_fmac_f32_e32 v25, v1, v0
	s_cbranch_scc1 .LBB142_10
; %bb.11:                               ;   in Loop: Header=BB142_6 Depth=1
	s_barrier
	buffer_gl0_inv
	s_branch .LBB142_5
.LBB142_12:
	v_dual_mov_b32 v1, v37 :: v_dual_mov_b32 v0, v38
.LBB142_13:
	s_mov_b32 s0, exec_lo
	v_cmpx_gt_u32_e64 s6, v48
	s_cbranch_execz .LBB142_64
; %bb.14:
	s_delay_alu instid0(VALU_DEP_2) | instskip(SKIP_1) | instid1(VALU_DEP_2)
	v_add_nc_u32_e32 v0, s12, v0
	v_mul_lo_u32 v5, v48, s10
	v_cmp_gt_u32_e32 vcc_lo, s10, v0
	s_and_saveexec_b32 s1, vcc_lo
	s_cbranch_execz .LBB142_16
; %bb.15:
	s_delay_alu instid0(VALU_DEP_2) | instskip(SKIP_1) | instid1(VALU_DEP_2)
	v_dual_mov_b32 v3, 0 :: v_dual_add_nc_u32 v2, v0, v5
	v_cvt_f16_f32_e32 v4, v40
	v_lshlrev_b64 v[2:3], 1, v[2:3]
	s_waitcnt lgkmcnt(0)
	s_delay_alu instid0(VALU_DEP_1) | instskip(NEXT) | instid1(VALU_DEP_1)
	v_add_co_u32 v2, s0, s8, v2
	v_add_co_ci_u32_e64 v3, s0, s9, v3, s0
	global_store_b16 v[2:3], v4, off
.LBB142_16:
	s_or_b32 exec_lo, exec_lo, s1
	v_add_nc_u32_e32 v2, 32, v0
	s_delay_alu instid0(VALU_DEP_1) | instskip(NEXT) | instid1(VALU_DEP_1)
	v_cmp_gt_u32_e64 s0, s10, v2
	s_and_saveexec_b32 s2, s0
	s_cbranch_execz .LBB142_18
; %bb.17:
	v_dual_mov_b32 v4, 0 :: v_dual_add_nc_u32 v3, v2, v5
	v_cvt_f16_f32_e32 v6, v77
	s_delay_alu instid0(VALU_DEP_2) | instskip(SKIP_1) | instid1(VALU_DEP_1)
	v_lshlrev_b64 v[3:4], 1, v[3:4]
	s_waitcnt lgkmcnt(0)
	v_add_co_u32 v3, s1, s8, v3
	s_delay_alu instid0(VALU_DEP_1)
	v_add_co_ci_u32_e64 v4, s1, s9, v4, s1
	global_store_b16 v[3:4], v6, off
.LBB142_18:
	s_or_b32 exec_lo, exec_lo, s2
	v_add_nc_u32_e32 v3, 64, v0
	s_delay_alu instid0(VALU_DEP_1) | instskip(NEXT) | instid1(VALU_DEP_1)
	v_cmp_gt_u32_e64 s1, s10, v3
	s_and_saveexec_b32 s3, s1
	s_cbranch_execz .LBB142_20
; %bb.19:
	v_dual_mov_b32 v7, 0 :: v_dual_add_nc_u32 v6, v3, v5
	v_cvt_f16_f32_e32 v4, v72
	s_delay_alu instid0(VALU_DEP_2) | instskip(SKIP_1) | instid1(VALU_DEP_1)
	v_lshlrev_b64 v[6:7], 1, v[6:7]
	s_waitcnt lgkmcnt(0)
	v_add_co_u32 v6, s2, s8, v6
	s_delay_alu instid0(VALU_DEP_1)
	v_add_co_ci_u32_e64 v7, s2, s9, v7, s2
	global_store_b16 v[6:7], v4, off
.LBB142_20:
	;; [unrolled: 17-line block ×3, first 2 shown]
	s_or_b32 exec_lo, exec_lo, s4
	v_add3_u32 v5, v1, s11, 8
	s_delay_alu instid0(VALU_DEP_1) | instskip(NEXT) | instid1(VALU_DEP_1)
	v_cmp_gt_u32_e64 s3, s6, v5
	s_and_b32 exec_lo, exec_lo, s3
	s_cbranch_execz .LBB142_64
; %bb.23:
	v_mul_lo_u32 v5, v5, s10
	s_and_saveexec_b32 s4, vcc_lo
	s_cbranch_execnz .LBB142_65
; %bb.24:
	s_or_b32 exec_lo, exec_lo, s4
	s_and_saveexec_b32 s4, s0
	s_cbranch_execnz .LBB142_66
.LBB142_25:
	s_or_b32 exec_lo, exec_lo, s4
	s_and_saveexec_b32 s4, s1
	s_cbranch_execnz .LBB142_67
.LBB142_26:
	s_or_b32 exec_lo, exec_lo, s4
	s_and_saveexec_b32 s4, s2
	s_cbranch_execz .LBB142_28
.LBB142_27:
	v_dual_mov_b32 v6, 0 :: v_dual_add_nc_u32 v5, v5, v4
	v_cvt_f16_f32_e32 v7, v65
	s_delay_alu instid0(VALU_DEP_2) | instskip(SKIP_1) | instid1(VALU_DEP_1)
	v_lshlrev_b64 v[5:6], 1, v[5:6]
	s_waitcnt lgkmcnt(0)
	v_add_co_u32 v5, s3, s8, v5
	s_delay_alu instid0(VALU_DEP_1)
	v_add_co_ci_u32_e64 v6, s3, s9, v6, s3
	global_store_b16 v[5:6], v7, off
.LBB142_28:
	s_or_b32 exec_lo, exec_lo, s4
	v_add3_u32 v5, v1, s11, 16
	s_delay_alu instid0(VALU_DEP_1) | instskip(NEXT) | instid1(VALU_DEP_1)
	v_cmp_gt_u32_e64 s3, s6, v5
	s_and_b32 exec_lo, exec_lo, s3
	s_cbranch_execz .LBB142_64
; %bb.29:
	v_mul_lo_u32 v5, v5, s10
	s_and_saveexec_b32 s4, vcc_lo
	s_cbranch_execnz .LBB142_68
; %bb.30:
	s_or_b32 exec_lo, exec_lo, s4
	s_and_saveexec_b32 s4, s0
	s_cbranch_execnz .LBB142_69
.LBB142_31:
	s_or_b32 exec_lo, exec_lo, s4
	s_and_saveexec_b32 s4, s1
	s_cbranch_execnz .LBB142_70
.LBB142_32:
	s_or_b32 exec_lo, exec_lo, s4
	s_and_saveexec_b32 s4, s2
	s_cbranch_execz .LBB142_34
.LBB142_33:
	v_dual_mov_b32 v6, 0 :: v_dual_add_nc_u32 v5, v5, v4
	v_cvt_f16_f32_e32 v7, v55
	s_delay_alu instid0(VALU_DEP_2) | instskip(SKIP_1) | instid1(VALU_DEP_1)
	v_lshlrev_b64 v[5:6], 1, v[5:6]
	s_waitcnt lgkmcnt(0)
	v_add_co_u32 v5, s3, s8, v5
	s_delay_alu instid0(VALU_DEP_1)
	v_add_co_ci_u32_e64 v6, s3, s9, v6, s3
	global_store_b16 v[5:6], v7, off
.LBB142_34:
	s_or_b32 exec_lo, exec_lo, s4
	v_add3_u32 v5, v1, s11, 24
	s_delay_alu instid0(VALU_DEP_1) | instskip(NEXT) | instid1(VALU_DEP_1)
	v_cmp_gt_u32_e64 s3, s6, v5
	s_and_b32 exec_lo, exec_lo, s3
	s_cbranch_execz .LBB142_64
; %bb.35:
	v_mul_lo_u32 v5, v5, s10
	s_and_saveexec_b32 s4, vcc_lo
	s_cbranch_execnz .LBB142_71
; %bb.36:
	s_or_b32 exec_lo, exec_lo, s4
	s_and_saveexec_b32 s4, s0
	s_cbranch_execnz .LBB142_72
.LBB142_37:
	s_or_b32 exec_lo, exec_lo, s4
	s_and_saveexec_b32 s4, s1
	s_cbranch_execnz .LBB142_73
.LBB142_38:
	s_or_b32 exec_lo, exec_lo, s4
	s_and_saveexec_b32 s4, s2
	s_cbranch_execz .LBB142_40
.LBB142_39:
	v_dual_mov_b32 v6, 0 :: v_dual_add_nc_u32 v5, v5, v4
	v_cvt_f16_f32_e32 v7, v44
	s_delay_alu instid0(VALU_DEP_2) | instskip(SKIP_1) | instid1(VALU_DEP_1)
	v_lshlrev_b64 v[5:6], 1, v[5:6]
	s_waitcnt lgkmcnt(0)
	v_add_co_u32 v5, s3, s8, v5
	s_delay_alu instid0(VALU_DEP_1)
	v_add_co_ci_u32_e64 v6, s3, s9, v6, s3
	global_store_b16 v[5:6], v7, off
.LBB142_40:
	s_or_b32 exec_lo, exec_lo, s4
	v_add3_u32 v5, v1, s11, 32
	s_delay_alu instid0(VALU_DEP_1) | instskip(NEXT) | instid1(VALU_DEP_1)
	v_cmp_gt_u32_e64 s3, s6, v5
	s_and_b32 exec_lo, exec_lo, s3
	s_cbranch_execz .LBB142_64
; %bb.41:
	v_mul_lo_u32 v5, v5, s10
	s_and_saveexec_b32 s4, vcc_lo
	s_cbranch_execnz .LBB142_74
; %bb.42:
	s_or_b32 exec_lo, exec_lo, s4
	s_and_saveexec_b32 s4, s0
	s_cbranch_execnz .LBB142_75
.LBB142_43:
	s_or_b32 exec_lo, exec_lo, s4
	s_and_saveexec_b32 s4, s1
	s_cbranch_execnz .LBB142_76
.LBB142_44:
	s_or_b32 exec_lo, exec_lo, s4
	s_and_saveexec_b32 s4, s2
	s_cbranch_execz .LBB142_46
.LBB142_45:
	v_dual_mov_b32 v6, 0 :: v_dual_add_nc_u32 v5, v5, v4
	v_cvt_f16_f32_e32 v7, v39
	s_delay_alu instid0(VALU_DEP_2) | instskip(SKIP_1) | instid1(VALU_DEP_1)
	v_lshlrev_b64 v[5:6], 1, v[5:6]
	s_waitcnt lgkmcnt(0)
	v_add_co_u32 v5, s3, s8, v5
	s_delay_alu instid0(VALU_DEP_1)
	v_add_co_ci_u32_e64 v6, s3, s9, v6, s3
	global_store_b16 v[5:6], v7, off
.LBB142_46:
	s_or_b32 exec_lo, exec_lo, s4
	v_add3_u32 v5, v1, s11, 40
	s_delay_alu instid0(VALU_DEP_1) | instskip(NEXT) | instid1(VALU_DEP_1)
	v_cmp_gt_u32_e64 s3, s6, v5
	s_and_b32 exec_lo, exec_lo, s3
	s_cbranch_execz .LBB142_64
; %bb.47:
	v_mul_lo_u32 v5, v5, s10
	s_and_saveexec_b32 s4, vcc_lo
	s_cbranch_execnz .LBB142_77
; %bb.48:
	s_or_b32 exec_lo, exec_lo, s4
	s_and_saveexec_b32 s4, s0
	s_cbranch_execnz .LBB142_78
.LBB142_49:
	s_or_b32 exec_lo, exec_lo, s4
	s_and_saveexec_b32 s4, s1
	s_cbranch_execnz .LBB142_79
.LBB142_50:
	s_or_b32 exec_lo, exec_lo, s4
	s_and_saveexec_b32 s4, s2
	s_cbranch_execz .LBB142_52
.LBB142_51:
	v_dual_mov_b32 v6, 0 :: v_dual_add_nc_u32 v5, v5, v4
	v_cvt_f16_f32_e32 v7, v33
	s_delay_alu instid0(VALU_DEP_2) | instskip(SKIP_1) | instid1(VALU_DEP_1)
	v_lshlrev_b64 v[5:6], 1, v[5:6]
	s_waitcnt lgkmcnt(0)
	v_add_co_u32 v5, s3, s8, v5
	s_delay_alu instid0(VALU_DEP_1)
	v_add_co_ci_u32_e64 v6, s3, s9, v6, s3
	global_store_b16 v[5:6], v7, off
.LBB142_52:
	s_or_b32 exec_lo, exec_lo, s4
	v_add3_u32 v5, v1, s11, 48
	s_delay_alu instid0(VALU_DEP_1) | instskip(NEXT) | instid1(VALU_DEP_1)
	v_cmp_gt_u32_e64 s3, s6, v5
	s_and_b32 exec_lo, exec_lo, s3
	s_cbranch_execz .LBB142_64
; %bb.53:
	v_mul_lo_u32 v5, v5, s10
	s_and_saveexec_b32 s4, vcc_lo
	s_cbranch_execnz .LBB142_80
; %bb.54:
	s_or_b32 exec_lo, exec_lo, s4
	s_and_saveexec_b32 s4, s0
	s_cbranch_execnz .LBB142_81
.LBB142_55:
	s_or_b32 exec_lo, exec_lo, s4
	s_and_saveexec_b32 s4, s1
	s_cbranch_execnz .LBB142_82
.LBB142_56:
	s_or_b32 exec_lo, exec_lo, s4
	s_and_saveexec_b32 s4, s2
	s_cbranch_execz .LBB142_58
.LBB142_57:
	v_dual_mov_b32 v6, 0 :: v_dual_add_nc_u32 v5, v5, v4
	v_cvt_f16_f32_e32 v7, v29
	s_delay_alu instid0(VALU_DEP_2) | instskip(SKIP_1) | instid1(VALU_DEP_1)
	v_lshlrev_b64 v[5:6], 1, v[5:6]
	s_waitcnt lgkmcnt(0)
	v_add_co_u32 v5, s3, s8, v5
	s_delay_alu instid0(VALU_DEP_1)
	v_add_co_ci_u32_e64 v6, s3, s9, v6, s3
	global_store_b16 v[5:6], v7, off
.LBB142_58:
	s_or_b32 exec_lo, exec_lo, s4
	v_add3_u32 v1, v1, s11, 56
	s_delay_alu instid0(VALU_DEP_1) | instskip(NEXT) | instid1(VALU_DEP_1)
	v_cmp_gt_u32_e64 s3, s6, v1
	s_and_b32 exec_lo, exec_lo, s3
	s_cbranch_execz .LBB142_64
; %bb.59:
	v_mul_lo_u32 v1, v1, s10
	s_and_saveexec_b32 s3, vcc_lo
	s_cbranch_execnz .LBB142_83
; %bb.60:
	s_or_b32 exec_lo, exec_lo, s3
	s_and_saveexec_b32 s3, s0
	s_cbranch_execnz .LBB142_84
.LBB142_61:
	s_or_b32 exec_lo, exec_lo, s3
	s_and_saveexec_b32 s0, s1
	s_cbranch_execnz .LBB142_85
.LBB142_62:
	s_or_b32 exec_lo, exec_lo, s0
	s_delay_alu instid0(SALU_CYCLE_1)
	s_and_b32 exec_lo, exec_lo, s2
	s_cbranch_execz .LBB142_64
.LBB142_63:
	v_dual_mov_b32 v1, 0 :: v_dual_add_nc_u32 v0, v1, v4
	v_cvt_f16_f32_e32 v2, v25
	s_delay_alu instid0(VALU_DEP_2) | instskip(SKIP_1) | instid1(VALU_DEP_1)
	v_lshlrev_b64 v[0:1], 1, v[0:1]
	s_waitcnt lgkmcnt(0)
	v_add_co_u32 v0, vcc_lo, s8, v0
	s_delay_alu instid0(VALU_DEP_2)
	v_add_co_ci_u32_e32 v1, vcc_lo, s9, v1, vcc_lo
	global_store_b16 v[0:1], v2, off
.LBB142_64:
	s_nop 0
	s_sendmsg sendmsg(MSG_DEALLOC_VGPRS)
	s_endpgm
.LBB142_65:
	s_delay_alu instid0(VALU_DEP_1) | instskip(SKIP_1) | instid1(VALU_DEP_2)
	v_dual_mov_b32 v7, 0 :: v_dual_add_nc_u32 v6, v5, v0
	v_cvt_f16_f32_e32 v8, v68
	v_lshlrev_b64 v[6:7], 1, v[6:7]
	s_waitcnt lgkmcnt(0)
	s_delay_alu instid0(VALU_DEP_1) | instskip(NEXT) | instid1(VALU_DEP_1)
	v_add_co_u32 v6, s3, s8, v6
	v_add_co_ci_u32_e64 v7, s3, s9, v7, s3
	global_store_b16 v[6:7], v8, off
	s_or_b32 exec_lo, exec_lo, s4
	s_and_saveexec_b32 s4, s0
	s_cbranch_execz .LBB142_25
.LBB142_66:
	s_delay_alu instid0(VALU_DEP_1) | instskip(SKIP_1) | instid1(VALU_DEP_2)
	v_dual_mov_b32 v7, 0 :: v_dual_add_nc_u32 v6, v5, v2
	v_cvt_f16_f32_e32 v8, v67
	v_lshlrev_b64 v[6:7], 1, v[6:7]
	s_waitcnt lgkmcnt(0)
	s_delay_alu instid0(VALU_DEP_1) | instskip(NEXT) | instid1(VALU_DEP_1)
	v_add_co_u32 v6, s3, s8, v6
	v_add_co_ci_u32_e64 v7, s3, s9, v7, s3
	global_store_b16 v[6:7], v8, off
	s_or_b32 exec_lo, exec_lo, s4
	s_and_saveexec_b32 s4, s1
	s_cbranch_execz .LBB142_26
.LBB142_67:
	v_dual_mov_b32 v7, 0 :: v_dual_add_nc_u32 v6, v5, v3
	v_cvt_f16_f32_e32 v8, v66
	s_delay_alu instid0(VALU_DEP_2) | instskip(SKIP_1) | instid1(VALU_DEP_1)
	v_lshlrev_b64 v[6:7], 1, v[6:7]
	s_waitcnt lgkmcnt(0)
	v_add_co_u32 v6, s3, s8, v6
	s_delay_alu instid0(VALU_DEP_1)
	v_add_co_ci_u32_e64 v7, s3, s9, v7, s3
	global_store_b16 v[6:7], v8, off
	s_or_b32 exec_lo, exec_lo, s4
	s_and_saveexec_b32 s4, s2
	s_cbranch_execnz .LBB142_27
	s_branch .LBB142_28
.LBB142_68:
	s_delay_alu instid0(VALU_DEP_1) | instskip(SKIP_1) | instid1(VALU_DEP_2)
	v_dual_mov_b32 v7, 0 :: v_dual_add_nc_u32 v6, v5, v0
	v_cvt_f16_f32_e32 v8, v64
	v_lshlrev_b64 v[6:7], 1, v[6:7]
	s_waitcnt lgkmcnt(0)
	s_delay_alu instid0(VALU_DEP_1) | instskip(NEXT) | instid1(VALU_DEP_1)
	v_add_co_u32 v6, s3, s8, v6
	v_add_co_ci_u32_e64 v7, s3, s9, v7, s3
	global_store_b16 v[6:7], v8, off
	s_or_b32 exec_lo, exec_lo, s4
	s_and_saveexec_b32 s4, s0
	s_cbranch_execz .LBB142_31
.LBB142_69:
	s_delay_alu instid0(VALU_DEP_1) | instskip(SKIP_1) | instid1(VALU_DEP_2)
	v_dual_mov_b32 v7, 0 :: v_dual_add_nc_u32 v6, v5, v2
	v_cvt_f16_f32_e32 v8, v63
	v_lshlrev_b64 v[6:7], 1, v[6:7]
	s_waitcnt lgkmcnt(0)
	s_delay_alu instid0(VALU_DEP_1) | instskip(NEXT) | instid1(VALU_DEP_1)
	v_add_co_u32 v6, s3, s8, v6
	v_add_co_ci_u32_e64 v7, s3, s9, v7, s3
	global_store_b16 v[6:7], v8, off
	s_or_b32 exec_lo, exec_lo, s4
	s_and_saveexec_b32 s4, s1
	s_cbranch_execz .LBB142_32
.LBB142_70:
	v_dual_mov_b32 v7, 0 :: v_dual_add_nc_u32 v6, v5, v3
	v_cvt_f16_f32_e32 v8, v59
	s_delay_alu instid0(VALU_DEP_2) | instskip(SKIP_1) | instid1(VALU_DEP_1)
	v_lshlrev_b64 v[6:7], 1, v[6:7]
	s_waitcnt lgkmcnt(0)
	v_add_co_u32 v6, s3, s8, v6
	s_delay_alu instid0(VALU_DEP_1)
	v_add_co_ci_u32_e64 v7, s3, s9, v7, s3
	global_store_b16 v[6:7], v8, off
	s_or_b32 exec_lo, exec_lo, s4
	s_and_saveexec_b32 s4, s2
	s_cbranch_execnz .LBB142_33
	s_branch .LBB142_34
.LBB142_71:
	s_delay_alu instid0(VALU_DEP_1) | instskip(SKIP_1) | instid1(VALU_DEP_2)
	v_dual_mov_b32 v7, 0 :: v_dual_add_nc_u32 v6, v5, v0
	v_cvt_f16_f32_e32 v8, v49
	v_lshlrev_b64 v[6:7], 1, v[6:7]
	s_waitcnt lgkmcnt(0)
	s_delay_alu instid0(VALU_DEP_1) | instskip(NEXT) | instid1(VALU_DEP_1)
	v_add_co_u32 v6, s3, s8, v6
	v_add_co_ci_u32_e64 v7, s3, s9, v7, s3
	global_store_b16 v[6:7], v8, off
	s_or_b32 exec_lo, exec_lo, s4
	s_and_saveexec_b32 s4, s0
	s_cbranch_execz .LBB142_37
.LBB142_72:
	s_delay_alu instid0(VALU_DEP_1) | instskip(SKIP_1) | instid1(VALU_DEP_2)
	v_dual_mov_b32 v7, 0 :: v_dual_add_nc_u32 v6, v5, v2
	v_cvt_f16_f32_e32 v8, v47
	v_lshlrev_b64 v[6:7], 1, v[6:7]
	s_waitcnt lgkmcnt(0)
	s_delay_alu instid0(VALU_DEP_1) | instskip(NEXT) | instid1(VALU_DEP_1)
	v_add_co_u32 v6, s3, s8, v6
	v_add_co_ci_u32_e64 v7, s3, s9, v7, s3
	global_store_b16 v[6:7], v8, off
	s_or_b32 exec_lo, exec_lo, s4
	s_and_saveexec_b32 s4, s1
	s_cbranch_execz .LBB142_38
.LBB142_73:
	v_dual_mov_b32 v7, 0 :: v_dual_add_nc_u32 v6, v5, v3
	v_cvt_f16_f32_e32 v8, v45
	s_delay_alu instid0(VALU_DEP_2) | instskip(SKIP_1) | instid1(VALU_DEP_1)
	v_lshlrev_b64 v[6:7], 1, v[6:7]
	s_waitcnt lgkmcnt(0)
	v_add_co_u32 v6, s3, s8, v6
	s_delay_alu instid0(VALU_DEP_1)
	v_add_co_ci_u32_e64 v7, s3, s9, v7, s3
	global_store_b16 v[6:7], v8, off
	s_or_b32 exec_lo, exec_lo, s4
	s_and_saveexec_b32 s4, s2
	s_cbranch_execnz .LBB142_39
	s_branch .LBB142_40
.LBB142_74:
	s_delay_alu instid0(VALU_DEP_1) | instskip(SKIP_1) | instid1(VALU_DEP_2)
	v_dual_mov_b32 v7, 0 :: v_dual_add_nc_u32 v6, v5, v0
	v_cvt_f16_f32_e32 v8, v43
	v_lshlrev_b64 v[6:7], 1, v[6:7]
	s_waitcnt lgkmcnt(0)
	s_delay_alu instid0(VALU_DEP_1) | instskip(NEXT) | instid1(VALU_DEP_1)
	v_add_co_u32 v6, s3, s8, v6
	v_add_co_ci_u32_e64 v7, s3, s9, v7, s3
	global_store_b16 v[6:7], v8, off
	s_or_b32 exec_lo, exec_lo, s4
	s_and_saveexec_b32 s4, s0
	s_cbranch_execz .LBB142_43
.LBB142_75:
	s_delay_alu instid0(VALU_DEP_1) | instskip(SKIP_1) | instid1(VALU_DEP_2)
	v_dual_mov_b32 v7, 0 :: v_dual_add_nc_u32 v6, v5, v2
	v_cvt_f16_f32_e32 v8, v42
	v_lshlrev_b64 v[6:7], 1, v[6:7]
	s_waitcnt lgkmcnt(0)
	s_delay_alu instid0(VALU_DEP_1) | instskip(NEXT) | instid1(VALU_DEP_1)
	v_add_co_u32 v6, s3, s8, v6
	v_add_co_ci_u32_e64 v7, s3, s9, v7, s3
	global_store_b16 v[6:7], v8, off
	s_or_b32 exec_lo, exec_lo, s4
	s_and_saveexec_b32 s4, s1
	s_cbranch_execz .LBB142_44
.LBB142_76:
	v_dual_mov_b32 v7, 0 :: v_dual_add_nc_u32 v6, v5, v3
	v_cvt_f16_f32_e32 v8, v41
	s_delay_alu instid0(VALU_DEP_2) | instskip(SKIP_1) | instid1(VALU_DEP_1)
	v_lshlrev_b64 v[6:7], 1, v[6:7]
	s_waitcnt lgkmcnt(0)
	v_add_co_u32 v6, s3, s8, v6
	s_delay_alu instid0(VALU_DEP_1)
	v_add_co_ci_u32_e64 v7, s3, s9, v7, s3
	global_store_b16 v[6:7], v8, off
	s_or_b32 exec_lo, exec_lo, s4
	s_and_saveexec_b32 s4, s2
	s_cbranch_execnz .LBB142_45
	s_branch .LBB142_46
.LBB142_77:
	s_delay_alu instid0(VALU_DEP_1) | instskip(SKIP_1) | instid1(VALU_DEP_2)
	v_dual_mov_b32 v7, 0 :: v_dual_add_nc_u32 v6, v5, v0
	v_cvt_f16_f32_e32 v8, v36
	v_lshlrev_b64 v[6:7], 1, v[6:7]
	s_waitcnt lgkmcnt(0)
	s_delay_alu instid0(VALU_DEP_1) | instskip(NEXT) | instid1(VALU_DEP_1)
	v_add_co_u32 v6, s3, s8, v6
	v_add_co_ci_u32_e64 v7, s3, s9, v7, s3
	global_store_b16 v[6:7], v8, off
	s_or_b32 exec_lo, exec_lo, s4
	s_and_saveexec_b32 s4, s0
	s_cbranch_execz .LBB142_49
.LBB142_78:
	s_delay_alu instid0(VALU_DEP_1) | instskip(SKIP_1) | instid1(VALU_DEP_2)
	v_dual_mov_b32 v7, 0 :: v_dual_add_nc_u32 v6, v5, v2
	v_cvt_f16_f32_e32 v8, v35
	v_lshlrev_b64 v[6:7], 1, v[6:7]
	s_waitcnt lgkmcnt(0)
	s_delay_alu instid0(VALU_DEP_1) | instskip(NEXT) | instid1(VALU_DEP_1)
	v_add_co_u32 v6, s3, s8, v6
	v_add_co_ci_u32_e64 v7, s3, s9, v7, s3
	global_store_b16 v[6:7], v8, off
	s_or_b32 exec_lo, exec_lo, s4
	s_and_saveexec_b32 s4, s1
	s_cbranch_execz .LBB142_50
.LBB142_79:
	v_dual_mov_b32 v7, 0 :: v_dual_add_nc_u32 v6, v5, v3
	v_cvt_f16_f32_e32 v8, v34
	s_delay_alu instid0(VALU_DEP_2) | instskip(SKIP_1) | instid1(VALU_DEP_1)
	v_lshlrev_b64 v[6:7], 1, v[6:7]
	s_waitcnt lgkmcnt(0)
	v_add_co_u32 v6, s3, s8, v6
	s_delay_alu instid0(VALU_DEP_1)
	v_add_co_ci_u32_e64 v7, s3, s9, v7, s3
	global_store_b16 v[6:7], v8, off
	s_or_b32 exec_lo, exec_lo, s4
	s_and_saveexec_b32 s4, s2
	s_cbranch_execnz .LBB142_51
	s_branch .LBB142_52
.LBB142_80:
	s_delay_alu instid0(VALU_DEP_1) | instskip(SKIP_1) | instid1(VALU_DEP_2)
	v_dual_mov_b32 v7, 0 :: v_dual_add_nc_u32 v6, v5, v0
	v_cvt_f16_f32_e32 v8, v32
	v_lshlrev_b64 v[6:7], 1, v[6:7]
	s_waitcnt lgkmcnt(0)
	s_delay_alu instid0(VALU_DEP_1) | instskip(NEXT) | instid1(VALU_DEP_1)
	v_add_co_u32 v6, s3, s8, v6
	v_add_co_ci_u32_e64 v7, s3, s9, v7, s3
	global_store_b16 v[6:7], v8, off
	s_or_b32 exec_lo, exec_lo, s4
	s_and_saveexec_b32 s4, s0
	s_cbranch_execz .LBB142_55
.LBB142_81:
	s_delay_alu instid0(VALU_DEP_1) | instskip(SKIP_1) | instid1(VALU_DEP_2)
	v_dual_mov_b32 v7, 0 :: v_dual_add_nc_u32 v6, v5, v2
	v_cvt_f16_f32_e32 v8, v31
	v_lshlrev_b64 v[6:7], 1, v[6:7]
	s_waitcnt lgkmcnt(0)
	s_delay_alu instid0(VALU_DEP_1) | instskip(NEXT) | instid1(VALU_DEP_1)
	v_add_co_u32 v6, s3, s8, v6
	v_add_co_ci_u32_e64 v7, s3, s9, v7, s3
	global_store_b16 v[6:7], v8, off
	s_or_b32 exec_lo, exec_lo, s4
	s_and_saveexec_b32 s4, s1
	s_cbranch_execz .LBB142_56
.LBB142_82:
	v_dual_mov_b32 v7, 0 :: v_dual_add_nc_u32 v6, v5, v3
	v_cvt_f16_f32_e32 v8, v30
	s_delay_alu instid0(VALU_DEP_2) | instskip(SKIP_1) | instid1(VALU_DEP_1)
	v_lshlrev_b64 v[6:7], 1, v[6:7]
	s_waitcnt lgkmcnt(0)
	v_add_co_u32 v6, s3, s8, v6
	s_delay_alu instid0(VALU_DEP_1)
	v_add_co_ci_u32_e64 v7, s3, s9, v7, s3
	global_store_b16 v[6:7], v8, off
	s_or_b32 exec_lo, exec_lo, s4
	s_and_saveexec_b32 s4, s2
	s_cbranch_execnz .LBB142_57
	s_branch .LBB142_58
.LBB142_83:
	s_delay_alu instid0(VALU_DEP_1) | instskip(SKIP_1) | instid1(VALU_DEP_2)
	v_dual_mov_b32 v6, 0 :: v_dual_add_nc_u32 v5, v1, v0
	v_cvt_f16_f32_e32 v0, v28
	v_lshlrev_b64 v[5:6], 1, v[5:6]
	s_waitcnt lgkmcnt(0)
	s_delay_alu instid0(VALU_DEP_1) | instskip(NEXT) | instid1(VALU_DEP_2)
	v_add_co_u32 v5, vcc_lo, s8, v5
	v_add_co_ci_u32_e32 v6, vcc_lo, s9, v6, vcc_lo
	global_store_b16 v[5:6], v0, off
	s_or_b32 exec_lo, exec_lo, s3
	s_and_saveexec_b32 s3, s0
	s_cbranch_execz .LBB142_61
.LBB142_84:
	s_delay_alu instid0(VALU_DEP_1) | instskip(SKIP_1) | instid1(VALU_DEP_2)
	v_dual_mov_b32 v6, 0 :: v_dual_add_nc_u32 v5, v1, v2
	v_cvt_f16_f32_e32 v0, v27
	v_lshlrev_b64 v[5:6], 1, v[5:6]
	s_waitcnt lgkmcnt(0)
	s_delay_alu instid0(VALU_DEP_1) | instskip(NEXT) | instid1(VALU_DEP_2)
	v_add_co_u32 v5, vcc_lo, s8, v5
	v_add_co_ci_u32_e32 v6, vcc_lo, s9, v6, vcc_lo
	global_store_b16 v[5:6], v0, off
	s_or_b32 exec_lo, exec_lo, s3
	s_and_saveexec_b32 s0, s1
	s_cbranch_execz .LBB142_62
.LBB142_85:
	v_dual_mov_b32 v3, 0 :: v_dual_add_nc_u32 v2, v1, v3
	v_cvt_f16_f32_e32 v0, v26
	s_delay_alu instid0(VALU_DEP_2) | instskip(SKIP_1) | instid1(VALU_DEP_1)
	v_lshlrev_b64 v[2:3], 1, v[2:3]
	s_waitcnt lgkmcnt(0)
	v_add_co_u32 v2, vcc_lo, s8, v2
	s_delay_alu instid0(VALU_DEP_2) | instskip(SKIP_2) | instid1(SALU_CYCLE_1)
	v_add_co_ci_u32_e32 v3, vcc_lo, s9, v3, vcc_lo
	global_store_b16 v[2:3], v0, off
	s_or_b32 exec_lo, exec_lo, s0
	s_and_b32 exec_lo, exec_lo, s2
	s_cbranch_execnz .LBB142_63
	s_branch .LBB142_64
	.section	.rodata,"a",@progbits
	.p2align	6, 0x0
	.amdhsa_kernel _ZL12mul_mat_q5_0IN3c104HalfELb1EEvPKvS3_PT_iiiii
		.amdhsa_group_segment_fixed_size 46720
		.amdhsa_private_segment_fixed_size 0
		.amdhsa_kernarg_size 44
		.amdhsa_user_sgpr_count 14
		.amdhsa_user_sgpr_dispatch_ptr 0
		.amdhsa_user_sgpr_queue_ptr 0
		.amdhsa_user_sgpr_kernarg_segment_ptr 1
		.amdhsa_user_sgpr_dispatch_id 0
		.amdhsa_user_sgpr_private_segment_size 0
		.amdhsa_wavefront_size32 1
		.amdhsa_uses_dynamic_stack 0
		.amdhsa_enable_private_segment 0
		.amdhsa_system_sgpr_workgroup_id_x 1
		.amdhsa_system_sgpr_workgroup_id_y 1
		.amdhsa_system_sgpr_workgroup_id_z 0
		.amdhsa_system_sgpr_workgroup_info 0
		.amdhsa_system_vgpr_workitem_id 1
		.amdhsa_next_free_vgpr 195
		.amdhsa_next_free_sgpr 16
		.amdhsa_reserve_vcc 1
		.amdhsa_float_round_mode_32 0
		.amdhsa_float_round_mode_16_64 0
		.amdhsa_float_denorm_mode_32 3
		.amdhsa_float_denorm_mode_16_64 3
		.amdhsa_dx10_clamp 1
		.amdhsa_ieee_mode 1
		.amdhsa_fp16_overflow 0
		.amdhsa_workgroup_processor_mode 1
		.amdhsa_memory_ordered 1
		.amdhsa_forward_progress 0
		.amdhsa_shared_vgpr_count 0
		.amdhsa_exception_fp_ieee_invalid_op 0
		.amdhsa_exception_fp_denorm_src 0
		.amdhsa_exception_fp_ieee_div_zero 0
		.amdhsa_exception_fp_ieee_overflow 0
		.amdhsa_exception_fp_ieee_underflow 0
		.amdhsa_exception_fp_ieee_inexact 0
		.amdhsa_exception_int_div_zero 0
	.end_amdhsa_kernel
	.section	.text._ZL12mul_mat_q5_0IN3c104HalfELb1EEvPKvS3_PT_iiiii,"axG",@progbits,_ZL12mul_mat_q5_0IN3c104HalfELb1EEvPKvS3_PT_iiiii,comdat
.Lfunc_end142:
	.size	_ZL12mul_mat_q5_0IN3c104HalfELb1EEvPKvS3_PT_iiiii, .Lfunc_end142-_ZL12mul_mat_q5_0IN3c104HalfELb1EEvPKvS3_PT_iiiii
                                        ; -- End function
	.section	.AMDGPU.csdata,"",@progbits
; Kernel info:
; codeLenInByte = 19528
; NumSgprs: 18
; NumVgprs: 195
; ScratchSize: 0
; MemoryBound: 0
; FloatMode: 240
; IeeeMode: 1
; LDSByteSize: 46720 bytes/workgroup (compile time only)
; SGPRBlocks: 2
; VGPRBlocks: 24
; NumSGPRsForWavesPerEU: 18
; NumVGPRsForWavesPerEU: 195
; Occupancy: 4
; WaveLimiterHint : 0
; COMPUTE_PGM_RSRC2:SCRATCH_EN: 0
; COMPUTE_PGM_RSRC2:USER_SGPR: 14
; COMPUTE_PGM_RSRC2:TRAP_HANDLER: 0
; COMPUTE_PGM_RSRC2:TGID_X_EN: 1
; COMPUTE_PGM_RSRC2:TGID_Y_EN: 1
; COMPUTE_PGM_RSRC2:TGID_Z_EN: 0
; COMPUTE_PGM_RSRC2:TIDIG_COMP_CNT: 1
	.section	.text._ZL12mul_mat_q5_1IN3c104HalfELb0EEvPKvS3_PT_iiiii,"axG",@progbits,_ZL12mul_mat_q5_1IN3c104HalfELb0EEvPKvS3_PT_iiiii,comdat
	.globl	_ZL12mul_mat_q5_1IN3c104HalfELb0EEvPKvS3_PT_iiiii ; -- Begin function _ZL12mul_mat_q5_1IN3c104HalfELb0EEvPKvS3_PT_iiiii
	.p2align	8
	.type	_ZL12mul_mat_q5_1IN3c104HalfELb0EEvPKvS3_PT_iiiii,@function
_ZL12mul_mat_q5_1IN3c104HalfELb0EEvPKvS3_PT_iiiii: ; @_ZL12mul_mat_q5_1IN3c104HalfELb0EEvPKvS3_PT_iiiii
; %bb.0:
	s_clause 0x1
	s_load_b32 s11, s[0:1], 0x18
	s_load_b128 s[4:7], s[0:1], 0x20
	v_bfe_u32 v25, v0, 10, 10
	v_and_b32_e32 v26, 0x3ff, v0
	s_waitcnt lgkmcnt(0)
	s_lshl_b32 s7, s15, 6
	s_cmp_gt_i32 s11, 31
	s_cbranch_scc1 .LBB143_2
; %bb.1:
	v_bfe_u32 v1, v0, 10, 10
	v_and_b32_e32 v0, 0x3ff, v0
	s_mov_b32 s2, 0
	s_mov_b32 s3, 0
	s_delay_alu instid0(VALU_DEP_2)
	v_add_nc_u32_e32 v30, s7, v1
	s_branch .LBB143_3
.LBB143_2:
	s_mov_b32 s2, -1
                                        ; implicit-def: $sgpr3
                                        ; implicit-def: $vgpr1
                                        ; implicit-def: $vgpr0
                                        ; implicit-def: $vgpr30
.LBB143_3:
	s_load_b64 s[8:9], s[0:1], 0x10
	v_dual_mov_b32 v9, s3 :: v_dual_mov_b32 v32, s3
	v_dual_mov_b32 v13, s3 :: v_dual_mov_b32 v36, s3
	;; [unrolled: 1-line block ×16, first 2 shown]
	s_and_not1_b32 vcc_lo, exec_lo, s2
	s_lshl_b32 s10, s14, 7
	s_cbranch_vccnz .LBB143_13
; %bb.4:
	s_load_b128 s[0:3], s[0:1], 0x0
	s_ashr_i32 s12, s11, 31
	s_ashr_i32 s13, s5, 31
	s_lshr_b32 s12, s12, 27
	s_lshr_b32 s13, s13, 27
	s_add_i32 s14, s11, s12
	v_dual_mov_b32 v37, 0 :: v_dual_add_nc_u32 v30, s7, v25
	s_add_i32 s11, s5, s13
	s_ashr_i32 s5, s14, 5
	s_ashr_i32 s13, s11, 5
	s_mul_i32 s12, s5, s10
	v_dual_mov_b32 v35, 0 :: v_dual_add_nc_u32 v2, 8, v30
	v_dual_mov_b32 v31, 0 :: v_dual_add_nc_u32 v4, 16, v30
	;; [unrolled: 1-line block ×4, first 2 shown]
	s_mul_hi_i32 s15, s12, 24
	s_mul_i32 s12, s12, 24
	v_add_nc_u32_e32 v12, 40, v30
	v_add_nc_u32_e32 v14, 48, v30
	;; [unrolled: 1-line block ×3, first 2 shown]
	s_waitcnt lgkmcnt(0)
	s_add_u32 s11, s0, s12
	s_addc_u32 s12, s1, s15
	s_add_i32 s0, s4, -1
	v_cvt_f64_u32_e32 v[0:1], v30
	v_cvt_f64_u32_e32 v[2:3], v2
	;; [unrolled: 1-line block ×3, first 2 shown]
	v_cvt_f64_i32_e32 v[6:7], s0
	v_cvt_f64_u32_e32 v[8:9], v8
	v_cvt_f64_u32_e32 v[10:11], v10
	;; [unrolled: 1-line block ×5, first 2 shown]
	v_mul_lo_u32 v47, s5, v25
	s_lshl_b32 s1, s5, 3
	v_dual_mov_b32 v40, 0 :: v_dual_lshlrev_b32 v19, 3, v26
	v_lshrrev_b32_e32 v45, 3, v26
	v_lshrrev_b32_e32 v43, 2, v26
	v_and_b32_e32 v18, 3, v26
	s_delay_alu instid0(VALU_DEP_4)
	v_mad_u32_u24 v48, 0x104, v25, v19
	v_add_nc_u32_e32 v49, s1, v47
	v_lshl_add_u32 v19, v25, 2, v45
	v_dual_mov_b32 v33, 0 :: v_dual_and_b32 v44, 7, v26
	v_dual_mov_b32 v41, 0 :: v_dual_and_b32 v20, 31, v26
	v_lshlrev_b32_e32 v22, 7, v25
	v_lshl_add_u32 v24, v25, 3, v43
	v_add_nc_u32_e32 v27, 32, v19
	v_add_nc_u32_e32 v28, 64, v19
	v_lshlrev_b32_e32 v23, 2, v44
	v_lshlrev_b32_e32 v21, 2, v26
	v_and_b32_e32 v24, 63, v24
	v_mul_lo_u32 v71, s5, v19
	s_and_not1_b32 s14, s14, 31
	v_add_nc_u32_e32 v50, 0x820, v48
	v_dual_mov_b32 v52, 0 :: v_dual_add_nc_u32 v51, 0x1040, v48
	v_dual_mov_b32 v34, 0 :: v_dual_add_nc_u32 v53, 0x1860, v48
	v_add_nc_u32_e32 v54, 0x2080, v48
	v_add_nc_u32_e32 v83, s14, v71
	v_dual_mov_b32 v38, 0 :: v_dual_add_nc_u32 v57, 0x28a0, v48
	v_min_f64 v[0:1], v[0:1], v[6:7]
	v_min_f64 v[2:3], v[2:3], v[6:7]
	;; [unrolled: 1-line block ×8, first 2 shown]
	v_and_b32_e32 v16, 0x7fc, v19
	v_dual_mov_b32 v32, 0 :: v_dual_lshlrev_b32 v17, 5, v19
	v_add_nc_u32_e32 v19, 0x60, v19
	v_add_nc_u32_e32 v85, s14, v83
	;; [unrolled: 1-line block ×11, first 2 shown]
	v_dual_mov_b32 v36, 0 :: v_dual_add_nc_u32 v69, 0x79e0, v48
	v_add_nc_u32_e32 v88, s14, v85
	v_mul_u32_u24_e32 v101, 0x104, v26
	v_lshl_add_u32 v108, v25, 4, 0xb280
	v_mov_b32_e32 v42, 0
	v_cvt_i32_f64_e32 v0, v[0:1]
	v_cvt_i32_f64_e32 v1, v[2:3]
	;; [unrolled: 1-line block ×8, first 2 shown]
	v_and_b32_e32 v4, 0xffc, v27
	v_lshlrev_b32_e32 v13, 5, v27
	v_and_b32_e32 v5, 0xffc, v28
	v_mov_b32_e32 v27, 0
	v_lshl_or_b32 v20, v20, 2, v22
	v_lshlrev_b32_e32 v14, 5, v28
	v_or_b32_e32 v7, s7, v24
	v_and_b32_e32 v6, 0xffc, v19
	v_lshlrev_b32_e32 v15, 5, v19
	v_add_nc_u32_e32 v73, 0x8200, v20
	v_add_nc_u32_e32 v75, 0x8600, v20
	;; [unrolled: 1-line block ×8, first 2 shown]
	v_mov_b32_e32 v20, 0
	v_add3_u32 v10, v16, v23, 0xa200
	v_add3_u32 v19, v4, v23, 0xa200
	v_dual_mov_b32 v28, 0 :: v_dual_add_nc_u32 v107, 0x8200, v22
	v_mov_b32_e32 v22, 0
	s_delay_alu instid0(VALU_DEP_4) | instskip(NEXT) | instid1(VALU_DEP_4)
	v_add_nc_u32_e32 v114, v10, v17
	v_dual_mov_b32 v10, 0 :: v_dual_add_nc_u32 v115, v19, v13
	v_mov_b32_e32 v17, 0
	v_mov_b32_e32 v13, 0
	v_mul_lo_u32 v90, s13, v0
	v_mul_lo_u32 v91, s13, v1
	;; [unrolled: 1-line block ×3, first 2 shown]
	v_add_nc_u32_e32 v0, 0x60, v26
	v_add_nc_u32_e32 v1, 64, v26
	v_mul_lo_u32 v95, s13, v9
	v_mul_lo_u32 v97, s13, v11
	;; [unrolled: 1-line block ×3, first 2 shown]
	v_dual_mov_b32 v12, 0 :: v_dual_add_nc_u32 v55, s1, v49
	v_dual_mov_b32 v11, 0 :: v_dual_lshlrev_b32 v46, 2, v18
	v_dual_mov_b32 v9, 0 :: v_dual_add_nc_u32 v2, 32, v26
	s_delay_alu instid0(VALU_DEP_3) | instskip(SKIP_1) | instid1(VALU_DEP_4)
	v_add_nc_u32_e32 v56, s1, v55
	v_mul_lo_u32 v93, s13, v3
	v_lshl_or_b32 v16, v24, 4, v46
	v_add3_u32 v24, v5, v23, 0xa200
	v_add3_u32 v23, v6, v23, 0xa200
	v_add_nc_u32_e32 v60, s1, v56
	v_mul_lo_u32 v94, s13, v8
	v_add_nc_u32_e32 v87, 0xb280, v16
	v_add_nc_u32_e32 v116, v24, v14
	s_delay_alu instid0(VALU_DEP_4) | instskip(SKIP_2) | instid1(VALU_DEP_3)
	v_dual_mov_b32 v14, 0 :: v_dual_add_nc_u32 v65, s1, v60
	v_dual_mov_b32 v24, 0 :: v_dual_and_b32 v21, 28, v21
	v_dual_mov_b32 v16, 0 :: v_dual_lshlrev_b32 v3, 5, v26
	v_add_nc_u32_e32 v70, s1, v65
	v_and_b32_e32 v0, 0x1fc, v0
	s_delay_alu instid0(VALU_DEP_4) | instskip(SKIP_1) | instid1(VALU_DEP_4)
	v_add_co_u32 v4, s15, s2, v21
	v_min_i32_e32 v21, s0, v7
	v_add_nc_u32_e32 v72, s1, v70
	v_and_b32_e32 v1, 0x1fc, v1
	v_and_b32_e32 v8, 0xfc, v26
	v_add_nc_u32_e32 v0, v3, v0
	v_mad_u64_u32 v[6:7], null, v21, s13, v[18:19]
	v_add_nc_u32_e32 v74, s1, v72
	v_and_b32_e32 v7, 0x1fc, v2
	v_add_nc_u32_e32 v1, v3, v1
	s_movk_i32 s0, 0x80
	v_add_co_ci_u32_e64 v5, null, s3, 0, s15
	v_add_nc_u32_e32 v79, s1, v74
	v_add_nc_u32_e32 v7, v3, v7
	;; [unrolled: 1-line block ×3, first 2 shown]
	v_lshrrev_b32_e32 v102, 3, v2
	v_add_nc_u32_e32 v103, 0xae00, v0
	v_add_nc_u32_e32 v80, s1, v79
	;; [unrolled: 1-line block ×10, first 2 shown]
	v_mad_u32_u24 v113, 0x104, v26, s0
	v_add_nc_u32_e32 v82, s1, v81
	v_add_nc_u32_e32 v117, v23, v15
	v_mov_b32_e32 v23, 0
	v_mov_b32_e32 v19, 0
	s_delay_alu instid0(VALU_DEP_4) | instskip(SKIP_2) | instid1(VALU_DEP_2)
	v_dual_mov_b32 v15, 0 :: v_dual_add_nc_u32 v84, s1, v82
	v_dual_mov_b32 v18, 0 :: v_dual_mov_b32 v21, 0
	s_mov_b32 s13, 0
	v_add_nc_u32_e32 v86, s1, v84
	s_delay_alu instid0(VALU_DEP_1)
	v_add_nc_u32_e32 v89, s1, v86
	s_branch .LBB143_6
.LBB143_5:                              ;   in Loop: Header=BB143_6 Depth=1
	s_add_i32 s13, s13, 8
	s_delay_alu instid0(SALU_CYCLE_1)
	s_cmp_ge_i32 s13, s5
	s_cbranch_scc1 .LBB143_12
.LBB143_6:                              ; =>This Loop Header: Depth=1
                                        ;     Child Loop BB143_7 Depth 2
                                        ;     Child Loop BB143_10 Depth 2
	s_mul_i32 s0, s13, 24
	s_mul_hi_u32 s1, s13, 24
	s_add_u32 s0, s11, s0
	s_addc_u32 s1, s12, s1
	s_delay_alu instid0(SALU_CYCLE_1) | instskip(NEXT) | instid1(VALU_DEP_1)
	v_mad_u64_u32 v[0:1], null, v43, 24, s[0:1]
	v_mad_u64_u32 v[122:123], null, v47, 24, v[0:1]
	;; [unrolled: 1-line block ×5, first 2 shown]
	s_delay_alu instid0(VALU_DEP_4)
	v_add_co_u32 v124, vcc_lo, v122, v46
	v_add_co_ci_u32_e32 v125, vcc_lo, 0, v123, vcc_lo
	v_add_co_u32 v126, vcc_lo, v118, v46
	v_add_co_ci_u32_e32 v127, vcc_lo, 0, v119, vcc_lo
	;; [unrolled: 2-line block ×4, first 2 shown]
	s_clause 0x7
	global_load_b32 v2, v[2:3], off offset:8
	global_load_b32 v3, v[7:8], off offset:4
	;; [unrolled: 1-line block ×8, first 2 shown]
	v_mad_u64_u32 v[123:124], null, v65, 24, v[0:1]
	v_mad_u64_u32 v[125:126], null, v60, 24, v[0:1]
	;; [unrolled: 1-line block ×4, first 2 shown]
	s_delay_alu instid0(VALU_DEP_4)
	v_add_co_u32 v131, vcc_lo, v123, v46
	v_add_co_ci_u32_e32 v132, vcc_lo, 0, v124, vcc_lo
	v_add_co_u32 v133, vcc_lo, v125, v46
	v_add_co_ci_u32_e32 v134, vcc_lo, 0, v126, vcc_lo
	s_clause 0x5
	global_load_b32 v150, v[129:130], off offset:4
	global_load_b32 v151, v[127:128], off offset:4
	;; [unrolled: 1-line block ×6, first 2 shown]
	v_add_co_u32 v123, vcc_lo, v127, v46
	v_add_co_ci_u32_e32 v124, vcc_lo, 0, v128, vcc_lo
	v_add_co_u32 v125, vcc_lo, v129, v46
	v_add_co_ci_u32_e32 v126, vcc_lo, 0, v130, vcc_lo
	s_clause 0x1
	global_load_b32 v156, v[123:124], off offset:8
	global_load_b32 v157, v[125:126], off offset:8
	v_mad_u64_u32 v[126:127], null, v81, 24, v[0:1]
	v_mad_u64_u32 v[128:129], null, v80, 24, v[0:1]
	;; [unrolled: 1-line block ×4, first 2 shown]
	s_clause 0x3
	global_load_b32 v123, v[126:127], off offset:4
	global_load_b32 v158, v[128:129], off offset:4
	;; [unrolled: 1-line block ×4, first 2 shown]
	v_mad_u64_u32 v[140:141], null, v86, 24, v[0:1]
	v_add_co_u32 v130, vcc_lo, v130, v46
	v_add_co_ci_u32_e32 v131, vcc_lo, 0, v131, vcc_lo
	v_add_co_u32 v124, vcc_lo, v124, v46
	v_add_co_ci_u32_e32 v125, vcc_lo, 0, v125, vcc_lo
	global_load_b32 v161, v[130:131], off offset:8
	v_mad_u64_u32 v[142:143], null, v89, 24, v[0:1]
	global_load_b32 v162, v[124:125], off offset:8
	v_add_co_u32 v124, vcc_lo, v128, v46
	v_add_co_ci_u32_e32 v125, vcc_lo, 0, v129, vcc_lo
	v_add_nc_u32_e32 v128, s13, v45
	v_add_co_u32 v126, vcc_lo, v126, v46
	global_load_b32 v163, v[124:125], off offset:8
	v_add_co_ci_u32_e32 v127, vcc_lo, 0, v127, vcc_lo
	v_add_nc_u32_e32 v130, v128, v90
	v_add_nc_u32_e32 v132, v128, v91
	v_add_nc_u32_e32 v134, v128, v92
	v_add_nc_u32_e32 v136, v128, v93
	v_add_nc_u32_e32 v165, v128, v94
	v_add_nc_u32_e32 v166, v128, v95
	v_add_nc_u32_e32 v167, v128, v97
	v_add_nc_u32_e32 v168, v128, v99
	v_mad_i64_i32 v[128:129], null, v130, 36, v[4:5]
	v_mad_i64_i32 v[130:131], null, v132, 36, v[4:5]
	;; [unrolled: 1-line block ×4, first 2 shown]
	v_mad_u64_u32 v[136:137], null, v82, 24, v[0:1]
	v_mad_u64_u32 v[138:139], null, v84, 24, v[0:1]
	global_load_b32 v164, v[126:127], off offset:8
	v_add_nc_u32_e32 v118, s13, v6
	v_mad_u64_u32 v[124:125], null, v44, 24, s[0:1]
	v_add_co_u32 v0, vcc_lo, v136, v46
	v_add_co_ci_u32_e32 v1, vcc_lo, 0, v137, vcc_lo
	v_add_co_u32 v144, vcc_lo, v140, v46
	v_add_co_ci_u32_e32 v145, vcc_lo, 0, v141, vcc_lo
	;; [unrolled: 2-line block ×4, first 2 shown]
	s_clause 0x7
	global_load_b32 v169, v[146:147], off offset:8
	global_load_b32 v170, v[142:143], off offset:4
	;; [unrolled: 1-line block ×8, first 2 shown]
	v_mad_u64_u32 v[126:127], null, v118, 36, s[2:3]
	v_mad_i64_i32 v[0:1], null, v165, 36, v[4:5]
	v_mad_i64_i32 v[136:137], null, v166, 36, v[4:5]
	;; [unrolled: 1-line block ×4, first 2 shown]
	v_mad_u64_u32 v[142:143], null, v71, 24, v[124:125]
	v_mad_u64_u32 v[144:145], null, v83, 24, v[124:125]
	;; [unrolled: 1-line block ×4, first 2 shown]
	s_clause 0x8
	global_load_b32 v124, v[126:127], off
	global_load_b32 v125, v[128:129], off offset:4
	global_load_b32 v126, v[130:131], off offset:4
	;; [unrolled: 1-line block ×8, first 2 shown]
	s_clause 0x3
	global_load_b32 v131, v[142:143], off
	global_load_b32 v132, v[144:145], off
	;; [unrolled: 1-line block ×4, first 2 shown]
	s_mov_b32 s0, -4
	s_waitcnt vmcnt(44)
	v_and_b32_e32 v138, 0xf0f0f0f, v2
	s_waitcnt vmcnt(43)
	v_ashrrev_i32_e32 v3, v46, v3
	s_waitcnt vmcnt(42)
	v_and_b32_e32 v137, 0xf0f0f0f, v7
	s_waitcnt vmcnt(41)
	v_ashrrev_i32_e32 v8, v46, v8
	s_waitcnt vmcnt(40)
	v_and_b32_e32 v136, 0xf0f0f0f, v119
	s_waitcnt vmcnt(39)
	v_ashrrev_i32_e32 v120, v46, v120
	s_waitcnt vmcnt(38)
	v_and_b32_e32 v135, 0xf0f0f0f, v121
	s_waitcnt vmcnt(37)
	v_ashrrev_i32_e32 v122, v46, v122
	v_lshrrev_b32_e32 v121, 4, v121
	v_lshrrev_b32_e32 v119, 4, v119
	v_lshlrev_b32_e32 v165, 4, v120
	v_lshlrev_b32_e32 v166, 11, v120
	v_lshrrev_b32_e32 v177, 12, v120
	v_lshrrev_b32_e32 v178, 5, v120
	;; [unrolled: 1-line block ×3, first 2 shown]
	v_lshlrev_b32_e32 v180, 4, v8
	v_lshlrev_b32_e32 v181, 11, v8
	v_lshrrev_b32_e32 v184, 12, v8
	v_lshrrev_b32_e32 v185, 5, v8
	;; [unrolled: 1-line block ×3, first 2 shown]
	s_waitcnt vmcnt(35)
	v_ashrrev_i32_e32 v145, v46, v151
	s_waitcnt vmcnt(34)
	v_and_b32_e32 v143, 0xf0f0f0f, v152
	s_waitcnt vmcnt(33)
	v_ashrrev_i32_e32 v142, v46, v153
	v_lshrrev_b32_e32 v144, 4, v152
	s_waitcnt vmcnt(31)
	v_ashrrev_i32_e32 v139, v46, v155
	v_lshlrev_b32_e32 v151, 4, v122
	v_lshlrev_b32_e32 v152, 11, v122
	v_lshrrev_b32_e32 v155, 12, v122
	v_lshlrev_b32_e32 v187, 4, v3
	v_lshlrev_b32_e32 v188, 11, v3
	v_lshrrev_b32_e32 v191, 12, v3
	v_lshrrev_b32_e32 v192, 5, v3
	;; [unrolled: 1-line block ×3, first 2 shown]
	v_lshlrev_b32_e32 v194, 4, v139
	s_waitcnt vmcnt(30)
	v_and_b32_e32 v146, 0xf0f0f0f, v156
	v_lshrrev_b32_e32 v147, 4, v156
	v_lshrrev_b32_e32 v156, 5, v122
	v_lshlrev_b32_e32 v195, 11, v139
	v_lshrrev_b32_e32 v198, 12, v139
	v_lshrrev_b32_e32 v199, 5, v139
	v_and_b32_e32 v140, 0xf0f0f0f, v154
	v_ashrrev_i32_e32 v148, v46, v150
	s_waitcnt vmcnt(29)
	v_and_b32_e32 v149, 0xf0f0f0f, v157
	v_lshrrev_b32_e32 v150, 4, v157
	v_lshlrev_b32_e32 v153, 18, v122
	v_lshlrev_b32_e32 v154, 25, v122
	v_and_b32_e32 v121, 0xf0f0f0f, v121
	v_lshlrev_b32_e32 v157, 2, v122
	v_lshlrev_b32_e32 v122, 9, v122
	;; [unrolled: 1-line block ×4, first 2 shown]
	v_lshrrev_b32_e32 v205, 12, v142
	v_lshrrev_b32_e32 v206, 5, v142
	v_and_b32_e32 v151, 16, v151
	v_and_b32_e32 v152, 0x1000, v152
	v_and_b32_e32 v155, 16, v155
	v_and_b32_e32 v156, 0x1000, v156
	v_lshlrev_b32_e32 v167, 18, v120
	v_lshlrev_b32_e32 v168, 25, v120
	v_and_b32_e32 v119, 0xf0f0f0f, v119
	v_lshlrev_b32_e32 v179, 2, v120
	v_lshlrev_b32_e32 v120, 9, v120
	v_and_b32_e32 v165, 16, v165
	v_and_b32_e32 v166, 0x1000, v166
	v_and_b32_e32 v177, 16, v177
	v_and_b32_e32 v178, 0x1000, v178
	v_lshlrev_b32_e32 v182, 18, v8
	v_lshlrev_b32_e32 v183, 25, v8
	v_and_b32_e32 v7, 0xf0f0f0f, v7
	v_lshlrev_b32_e32 v186, 2, v8
	v_lshlrev_b32_e32 v8, 9, v8
	;; [unrolled: 9-line block ×5, first 2 shown]
	v_and_b32_e32 v153, 0x100000, v153
	v_and_b32_e32 v154, 0x10000000, v154
	;; [unrolled: 1-line block ×8, first 2 shown]
	v_or3_b32 v135, v151, v135, v152
	v_or3_b32 v121, v155, v121, v156
	v_and_b32_e32 v167, 0x100000, v167
	v_and_b32_e32 v168, 0x10000000, v168
	v_and_b32_e32 v179, 0x100000, v179
	v_and_b32_e32 v120, 0x10000000, v120
	v_or3_b32 v136, v165, v136, v166
	v_or3_b32 v119, v177, v119, v178
	v_and_b32_e32 v182, 0x100000, v182
	v_and_b32_e32 v183, 0x10000000, v183
	v_and_b32_e32 v186, 0x100000, v186
	v_and_b32_e32 v8, 0x10000000, v8
	;; [unrolled: 6-line block ×4, first 2 shown]
	v_or3_b32 v140, v194, v140, v195
	v_or3_b32 v141, v198, v141, v199
	v_lshrrev_b32_e32 v219, 12, v148
	v_lshrrev_b32_e32 v220, 5, v148
	v_and_b32_e32 v203, 0x100000, v203
	v_and_b32_e32 v204, 0x10000000, v204
	;; [unrolled: 1-line block ×4, first 2 shown]
	v_or3_b32 v143, v201, v143, v202
	v_or3_b32 v144, v205, v144, v206
	v_or3_b32 v135, v135, v153, v154
	v_or3_b32 v121, v121, v157, v122
	v_or3_b32 v122, v136, v167, v168
	v_or3_b32 v119, v119, v179, v120
	v_or3_b32 v120, v137, v182, v183
	v_or3_b32 v7, v7, v186, v8
	v_or3_b32 v8, v138, v189, v190
	v_or3_b32 v2, v2, v193, v3
	v_or3_b32 v3, v140, v196, v197
	v_or3_b32 v136, v141, v200, v139
	v_or3_b32 v137, v143, v203, v204
	v_or3_b32 v138, v144, v207, v142
	ds_store_2addr_b32 v48, v135, v121 offset1:1
	ds_store_2addr_b32 v50, v122, v119 offset1:1
	;; [unrolled: 1-line block ×6, first 2 shown]
	v_and_b32_e32 v2, 0xf0f0f0f, v150
	v_and_b32_e32 v3, 16, v219
	;; [unrolled: 1-line block ×3, first 2 shown]
	s_waitcnt vmcnt(25)
	v_ashrrev_i32_e32 v8, v46, v160
	v_lshlrev_b32_e32 v120, 2, v148
	v_lshlrev_b32_e32 v121, 9, v148
	s_waitcnt vmcnt(24)
	v_and_b32_e32 v122, 0xf0f0f0f, v161
	v_or3_b32 v2, v3, v2, v7
	v_lshlrev_b32_e32 v3, 4, v8
	v_lshlrev_b32_e32 v7, 11, v8
	v_and_b32_e32 v120, 0x100000, v120
	v_and_b32_e32 v121, 0x10000000, v121
	v_lshlrev_b32_e32 v208, 4, v145
	v_and_b32_e32 v3, 16, v3
	v_and_b32_e32 v7, 0x1000, v7
	v_lshlrev_b32_e32 v209, 11, v145
	v_lshrrev_b32_e32 v212, 12, v145
	v_lshrrev_b32_e32 v213, 5, v145
	v_lshlrev_b32_e32 v215, 4, v148
	v_lshlrev_b32_e32 v216, 11, v148
	v_or3_b32 v2, v2, v120, v121
	v_or3_b32 v3, v3, v122, v7
	v_lshrrev_b32_e32 v7, 4, v161
	v_lshrrev_b32_e32 v121, 12, v8
	;; [unrolled: 1-line block ×3, first 2 shown]
	v_lshlrev_b32_e32 v210, 18, v145
	v_lshlrev_b32_e32 v211, 25, v145
	v_and_b32_e32 v147, 0xf0f0f0f, v147
	v_lshlrev_b32_e32 v214, 2, v145
	v_lshlrev_b32_e32 v145, 9, v145
	;; [unrolled: 1-line block ×4, first 2 shown]
	v_and_b32_e32 v208, 16, v208
	v_and_b32_e32 v209, 0x1000, v209
	;; [unrolled: 1-line block ×9, first 2 shown]
	v_ashrrev_i32_e32 v136, v46, v159
	v_and_b32_e32 v210, 0x100000, v210
	v_and_b32_e32 v211, 0x10000000, v211
	;; [unrolled: 1-line block ×5, first 2 shown]
	v_or3_b32 v146, v208, v146, v209
	v_or3_b32 v147, v212, v147, v213
	;; [unrolled: 1-line block ×3, first 2 shown]
	v_and_b32_e32 v119, 0x10000000, v218
	v_lshlrev_b32_e32 v120, 18, v8
	v_lshlrev_b32_e32 v135, 25, v8
	;; [unrolled: 1-line block ×4, first 2 shown]
	v_or3_b32 v7, v121, v7, v122
	v_lshlrev_b32_e32 v121, 4, v136
	v_lshlrev_b32_e32 v122, 11, v136
	v_or3_b32 v139, v146, v210, v211
	v_or3_b32 v140, v147, v214, v145
	;; [unrolled: 1-line block ×3, first 2 shown]
	v_and_b32_e32 v120, 0x100000, v120
	v_and_b32_e32 v135, 0x10000000, v135
	;; [unrolled: 1-line block ×4, first 2 shown]
	s_waitcnt vmcnt(23)
	v_and_b32_e32 v138, 0xf0f0f0f, v162
	v_and_b32_e32 v121, 16, v121
	;; [unrolled: 1-line block ×3, first 2 shown]
	ds_store_2addr_b32 v58, v139, v140 offset1:1
	ds_store_2addr_b32 v59, v119, v2 offset1:1
	v_or3_b32 v2, v3, v120, v135
	v_or3_b32 v3, v7, v137, v8
	;; [unrolled: 1-line block ×3, first 2 shown]
	v_lshrrev_b32_e32 v119, 4, v162
	v_lshrrev_b32_e32 v120, 12, v136
	;; [unrolled: 1-line block ×3, first 2 shown]
	v_ashrrev_i32_e32 v135, v46, v158
	v_lshlrev_b32_e32 v7, 18, v136
	v_and_b32_e32 v119, 0xf0f0f0f, v119
	v_and_b32_e32 v120, 16, v120
	;; [unrolled: 1-line block ×3, first 2 shown]
	v_lshlrev_b32_e32 v122, 25, v136
	v_lshlrev_b32_e32 v137, 2, v136
	;; [unrolled: 1-line block ×3, first 2 shown]
	v_and_b32_e32 v7, 0x100000, v7
	v_or3_b32 v119, v120, v119, v121
	v_lshlrev_b32_e32 v120, 4, v135
	v_lshlrev_b32_e32 v121, 11, v135
	v_and_b32_e32 v122, 0x10000000, v122
	v_and_b32_e32 v137, 0x100000, v137
	;; [unrolled: 1-line block ×3, first 2 shown]
	s_waitcnt vmcnt(22)
	v_and_b32_e32 v138, 0xf0f0f0f, v163
	v_and_b32_e32 v120, 16, v120
	;; [unrolled: 1-line block ×3, first 2 shown]
	ds_store_2addr_b32 v61, v2, v3 offset1:1
	v_or3_b32 v2, v8, v7, v122
	v_or3_b32 v3, v119, v137, v136
	v_lshrrev_b32_e32 v119, 4, v163
	v_or3_b32 v8, v120, v138, v121
	v_lshrrev_b32_e32 v120, 12, v135
	v_lshrrev_b32_e32 v121, 5, v135
	v_ashrrev_i32_e32 v123, v46, v123
	v_and_b32_e32 v119, 0xf0f0f0f, v119
	v_lshlrev_b32_e32 v7, 18, v135
	v_and_b32_e32 v120, 16, v120
	v_and_b32_e32 v121, 0x1000, v121
	v_lshlrev_b32_e32 v122, 25, v135
	v_lshlrev_b32_e32 v136, 2, v135
	;; [unrolled: 1-line block ×3, first 2 shown]
	v_and_b32_e32 v7, 0x100000, v7
	v_or3_b32 v119, v120, v119, v121
	v_lshlrev_b32_e32 v120, 4, v123
	v_lshlrev_b32_e32 v121, 11, v123
	v_and_b32_e32 v122, 0x10000000, v122
	v_and_b32_e32 v136, 0x100000, v136
	;; [unrolled: 1-line block ×3, first 2 shown]
	s_waitcnt vmcnt(21)
	v_and_b32_e32 v137, 0xf0f0f0f, v164
	v_and_b32_e32 v120, 16, v120
	;; [unrolled: 1-line block ×3, first 2 shown]
	ds_store_2addr_b32 v62, v2, v3 offset1:1
	v_or3_b32 v2, v8, v7, v122
	v_or3_b32 v3, v119, v136, v135
	v_lshrrev_b32_e32 v119, 4, v164
	v_or3_b32 v8, v120, v137, v121
	v_lshrrev_b32_e32 v120, 12, v123
	v_lshrrev_b32_e32 v121, 5, v123
	s_waitcnt vmcnt(13)
	v_ashrrev_i32_e32 v135, v46, v176
	v_and_b32_e32 v119, 0xf0f0f0f, v119
	v_lshlrev_b32_e32 v7, 18, v123
	v_and_b32_e32 v120, 16, v120
	v_and_b32_e32 v121, 0x1000, v121
	v_lshlrev_b32_e32 v122, 25, v123
	v_lshlrev_b32_e32 v136, 2, v123
	;; [unrolled: 1-line block ×3, first 2 shown]
	v_and_b32_e32 v7, 0x100000, v7
	v_or3_b32 v119, v120, v119, v121
	v_lshlrev_b32_e32 v120, 4, v135
	v_lshlrev_b32_e32 v121, 11, v135
	v_and_b32_e32 v122, 0x10000000, v122
	v_and_b32_e32 v136, 0x100000, v136
	;; [unrolled: 1-line block ×6, first 2 shown]
	ds_store_2addr_b32 v63, v2, v3 offset1:1
	v_or3_b32 v2, v8, v7, v122
	v_or3_b32 v3, v119, v136, v123
	v_lshrrev_b32_e32 v119, 4, v175
	v_or3_b32 v8, v120, v137, v121
	v_lshrrev_b32_e32 v120, 12, v135
	v_lshrrev_b32_e32 v121, 5, v135
	v_ashrrev_i32_e32 v123, v46, v174
	v_and_b32_e32 v119, 0xf0f0f0f, v119
	v_lshlrev_b32_e32 v7, 18, v135
	v_and_b32_e32 v120, 16, v120
	v_and_b32_e32 v121, 0x1000, v121
	v_lshlrev_b32_e32 v122, 25, v135
	v_lshlrev_b32_e32 v136, 2, v135
	;; [unrolled: 1-line block ×3, first 2 shown]
	v_and_b32_e32 v7, 0x100000, v7
	v_or3_b32 v119, v120, v119, v121
	v_lshlrev_b32_e32 v120, 4, v123
	v_lshlrev_b32_e32 v121, 11, v123
	v_and_b32_e32 v122, 0x10000000, v122
	v_and_b32_e32 v136, 0x100000, v136
	;; [unrolled: 1-line block ×6, first 2 shown]
	v_lshlrev_b32_e32 v138, 18, v123
	v_lshlrev_b32_e32 v139, 25, v123
	v_or3_b32 v7, v8, v7, v122
	v_or3_b32 v8, v119, v136, v135
	;; [unrolled: 1-line block ×3, first 2 shown]
	v_and_b32_e32 v120, 0x100000, v138
	v_and_b32_e32 v121, 0x10000000, v139
	v_lshrrev_b32_e32 v122, 4, v173
	v_lshrrev_b32_e32 v135, 12, v123
	;; [unrolled: 1-line block ×3, first 2 shown]
	v_ashrrev_i32_e32 v137, v46, v172
	v_or3_b32 v119, v119, v120, v121
	v_and_b32_e32 v120, 0xf0f0f0f, v122
	v_and_b32_e32 v121, 16, v135
	;; [unrolled: 1-line block ×3, first 2 shown]
	v_lshlrev_b32_e32 v135, 4, v137
	v_lshlrev_b32_e32 v136, 11, v137
	;; [unrolled: 1-line block ×4, first 2 shown]
	v_and_b32_e32 v139, 0xf0f0f0f, v171
	v_and_b32_e32 v135, 16, v135
	;; [unrolled: 1-line block ×3, first 2 shown]
	v_lshlrev_b32_e32 v140, 18, v137
	v_or3_b32 v120, v121, v120, v122
	v_and_b32_e32 v122, 0x10000000, v123
	v_and_b32_e32 v121, 0x100000, v138
	v_or3_b32 v123, v135, v139, v136
	v_and_b32_e32 v135, 0x100000, v140
	v_ashrrev_i32_e32 v140, v46, v170
	v_lshrrev_b32_e32 v136, 4, v171
	v_lshrrev_b32_e32 v138, 12, v137
	;; [unrolled: 1-line block ×3, first 2 shown]
	v_lshlrev_b32_e32 v144, 2, v137
	v_lshlrev_b32_e32 v142, 4, v140
	;; [unrolled: 1-line block ×3, first 2 shown]
	v_and_b32_e32 v136, 0xf0f0f0f, v136
	v_and_b32_e32 v138, 16, v138
	;; [unrolled: 1-line block ×6, first 2 shown]
	v_lshlrev_b32_e32 v141, 25, v137
	v_or3_b32 v136, v138, v136, v139
	v_and_b32_e32 v138, 0x100000, v144
	v_lshrrev_b32_e32 v144, 5, v140
	v_or3_b32 v139, v142, v145, v143
	v_lshrrev_b32_e32 v142, 4, v169
	v_lshrrev_b32_e32 v143, 12, v140
	v_lshlrev_b32_e32 v137, 9, v137
	v_lshlrev_b32_e32 v145, 18, v140
	;; [unrolled: 1-line block ×3, first 2 shown]
	v_and_b32_e32 v142, 0xf0f0f0f, v142
	v_and_b32_e32 v143, 16, v143
	;; [unrolled: 1-line block ×3, first 2 shown]
	v_lshlrev_b32_e32 v147, 2, v140
	v_lshlrev_b32_e32 v140, 9, v140
	v_and_b32_e32 v141, 0x10000000, v141
	v_and_b32_e32 v137, 0x10000000, v137
	;; [unrolled: 1-line block ×4, first 2 shown]
	v_or3_b32 v142, v143, v142, v144
	v_and_b32_e32 v143, 0x100000, v147
	v_and_b32_e32 v140, 0x10000000, v140
	v_or3_b32 v120, v120, v121, v122
	v_or3_b32 v121, v123, v135, v141
	;; [unrolled: 1-line block ×5, first 2 shown]
	ds_store_2addr_b32 v64, v2, v3 offset1:1
	ds_store_2addr_b32 v66, v7, v8 offset1:1
	;; [unrolled: 1-line block ×5, first 2 shown]
	s_waitcnt vmcnt(3)
	ds_store_b32 v114, v131
	s_waitcnt vmcnt(2)
	ds_store_b32 v115, v132
	;; [unrolled: 2-line block ×4, first 2 shown]
	ds_store_b32 v73, v125
	ds_store_b32 v75, v126
	ds_store_b32 v76, v127
	ds_store_b32 v77, v128
	ds_store_b32 v78, v0
	ds_store_b32 v96, v1
	ds_store_b32 v98, v129
	ds_store_b32 v100, v130
	ds_store_b32 v87, v124
	v_mov_b32_e32 v124, v104
	v_dual_mov_b32 v119, v108 :: v_dual_mov_b32 v120, v101
	v_dual_mov_b32 v121, v107 :: v_dual_mov_b32 v122, v106
	v_mov_b32_e32 v123, v105
	v_mov_b32_e32 v125, v103
	s_waitcnt lgkmcnt(0)
	s_barrier
	buffer_gl0_inv
.LBB143_7:                              ;   Parent Loop BB143_6 Depth=1
                                        ; =>  This Inner Loop Header: Depth=2
	ds_load_2addr_b32 v[7:8], v120 offset1:1
	ds_load_b128 v[0:3], v121
	ds_load_b128 v[126:129], v121 offset:16
	v_add_nc_u32_e32 v131, 0x2080, v120
	v_add_nc_u32_e32 v132, 0x4100, v120
	;; [unrolled: 1-line block ×3, first 2 shown]
	ds_load_2addr_b32 v[158:159], v120 offset0:2 offset1:3
	ds_load_2addr_b32 v[172:173], v120 offset0:4 offset1:5
	;; [unrolled: 1-line block ×3, first 2 shown]
	ds_load_2addr_b32 v[160:161], v131 offset1:1
	ds_load_2addr_b32 v[162:163], v132 offset1:1
	;; [unrolled: 1-line block ×3, first 2 shown]
	s_add_i32 s0, s0, 4
	s_delay_alu instid0(SALU_CYCLE_1) | instskip(SKIP_3) | instid1(VALU_DEP_1)
	s_cmp_lt_u32 s0, 12
	s_waitcnt lgkmcnt(7)
	v_dot4_i32_iu8 v130, v7, v0, 0 neg_lo:[1,1,0]
	s_waitcnt lgkmcnt(6)
	v_dot4_i32_iu8 v130, v8, v126, v130 neg_lo:[1,1,0]
	;; [unrolled: 2-line block ×4, first 2 shown]
	v_dot4_i32_iu8 v130, v158, v1, v130 neg_lo:[1,1,0]
	s_waitcnt lgkmcnt(0)
	v_dot4_i32_iu8 v0, v164, v0, 0 neg_lo:[1,1,0]
	v_dot4_i32_iu8 v131, v161, v126, v131 neg_lo:[1,1,0]
	;; [unrolled: 1-line block ×3, first 2 shown]
	s_delay_alu instid0(VALU_DEP_3)
	v_dot4_i32_iu8 v0, v165, v126, v0 neg_lo:[1,1,0]
	v_dot4_i32_iu8 v126, v159, v127, v130 neg_lo:[1,1,0]
	v_add_nc_u32_e32 v130, 0x2088, v120
	ds_load_2addr_b32 v[166:167], v130 offset1:1
	s_waitcnt lgkmcnt(0)
	v_dot4_i32_iu8 v130, v166, v1, v131 neg_lo:[1,1,0]
	v_add_nc_u32_e32 v131, 0x4108, v120
	s_delay_alu instid0(VALU_DEP_2) | instskip(SKIP_4) | instid1(VALU_DEP_2)
	v_dot4_i32_iu8 v130, v167, v127, v130 neg_lo:[1,1,0]
	ds_load_2addr_b32 v[168:169], v131 offset1:1
	s_waitcnt lgkmcnt(0)
	v_dot4_i32_iu8 v131, v168, v1, v132 neg_lo:[1,1,0]
	v_add_nc_u32_e32 v132, 0x6188, v120
	v_dot4_i32_iu8 v131, v169, v127, v131 neg_lo:[1,1,0]
	ds_load_2addr_b32 v[170:171], v132 offset1:1
	v_add_nc_u32_e32 v132, 0x4110, v120
	ds_load_2addr_b32 v[174:175], v132 offset1:1
	v_add_nc_u32_e32 v132, 0x6190, v120
	ds_load_2addr_b32 v[176:177], v132 offset1:1
	s_waitcnt lgkmcnt(2)
	v_dot4_i32_iu8 v0, v170, v1, v0 neg_lo:[1,1,0]
	v_dot4_i32_iu8 v1, v172, v2, v126 neg_lo:[1,1,0]
	v_add_nc_u32_e32 v126, 0x2090, v120
	s_delay_alu instid0(VALU_DEP_3) | instskip(NEXT) | instid1(VALU_DEP_3)
	v_dot4_i32_iu8 v0, v171, v127, v0 neg_lo:[1,1,0]
	v_dot4_i32_iu8 v1, v173, v128, v1 neg_lo:[1,1,0]
	ds_load_2addr_b32 v[126:127], v126 offset1:1
	s_waitcnt lgkmcnt(2)
	v_dot4_i32_iu8 v131, v174, v2, v131 neg_lo:[1,1,0]
	v_dot4_i32_iu8 v186, v178, v3, v1 neg_lo:[1,1,0]
	s_waitcnt lgkmcnt(1)
	v_dot4_i32_iu8 v0, v176, v2, v0 neg_lo:[1,1,0]
	s_delay_alu instid0(VALU_DEP_1) | instskip(SKIP_3) | instid1(VALU_DEP_2)
	v_dot4_i32_iu8 v0, v177, v128, v0 neg_lo:[1,1,0]
	s_waitcnt lgkmcnt(0)
	v_dot4_i32_iu8 v130, v126, v2, v130 neg_lo:[1,1,0]
	v_dot4_i32_iu8 v2, v175, v128, v131 neg_lo:[1,1,0]
	;; [unrolled: 1-line block ×3, first 2 shown]
	v_add_nc_u32_e32 v128, 0x2098, v120
	ds_load_b128 v[130:133], v121 offset:1040
	ds_load_2addr_b32 v[180:181], v128 offset1:1
	s_waitcnt lgkmcnt(0)
	v_dot4_i32_iu8 v128, v180, v3, v1 neg_lo:[1,1,0]
	v_add_nc_u32_e32 v1, 0x4118, v120
	ds_load_2addr_b32 v[182:183], v1 offset1:1
	v_add_nc_u32_e32 v1, 0x6198, v120
	v_add_nc_u32_e32 v120, 32, v120
	ds_load_2addr_b32 v[184:185], v1 offset1:1
	s_waitcnt lgkmcnt(1)
	v_dot4_i32_iu8 v187, v182, v3, v2 neg_lo:[1,1,0]
	s_waitcnt lgkmcnt(0)
	v_dot4_i32_iu8 v188, v184, v3, v0 neg_lo:[1,1,0]
	ds_load_b128 v[0:3], v121 offset:1024
	s_waitcnt lgkmcnt(0)
	v_dot4_i32_iu8 v134, v0, v7, 0 neg_lo:[1,1,0]
	v_dot4_i32_iu8 v135, v0, v160, 0 neg_lo:[1,1,0]
	v_dot4_i32_iu8 v136, v0, v162, 0 neg_lo:[1,1,0]
	v_dot4_i32_iu8 v0, v0, v164, 0 neg_lo:[1,1,0]
	s_delay_alu instid0(VALU_DEP_4) | instskip(NEXT) | instid1(VALU_DEP_4)
	v_dot4_i32_iu8 v134, v130, v8, v134 neg_lo:[1,1,0]
	v_dot4_i32_iu8 v135, v130, v161, v135 neg_lo:[1,1,0]
	s_delay_alu instid0(VALU_DEP_4) | instskip(NEXT) | instid1(VALU_DEP_4)
	v_dot4_i32_iu8 v136, v130, v163, v136 neg_lo:[1,1,0]
	v_dot4_i32_iu8 v0, v130, v165, v0 neg_lo:[1,1,0]
	s_delay_alu instid0(VALU_DEP_4) | instskip(NEXT) | instid1(VALU_DEP_4)
	v_dot4_i32_iu8 v130, v1, v158, v134 neg_lo:[1,1,0]
	v_dot4_i32_iu8 v134, v1, v166, v135 neg_lo:[1,1,0]
	s_delay_alu instid0(VALU_DEP_4) | instskip(NEXT) | instid1(VALU_DEP_4)
	v_dot4_i32_iu8 v135, v1, v168, v136 neg_lo:[1,1,0]
	v_dot4_i32_iu8 v0, v1, v170, v0 neg_lo:[1,1,0]
	s_delay_alu instid0(VALU_DEP_4) | instskip(NEXT) | instid1(VALU_DEP_4)
	v_dot4_i32_iu8 v1, v131, v159, v130 neg_lo:[1,1,0]
	v_dot4_i32_iu8 v130, v131, v167, v134 neg_lo:[1,1,0]
	s_delay_alu instid0(VALU_DEP_4) | instskip(NEXT) | instid1(VALU_DEP_4)
	v_dot4_i32_iu8 v134, v131, v169, v135 neg_lo:[1,1,0]
	v_dot4_i32_iu8 v0, v131, v171, v0 neg_lo:[1,1,0]
	s_delay_alu instid0(VALU_DEP_4) | instskip(NEXT) | instid1(VALU_DEP_4)
	v_dot4_i32_iu8 v1, v2, v172, v1 neg_lo:[1,1,0]
	v_dot4_i32_iu8 v130, v2, v126, v130 neg_lo:[1,1,0]
	s_delay_alu instid0(VALU_DEP_4) | instskip(NEXT) | instid1(VALU_DEP_4)
	v_dot4_i32_iu8 v131, v2, v174, v134 neg_lo:[1,1,0]
	v_dot4_i32_iu8 v0, v2, v176, v0 neg_lo:[1,1,0]
	ds_load_b128 v[134:137], v121 offset:2064
	v_dot4_i32_iu8 v1, v132, v173, v1 neg_lo:[1,1,0]
	v_dot4_i32_iu8 v2, v132, v127, v130 neg_lo:[1,1,0]
	v_dot4_i32_iu8 v130, v132, v175, v131 neg_lo:[1,1,0]
	v_dot4_i32_iu8 v0, v132, v177, v0 neg_lo:[1,1,0]
	s_delay_alu instid0(VALU_DEP_4) | instskip(NEXT) | instid1(VALU_DEP_4)
	v_dot4_i32_iu8 v131, v3, v178, v1 neg_lo:[1,1,0]
	v_dot4_i32_iu8 v132, v3, v180, v2 neg_lo:[1,1,0]
	s_delay_alu instid0(VALU_DEP_4) | instskip(NEXT) | instid1(VALU_DEP_4)
	v_dot4_i32_iu8 v130, v3, v182, v130 neg_lo:[1,1,0]
	v_dot4_i32_iu8 v189, v3, v184, v0 neg_lo:[1,1,0]
	ds_load_b128 v[0:3], v121 offset:2048
	v_dot4_i32_iu8 v130, v133, v183, v130 neg_lo:[1,1,0]
	s_waitcnt lgkmcnt(0)
	v_dot4_i32_iu8 v138, v0, v7, 0 neg_lo:[1,1,0]
	v_dot4_i32_iu8 v139, v0, v160, 0 neg_lo:[1,1,0]
	v_dot4_i32_iu8 v140, v0, v162, 0 neg_lo:[1,1,0]
	v_dot4_i32_iu8 v0, v0, v164, 0 neg_lo:[1,1,0]
	s_delay_alu instid0(VALU_DEP_4) | instskip(NEXT) | instid1(VALU_DEP_4)
	v_dot4_i32_iu8 v138, v134, v8, v138 neg_lo:[1,1,0]
	v_dot4_i32_iu8 v139, v134, v161, v139 neg_lo:[1,1,0]
	s_delay_alu instid0(VALU_DEP_4) | instskip(NEXT) | instid1(VALU_DEP_4)
	v_dot4_i32_iu8 v140, v134, v163, v140 neg_lo:[1,1,0]
	v_dot4_i32_iu8 v0, v134, v165, v0 neg_lo:[1,1,0]
	s_delay_alu instid0(VALU_DEP_4) | instskip(NEXT) | instid1(VALU_DEP_4)
	v_dot4_i32_iu8 v134, v1, v158, v138 neg_lo:[1,1,0]
	v_dot4_i32_iu8 v138, v1, v166, v139 neg_lo:[1,1,0]
	s_delay_alu instid0(VALU_DEP_4) | instskip(NEXT) | instid1(VALU_DEP_4)
	v_dot4_i32_iu8 v139, v1, v168, v140 neg_lo:[1,1,0]
	v_dot4_i32_iu8 v0, v1, v170, v0 neg_lo:[1,1,0]
	s_delay_alu instid0(VALU_DEP_4) | instskip(NEXT) | instid1(VALU_DEP_4)
	v_dot4_i32_iu8 v1, v135, v159, v134 neg_lo:[1,1,0]
	v_dot4_i32_iu8 v134, v135, v167, v138 neg_lo:[1,1,0]
	s_delay_alu instid0(VALU_DEP_4) | instskip(NEXT) | instid1(VALU_DEP_4)
	v_dot4_i32_iu8 v138, v135, v169, v139 neg_lo:[1,1,0]
	v_dot4_i32_iu8 v0, v135, v171, v0 neg_lo:[1,1,0]
	s_delay_alu instid0(VALU_DEP_4) | instskip(NEXT) | instid1(VALU_DEP_4)
	v_dot4_i32_iu8 v1, v2, v172, v1 neg_lo:[1,1,0]
	v_dot4_i32_iu8 v134, v2, v126, v134 neg_lo:[1,1,0]
	s_delay_alu instid0(VALU_DEP_4) | instskip(NEXT) | instid1(VALU_DEP_4)
	v_dot4_i32_iu8 v135, v2, v174, v138 neg_lo:[1,1,0]
	v_dot4_i32_iu8 v0, v2, v176, v0 neg_lo:[1,1,0]
	ds_load_b128 v[138:141], v121 offset:3088
	v_dot4_i32_iu8 v1, v136, v173, v1 neg_lo:[1,1,0]
	v_dot4_i32_iu8 v2, v136, v127, v134 neg_lo:[1,1,0]
	v_dot4_i32_iu8 v134, v136, v175, v135 neg_lo:[1,1,0]
	v_dot4_i32_iu8 v0, v136, v177, v0 neg_lo:[1,1,0]
	s_delay_alu instid0(VALU_DEP_4) | instskip(NEXT) | instid1(VALU_DEP_4)
	v_dot4_i32_iu8 v135, v3, v178, v1 neg_lo:[1,1,0]
	v_dot4_i32_iu8 v136, v3, v180, v2 neg_lo:[1,1,0]
	s_delay_alu instid0(VALU_DEP_4) | instskip(NEXT) | instid1(VALU_DEP_4)
	v_dot4_i32_iu8 v134, v3, v182, v134 neg_lo:[1,1,0]
	v_dot4_i32_iu8 v190, v3, v184, v0 neg_lo:[1,1,0]
	ds_load_b128 v[0:3], v121 offset:3072
	v_dot4_i32_iu8 v134, v137, v183, v134 neg_lo:[1,1,0]
	;; [unrolled: 42-line block ×5, first 2 shown]
	s_waitcnt lgkmcnt(0)
	v_dot4_i32_iu8 v154, v0, v7, 0 neg_lo:[1,1,0]
	v_dot4_i32_iu8 v155, v0, v160, 0 neg_lo:[1,1,0]
	;; [unrolled: 1-line block ×4, first 2 shown]
	s_delay_alu instid0(VALU_DEP_4) | instskip(NEXT) | instid1(VALU_DEP_4)
	v_dot4_i32_iu8 v154, v150, v8, v154 neg_lo:[1,1,0]
	v_dot4_i32_iu8 v155, v150, v161, v155 neg_lo:[1,1,0]
	s_delay_alu instid0(VALU_DEP_4) | instskip(NEXT) | instid1(VALU_DEP_4)
	v_dot4_i32_iu8 v156, v150, v163, v156 neg_lo:[1,1,0]
	v_dot4_i32_iu8 v0, v150, v165, v0 neg_lo:[1,1,0]
	;; [unrolled: 3-line block ×8, first 2 shown]
	ds_load_b128 v[154:157], v121 offset:7184
	v_dot4_i32_iu8 v1, v152, v173, v1 neg_lo:[1,1,0]
	v_dot4_i32_iu8 v2, v152, v127, v150 neg_lo:[1,1,0]
	;; [unrolled: 1-line block ×4, first 2 shown]
	s_delay_alu instid0(VALU_DEP_4) | instskip(NEXT) | instid1(VALU_DEP_4)
	v_dot4_i32_iu8 v151, v3, v178, v1 neg_lo:[1,1,0]
	v_dot4_i32_iu8 v152, v3, v180, v2 neg_lo:[1,1,0]
	s_delay_alu instid0(VALU_DEP_4) | instskip(NEXT) | instid1(VALU_DEP_4)
	v_dot4_i32_iu8 v150, v3, v182, v150 neg_lo:[1,1,0]
	v_dot4_i32_iu8 v194, v3, v184, v0 neg_lo:[1,1,0]
	ds_load_b128 v[0:3], v121 offset:7168
	v_add_nc_u32_e32 v121, 32, v121
	v_dot4_i32_iu8 v150, v153, v183, v150 neg_lo:[1,1,0]
	s_waitcnt lgkmcnt(0)
	v_dot4_i32_iu8 v7, v0, v7, 0 neg_lo:[1,1,0]
	s_delay_alu instid0(VALU_DEP_1) | instskip(SKIP_3) | instid1(VALU_DEP_4)
	v_dot4_i32_iu8 v7, v154, v8, v7 neg_lo:[1,1,0]
	v_dot4_i32_iu8 v8, v0, v160, 0 neg_lo:[1,1,0]
	v_dot4_i32_iu8 v160, v0, v162, 0 neg_lo:[1,1,0]
	v_dot4_i32_iu8 v0, v0, v164, 0 neg_lo:[1,1,0]
	v_dot4_i32_iu8 v7, v1, v158, v7 neg_lo:[1,1,0]
	s_delay_alu instid0(VALU_DEP_4) | instskip(NEXT) | instid1(VALU_DEP_4)
	v_dot4_i32_iu8 v8, v154, v161, v8 neg_lo:[1,1,0]
	v_dot4_i32_iu8 v160, v154, v163, v160 neg_lo:[1,1,0]
	s_delay_alu instid0(VALU_DEP_4) | instskip(NEXT) | instid1(VALU_DEP_4)
	v_dot4_i32_iu8 v0, v154, v165, v0 neg_lo:[1,1,0]
	v_dot4_i32_iu8 v7, v155, v159, v7 neg_lo:[1,1,0]
	;; [unrolled: 3-line block ×7, first 2 shown]
	s_delay_alu instid0(VALU_DEP_4)
	v_dot4_i32_iu8 v0, v2, v176, v0 neg_lo:[1,1,0]
	v_dot4_i32_iu8 v126, v183, v129, v187 neg_lo:[1,1,0]
	;; [unrolled: 1-line block ×7, first 2 shown]
	s_delay_alu instid0(VALU_DEP_4) | instskip(NEXT) | instid1(VALU_DEP_4)
	v_dot4_i32_iu8 v2, v3, v180, v7 neg_lo:[1,1,0]
	v_dot4_i32_iu8 v7, v3, v182, v8 neg_lo:[1,1,0]
	s_delay_alu instid0(VALU_DEP_4)
	v_dot4_i32_iu8 v0, v3, v184, v0 neg_lo:[1,1,0]
	v_dot4_i32_iu8 v3, v179, v129, v186 neg_lo:[1,1,0]
	v_dot4_i32_iu8 v8, v181, v129, v128 neg_lo:[1,1,0]
	v_dot4_i32_iu8 v128, v133, v179, v131 neg_lo:[1,1,0]
	v_dot4_i32_iu8 v129, v133, v181, v132 neg_lo:[1,1,0]
	v_dot4_i32_iu8 v131, v133, v185, v189 neg_lo:[1,1,0]
	v_dot4_i32_iu8 v132, v137, v179, v135 neg_lo:[1,1,0]
	v_dot4_i32_iu8 v133, v137, v181, v136 neg_lo:[1,1,0]
	v_dot4_i32_iu8 v135, v137, v185, v190 neg_lo:[1,1,0]
	v_dot4_i32_iu8 v136, v141, v179, v139 neg_lo:[1,1,0]
	v_dot4_i32_iu8 v137, v141, v181, v140 neg_lo:[1,1,0]
	v_dot4_i32_iu8 v139, v141, v185, v191 neg_lo:[1,1,0]
	v_dot4_i32_iu8 v140, v145, v179, v143 neg_lo:[1,1,0]
	v_dot4_i32_iu8 v141, v145, v181, v144 neg_lo:[1,1,0]
	v_dot4_i32_iu8 v143, v145, v185, v192 neg_lo:[1,1,0]
	v_dot4_i32_iu8 v144, v149, v179, v147 neg_lo:[1,1,0]
	v_dot4_i32_iu8 v145, v149, v181, v148 neg_lo:[1,1,0]
	v_dot4_i32_iu8 v147, v149, v185, v193 neg_lo:[1,1,0]
	v_dot4_i32_iu8 v148, v153, v179, v151 neg_lo:[1,1,0]
	v_dot4_i32_iu8 v149, v153, v181, v152 neg_lo:[1,1,0]
	v_dot4_i32_iu8 v151, v153, v185, v194 neg_lo:[1,1,0]
	v_dot4_i32_iu8 v152, v157, v179, v1 neg_lo:[1,1,0]
	v_dot4_i32_iu8 v2, v157, v181, v2 neg_lo:[1,1,0]
	v_dot4_i32_iu8 v7, v157, v183, v7 neg_lo:[1,1,0]
	v_dot4_i32_iu8 v153, v157, v185, v0 neg_lo:[1,1,0]
	ds_load_b32 v154, v122
	ds_load_b32 v155, v123
	;; [unrolled: 1-line block ×4, first 2 shown]
	ds_load_2addr_b32 v[0:1], v119 offset1:32
	v_cvt_f32_i32_e32 v3, v3
	v_cvt_f32_i32_e32 v132, v132
	;; [unrolled: 1-line block ×10, first 2 shown]
	v_add_nc_u32_e32 v125, 4, v125
	v_add_nc_u32_e32 v124, 4, v124
	;; [unrolled: 1-line block ×4, first 2 shown]
	s_waitcnt lgkmcnt(0)
	v_pk_mul_f16 v158, v0, v154
	v_pk_mul_f16 v159, v0, v155
	v_pk_mul_f16 v160, v0, v156
	v_pk_mul_f16 v161, v0, v157
	v_pk_mul_f16 v162, v154, v1
	v_pk_mul_f16 v163, v155, v1
	v_pk_mul_f16 v164, v156, v1
	v_pk_mul_f16 v165, v157, v1
	ds_load_2addr_b32 v[0:1], v119 offset0:64 offset1:96
	v_fma_mix_f32 v3, v158, v3, v158 op_sel:[0,0,1] op_sel_hi:[1,0,1]
	v_fma_mix_f32 v128, v162, v128, v162 op_sel:[0,0,1] op_sel_hi:[1,0,1]
	s_delay_alu instid0(VALU_DEP_2)
	v_add_f32_e32 v37, v37, v3
	v_cvt_f32_i32_e32 v3, v8
	v_cvt_f32_i32_e32 v8, v126
	;; [unrolled: 1-line block ×9, first 2 shown]
	v_fma_mix_f32 v3, v159, v3, v159 op_sel:[0,0,1] op_sel_hi:[1,0,1]
	v_fma_mix_f32 v8, v160, v8, v160 op_sel:[0,0,1] op_sel_hi:[1,0,1]
	;; [unrolled: 1-line block ×4, first 2 shown]
	s_waitcnt lgkmcnt(0)
	v_pk_mul_f16 v166, v154, v0
	v_pk_mul_f16 v167, v155, v0
	;; [unrolled: 1-line block ×8, first 2 shown]
	ds_load_2addr_b32 v[0:1], v119 offset0:128 offset1:160
	v_fma_mix_f32 v132, v166, v132, v166 op_sel:[0,0,1] op_sel_hi:[1,0,1]
	v_fma_mix_f32 v136, v170, v136, v170 op_sel:[0,0,1] op_sel_hi:[1,0,1]
	;; [unrolled: 1-line block ×5, first 2 shown]
	v_add_f32_e32 v52, v52, v3
	v_dual_add_f32 v42, v42, v8 :: v_dual_add_f32 v41, v41, v126
	v_dual_add_f32 v39, v39, v127 :: v_dual_add_f32 v36, v36, v129
	s_delay_alu instid0(VALU_DEP_4)
	v_dual_add_f32 v33, v33, v131 :: v_dual_add_f32 v28, v28, v134
	s_waitcnt lgkmcnt(0)
	v_pk_mul_f16 v174, v154, v0
	v_pk_mul_f16 v175, v155, v0
	;; [unrolled: 1-line block ×8, first 2 shown]
	ds_load_2addr_b32 v[0:1], v119 offset0:192 offset1:224
	v_fma_mix_f32 v144, v178, v144, v178 op_sel:[0,0,1] op_sel_hi:[1,0,1]
	v_fma_mix_f32 v140, v174, v140, v174 op_sel:[0,0,1] op_sel_hi:[1,0,1]
	;; [unrolled: 1-line block ×3, first 2 shown]
	v_add_nc_u32_e32 v119, 4, v119
	s_delay_alu instid0(VALU_DEP_2)
	v_add_f32_e32 v21, v21, v138
	s_waitcnt lgkmcnt(0)
	v_pk_mul_f16 v184, v156, v0
	v_pk_mul_f16 v183, v155, v0
	;; [unrolled: 1-line block ×5, first 2 shown]
	v_fma_mix_f32 v143, v184, v143, v184 op_sel:[0,0,1] op_sel_hi:[1,0,1]
	v_add_f32_e32 v35, v35, v132
	v_cvt_f32_i32_e32 v132, v135
	v_cvt_f32_i32_e32 v135, v139
	v_cvt_f32_i32_e32 v139, v145
	v_add_f32_e32 v14, v14, v143
	v_fma_mix_f32 v7, v156, v7, v156 op_sel:[0,0,1] op_sel_hi:[1,0,1]
	v_add_f32_e32 v31, v31, v136
	v_cvt_f32_i32_e32 v136, v141
	v_fma_mix_f32 v139, v179, v139, v179 op_sel:[0,0,1] op_sel_hi:[1,0,1]
	v_add_f32_e32 v40, v40, v128
	v_cvt_f32_i32_e32 v128, v130
	v_cvt_f32_i32_e32 v130, v133
	;; [unrolled: 1-line block ×3, first 2 shown]
	v_add_f32_e32 v19, v19, v139
	v_cvt_f32_i32_e32 v137, v142
	v_cvt_f32_i32_e32 v142, v149
	;; [unrolled: 1-line block ×3, first 2 shown]
	v_pk_mul_f16 v154, v154, v1
	v_pk_mul_f16 v155, v155, v1
	;; [unrolled: 1-line block ×3, first 2 shown]
	v_fma_mix_f32 v142, v183, v142, v183 op_sel:[0,0,1] op_sel_hi:[1,0,1]
	v_add_f32_e32 v20, v20, v144
	v_cvt_f32_i32_e32 v144, v151
	v_fma_mix_f32 v141, v181, v141, v181 op_sel:[0,0,1] op_sel_hi:[1,0,1]
	v_add_f32_e32 v24, v24, v140
	v_cvt_f32_i32_e32 v140, v146
	v_fma_mix_f32 v148, v182, v148, v182 op_sel:[0,0,1] op_sel_hi:[1,0,1]
	v_fma_mix_f32 v0, v0, v144, v0 op_sel:[0,0,1] op_sel_hi:[1,0,1]
	v_add_f32_e32 v17, v17, v141
	v_cvt_f32_i32_e32 v144, v153
	v_fma_mix_f32 v152, v154, v152, v154 op_sel:[0,0,1] op_sel_hi:[1,0,1]
	v_fma_mix_f32 v128, v164, v128, v164 op_sel:[0,0,1] op_sel_hi:[1,0,1]
	;; [unrolled: 1-line block ×11, first 2 shown]
	v_add_f32_e32 v16, v16, v148
	v_add_f32_e32 v12, v12, v152
	;; [unrolled: 1-line block ×4, first 2 shown]
	v_dual_add_f32 v32, v32, v132 :: v_dual_add_f32 v29, v29, v133
	v_add_f32_e32 v27, v27, v135
	v_dual_add_f32 v23, v23, v136 :: v_dual_add_f32 v22, v22, v137
	v_dual_add_f32 v18, v18, v140 :: v_dual_add_f32 v15, v15, v142
	v_add_f32_e32 v13, v13, v0
	v_dual_add_f32 v11, v11, v2 :: v_dual_add_f32 v10, v10, v7
	v_add_f32_e32 v9, v9, v1
	s_cbranch_scc1 .LBB143_7
; %bb.8:                                ;   in Loop: Header=BB143_6 Depth=1
	s_or_b32 s0, s13, 4
	s_delay_alu instid0(SALU_CYCLE_1)
	s_cmp_ge_i32 s0, s5
	s_barrier
	buffer_gl0_inv
	s_cbranch_scc1 .LBB143_5
; %bb.9:                                ;   in Loop: Header=BB143_6 Depth=1
	v_add_nc_u32_e32 v125, s13, v102
	v_add_nc_u32_e32 v118, 4, v118
	s_mov_b32 s0, 12
	s_delay_alu instid0(VALU_DEP_2)
	v_add_nc_u32_e32 v2, v125, v90
	v_add_nc_u32_e32 v7, v125, v91
	;; [unrolled: 1-line block ×5, first 2 shown]
	v_mad_i64_i32 v[0:1], null, v2, 36, v[4:5]
	v_add_nc_u32_e32 v126, v125, v95
	v_mad_i64_i32 v[2:3], null, v7, 36, v[4:5]
	v_add_nc_u32_e32 v127, v125, v97
	;; [unrolled: 2-line block ×3, first 2 shown]
	v_mad_i64_i32 v[119:120], null, v121, 36, v[4:5]
	v_mad_i64_i32 v[121:122], null, v123, 36, v[4:5]
	;; [unrolled: 1-line block ×5, first 2 shown]
	v_mad_u64_u32 v[129:130], null, v118, 36, s[2:3]
	s_clause 0x8
	global_load_b32 v0, v[0:1], off offset:4
	global_load_b32 v1, v[2:3], off offset:4
	;; [unrolled: 1-line block ×8, first 2 shown]
	global_load_b32 v127, v[129:130], off
	v_mov_b32_e32 v121, v112
	v_dual_mov_b32 v118, v108 :: v_dual_mov_b32 v119, v107
	v_mov_b32_e32 v120, v113
	v_dual_mov_b32 v122, v111 :: v_dual_mov_b32 v123, v110
	v_mov_b32_e32 v124, v109
	s_waitcnt vmcnt(8)
	ds_store_b32 v73, v0
	s_waitcnt vmcnt(7)
	ds_store_b32 v75, v1
	;; [unrolled: 2-line block ×9, first 2 shown]
	s_waitcnt lgkmcnt(0)
	s_barrier
	buffer_gl0_inv
.LBB143_10:                             ;   Parent Loop BB143_6 Depth=1
                                        ; =>  This Inner Loop Header: Depth=2
	ds_load_2addr_b32 v[7:8], v120 offset1:1
	ds_load_b128 v[0:3], v119
	ds_load_b128 v[125:128], v119 offset:16
	ds_load_2addr_b32 v[157:158], v120 offset0:2 offset1:3
	v_add_nc_u32_e32 v130, 0x2080, v120
	v_add_nc_u32_e32 v131, 0x4100, v120
	;; [unrolled: 1-line block ×3, first 2 shown]
	ds_load_2addr_b32 v[171:172], v120 offset0:4 offset1:5
	ds_load_2addr_b32 v[177:178], v120 offset0:6 offset1:7
	ds_load_2addr_b32 v[159:160], v130 offset1:1
	ds_load_2addr_b32 v[161:162], v131 offset1:1
	;; [unrolled: 1-line block ×3, first 2 shown]
	s_add_i32 s0, s0, 4
	s_delay_alu instid0(SALU_CYCLE_1) | instskip(SKIP_3) | instid1(VALU_DEP_1)
	s_cmp_lt_u32 s0, 28
	s_waitcnt lgkmcnt(7)
	v_dot4_i32_iu8 v129, v7, v0, 0 neg_lo:[1,1,0]
	s_waitcnt lgkmcnt(6)
	v_dot4_i32_iu8 v129, v8, v125, v129 neg_lo:[1,1,0]
	;; [unrolled: 2-line block ×4, first 2 shown]
	v_dot4_i32_iu8 v129, v157, v1, v129 neg_lo:[1,1,0]
	s_waitcnt lgkmcnt(0)
	v_dot4_i32_iu8 v0, v163, v0, 0 neg_lo:[1,1,0]
	v_dot4_i32_iu8 v130, v160, v125, v130 neg_lo:[1,1,0]
	v_dot4_i32_iu8 v131, v162, v125, v131 neg_lo:[1,1,0]
	s_delay_alu instid0(VALU_DEP_3)
	v_dot4_i32_iu8 v0, v164, v125, v0 neg_lo:[1,1,0]
	v_dot4_i32_iu8 v125, v158, v126, v129 neg_lo:[1,1,0]
	v_add_nc_u32_e32 v129, 0x2088, v120
	ds_load_2addr_b32 v[165:166], v129 offset1:1
	s_waitcnt lgkmcnt(0)
	v_dot4_i32_iu8 v129, v165, v1, v130 neg_lo:[1,1,0]
	v_add_nc_u32_e32 v130, 0x4108, v120
	s_delay_alu instid0(VALU_DEP_2) | instskip(SKIP_4) | instid1(VALU_DEP_2)
	v_dot4_i32_iu8 v129, v166, v126, v129 neg_lo:[1,1,0]
	ds_load_2addr_b32 v[167:168], v130 offset1:1
	s_waitcnt lgkmcnt(0)
	v_dot4_i32_iu8 v130, v167, v1, v131 neg_lo:[1,1,0]
	v_add_nc_u32_e32 v131, 0x6188, v120
	v_dot4_i32_iu8 v130, v168, v126, v130 neg_lo:[1,1,0]
	ds_load_2addr_b32 v[169:170], v131 offset1:1
	v_add_nc_u32_e32 v131, 0x4110, v120
	ds_load_2addr_b32 v[173:174], v131 offset1:1
	v_add_nc_u32_e32 v131, 0x6190, v120
	ds_load_2addr_b32 v[175:176], v131 offset1:1
	s_waitcnt lgkmcnt(2)
	v_dot4_i32_iu8 v0, v169, v1, v0 neg_lo:[1,1,0]
	v_dot4_i32_iu8 v1, v171, v2, v125 neg_lo:[1,1,0]
	v_add_nc_u32_e32 v125, 0x2090, v120
	s_delay_alu instid0(VALU_DEP_3) | instskip(NEXT) | instid1(VALU_DEP_3)
	v_dot4_i32_iu8 v0, v170, v126, v0 neg_lo:[1,1,0]
	v_dot4_i32_iu8 v1, v172, v127, v1 neg_lo:[1,1,0]
	ds_load_2addr_b32 v[125:126], v125 offset1:1
	s_waitcnt lgkmcnt(2)
	v_dot4_i32_iu8 v130, v173, v2, v130 neg_lo:[1,1,0]
	v_dot4_i32_iu8 v185, v177, v3, v1 neg_lo:[1,1,0]
	s_waitcnt lgkmcnt(1)
	v_dot4_i32_iu8 v0, v175, v2, v0 neg_lo:[1,1,0]
	s_delay_alu instid0(VALU_DEP_1) | instskip(SKIP_3) | instid1(VALU_DEP_2)
	v_dot4_i32_iu8 v0, v176, v127, v0 neg_lo:[1,1,0]
	s_waitcnt lgkmcnt(0)
	v_dot4_i32_iu8 v129, v125, v2, v129 neg_lo:[1,1,0]
	v_dot4_i32_iu8 v2, v174, v127, v130 neg_lo:[1,1,0]
	;; [unrolled: 1-line block ×3, first 2 shown]
	v_add_nc_u32_e32 v127, 0x2098, v120
	ds_load_b128 v[129:132], v119 offset:1040
	ds_load_2addr_b32 v[179:180], v127 offset1:1
	s_waitcnt lgkmcnt(0)
	v_dot4_i32_iu8 v127, v179, v3, v1 neg_lo:[1,1,0]
	v_add_nc_u32_e32 v1, 0x4118, v120
	ds_load_2addr_b32 v[181:182], v1 offset1:1
	v_add_nc_u32_e32 v1, 0x6198, v120
	v_add_nc_u32_e32 v120, 32, v120
	ds_load_2addr_b32 v[183:184], v1 offset1:1
	s_waitcnt lgkmcnt(1)
	v_dot4_i32_iu8 v186, v181, v3, v2 neg_lo:[1,1,0]
	s_waitcnt lgkmcnt(0)
	v_dot4_i32_iu8 v187, v183, v3, v0 neg_lo:[1,1,0]
	ds_load_b128 v[0:3], v119 offset:1024
	s_waitcnt lgkmcnt(0)
	v_dot4_i32_iu8 v133, v0, v7, 0 neg_lo:[1,1,0]
	v_dot4_i32_iu8 v134, v0, v159, 0 neg_lo:[1,1,0]
	v_dot4_i32_iu8 v135, v0, v161, 0 neg_lo:[1,1,0]
	v_dot4_i32_iu8 v0, v0, v163, 0 neg_lo:[1,1,0]
	s_delay_alu instid0(VALU_DEP_4) | instskip(NEXT) | instid1(VALU_DEP_4)
	v_dot4_i32_iu8 v133, v129, v8, v133 neg_lo:[1,1,0]
	v_dot4_i32_iu8 v134, v129, v160, v134 neg_lo:[1,1,0]
	s_delay_alu instid0(VALU_DEP_4) | instskip(NEXT) | instid1(VALU_DEP_4)
	v_dot4_i32_iu8 v135, v129, v162, v135 neg_lo:[1,1,0]
	v_dot4_i32_iu8 v0, v129, v164, v0 neg_lo:[1,1,0]
	s_delay_alu instid0(VALU_DEP_4) | instskip(NEXT) | instid1(VALU_DEP_4)
	v_dot4_i32_iu8 v129, v1, v157, v133 neg_lo:[1,1,0]
	v_dot4_i32_iu8 v133, v1, v165, v134 neg_lo:[1,1,0]
	s_delay_alu instid0(VALU_DEP_4) | instskip(NEXT) | instid1(VALU_DEP_4)
	v_dot4_i32_iu8 v134, v1, v167, v135 neg_lo:[1,1,0]
	v_dot4_i32_iu8 v0, v1, v169, v0 neg_lo:[1,1,0]
	s_delay_alu instid0(VALU_DEP_4) | instskip(NEXT) | instid1(VALU_DEP_4)
	v_dot4_i32_iu8 v1, v130, v158, v129 neg_lo:[1,1,0]
	v_dot4_i32_iu8 v129, v130, v166, v133 neg_lo:[1,1,0]
	s_delay_alu instid0(VALU_DEP_4) | instskip(NEXT) | instid1(VALU_DEP_4)
	v_dot4_i32_iu8 v133, v130, v168, v134 neg_lo:[1,1,0]
	v_dot4_i32_iu8 v0, v130, v170, v0 neg_lo:[1,1,0]
	s_delay_alu instid0(VALU_DEP_4) | instskip(NEXT) | instid1(VALU_DEP_4)
	v_dot4_i32_iu8 v1, v2, v171, v1 neg_lo:[1,1,0]
	v_dot4_i32_iu8 v129, v2, v125, v129 neg_lo:[1,1,0]
	s_delay_alu instid0(VALU_DEP_4) | instskip(NEXT) | instid1(VALU_DEP_4)
	v_dot4_i32_iu8 v130, v2, v173, v133 neg_lo:[1,1,0]
	v_dot4_i32_iu8 v0, v2, v175, v0 neg_lo:[1,1,0]
	ds_load_b128 v[133:136], v119 offset:2064
	v_dot4_i32_iu8 v1, v131, v172, v1 neg_lo:[1,1,0]
	v_dot4_i32_iu8 v2, v131, v126, v129 neg_lo:[1,1,0]
	v_dot4_i32_iu8 v129, v131, v174, v130 neg_lo:[1,1,0]
	v_dot4_i32_iu8 v0, v131, v176, v0 neg_lo:[1,1,0]
	s_delay_alu instid0(VALU_DEP_4) | instskip(NEXT) | instid1(VALU_DEP_4)
	v_dot4_i32_iu8 v130, v3, v177, v1 neg_lo:[1,1,0]
	v_dot4_i32_iu8 v131, v3, v179, v2 neg_lo:[1,1,0]
	s_delay_alu instid0(VALU_DEP_4) | instskip(NEXT) | instid1(VALU_DEP_4)
	v_dot4_i32_iu8 v129, v3, v181, v129 neg_lo:[1,1,0]
	v_dot4_i32_iu8 v188, v3, v183, v0 neg_lo:[1,1,0]
	ds_load_b128 v[0:3], v119 offset:2048
	v_dot4_i32_iu8 v129, v132, v182, v129 neg_lo:[1,1,0]
	s_waitcnt lgkmcnt(0)
	v_dot4_i32_iu8 v137, v0, v7, 0 neg_lo:[1,1,0]
	v_dot4_i32_iu8 v138, v0, v159, 0 neg_lo:[1,1,0]
	v_dot4_i32_iu8 v139, v0, v161, 0 neg_lo:[1,1,0]
	v_dot4_i32_iu8 v0, v0, v163, 0 neg_lo:[1,1,0]
	s_delay_alu instid0(VALU_DEP_4) | instskip(NEXT) | instid1(VALU_DEP_4)
	v_dot4_i32_iu8 v137, v133, v8, v137 neg_lo:[1,1,0]
	v_dot4_i32_iu8 v138, v133, v160, v138 neg_lo:[1,1,0]
	s_delay_alu instid0(VALU_DEP_4) | instskip(NEXT) | instid1(VALU_DEP_4)
	v_dot4_i32_iu8 v139, v133, v162, v139 neg_lo:[1,1,0]
	v_dot4_i32_iu8 v0, v133, v164, v0 neg_lo:[1,1,0]
	s_delay_alu instid0(VALU_DEP_4) | instskip(NEXT) | instid1(VALU_DEP_4)
	v_dot4_i32_iu8 v133, v1, v157, v137 neg_lo:[1,1,0]
	v_dot4_i32_iu8 v137, v1, v165, v138 neg_lo:[1,1,0]
	s_delay_alu instid0(VALU_DEP_4) | instskip(NEXT) | instid1(VALU_DEP_4)
	v_dot4_i32_iu8 v138, v1, v167, v139 neg_lo:[1,1,0]
	v_dot4_i32_iu8 v0, v1, v169, v0 neg_lo:[1,1,0]
	s_delay_alu instid0(VALU_DEP_4) | instskip(NEXT) | instid1(VALU_DEP_4)
	v_dot4_i32_iu8 v1, v134, v158, v133 neg_lo:[1,1,0]
	v_dot4_i32_iu8 v133, v134, v166, v137 neg_lo:[1,1,0]
	s_delay_alu instid0(VALU_DEP_4) | instskip(NEXT) | instid1(VALU_DEP_4)
	v_dot4_i32_iu8 v137, v134, v168, v138 neg_lo:[1,1,0]
	v_dot4_i32_iu8 v0, v134, v170, v0 neg_lo:[1,1,0]
	s_delay_alu instid0(VALU_DEP_4) | instskip(NEXT) | instid1(VALU_DEP_4)
	v_dot4_i32_iu8 v1, v2, v171, v1 neg_lo:[1,1,0]
	v_dot4_i32_iu8 v133, v2, v125, v133 neg_lo:[1,1,0]
	s_delay_alu instid0(VALU_DEP_4) | instskip(NEXT) | instid1(VALU_DEP_4)
	v_dot4_i32_iu8 v134, v2, v173, v137 neg_lo:[1,1,0]
	v_dot4_i32_iu8 v0, v2, v175, v0 neg_lo:[1,1,0]
	ds_load_b128 v[137:140], v119 offset:3088
	v_dot4_i32_iu8 v1, v135, v172, v1 neg_lo:[1,1,0]
	v_dot4_i32_iu8 v2, v135, v126, v133 neg_lo:[1,1,0]
	v_dot4_i32_iu8 v133, v135, v174, v134 neg_lo:[1,1,0]
	v_dot4_i32_iu8 v0, v135, v176, v0 neg_lo:[1,1,0]
	s_delay_alu instid0(VALU_DEP_4) | instskip(NEXT) | instid1(VALU_DEP_4)
	v_dot4_i32_iu8 v134, v3, v177, v1 neg_lo:[1,1,0]
	v_dot4_i32_iu8 v135, v3, v179, v2 neg_lo:[1,1,0]
	s_delay_alu instid0(VALU_DEP_4) | instskip(NEXT) | instid1(VALU_DEP_4)
	v_dot4_i32_iu8 v133, v3, v181, v133 neg_lo:[1,1,0]
	v_dot4_i32_iu8 v189, v3, v183, v0 neg_lo:[1,1,0]
	ds_load_b128 v[0:3], v119 offset:3072
	v_dot4_i32_iu8 v133, v136, v182, v133 neg_lo:[1,1,0]
	;; [unrolled: 42-line block ×5, first 2 shown]
	s_waitcnt lgkmcnt(0)
	v_dot4_i32_iu8 v153, v0, v7, 0 neg_lo:[1,1,0]
	v_dot4_i32_iu8 v154, v0, v159, 0 neg_lo:[1,1,0]
	v_dot4_i32_iu8 v155, v0, v161, 0 neg_lo:[1,1,0]
	v_dot4_i32_iu8 v0, v0, v163, 0 neg_lo:[1,1,0]
	s_delay_alu instid0(VALU_DEP_4) | instskip(NEXT) | instid1(VALU_DEP_4)
	v_dot4_i32_iu8 v153, v149, v8, v153 neg_lo:[1,1,0]
	v_dot4_i32_iu8 v154, v149, v160, v154 neg_lo:[1,1,0]
	s_delay_alu instid0(VALU_DEP_4) | instskip(NEXT) | instid1(VALU_DEP_4)
	v_dot4_i32_iu8 v155, v149, v162, v155 neg_lo:[1,1,0]
	v_dot4_i32_iu8 v0, v149, v164, v0 neg_lo:[1,1,0]
	;; [unrolled: 3-line block ×8, first 2 shown]
	ds_load_b128 v[153:156], v119 offset:7184
	v_dot4_i32_iu8 v1, v151, v172, v1 neg_lo:[1,1,0]
	v_dot4_i32_iu8 v2, v151, v126, v149 neg_lo:[1,1,0]
	;; [unrolled: 1-line block ×4, first 2 shown]
	s_delay_alu instid0(VALU_DEP_4) | instskip(NEXT) | instid1(VALU_DEP_4)
	v_dot4_i32_iu8 v150, v3, v177, v1 neg_lo:[1,1,0]
	v_dot4_i32_iu8 v151, v3, v179, v2 neg_lo:[1,1,0]
	s_delay_alu instid0(VALU_DEP_4) | instskip(NEXT) | instid1(VALU_DEP_4)
	v_dot4_i32_iu8 v149, v3, v181, v149 neg_lo:[1,1,0]
	v_dot4_i32_iu8 v193, v3, v183, v0 neg_lo:[1,1,0]
	ds_load_b128 v[0:3], v119 offset:7168
	v_add_nc_u32_e32 v119, 32, v119
	v_dot4_i32_iu8 v149, v152, v182, v149 neg_lo:[1,1,0]
	s_waitcnt lgkmcnt(0)
	v_dot4_i32_iu8 v7, v0, v7, 0 neg_lo:[1,1,0]
	s_delay_alu instid0(VALU_DEP_1) | instskip(SKIP_3) | instid1(VALU_DEP_4)
	v_dot4_i32_iu8 v7, v153, v8, v7 neg_lo:[1,1,0]
	v_dot4_i32_iu8 v8, v0, v159, 0 neg_lo:[1,1,0]
	;; [unrolled: 1-line block ×5, first 2 shown]
	s_delay_alu instid0(VALU_DEP_4) | instskip(NEXT) | instid1(VALU_DEP_4)
	v_dot4_i32_iu8 v8, v153, v160, v8 neg_lo:[1,1,0]
	v_dot4_i32_iu8 v159, v153, v162, v159 neg_lo:[1,1,0]
	s_delay_alu instid0(VALU_DEP_4) | instskip(NEXT) | instid1(VALU_DEP_4)
	v_dot4_i32_iu8 v0, v153, v164, v0 neg_lo:[1,1,0]
	v_dot4_i32_iu8 v7, v154, v158, v7 neg_lo:[1,1,0]
	;; [unrolled: 3-line block ×7, first 2 shown]
	s_delay_alu instid0(VALU_DEP_4)
	v_dot4_i32_iu8 v0, v2, v175, v0 neg_lo:[1,1,0]
	v_dot4_i32_iu8 v125, v182, v128, v186 neg_lo:[1,1,0]
	;; [unrolled: 1-line block ×7, first 2 shown]
	s_delay_alu instid0(VALU_DEP_4) | instskip(NEXT) | instid1(VALU_DEP_4)
	v_dot4_i32_iu8 v2, v3, v179, v7 neg_lo:[1,1,0]
	v_dot4_i32_iu8 v7, v3, v181, v8 neg_lo:[1,1,0]
	s_delay_alu instid0(VALU_DEP_4)
	v_dot4_i32_iu8 v0, v3, v183, v0 neg_lo:[1,1,0]
	v_dot4_i32_iu8 v3, v178, v128, v185 neg_lo:[1,1,0]
	v_dot4_i32_iu8 v8, v180, v128, v127 neg_lo:[1,1,0]
	v_dot4_i32_iu8 v127, v132, v178, v130 neg_lo:[1,1,0]
	v_dot4_i32_iu8 v128, v132, v180, v131 neg_lo:[1,1,0]
	v_dot4_i32_iu8 v130, v132, v184, v188 neg_lo:[1,1,0]
	v_dot4_i32_iu8 v131, v136, v178, v134 neg_lo:[1,1,0]
	v_dot4_i32_iu8 v132, v136, v180, v135 neg_lo:[1,1,0]
	v_dot4_i32_iu8 v134, v136, v184, v189 neg_lo:[1,1,0]
	v_dot4_i32_iu8 v135, v140, v178, v138 neg_lo:[1,1,0]
	v_dot4_i32_iu8 v136, v140, v180, v139 neg_lo:[1,1,0]
	v_dot4_i32_iu8 v138, v140, v184, v190 neg_lo:[1,1,0]
	v_dot4_i32_iu8 v139, v144, v178, v142 neg_lo:[1,1,0]
	v_dot4_i32_iu8 v140, v144, v180, v143 neg_lo:[1,1,0]
	v_dot4_i32_iu8 v142, v144, v184, v191 neg_lo:[1,1,0]
	v_dot4_i32_iu8 v143, v148, v178, v146 neg_lo:[1,1,0]
	v_dot4_i32_iu8 v144, v148, v180, v147 neg_lo:[1,1,0]
	v_dot4_i32_iu8 v146, v148, v184, v192 neg_lo:[1,1,0]
	v_dot4_i32_iu8 v147, v152, v178, v150 neg_lo:[1,1,0]
	v_dot4_i32_iu8 v148, v152, v180, v151 neg_lo:[1,1,0]
	v_dot4_i32_iu8 v150, v152, v184, v193 neg_lo:[1,1,0]
	v_dot4_i32_iu8 v151, v156, v178, v1 neg_lo:[1,1,0]
	v_dot4_i32_iu8 v2, v156, v180, v2 neg_lo:[1,1,0]
	v_dot4_i32_iu8 v7, v156, v182, v7 neg_lo:[1,1,0]
	v_dot4_i32_iu8 v152, v156, v184, v0 neg_lo:[1,1,0]
	ds_load_b32 v153, v121
	ds_load_b32 v154, v122
	;; [unrolled: 1-line block ×4, first 2 shown]
	ds_load_2addr_b32 v[0:1], v118 offset1:32
	v_cvt_f32_i32_e32 v143, v143
	v_cvt_f32_i32_e32 v3, v3
	;; [unrolled: 1-line block ×10, first 2 shown]
	v_add_nc_u32_e32 v124, 4, v124
	v_add_nc_u32_e32 v123, 4, v123
	;; [unrolled: 1-line block ×4, first 2 shown]
	s_waitcnt lgkmcnt(0)
	v_pk_mul_f16 v157, v0, v153
	v_pk_mul_f16 v158, v0, v154
	v_pk_mul_f16 v159, v0, v155
	v_pk_mul_f16 v160, v0, v156
	v_pk_mul_f16 v161, v153, v1
	v_pk_mul_f16 v162, v154, v1
	v_pk_mul_f16 v163, v155, v1
	v_pk_mul_f16 v164, v156, v1
	ds_load_2addr_b32 v[0:1], v118 offset0:64 offset1:96
	v_fma_mix_f32 v3, v157, v3, v157 op_sel:[0,0,1] op_sel_hi:[1,0,1]
	v_fma_mix_f32 v127, v161, v127, v161 op_sel:[0,0,1] op_sel_hi:[1,0,1]
	s_delay_alu instid0(VALU_DEP_2)
	v_add_f32_e32 v37, v37, v3
	v_cvt_f32_i32_e32 v3, v8
	v_cvt_f32_i32_e32 v8, v125
	;; [unrolled: 1-line block ×3, first 2 shown]
	v_add_f32_e32 v40, v40, v127
	v_cvt_f32_i32_e32 v126, v128
	v_cvt_f32_i32_e32 v127, v129
	;; [unrolled: 1-line block ×9, first 2 shown]
	s_waitcnt lgkmcnt(0)
	v_pk_mul_f16 v165, v153, v0
	v_pk_mul_f16 v166, v154, v0
	v_pk_mul_f16 v167, v155, v0
	v_pk_mul_f16 v168, v156, v0
	v_pk_mul_f16 v169, v153, v1
	v_pk_mul_f16 v170, v154, v1
	v_pk_mul_f16 v171, v155, v1
	v_pk_mul_f16 v172, v156, v1
	ds_load_2addr_b32 v[0:1], v118 offset0:128 offset1:160
	v_fma_mix_f32 v131, v165, v131, v165 op_sel:[0,0,1] op_sel_hi:[1,0,1]
	v_fma_mix_f32 v135, v169, v135, v169 op_sel:[0,0,1] op_sel_hi:[1,0,1]
	v_cvt_f32_i32_e32 v141, v148
	v_cvt_f32_i32_e32 v142, v149
	v_fma_mix_f32 v3, v158, v3, v158 op_sel:[0,0,1] op_sel_hi:[1,0,1]
	v_add_f32_e32 v35, v35, v131
	v_cvt_f32_i32_e32 v131, v134
	v_add_f32_e32 v31, v31, v135
	v_cvt_f32_i32_e32 v134, v138
	v_cvt_f32_i32_e32 v135, v140
	;; [unrolled: 1-line block ×4, first 2 shown]
	v_fma_mix_f32 v8, v159, v8, v159 op_sel:[0,0,1] op_sel_hi:[1,0,1]
	v_fma_mix_f32 v125, v160, v125, v160 op_sel:[0,0,1] op_sel_hi:[1,0,1]
	;; [unrolled: 1-line block ×7, first 2 shown]
	s_waitcnt lgkmcnt(0)
	v_pk_mul_f16 v173, v153, v0
	v_pk_mul_f16 v174, v154, v0
	v_pk_mul_f16 v175, v155, v0
	v_pk_mul_f16 v176, v156, v0
	v_pk_mul_f16 v177, v153, v1
	v_pk_mul_f16 v178, v154, v1
	v_pk_mul_f16 v179, v155, v1
	v_pk_mul_f16 v180, v156, v1
	ds_load_2addr_b32 v[0:1], v118 offset0:192 offset1:224
	v_fma_mix_f32 v143, v177, v143, v177 op_sel:[0,0,1] op_sel_hi:[1,0,1]
	v_fma_mix_f32 v139, v173, v139, v173 op_sel:[0,0,1] op_sel_hi:[1,0,1]
	;; [unrolled: 1-line block ×5, first 2 shown]
	v_add_f32_e32 v20, v20, v143
	v_cvt_f32_i32_e32 v143, v150
	v_add_f32_e32 v24, v24, v139
	v_cvt_f32_i32_e32 v139, v145
	v_fma_mix_f32 v134, v172, v134, v172 op_sel:[0,0,1] op_sel_hi:[1,0,1]
	v_fma_mix_f32 v135, v174, v135, v174 op_sel:[0,0,1] op_sel_hi:[1,0,1]
	v_fma_mix_f32 v136, v175, v136, v175 op_sel:[0,0,1] op_sel_hi:[1,0,1]
	v_fma_mix_f32 v137, v176, v137, v176 op_sel:[0,0,1] op_sel_hi:[1,0,1]
	v_fma_mix_f32 v138, v178, v138, v178 op_sel:[0,0,1] op_sel_hi:[1,0,1]
	v_fma_mix_f32 v139, v179, v139, v179 op_sel:[0,0,1] op_sel_hi:[1,0,1]
	v_fma_mix_f32 v140, v180, v140, v180 op_sel:[0,0,1] op_sel_hi:[1,0,1]
	v_add_f32_e32 v52, v52, v3
	v_dual_add_f32 v42, v42, v8 :: v_dual_add_f32 v41, v41, v125
	s_waitcnt lgkmcnt(0)
	v_pk_mul_f16 v181, v153, v0
	v_pk_mul_f16 v182, v154, v0
	;; [unrolled: 1-line block ×8, first 2 shown]
	v_fma_mix_f32 v0, v0, v143, v0 op_sel:[0,0,1] op_sel_hi:[1,0,1]
	v_cvt_f32_i32_e32 v143, v152
	v_fma_mix_f32 v147, v181, v147, v181 op_sel:[0,0,1] op_sel_hi:[1,0,1]
	v_fma_mix_f32 v151, v153, v151, v153 op_sel:[0,0,1] op_sel_hi:[1,0,1]
	;; [unrolled: 1-line block ×7, first 2 shown]
	v_add_f32_e32 v16, v16, v147
	v_dual_add_f32 v12, v12, v151 :: v_dual_add_f32 v39, v39, v126
	v_add_f32_e32 v36, v36, v128
	v_add_f32_e32 v38, v38, v127
	v_dual_add_f32 v34, v34, v129 :: v_dual_add_f32 v33, v33, v130
	v_add_f32_e32 v28, v28, v133
	v_dual_add_f32 v32, v32, v131 :: v_dual_add_f32 v29, v29, v132
	v_dual_add_f32 v18, v18, v139 :: v_dual_add_f32 v27, v27, v134
	;; [unrolled: 1-line block ×5, first 2 shown]
	v_add_f32_e32 v17, v17, v140
	v_add_f32_e32 v15, v15, v141
	v_dual_add_f32 v13, v13, v0 :: v_dual_add_nc_u32 v118, 4, v118
	v_add_f32_e32 v11, v11, v2
	v_add_f32_e32 v9, v9, v1
	s_cbranch_scc1 .LBB143_10
; %bb.11:                               ;   in Loop: Header=BB143_6 Depth=1
	s_barrier
	buffer_gl0_inv
	s_branch .LBB143_5
.LBB143_12:
	v_dual_mov_b32 v1, v25 :: v_dual_mov_b32 v0, v26
.LBB143_13:
	s_mov_b32 s0, exec_lo
	v_cmpx_gt_u32_e64 s4, v30
	s_cbranch_execz .LBB143_64
; %bb.14:
	s_delay_alu instid0(VALU_DEP_2) | instskip(SKIP_1) | instid1(VALU_DEP_2)
	v_add_nc_u32_e32 v0, s10, v0
	v_mul_lo_u32 v5, v30, s6
	v_cmp_gt_u32_e32 vcc_lo, s6, v0
	s_and_saveexec_b32 s1, vcc_lo
	s_cbranch_execz .LBB143_16
; %bb.15:
	s_delay_alu instid0(VALU_DEP_2) | instskip(SKIP_1) | instid1(VALU_DEP_2)
	v_dual_mov_b32 v3, 0 :: v_dual_add_nc_u32 v2, v0, v5
	v_cvt_f16_f32_e32 v4, v37
	v_lshlrev_b64 v[2:3], 1, v[2:3]
	s_waitcnt lgkmcnt(0)
	s_delay_alu instid0(VALU_DEP_1) | instskip(NEXT) | instid1(VALU_DEP_1)
	v_add_co_u32 v2, s0, s8, v2
	v_add_co_ci_u32_e64 v3, s0, s9, v3, s0
	global_store_b16 v[2:3], v4, off
.LBB143_16:
	s_or_b32 exec_lo, exec_lo, s1
	v_add_nc_u32_e32 v2, 32, v0
	s_delay_alu instid0(VALU_DEP_1) | instskip(NEXT) | instid1(VALU_DEP_1)
	v_cmp_gt_u32_e64 s0, s6, v2
	s_and_saveexec_b32 s2, s0
	s_cbranch_execz .LBB143_18
; %bb.17:
	v_dual_mov_b32 v4, 0 :: v_dual_add_nc_u32 v3, v2, v5
	v_cvt_f16_f32_e32 v6, v52
	s_delay_alu instid0(VALU_DEP_2) | instskip(SKIP_1) | instid1(VALU_DEP_1)
	v_lshlrev_b64 v[3:4], 1, v[3:4]
	s_waitcnt lgkmcnt(0)
	v_add_co_u32 v3, s1, s8, v3
	s_delay_alu instid0(VALU_DEP_1)
	v_add_co_ci_u32_e64 v4, s1, s9, v4, s1
	global_store_b16 v[3:4], v6, off
.LBB143_18:
	s_or_b32 exec_lo, exec_lo, s2
	v_add_nc_u32_e32 v3, 64, v0
	s_delay_alu instid0(VALU_DEP_1) | instskip(NEXT) | instid1(VALU_DEP_1)
	v_cmp_gt_u32_e64 s1, s6, v3
	s_and_saveexec_b32 s3, s1
	s_cbranch_execz .LBB143_20
; %bb.19:
	v_dual_mov_b32 v7, 0 :: v_dual_add_nc_u32 v6, v3, v5
	v_cvt_f16_f32_e32 v4, v42
	s_delay_alu instid0(VALU_DEP_2) | instskip(SKIP_1) | instid1(VALU_DEP_1)
	v_lshlrev_b64 v[6:7], 1, v[6:7]
	s_waitcnt lgkmcnt(0)
	v_add_co_u32 v6, s2, s8, v6
	s_delay_alu instid0(VALU_DEP_1)
	v_add_co_ci_u32_e64 v7, s2, s9, v7, s2
	global_store_b16 v[6:7], v4, off
.LBB143_20:
	;; [unrolled: 17-line block ×3, first 2 shown]
	s_or_b32 exec_lo, exec_lo, s5
	v_add3_u32 v5, v1, s7, 8
	s_delay_alu instid0(VALU_DEP_1) | instskip(NEXT) | instid1(VALU_DEP_1)
	v_cmp_gt_u32_e64 s3, s4, v5
	s_and_b32 exec_lo, exec_lo, s3
	s_cbranch_execz .LBB143_64
; %bb.23:
	v_mul_lo_u32 v5, v5, s6
	s_and_saveexec_b32 s5, vcc_lo
	s_cbranch_execnz .LBB143_65
; %bb.24:
	s_or_b32 exec_lo, exec_lo, s5
	s_and_saveexec_b32 s5, s0
	s_cbranch_execnz .LBB143_66
.LBB143_25:
	s_or_b32 exec_lo, exec_lo, s5
	s_and_saveexec_b32 s5, s1
	s_cbranch_execnz .LBB143_67
.LBB143_26:
	s_or_b32 exec_lo, exec_lo, s5
	s_and_saveexec_b32 s5, s2
	s_cbranch_execz .LBB143_28
.LBB143_27:
	v_dual_mov_b32 v6, 0 :: v_dual_add_nc_u32 v5, v5, v4
	v_cvt_f16_f32_e32 v7, v36
	s_delay_alu instid0(VALU_DEP_2) | instskip(SKIP_1) | instid1(VALU_DEP_1)
	v_lshlrev_b64 v[5:6], 1, v[5:6]
	s_waitcnt lgkmcnt(0)
	v_add_co_u32 v5, s3, s8, v5
	s_delay_alu instid0(VALU_DEP_1)
	v_add_co_ci_u32_e64 v6, s3, s9, v6, s3
	global_store_b16 v[5:6], v7, off
.LBB143_28:
	s_or_b32 exec_lo, exec_lo, s5
	v_add3_u32 v5, v1, s7, 16
	s_delay_alu instid0(VALU_DEP_1) | instskip(NEXT) | instid1(VALU_DEP_1)
	v_cmp_gt_u32_e64 s3, s4, v5
	s_and_b32 exec_lo, exec_lo, s3
	s_cbranch_execz .LBB143_64
; %bb.29:
	v_mul_lo_u32 v5, v5, s6
	s_and_saveexec_b32 s5, vcc_lo
	s_cbranch_execnz .LBB143_68
; %bb.30:
	s_or_b32 exec_lo, exec_lo, s5
	s_and_saveexec_b32 s5, s0
	s_cbranch_execnz .LBB143_69
.LBB143_31:
	s_or_b32 exec_lo, exec_lo, s5
	s_and_saveexec_b32 s5, s1
	s_cbranch_execnz .LBB143_70
.LBB143_32:
	s_or_b32 exec_lo, exec_lo, s5
	s_and_saveexec_b32 s5, s2
	s_cbranch_execz .LBB143_34
.LBB143_33:
	v_dual_mov_b32 v6, 0 :: v_dual_add_nc_u32 v5, v5, v4
	v_cvt_f16_f32_e32 v7, v32
	s_delay_alu instid0(VALU_DEP_2) | instskip(SKIP_1) | instid1(VALU_DEP_1)
	v_lshlrev_b64 v[5:6], 1, v[5:6]
	s_waitcnt lgkmcnt(0)
	v_add_co_u32 v5, s3, s8, v5
	s_delay_alu instid0(VALU_DEP_1)
	v_add_co_ci_u32_e64 v6, s3, s9, v6, s3
	global_store_b16 v[5:6], v7, off
.LBB143_34:
	s_or_b32 exec_lo, exec_lo, s5
	v_add3_u32 v5, v1, s7, 24
	s_delay_alu instid0(VALU_DEP_1) | instskip(NEXT) | instid1(VALU_DEP_1)
	v_cmp_gt_u32_e64 s3, s4, v5
	s_and_b32 exec_lo, exec_lo, s3
	s_cbranch_execz .LBB143_64
; %bb.35:
	v_mul_lo_u32 v5, v5, s6
	s_and_saveexec_b32 s5, vcc_lo
	s_cbranch_execnz .LBB143_71
; %bb.36:
	s_or_b32 exec_lo, exec_lo, s5
	s_and_saveexec_b32 s5, s0
	s_cbranch_execnz .LBB143_72
.LBB143_37:
	s_or_b32 exec_lo, exec_lo, s5
	s_and_saveexec_b32 s5, s1
	s_cbranch_execnz .LBB143_73
.LBB143_38:
	s_or_b32 exec_lo, exec_lo, s5
	s_and_saveexec_b32 s5, s2
	s_cbranch_execz .LBB143_40
.LBB143_39:
	v_dual_mov_b32 v6, 0 :: v_dual_add_nc_u32 v5, v5, v4
	v_cvt_f16_f32_e32 v7, v27
	s_delay_alu instid0(VALU_DEP_2) | instskip(SKIP_1) | instid1(VALU_DEP_1)
	v_lshlrev_b64 v[5:6], 1, v[5:6]
	s_waitcnt lgkmcnt(0)
	v_add_co_u32 v5, s3, s8, v5
	s_delay_alu instid0(VALU_DEP_1)
	v_add_co_ci_u32_e64 v6, s3, s9, v6, s3
	global_store_b16 v[5:6], v7, off
.LBB143_40:
	s_or_b32 exec_lo, exec_lo, s5
	v_add3_u32 v5, v1, s7, 32
	s_delay_alu instid0(VALU_DEP_1) | instskip(NEXT) | instid1(VALU_DEP_1)
	v_cmp_gt_u32_e64 s3, s4, v5
	s_and_b32 exec_lo, exec_lo, s3
	s_cbranch_execz .LBB143_64
; %bb.41:
	v_mul_lo_u32 v5, v5, s6
	s_and_saveexec_b32 s5, vcc_lo
	s_cbranch_execnz .LBB143_74
; %bb.42:
	s_or_b32 exec_lo, exec_lo, s5
	s_and_saveexec_b32 s5, s0
	s_cbranch_execnz .LBB143_75
.LBB143_43:
	s_or_b32 exec_lo, exec_lo, s5
	s_and_saveexec_b32 s5, s1
	s_cbranch_execnz .LBB143_76
.LBB143_44:
	s_or_b32 exec_lo, exec_lo, s5
	s_and_saveexec_b32 s5, s2
	s_cbranch_execz .LBB143_46
.LBB143_45:
	v_dual_mov_b32 v6, 0 :: v_dual_add_nc_u32 v5, v5, v4
	v_cvt_f16_f32_e32 v7, v21
	s_delay_alu instid0(VALU_DEP_2) | instskip(SKIP_1) | instid1(VALU_DEP_1)
	v_lshlrev_b64 v[5:6], 1, v[5:6]
	s_waitcnt lgkmcnt(0)
	v_add_co_u32 v5, s3, s8, v5
	s_delay_alu instid0(VALU_DEP_1)
	v_add_co_ci_u32_e64 v6, s3, s9, v6, s3
	global_store_b16 v[5:6], v7, off
.LBB143_46:
	s_or_b32 exec_lo, exec_lo, s5
	v_add3_u32 v5, v1, s7, 40
	s_delay_alu instid0(VALU_DEP_1) | instskip(NEXT) | instid1(VALU_DEP_1)
	v_cmp_gt_u32_e64 s3, s4, v5
	s_and_b32 exec_lo, exec_lo, s3
	s_cbranch_execz .LBB143_64
; %bb.47:
	v_mul_lo_u32 v5, v5, s6
	s_and_saveexec_b32 s5, vcc_lo
	s_cbranch_execnz .LBB143_77
; %bb.48:
	s_or_b32 exec_lo, exec_lo, s5
	s_and_saveexec_b32 s5, s0
	s_cbranch_execnz .LBB143_78
.LBB143_49:
	s_or_b32 exec_lo, exec_lo, s5
	s_and_saveexec_b32 s5, s1
	s_cbranch_execnz .LBB143_79
.LBB143_50:
	s_or_b32 exec_lo, exec_lo, s5
	s_and_saveexec_b32 s5, s2
	s_cbranch_execz .LBB143_52
.LBB143_51:
	v_dual_mov_b32 v6, 0 :: v_dual_add_nc_u32 v5, v5, v4
	v_cvt_f16_f32_e32 v7, v17
	s_delay_alu instid0(VALU_DEP_2) | instskip(SKIP_1) | instid1(VALU_DEP_1)
	v_lshlrev_b64 v[5:6], 1, v[5:6]
	s_waitcnt lgkmcnt(0)
	v_add_co_u32 v5, s3, s8, v5
	s_delay_alu instid0(VALU_DEP_1)
	v_add_co_ci_u32_e64 v6, s3, s9, v6, s3
	global_store_b16 v[5:6], v7, off
.LBB143_52:
	s_or_b32 exec_lo, exec_lo, s5
	v_add3_u32 v5, v1, s7, 48
	s_delay_alu instid0(VALU_DEP_1) | instskip(NEXT) | instid1(VALU_DEP_1)
	v_cmp_gt_u32_e64 s3, s4, v5
	s_and_b32 exec_lo, exec_lo, s3
	s_cbranch_execz .LBB143_64
; %bb.53:
	v_mul_lo_u32 v5, v5, s6
	s_and_saveexec_b32 s5, vcc_lo
	s_cbranch_execnz .LBB143_80
; %bb.54:
	s_or_b32 exec_lo, exec_lo, s5
	s_and_saveexec_b32 s5, s0
	s_cbranch_execnz .LBB143_81
.LBB143_55:
	s_or_b32 exec_lo, exec_lo, s5
	s_and_saveexec_b32 s5, s1
	s_cbranch_execnz .LBB143_82
.LBB143_56:
	s_or_b32 exec_lo, exec_lo, s5
	s_and_saveexec_b32 s5, s2
	s_cbranch_execz .LBB143_58
.LBB143_57:
	v_dual_mov_b32 v6, 0 :: v_dual_add_nc_u32 v5, v5, v4
	v_cvt_f16_f32_e32 v7, v13
	s_delay_alu instid0(VALU_DEP_2) | instskip(SKIP_1) | instid1(VALU_DEP_1)
	v_lshlrev_b64 v[5:6], 1, v[5:6]
	s_waitcnt lgkmcnt(0)
	v_add_co_u32 v5, s3, s8, v5
	s_delay_alu instid0(VALU_DEP_1)
	v_add_co_ci_u32_e64 v6, s3, s9, v6, s3
	global_store_b16 v[5:6], v7, off
.LBB143_58:
	s_or_b32 exec_lo, exec_lo, s5
	v_add3_u32 v1, v1, s7, 56
	s_delay_alu instid0(VALU_DEP_1) | instskip(NEXT) | instid1(VALU_DEP_1)
	v_cmp_gt_u32_e64 s3, s4, v1
	s_and_b32 exec_lo, exec_lo, s3
	s_cbranch_execz .LBB143_64
; %bb.59:
	v_mul_lo_u32 v1, v1, s6
	s_and_saveexec_b32 s3, vcc_lo
	s_cbranch_execnz .LBB143_83
; %bb.60:
	s_or_b32 exec_lo, exec_lo, s3
	s_and_saveexec_b32 s3, s0
	s_cbranch_execnz .LBB143_84
.LBB143_61:
	s_or_b32 exec_lo, exec_lo, s3
	s_and_saveexec_b32 s0, s1
	s_cbranch_execnz .LBB143_85
.LBB143_62:
	s_or_b32 exec_lo, exec_lo, s0
	s_delay_alu instid0(SALU_CYCLE_1)
	s_and_b32 exec_lo, exec_lo, s2
	s_cbranch_execz .LBB143_64
.LBB143_63:
	v_dual_mov_b32 v1, 0 :: v_dual_add_nc_u32 v0, v1, v4
	v_cvt_f16_f32_e32 v2, v9
	s_delay_alu instid0(VALU_DEP_2) | instskip(SKIP_1) | instid1(VALU_DEP_1)
	v_lshlrev_b64 v[0:1], 1, v[0:1]
	s_waitcnt lgkmcnt(0)
	v_add_co_u32 v0, vcc_lo, s8, v0
	s_delay_alu instid0(VALU_DEP_2)
	v_add_co_ci_u32_e32 v1, vcc_lo, s9, v1, vcc_lo
	global_store_b16 v[0:1], v2, off
.LBB143_64:
	s_nop 0
	s_sendmsg sendmsg(MSG_DEALLOC_VGPRS)
	s_endpgm
.LBB143_65:
	s_delay_alu instid0(VALU_DEP_1) | instskip(SKIP_1) | instid1(VALU_DEP_2)
	v_dual_mov_b32 v7, 0 :: v_dual_add_nc_u32 v6, v5, v0
	v_cvt_f16_f32_e32 v8, v40
	v_lshlrev_b64 v[6:7], 1, v[6:7]
	s_waitcnt lgkmcnt(0)
	s_delay_alu instid0(VALU_DEP_1) | instskip(NEXT) | instid1(VALU_DEP_1)
	v_add_co_u32 v6, s3, s8, v6
	v_add_co_ci_u32_e64 v7, s3, s9, v7, s3
	global_store_b16 v[6:7], v8, off
	s_or_b32 exec_lo, exec_lo, s5
	s_and_saveexec_b32 s5, s0
	s_cbranch_execz .LBB143_25
.LBB143_66:
	s_delay_alu instid0(VALU_DEP_1) | instskip(SKIP_1) | instid1(VALU_DEP_2)
	v_dual_mov_b32 v7, 0 :: v_dual_add_nc_u32 v6, v5, v2
	v_cvt_f16_f32_e32 v8, v39
	v_lshlrev_b64 v[6:7], 1, v[6:7]
	s_waitcnt lgkmcnt(0)
	s_delay_alu instid0(VALU_DEP_1) | instskip(NEXT) | instid1(VALU_DEP_1)
	v_add_co_u32 v6, s3, s8, v6
	v_add_co_ci_u32_e64 v7, s3, s9, v7, s3
	global_store_b16 v[6:7], v8, off
	s_or_b32 exec_lo, exec_lo, s5
	s_and_saveexec_b32 s5, s1
	s_cbranch_execz .LBB143_26
.LBB143_67:
	v_dual_mov_b32 v7, 0 :: v_dual_add_nc_u32 v6, v5, v3
	v_cvt_f16_f32_e32 v8, v38
	s_delay_alu instid0(VALU_DEP_2) | instskip(SKIP_1) | instid1(VALU_DEP_1)
	v_lshlrev_b64 v[6:7], 1, v[6:7]
	s_waitcnt lgkmcnt(0)
	v_add_co_u32 v6, s3, s8, v6
	s_delay_alu instid0(VALU_DEP_1)
	v_add_co_ci_u32_e64 v7, s3, s9, v7, s3
	global_store_b16 v[6:7], v8, off
	s_or_b32 exec_lo, exec_lo, s5
	s_and_saveexec_b32 s5, s2
	s_cbranch_execnz .LBB143_27
	s_branch .LBB143_28
.LBB143_68:
	s_delay_alu instid0(VALU_DEP_1) | instskip(SKIP_1) | instid1(VALU_DEP_2)
	v_dual_mov_b32 v7, 0 :: v_dual_add_nc_u32 v6, v5, v0
	v_cvt_f16_f32_e32 v8, v35
	v_lshlrev_b64 v[6:7], 1, v[6:7]
	s_waitcnt lgkmcnt(0)
	s_delay_alu instid0(VALU_DEP_1) | instskip(NEXT) | instid1(VALU_DEP_1)
	v_add_co_u32 v6, s3, s8, v6
	v_add_co_ci_u32_e64 v7, s3, s9, v7, s3
	global_store_b16 v[6:7], v8, off
	s_or_b32 exec_lo, exec_lo, s5
	s_and_saveexec_b32 s5, s0
	s_cbranch_execz .LBB143_31
.LBB143_69:
	s_delay_alu instid0(VALU_DEP_1) | instskip(SKIP_1) | instid1(VALU_DEP_2)
	v_dual_mov_b32 v7, 0 :: v_dual_add_nc_u32 v6, v5, v2
	v_cvt_f16_f32_e32 v8, v34
	v_lshlrev_b64 v[6:7], 1, v[6:7]
	s_waitcnt lgkmcnt(0)
	s_delay_alu instid0(VALU_DEP_1) | instskip(NEXT) | instid1(VALU_DEP_1)
	v_add_co_u32 v6, s3, s8, v6
	v_add_co_ci_u32_e64 v7, s3, s9, v7, s3
	global_store_b16 v[6:7], v8, off
	s_or_b32 exec_lo, exec_lo, s5
	s_and_saveexec_b32 s5, s1
	s_cbranch_execz .LBB143_32
.LBB143_70:
	v_dual_mov_b32 v7, 0 :: v_dual_add_nc_u32 v6, v5, v3
	v_cvt_f16_f32_e32 v8, v33
	s_delay_alu instid0(VALU_DEP_2) | instskip(SKIP_1) | instid1(VALU_DEP_1)
	v_lshlrev_b64 v[6:7], 1, v[6:7]
	s_waitcnt lgkmcnt(0)
	v_add_co_u32 v6, s3, s8, v6
	s_delay_alu instid0(VALU_DEP_1)
	v_add_co_ci_u32_e64 v7, s3, s9, v7, s3
	global_store_b16 v[6:7], v8, off
	s_or_b32 exec_lo, exec_lo, s5
	s_and_saveexec_b32 s5, s2
	s_cbranch_execnz .LBB143_33
	s_branch .LBB143_34
.LBB143_71:
	s_delay_alu instid0(VALU_DEP_1) | instskip(SKIP_1) | instid1(VALU_DEP_2)
	v_dual_mov_b32 v7, 0 :: v_dual_add_nc_u32 v6, v5, v0
	v_cvt_f16_f32_e32 v8, v31
	v_lshlrev_b64 v[6:7], 1, v[6:7]
	s_waitcnt lgkmcnt(0)
	s_delay_alu instid0(VALU_DEP_1) | instskip(NEXT) | instid1(VALU_DEP_1)
	v_add_co_u32 v6, s3, s8, v6
	v_add_co_ci_u32_e64 v7, s3, s9, v7, s3
	global_store_b16 v[6:7], v8, off
	s_or_b32 exec_lo, exec_lo, s5
	s_and_saveexec_b32 s5, s0
	s_cbranch_execz .LBB143_37
.LBB143_72:
	s_delay_alu instid0(VALU_DEP_1) | instskip(SKIP_1) | instid1(VALU_DEP_2)
	v_dual_mov_b32 v7, 0 :: v_dual_add_nc_u32 v6, v5, v2
	v_cvt_f16_f32_e32 v8, v29
	v_lshlrev_b64 v[6:7], 1, v[6:7]
	s_waitcnt lgkmcnt(0)
	s_delay_alu instid0(VALU_DEP_1) | instskip(NEXT) | instid1(VALU_DEP_1)
	v_add_co_u32 v6, s3, s8, v6
	v_add_co_ci_u32_e64 v7, s3, s9, v7, s3
	global_store_b16 v[6:7], v8, off
	s_or_b32 exec_lo, exec_lo, s5
	s_and_saveexec_b32 s5, s1
	s_cbranch_execz .LBB143_38
.LBB143_73:
	v_dual_mov_b32 v7, 0 :: v_dual_add_nc_u32 v6, v5, v3
	v_cvt_f16_f32_e32 v8, v28
	s_delay_alu instid0(VALU_DEP_2) | instskip(SKIP_1) | instid1(VALU_DEP_1)
	v_lshlrev_b64 v[6:7], 1, v[6:7]
	s_waitcnt lgkmcnt(0)
	v_add_co_u32 v6, s3, s8, v6
	s_delay_alu instid0(VALU_DEP_1)
	v_add_co_ci_u32_e64 v7, s3, s9, v7, s3
	global_store_b16 v[6:7], v8, off
	s_or_b32 exec_lo, exec_lo, s5
	s_and_saveexec_b32 s5, s2
	s_cbranch_execnz .LBB143_39
	s_branch .LBB143_40
.LBB143_74:
	s_delay_alu instid0(VALU_DEP_1) | instskip(SKIP_1) | instid1(VALU_DEP_2)
	v_dual_mov_b32 v7, 0 :: v_dual_add_nc_u32 v6, v5, v0
	v_cvt_f16_f32_e32 v8, v24
	v_lshlrev_b64 v[6:7], 1, v[6:7]
	s_waitcnt lgkmcnt(0)
	s_delay_alu instid0(VALU_DEP_1) | instskip(NEXT) | instid1(VALU_DEP_1)
	v_add_co_u32 v6, s3, s8, v6
	v_add_co_ci_u32_e64 v7, s3, s9, v7, s3
	global_store_b16 v[6:7], v8, off
	s_or_b32 exec_lo, exec_lo, s5
	s_and_saveexec_b32 s5, s0
	s_cbranch_execz .LBB143_43
.LBB143_75:
	s_delay_alu instid0(VALU_DEP_1) | instskip(SKIP_1) | instid1(VALU_DEP_2)
	v_dual_mov_b32 v7, 0 :: v_dual_add_nc_u32 v6, v5, v2
	v_cvt_f16_f32_e32 v8, v23
	v_lshlrev_b64 v[6:7], 1, v[6:7]
	s_waitcnt lgkmcnt(0)
	s_delay_alu instid0(VALU_DEP_1) | instskip(NEXT) | instid1(VALU_DEP_1)
	v_add_co_u32 v6, s3, s8, v6
	v_add_co_ci_u32_e64 v7, s3, s9, v7, s3
	global_store_b16 v[6:7], v8, off
	s_or_b32 exec_lo, exec_lo, s5
	s_and_saveexec_b32 s5, s1
	s_cbranch_execz .LBB143_44
.LBB143_76:
	v_dual_mov_b32 v7, 0 :: v_dual_add_nc_u32 v6, v5, v3
	v_cvt_f16_f32_e32 v8, v22
	s_delay_alu instid0(VALU_DEP_2) | instskip(SKIP_1) | instid1(VALU_DEP_1)
	v_lshlrev_b64 v[6:7], 1, v[6:7]
	s_waitcnt lgkmcnt(0)
	v_add_co_u32 v6, s3, s8, v6
	s_delay_alu instid0(VALU_DEP_1)
	v_add_co_ci_u32_e64 v7, s3, s9, v7, s3
	global_store_b16 v[6:7], v8, off
	s_or_b32 exec_lo, exec_lo, s5
	s_and_saveexec_b32 s5, s2
	s_cbranch_execnz .LBB143_45
	s_branch .LBB143_46
.LBB143_77:
	s_delay_alu instid0(VALU_DEP_1) | instskip(SKIP_1) | instid1(VALU_DEP_2)
	v_dual_mov_b32 v7, 0 :: v_dual_add_nc_u32 v6, v5, v0
	v_cvt_f16_f32_e32 v8, v20
	v_lshlrev_b64 v[6:7], 1, v[6:7]
	s_waitcnt lgkmcnt(0)
	s_delay_alu instid0(VALU_DEP_1) | instskip(NEXT) | instid1(VALU_DEP_1)
	v_add_co_u32 v6, s3, s8, v6
	v_add_co_ci_u32_e64 v7, s3, s9, v7, s3
	global_store_b16 v[6:7], v8, off
	s_or_b32 exec_lo, exec_lo, s5
	s_and_saveexec_b32 s5, s0
	s_cbranch_execz .LBB143_49
.LBB143_78:
	s_delay_alu instid0(VALU_DEP_1) | instskip(SKIP_1) | instid1(VALU_DEP_2)
	v_dual_mov_b32 v7, 0 :: v_dual_add_nc_u32 v6, v5, v2
	v_cvt_f16_f32_e32 v8, v19
	v_lshlrev_b64 v[6:7], 1, v[6:7]
	s_waitcnt lgkmcnt(0)
	s_delay_alu instid0(VALU_DEP_1) | instskip(NEXT) | instid1(VALU_DEP_1)
	v_add_co_u32 v6, s3, s8, v6
	v_add_co_ci_u32_e64 v7, s3, s9, v7, s3
	global_store_b16 v[6:7], v8, off
	s_or_b32 exec_lo, exec_lo, s5
	s_and_saveexec_b32 s5, s1
	s_cbranch_execz .LBB143_50
.LBB143_79:
	v_dual_mov_b32 v7, 0 :: v_dual_add_nc_u32 v6, v5, v3
	v_cvt_f16_f32_e32 v8, v18
	s_delay_alu instid0(VALU_DEP_2) | instskip(SKIP_1) | instid1(VALU_DEP_1)
	v_lshlrev_b64 v[6:7], 1, v[6:7]
	s_waitcnt lgkmcnt(0)
	v_add_co_u32 v6, s3, s8, v6
	s_delay_alu instid0(VALU_DEP_1)
	v_add_co_ci_u32_e64 v7, s3, s9, v7, s3
	global_store_b16 v[6:7], v8, off
	s_or_b32 exec_lo, exec_lo, s5
	s_and_saveexec_b32 s5, s2
	s_cbranch_execnz .LBB143_51
	s_branch .LBB143_52
.LBB143_80:
	s_delay_alu instid0(VALU_DEP_1) | instskip(SKIP_1) | instid1(VALU_DEP_2)
	v_dual_mov_b32 v7, 0 :: v_dual_add_nc_u32 v6, v5, v0
	v_cvt_f16_f32_e32 v8, v16
	v_lshlrev_b64 v[6:7], 1, v[6:7]
	s_waitcnt lgkmcnt(0)
	s_delay_alu instid0(VALU_DEP_1) | instskip(NEXT) | instid1(VALU_DEP_1)
	v_add_co_u32 v6, s3, s8, v6
	v_add_co_ci_u32_e64 v7, s3, s9, v7, s3
	global_store_b16 v[6:7], v8, off
	s_or_b32 exec_lo, exec_lo, s5
	s_and_saveexec_b32 s5, s0
	s_cbranch_execz .LBB143_55
.LBB143_81:
	s_delay_alu instid0(VALU_DEP_1) | instskip(SKIP_1) | instid1(VALU_DEP_2)
	v_dual_mov_b32 v7, 0 :: v_dual_add_nc_u32 v6, v5, v2
	v_cvt_f16_f32_e32 v8, v15
	v_lshlrev_b64 v[6:7], 1, v[6:7]
	s_waitcnt lgkmcnt(0)
	s_delay_alu instid0(VALU_DEP_1) | instskip(NEXT) | instid1(VALU_DEP_1)
	v_add_co_u32 v6, s3, s8, v6
	v_add_co_ci_u32_e64 v7, s3, s9, v7, s3
	global_store_b16 v[6:7], v8, off
	s_or_b32 exec_lo, exec_lo, s5
	s_and_saveexec_b32 s5, s1
	s_cbranch_execz .LBB143_56
.LBB143_82:
	v_dual_mov_b32 v7, 0 :: v_dual_add_nc_u32 v6, v5, v3
	v_cvt_f16_f32_e32 v8, v14
	s_delay_alu instid0(VALU_DEP_2) | instskip(SKIP_1) | instid1(VALU_DEP_1)
	v_lshlrev_b64 v[6:7], 1, v[6:7]
	s_waitcnt lgkmcnt(0)
	v_add_co_u32 v6, s3, s8, v6
	s_delay_alu instid0(VALU_DEP_1)
	v_add_co_ci_u32_e64 v7, s3, s9, v7, s3
	global_store_b16 v[6:7], v8, off
	s_or_b32 exec_lo, exec_lo, s5
	s_and_saveexec_b32 s5, s2
	s_cbranch_execnz .LBB143_57
	s_branch .LBB143_58
.LBB143_83:
	s_delay_alu instid0(VALU_DEP_1) | instskip(SKIP_1) | instid1(VALU_DEP_2)
	v_dual_mov_b32 v6, 0 :: v_dual_add_nc_u32 v5, v1, v0
	v_cvt_f16_f32_e32 v0, v12
	v_lshlrev_b64 v[5:6], 1, v[5:6]
	s_waitcnt lgkmcnt(0)
	s_delay_alu instid0(VALU_DEP_1) | instskip(NEXT) | instid1(VALU_DEP_2)
	v_add_co_u32 v5, vcc_lo, s8, v5
	v_add_co_ci_u32_e32 v6, vcc_lo, s9, v6, vcc_lo
	global_store_b16 v[5:6], v0, off
	s_or_b32 exec_lo, exec_lo, s3
	s_and_saveexec_b32 s3, s0
	s_cbranch_execz .LBB143_61
.LBB143_84:
	s_delay_alu instid0(VALU_DEP_1) | instskip(SKIP_1) | instid1(VALU_DEP_2)
	v_dual_mov_b32 v6, 0 :: v_dual_add_nc_u32 v5, v1, v2
	v_cvt_f16_f32_e32 v0, v11
	v_lshlrev_b64 v[5:6], 1, v[5:6]
	s_waitcnt lgkmcnt(0)
	s_delay_alu instid0(VALU_DEP_1) | instskip(NEXT) | instid1(VALU_DEP_2)
	v_add_co_u32 v5, vcc_lo, s8, v5
	v_add_co_ci_u32_e32 v6, vcc_lo, s9, v6, vcc_lo
	global_store_b16 v[5:6], v0, off
	s_or_b32 exec_lo, exec_lo, s3
	s_and_saveexec_b32 s0, s1
	s_cbranch_execz .LBB143_62
.LBB143_85:
	v_dual_mov_b32 v3, 0 :: v_dual_add_nc_u32 v2, v1, v3
	v_cvt_f16_f32_e32 v0, v10
	s_delay_alu instid0(VALU_DEP_2) | instskip(SKIP_1) | instid1(VALU_DEP_1)
	v_lshlrev_b64 v[2:3], 1, v[2:3]
	s_waitcnt lgkmcnt(0)
	v_add_co_u32 v2, vcc_lo, s8, v2
	s_delay_alu instid0(VALU_DEP_2) | instskip(SKIP_2) | instid1(SALU_CYCLE_1)
	v_add_co_ci_u32_e32 v3, vcc_lo, s9, v3, vcc_lo
	global_store_b16 v[2:3], v0, off
	s_or_b32 exec_lo, exec_lo, s0
	s_and_b32 exec_lo, exec_lo, s2
	s_cbranch_execnz .LBB143_63
	s_branch .LBB143_64
	.section	.rodata,"a",@progbits
	.p2align	6, 0x0
	.amdhsa_kernel _ZL12mul_mat_q5_1IN3c104HalfELb0EEvPKvS3_PT_iiiii
		.amdhsa_group_segment_fixed_size 46720
		.amdhsa_private_segment_fixed_size 0
		.amdhsa_kernarg_size 44
		.amdhsa_user_sgpr_count 14
		.amdhsa_user_sgpr_dispatch_ptr 0
		.amdhsa_user_sgpr_queue_ptr 0
		.amdhsa_user_sgpr_kernarg_segment_ptr 1
		.amdhsa_user_sgpr_dispatch_id 0
		.amdhsa_user_sgpr_private_segment_size 0
		.amdhsa_wavefront_size32 1
		.amdhsa_uses_dynamic_stack 0
		.amdhsa_enable_private_segment 0
		.amdhsa_system_sgpr_workgroup_id_x 1
		.amdhsa_system_sgpr_workgroup_id_y 1
		.amdhsa_system_sgpr_workgroup_id_z 0
		.amdhsa_system_sgpr_workgroup_info 0
		.amdhsa_system_vgpr_workitem_id 1
		.amdhsa_next_free_vgpr 221
		.amdhsa_next_free_sgpr 16
		.amdhsa_reserve_vcc 1
		.amdhsa_float_round_mode_32 0
		.amdhsa_float_round_mode_16_64 0
		.amdhsa_float_denorm_mode_32 3
		.amdhsa_float_denorm_mode_16_64 3
		.amdhsa_dx10_clamp 1
		.amdhsa_ieee_mode 1
		.amdhsa_fp16_overflow 0
		.amdhsa_workgroup_processor_mode 1
		.amdhsa_memory_ordered 1
		.amdhsa_forward_progress 0
		.amdhsa_shared_vgpr_count 0
		.amdhsa_exception_fp_ieee_invalid_op 0
		.amdhsa_exception_fp_denorm_src 0
		.amdhsa_exception_fp_ieee_div_zero 0
		.amdhsa_exception_fp_ieee_overflow 0
		.amdhsa_exception_fp_ieee_underflow 0
		.amdhsa_exception_fp_ieee_inexact 0
		.amdhsa_exception_int_div_zero 0
	.end_amdhsa_kernel
	.section	.text._ZL12mul_mat_q5_1IN3c104HalfELb0EEvPKvS3_PT_iiiii,"axG",@progbits,_ZL12mul_mat_q5_1IN3c104HalfELb0EEvPKvS3_PT_iiiii,comdat
.Lfunc_end143:
	.size	_ZL12mul_mat_q5_1IN3c104HalfELb0EEvPKvS3_PT_iiiii, .Lfunc_end143-_ZL12mul_mat_q5_1IN3c104HalfELb0EEvPKvS3_PT_iiiii
                                        ; -- End function
	.section	.AMDGPU.csdata,"",@progbits
; Kernel info:
; codeLenInByte = 15572
; NumSgprs: 18
; NumVgprs: 221
; ScratchSize: 0
; MemoryBound: 0
; FloatMode: 240
; IeeeMode: 1
; LDSByteSize: 46720 bytes/workgroup (compile time only)
; SGPRBlocks: 2
; VGPRBlocks: 27
; NumSGPRsForWavesPerEU: 18
; NumVGPRsForWavesPerEU: 221
; Occupancy: 4
; WaveLimiterHint : 0
; COMPUTE_PGM_RSRC2:SCRATCH_EN: 0
; COMPUTE_PGM_RSRC2:USER_SGPR: 14
; COMPUTE_PGM_RSRC2:TRAP_HANDLER: 0
; COMPUTE_PGM_RSRC2:TGID_X_EN: 1
; COMPUTE_PGM_RSRC2:TGID_Y_EN: 1
; COMPUTE_PGM_RSRC2:TGID_Z_EN: 0
; COMPUTE_PGM_RSRC2:TIDIG_COMP_CNT: 1
	.section	.text._ZL12mul_mat_q5_1IN3c104HalfELb1EEvPKvS3_PT_iiiii,"axG",@progbits,_ZL12mul_mat_q5_1IN3c104HalfELb1EEvPKvS3_PT_iiiii,comdat
	.globl	_ZL12mul_mat_q5_1IN3c104HalfELb1EEvPKvS3_PT_iiiii ; -- Begin function _ZL12mul_mat_q5_1IN3c104HalfELb1EEvPKvS3_PT_iiiii
	.p2align	8
	.type	_ZL12mul_mat_q5_1IN3c104HalfELb1EEvPKvS3_PT_iiiii,@function
_ZL12mul_mat_q5_1IN3c104HalfELb1EEvPKvS3_PT_iiiii: ; @_ZL12mul_mat_q5_1IN3c104HalfELb1EEvPKvS3_PT_iiiii
; %bb.0:
	s_clause 0x1
	s_load_b128 s[4:7], s[0:1], 0x18
	s_load_b32 s10, s[0:1], 0x28
	v_bfe_u32 v37, v0, 10, 10
	v_and_b32_e32 v38, 0x3ff, v0
	s_lshl_b32 s11, s15, 6
	s_waitcnt lgkmcnt(0)
	s_cmp_gt_i32 s4, 31
	s_cbranch_scc1 .LBB144_2
; %bb.1:
	v_bfe_u32 v1, v0, 10, 10
	v_and_b32_e32 v0, 0x3ff, v0
	s_mov_b32 s2, 0
	s_mov_b32 s3, 0
	s_delay_alu instid0(VALU_DEP_2)
	v_add_nc_u32_e32 v48, s11, v1
	s_branch .LBB144_3
.LBB144_2:
	s_mov_b32 s2, -1
                                        ; implicit-def: $sgpr3
                                        ; implicit-def: $vgpr1
                                        ; implicit-def: $vgpr0
                                        ; implicit-def: $vgpr48
.LBB144_3:
	s_load_b64 s[8:9], s[0:1], 0x10
	v_dual_mov_b32 v25, s3 :: v_dual_mov_b32 v44, s3
	v_dual_mov_b32 v29, s3 :: v_dual_mov_b32 v70, s3
	;; [unrolled: 1-line block ×14, first 2 shown]
	v_mov_b32_e32 v67, s3
	v_mov_b32_e32 v77, s3
	;; [unrolled: 1-line block ×4, first 2 shown]
	s_and_not1_b32 vcc_lo, exec_lo, s2
	s_lshl_b32 s12, s14, 7
	s_cbranch_vccnz .LBB144_13
; %bb.4:
	s_load_b128 s[0:3], s[0:1], 0x0
	s_ashr_i32 s13, s4, 31
	s_ashr_i32 s14, s7, 31
	s_lshr_b32 s13, s13, 27
	v_dual_mov_b32 v68, 0 :: v_dual_add_nc_u32 v39, 8, v37
	s_add_i32 s4, s4, s13
	s_lshr_b32 s13, s14, 27
	s_ashr_i32 s4, s4, 5
	s_add_i32 s7, s7, s13
	s_mul_i32 s13, s4, s12
	s_ashr_i32 s14, s7, 5
	s_mul_i32 s7, s13, 24
	s_mul_hi_i32 s13, s13, 24
	v_dual_mov_b32 v40, 0 :: v_dual_lshlrev_b32 v1, 3, v38
	v_add_nc_u32_e32 v41, 16, v37
	v_add_nc_u32_e32 v42, 24, v37
	;; [unrolled: 1-line block ×3, first 2 shown]
	v_dual_mov_b32 v67, 0 :: v_dual_add_nc_u32 v44, 40, v37
	s_waitcnt lgkmcnt(0)
	s_add_u32 s7, s0, s7
	s_addc_u32 s13, s1, s13
	s_not_b32 s0, s12
	v_add_nc_u32_e32 v45, 48, v37
	s_add_i32 s0, s0, s5
	v_add_nc_u32_e32 v47, 56, v37
	v_min_i32_e32 v2, s0, v37
	v_min_i32_e32 v3, s0, v39
	;; [unrolled: 1-line block ×3, first 2 shown]
	v_add_nc_u32_e32 v12, 0x48, v37
	v_min_i32_e32 v13, s0, v47
	v_mad_u64_u32 v[4:5], null, 0x104, v2, v[1:2]
	v_mul_lo_u32 v51, v2, s4
	v_mad_u64_u32 v[5:6], null, 0x104, v3, v[1:2]
	v_min_i32_e32 v2, s0, v42
	v_mul_lo_u32 v52, v3, s4
	v_mul_lo_u32 v53, v8, s4
	v_min_i32_e32 v3, s0, v43
	v_mul_lo_u32 v60, v13, s4
	v_mad_u64_u32 v[6:7], null, 0x104, v8, v[1:2]
	v_mul_lo_u32 v54, v2, s4
	v_mad_u64_u32 v[7:8], null, 0x104, v2, v[1:2]
	v_min_i32_e32 v2, s0, v44
	v_mul_lo_u32 v56, v3, s4
	s_add_i32 s1, s6, -1
	v_add_nc_u32_e32 v48, s11, v37
	v_dual_mov_b32 v72, 0 :: v_dual_add_nc_u32 v17, 0x58, v37
	v_mad_u64_u32 v[8:9], null, 0x104, v3, v[1:2]
	v_min_i32_e32 v3, s0, v45
	v_mul_lo_u32 v57, v2, s4
	v_mad_u64_u32 v[9:10], null, 0x104, v2, v[1:2]
	v_add_nc_u32_e32 v2, 64, v37
	s_delay_alu instid0(VALU_DEP_4)
	v_mul_lo_u32 v58, v3, s4
	v_add_nc_u32_e32 v15, 16, v48
	v_add_nc_u32_e32 v18, 24, v48
	;; [unrolled: 1-line block ×3, first 2 shown]
	v_mad_u64_u32 v[10:11], null, 0x104, v3, v[1:2]
	v_min_i32_e32 v2, s0, v2
	v_min_i32_e32 v3, s0, v12
	v_cvt_f64_u32_e32 v[23:24], v15
	v_cvt_f64_u32_e32 v[19:20], v48
	;; [unrolled: 1-line block ×3, first 2 shown]
	v_mad_u64_u32 v[11:12], null, 0x104, v13, v[1:2]
	v_mul_lo_u32 v61, v2, s4
	v_mad_u64_u32 v[12:13], null, 0x104, v2, v[1:2]
	v_add_nc_u32_e32 v2, 0x50, v37
	v_mul_lo_u32 v62, v3, s4
	v_cvt_f64_u32_e32 v[27:28], v27
	v_add_nc_u32_e32 v18, 0x60, v37
	v_add_nc_u32_e32 v35, 0x68, v37
	v_mad_u64_u32 v[13:14], null, 0x104, v3, v[1:2]
	v_min_i32_e32 v16, s0, v2
	v_cvt_f64_i32_e32 v[2:3], s1
	v_add_nc_u32_e32 v14, 8, v48
	v_add_nc_u32_e32 v36, 0x70, v37
	v_min_i32_e32 v17, s0, v17
	v_mul_lo_u32 v69, v16, s4
	v_min_i32_e32 v18, s0, v18
	v_cvt_f64_u32_e32 v[21:22], v14
	v_min_i32_e32 v35, s0, v35
	v_min_i32_e32 v49, s0, v36
	v_mul_lo_u32 v71, v17, s4
	v_mul_lo_u32 v73, v18, s4
	v_lshrrev_b32_e32 v74, 3, v38
	v_mul_lo_u32 v75, v35, s4
	v_dual_mov_b32 v70, 0 :: v_dual_add_nc_u32 v59, 0x78, v37
	v_mul_lo_u32 v76, v49, s4
	s_delay_alu instid0(VALU_DEP_4) | instskip(SKIP_3) | instid1(VALU_DEP_4)
	v_lshl_add_u32 v55, v37, 2, v74
	v_and_b32_e32 v79, 7, v38
	v_lshrrev_b32_e32 v46, 2, v38
	v_dual_mov_b32 v77, 0 :: v_dual_and_b32 v0, 3, v38
	v_min_i32_e32 v63, s0, v55
	v_add_nc_u32_e32 v64, 64, v55
	v_mul_u32_u24_e32 v101, 0x104, v38
	s_delay_alu instid0(VALU_DEP_4)
	v_lshlrev_b32_e32 v50, 2, v0
	v_lshl_add_u32 v108, v37, 4, 0xb280
	v_mul_lo_u32 v80, v63, s4
	s_mov_b32 s5, 0
	v_mad_u64_u32 v[14:15], null, 0x104, v16, v[1:2]
	v_add_nc_u32_e32 v15, 40, v48
	v_add_nc_u32_e32 v16, 48, v48
	v_min_f64 v[23:24], v[23:24], v[2:3]
	v_min_f64 v[25:26], v[25:26], v[2:3]
	;; [unrolled: 1-line block ×3, first 2 shown]
	v_cvt_f64_u32_e32 v[29:30], v15
	v_add_nc_u32_e32 v15, 56, v48
	v_cvt_f64_u32_e32 v[31:32], v16
	v_min_f64 v[27:28], v[27:28], v[2:3]
	s_delay_alu instid0(VALU_DEP_3)
	v_cvt_f64_u32_e32 v[33:34], v15
	v_mad_u64_u32 v[15:16], null, 0x104, v17, v[1:2]
	v_mad_u64_u32 v[16:17], null, 0x104, v18, v[1:2]
	;; [unrolled: 1-line block ×3, first 2 shown]
	v_min_f64 v[35:36], v[19:20], v[2:3]
	v_mad_u64_u32 v[18:19], null, 0x104, v49, v[1:2]
	v_add_nc_u32_e32 v19, 32, v55
	v_ashrrev_i32_e32 v20, 31, v63
	v_min_i32_e32 v49, s0, v59
	s_delay_alu instid0(VALU_DEP_3) | instskip(NEXT) | instid1(VALU_DEP_3)
	v_min_i32_e32 v59, s0, v19
	v_lshrrev_b32_e32 v19, 30, v20
	s_delay_alu instid0(VALU_DEP_3) | instskip(NEXT) | instid1(VALU_DEP_3)
	v_mul_lo_u32 v78, v49, s4
	v_ashrrev_i32_e32 v20, 31, v59
	s_delay_alu instid0(VALU_DEP_3) | instskip(SKIP_1) | instid1(VALU_DEP_3)
	v_add_nc_u32_e32 v65, v63, v19
	v_mul_lo_u32 v81, v59, s4
	v_lshrrev_b32_e32 v66, 30, v20
	v_cvt_i32_f64_e32 v24, v[23:24]
	v_cvt_i32_f64_e32 v25, v[25:26]
	v_lshlrev_b32_e32 v23, 2, v38
	v_min_f64 v[29:30], v[29:30], v[2:3]
	v_min_f64 v[31:32], v[31:32], v[2:3]
	v_cvt_i32_f64_e32 v27, v[27:28]
	v_min_f64 v[2:3], v[33:34], v[2:3]
	v_add_nc_u32_e32 v34, v59, v66
	v_mov_b32_e32 v66, 0
	v_cvt_i32_f64_e32 v35, v[35:36]
	v_lshlrev_b32_e32 v36, 5, v59
	v_cvt_i32_f64_e32 v59, v[21:22]
	v_lshl_add_u32 v22, v37, 3, v46
	s_delay_alu instid0(VALU_DEP_1) | instskip(SKIP_3) | instid1(VALU_DEP_4)
	v_and_b32_e32 v22, 63, v22
	v_mul_lo_u32 v89, s14, v24
	v_mul_lo_u32 v91, s14, v25
	v_cvt_i32_f64_e32 v28, v[29:30]
	v_or_b32_e32 v30, s11, v22
	v_cvt_i32_f64_e32 v29, v[31:32]
	v_lshl_or_b32 v32, v22, 4, v50
	v_mul_lo_u32 v93, s14, v27
	v_and_b32_e32 v27, 0xfc, v38
	v_mad_u64_u32 v[19:20], null, 0x104, v49, v[1:2]
	v_and_b32_e32 v1, -4, v65
	v_lshlrev_b32_e32 v20, 2, v79
	v_add_nc_u32_e32 v49, 0x60, v55
	v_lshlrev_b32_e32 v55, 5, v63
	v_cvt_i32_f64_e32 v2, v[2:3]
	v_min_i32_e32 v30, s1, v30
	v_add3_u32 v1, v1, v20, 0xa200
	v_min_i32_e32 v49, s0, v49
	v_add_nc_u32_e32 v84, 0xb280, v32
	v_mov_b32_e32 v32, 0
	v_mul_lo_u32 v85, s14, v35
	v_dual_mov_b32 v55, 0 :: v_dual_add_nc_u32 v114, v1, v55
	v_min_i32_e32 v64, s0, v64
	v_ashrrev_i32_e32 v63, 31, v49
	v_mul_lo_u32 v83, v49, s4
	v_lshlrev_b32_e32 v31, 5, v49
	v_mul_lo_u32 v87, s14, v59
	v_ashrrev_i32_e32 v33, 31, v64
	v_lshrrev_b32_e32 v21, 30, v63
	v_lshlrev_b32_e32 v26, 5, v64
	v_lshlrev_b32_e32 v63, 7, v37
	v_mul_lo_u32 v82, v64, s4
	v_lshrrev_b32_e32 v33, 30, v33
	v_add_nc_u32_e32 v21, v49, v21
	v_mov_b32_e32 v35, 0
	v_add_nc_u32_e32 v107, 0x8200, v63
	v_mov_b32_e32 v59, 0
	v_add_nc_u32_e32 v33, v64, v33
	v_and_b32_e32 v21, -4, v21
	v_mul_lo_u32 v95, s14, v28
	v_mov_b32_e32 v28, 0
	v_mul_lo_u32 v97, s14, v29
	v_and_b32_e32 v33, -4, v33
	v_add3_u32 v3, v21, v20, 0xa200
	v_mov_b32_e32 v29, 0
	v_and_b32_e32 v21, 28, v23
	v_mad_u64_u32 v[22:23], null, v30, s14, v[0:1]
	v_add3_u32 v33, v33, v20, 0xa200
	v_add_nc_u32_e32 v117, v3, v31
	v_mov_b32_e32 v31, 0
	v_mul_lo_u32 v99, s14, v2
	v_add_nc_u32_e32 v2, 0x60, v38
	v_dual_mov_b32 v33, 0 :: v_dual_add_nc_u32 v116, v33, v26
	v_and_b32_e32 v34, -4, v34
	v_mov_b32_e32 v30, 0
	s_delay_alu instid0(VALU_DEP_4) | instskip(SKIP_1) | instid1(VALU_DEP_4)
	v_and_b32_e32 v2, 0x1fc, v2
	v_dual_mov_b32 v26, 0 :: v_dual_mov_b32 v65, 0
	v_add3_u32 v34, v34, v20, 0xa200
	v_and_b32_e32 v20, 31, v38
	s_delay_alu instid0(VALU_DEP_2) | instskip(NEXT) | instid1(VALU_DEP_2)
	v_add_nc_u32_e32 v115, v34, v36
	v_dual_mov_b32 v36, 0 :: v_dual_lshlrev_b32 v49, 2, v20
	v_add_co_u32 v20, s0, s2, v21
	s_delay_alu instid0(VALU_DEP_1) | instskip(NEXT) | instid1(VALU_DEP_3)
	v_add_co_ci_u32_e64 v21, null, s3, 0, s0
	v_or_b32_e32 v64, v63, v49
	v_lshl_or_b32 v0, v39, 7, v49
	v_lshl_or_b32 v24, v45, 7, v49
	s_movk_i32 s0, 0x80
	s_delay_alu instid0(VALU_DEP_3)
	v_dual_mov_b32 v63, 0 :: v_dual_add_nc_u32 v86, 0x8200, v64
	v_mov_b32_e32 v64, 0
	v_lshl_or_b32 v23, v41, 7, v49
	v_add_nc_u32_e32 v88, 0x8200, v0
	v_add_nc_u32_e32 v98, 0x8200, v24
	;; [unrolled: 1-line block ×3, first 2 shown]
	v_mad_u32_u24 v113, 0x104, v38, s0
	v_add_nc_u32_e32 v90, 0x8200, v23
	v_lshl_or_b32 v23, v43, 7, v49
	v_mov_b32_e32 v43, 0
	v_lshl_or_b32 v0, v42, 7, v49
	v_and_b32_e32 v25, 0x1fc, v24
	v_lshrrev_b32_e32 v102, 3, v24
	v_add_nc_u32_e32 v94, 0x8200, v23
	v_add_nc_u32_e32 v23, 64, v38
	;; [unrolled: 1-line block ×3, first 2 shown]
	v_lshl_or_b32 v0, v44, 7, v49
	v_dual_mov_b32 v42, 0 :: v_dual_mov_b32 v45, 0
	s_delay_alu instid0(VALU_DEP_4) | instskip(NEXT) | instid1(VALU_DEP_3)
	v_and_b32_e32 v23, 0x1fc, v23
	v_dual_mov_b32 v41, 0 :: v_dual_add_nc_u32 v96, 0x8200, v0
	v_lshl_or_b32 v0, v47, 7, v49
	v_mov_b32_e32 v49, 0
	v_dual_mov_b32 v47, 0 :: v_dual_mov_b32 v34, 0
	v_mov_b32_e32 v44, 0
	s_delay_alu instid0(VALU_DEP_4) | instskip(SKIP_1) | instid1(VALU_DEP_1)
	v_add_nc_u32_e32 v100, 0x8200, v0
	v_dual_mov_b32 v39, 0 :: v_dual_lshlrev_b32 v0, 5, v38
	v_add_nc_u32_e32 v2, v0, v2
	v_add_nc_u32_e32 v23, v0, v23
	v_add_nc_u32_e32 v25, v0, v25
	v_dual_mov_b32 v27, 0 :: v_dual_add_nc_u32 v0, v0, v27
	s_delay_alu instid0(VALU_DEP_4) | instskip(NEXT) | instid1(VALU_DEP_4)
	v_add_nc_u32_e32 v103, 0xae00, v2
	v_add_nc_u32_e32 v104, 0xaa00, v23
	s_delay_alu instid0(VALU_DEP_4) | instskip(NEXT) | instid1(VALU_DEP_4)
	v_add_nc_u32_e32 v105, 0xa600, v25
	v_add_nc_u32_e32 v106, 0xa200, v0
	;; [unrolled: 1-line block ×5, first 2 shown]
	v_dual_mov_b32 v25, 0 :: v_dual_add_nc_u32 v112, 0xa210, v0
	s_branch .LBB144_6
.LBB144_5:                              ;   in Loop: Header=BB144_6 Depth=1
	s_add_i32 s5, s5, 8
	s_delay_alu instid0(SALU_CYCLE_1)
	s_cmp_ge_i32 s5, s4
	s_cbranch_scc1 .LBB144_12
.LBB144_6:                              ; =>This Loop Header: Depth=1
                                        ;     Child Loop BB144_7 Depth 2
                                        ;     Child Loop BB144_10 Depth 2
	s_mul_i32 s0, s5, 24
	s_mul_hi_u32 s1, s5, 24
	s_add_u32 s0, s7, s0
	s_addc_u32 s1, s13, s1
	s_delay_alu instid0(SALU_CYCLE_1) | instskip(NEXT) | instid1(VALU_DEP_1)
	v_mad_u64_u32 v[0:1], null, v46, 24, s[0:1]
	v_mad_i64_i32 v[122:123], null, v51, 24, v[0:1]
	v_mad_i64_i32 v[118:119], null, v53, 24, v[0:1]
	v_mad_i64_i32 v[23:24], null, v54, 24, v[0:1]
	v_mad_i64_i32 v[120:121], null, v52, 24, v[0:1]
	s_delay_alu instid0(VALU_DEP_4)
	v_add_co_u32 v124, vcc_lo, v122, v50
	v_add_co_ci_u32_e32 v125, vcc_lo, 0, v123, vcc_lo
	v_add_co_u32 v126, vcc_lo, v118, v50
	v_add_co_ci_u32_e32 v127, vcc_lo, 0, v119, vcc_lo
	;; [unrolled: 2-line block ×4, first 2 shown]
	s_clause 0x7
	global_load_b32 v2, v[2:3], off offset:8
	global_load_b32 v3, v[23:24], off offset:4
	;; [unrolled: 1-line block ×8, first 2 shown]
	v_mad_i64_i32 v[123:124], null, v57, 24, v[0:1]
	v_mad_i64_i32 v[125:126], null, v56, 24, v[0:1]
	;; [unrolled: 1-line block ×4, first 2 shown]
	s_delay_alu instid0(VALU_DEP_4)
	v_add_co_u32 v131, vcc_lo, v123, v50
	v_add_co_ci_u32_e32 v132, vcc_lo, 0, v124, vcc_lo
	v_add_co_u32 v133, vcc_lo, v125, v50
	v_add_co_ci_u32_e32 v134, vcc_lo, 0, v126, vcc_lo
	s_clause 0x5
	global_load_b32 v150, v[129:130], off offset:4
	global_load_b32 v151, v[127:128], off offset:4
	;; [unrolled: 1-line block ×6, first 2 shown]
	v_add_co_u32 v123, vcc_lo, v127, v50
	v_add_co_ci_u32_e32 v124, vcc_lo, 0, v128, vcc_lo
	v_add_co_u32 v125, vcc_lo, v129, v50
	v_add_co_ci_u32_e32 v126, vcc_lo, 0, v130, vcc_lo
	s_clause 0x1
	global_load_b32 v156, v[123:124], off offset:8
	global_load_b32 v157, v[125:126], off offset:8
	v_mad_i64_i32 v[126:127], null, v71, 24, v[0:1]
	v_mad_i64_i32 v[128:129], null, v69, 24, v[0:1]
	;; [unrolled: 1-line block ×4, first 2 shown]
	s_clause 0x3
	global_load_b32 v123, v[126:127], off offset:4
	global_load_b32 v158, v[128:129], off offset:4
	global_load_b32 v159, v[124:125], off offset:4
	global_load_b32 v160, v[130:131], off offset:4
	v_mad_i64_i32 v[140:141], null, v76, 24, v[0:1]
	v_add_co_u32 v130, vcc_lo, v130, v50
	v_add_co_ci_u32_e32 v131, vcc_lo, 0, v131, vcc_lo
	v_add_co_u32 v124, vcc_lo, v124, v50
	v_add_co_ci_u32_e32 v125, vcc_lo, 0, v125, vcc_lo
	global_load_b32 v161, v[130:131], off offset:8
	v_mad_i64_i32 v[142:143], null, v78, 24, v[0:1]
	global_load_b32 v162, v[124:125], off offset:8
	v_add_co_u32 v124, vcc_lo, v128, v50
	v_add_co_ci_u32_e32 v125, vcc_lo, 0, v129, vcc_lo
	v_add_nc_u32_e32 v128, s5, v74
	v_add_co_u32 v126, vcc_lo, v126, v50
	global_load_b32 v163, v[124:125], off offset:8
	v_add_co_ci_u32_e32 v127, vcc_lo, 0, v127, vcc_lo
	v_add_nc_u32_e32 v130, v128, v85
	v_add_nc_u32_e32 v132, v128, v87
	;; [unrolled: 1-line block ×8, first 2 shown]
	v_mad_i64_i32 v[128:129], null, v130, 36, v[20:21]
	v_mad_i64_i32 v[130:131], null, v132, 36, v[20:21]
	;; [unrolled: 1-line block ×6, first 2 shown]
	global_load_b32 v164, v[126:127], off offset:8
	v_add_nc_u32_e32 v118, s5, v22
	v_mad_u64_u32 v[124:125], null, v79, 24, s[0:1]
	v_add_co_u32 v0, vcc_lo, v136, v50
	v_add_co_ci_u32_e32 v1, vcc_lo, 0, v137, vcc_lo
	v_add_co_u32 v144, vcc_lo, v140, v50
	v_add_co_ci_u32_e32 v145, vcc_lo, 0, v141, vcc_lo
	;; [unrolled: 2-line block ×4, first 2 shown]
	s_clause 0x7
	global_load_b32 v169, v[146:147], off offset:8
	global_load_b32 v170, v[142:143], off offset:4
	;; [unrolled: 1-line block ×8, first 2 shown]
	v_mad_u64_u32 v[126:127], null, v118, 36, s[2:3]
	v_mad_i64_i32 v[0:1], null, v165, 36, v[20:21]
	v_mad_i64_i32 v[136:137], null, v166, 36, v[20:21]
	;; [unrolled: 1-line block ×8, first 2 shown]
	s_clause 0x8
	global_load_b32 v124, v[126:127], off
	global_load_b32 v125, v[128:129], off offset:4
	global_load_b32 v126, v[130:131], off offset:4
	;; [unrolled: 1-line block ×8, first 2 shown]
	s_clause 0x3
	global_load_b32 v131, v[142:143], off
	global_load_b32 v132, v[144:145], off
	;; [unrolled: 1-line block ×4, first 2 shown]
	s_mov_b32 s0, -4
	s_waitcnt vmcnt(44)
	v_and_b32_e32 v138, 0xf0f0f0f, v2
	s_waitcnt vmcnt(43)
	v_ashrrev_i32_e32 v3, v50, v3
	s_waitcnt vmcnt(42)
	v_and_b32_e32 v137, 0xf0f0f0f, v23
	s_waitcnt vmcnt(41)
	v_ashrrev_i32_e32 v24, v50, v24
	;; [unrolled: 4-line block ×4, first 2 shown]
	v_lshrrev_b32_e32 v121, 4, v121
	v_lshrrev_b32_e32 v119, 4, v119
	v_lshlrev_b32_e32 v165, 4, v120
	v_lshlrev_b32_e32 v166, 11, v120
	v_lshrrev_b32_e32 v177, 12, v120
	v_lshrrev_b32_e32 v178, 5, v120
	;; [unrolled: 1-line block ×3, first 2 shown]
	v_lshlrev_b32_e32 v180, 4, v24
	v_lshlrev_b32_e32 v181, 11, v24
	v_lshrrev_b32_e32 v184, 12, v24
	v_lshrrev_b32_e32 v185, 5, v24
	;; [unrolled: 1-line block ×3, first 2 shown]
	s_waitcnt vmcnt(35)
	v_ashrrev_i32_e32 v145, v50, v151
	s_waitcnt vmcnt(34)
	v_and_b32_e32 v143, 0xf0f0f0f, v152
	s_waitcnt vmcnt(33)
	v_ashrrev_i32_e32 v142, v50, v153
	v_lshrrev_b32_e32 v144, 4, v152
	s_waitcnt vmcnt(31)
	v_ashrrev_i32_e32 v139, v50, v155
	v_lshlrev_b32_e32 v151, 4, v122
	v_lshlrev_b32_e32 v152, 11, v122
	v_lshrrev_b32_e32 v155, 12, v122
	v_lshlrev_b32_e32 v187, 4, v3
	v_lshlrev_b32_e32 v188, 11, v3
	v_lshrrev_b32_e32 v191, 12, v3
	v_lshrrev_b32_e32 v192, 5, v3
	;; [unrolled: 1-line block ×3, first 2 shown]
	v_lshlrev_b32_e32 v194, 4, v139
	s_waitcnt vmcnt(30)
	v_and_b32_e32 v146, 0xf0f0f0f, v156
	v_lshrrev_b32_e32 v147, 4, v156
	v_lshrrev_b32_e32 v156, 5, v122
	v_lshlrev_b32_e32 v195, 11, v139
	v_lshrrev_b32_e32 v198, 12, v139
	v_lshrrev_b32_e32 v199, 5, v139
	v_and_b32_e32 v140, 0xf0f0f0f, v154
	v_ashrrev_i32_e32 v148, v50, v150
	s_waitcnt vmcnt(29)
	v_and_b32_e32 v149, 0xf0f0f0f, v157
	v_lshrrev_b32_e32 v150, 4, v157
	v_lshlrev_b32_e32 v153, 18, v122
	v_lshlrev_b32_e32 v154, 25, v122
	v_and_b32_e32 v121, 0xf0f0f0f, v121
	v_lshlrev_b32_e32 v157, 2, v122
	v_lshlrev_b32_e32 v122, 9, v122
	;; [unrolled: 1-line block ×4, first 2 shown]
	v_lshrrev_b32_e32 v205, 12, v142
	v_lshrrev_b32_e32 v206, 5, v142
	v_and_b32_e32 v151, 16, v151
	v_and_b32_e32 v152, 0x1000, v152
	v_and_b32_e32 v155, 16, v155
	v_and_b32_e32 v156, 0x1000, v156
	v_lshlrev_b32_e32 v167, 18, v120
	v_lshlrev_b32_e32 v168, 25, v120
	v_and_b32_e32 v119, 0xf0f0f0f, v119
	v_lshlrev_b32_e32 v179, 2, v120
	v_lshlrev_b32_e32 v120, 9, v120
	v_and_b32_e32 v165, 16, v165
	v_and_b32_e32 v166, 0x1000, v166
	v_and_b32_e32 v177, 16, v177
	v_and_b32_e32 v178, 0x1000, v178
	v_lshlrev_b32_e32 v182, 18, v24
	v_lshlrev_b32_e32 v183, 25, v24
	v_and_b32_e32 v23, 0xf0f0f0f, v23
	v_lshlrev_b32_e32 v186, 2, v24
	v_lshlrev_b32_e32 v24, 9, v24
	;; [unrolled: 9-line block ×5, first 2 shown]
	v_and_b32_e32 v153, 0x100000, v153
	v_and_b32_e32 v154, 0x10000000, v154
	;; [unrolled: 1-line block ×8, first 2 shown]
	v_or3_b32 v135, v151, v135, v152
	v_or3_b32 v121, v155, v121, v156
	v_and_b32_e32 v167, 0x100000, v167
	v_and_b32_e32 v168, 0x10000000, v168
	v_and_b32_e32 v179, 0x100000, v179
	v_and_b32_e32 v120, 0x10000000, v120
	v_or3_b32 v136, v165, v136, v166
	v_or3_b32 v119, v177, v119, v178
	v_and_b32_e32 v182, 0x100000, v182
	v_and_b32_e32 v183, 0x10000000, v183
	v_and_b32_e32 v186, 0x100000, v186
	v_and_b32_e32 v24, 0x10000000, v24
	;; [unrolled: 6-line block ×4, first 2 shown]
	v_or3_b32 v140, v194, v140, v195
	v_or3_b32 v141, v198, v141, v199
	v_lshrrev_b32_e32 v219, 12, v148
	v_lshrrev_b32_e32 v220, 5, v148
	v_and_b32_e32 v203, 0x100000, v203
	v_and_b32_e32 v204, 0x10000000, v204
	;; [unrolled: 1-line block ×4, first 2 shown]
	v_or3_b32 v143, v201, v143, v202
	v_or3_b32 v144, v205, v144, v206
	;; [unrolled: 1-line block ×14, first 2 shown]
	ds_store_2addr_b32 v4, v135, v121 offset1:1
	ds_store_2addr_b32 v5, v122, v119 offset1:1
	ds_store_2addr_b32 v6, v120, v23 offset1:1
	ds_store_2addr_b32 v7, v24, v2 offset1:1
	ds_store_2addr_b32 v8, v3, v136 offset1:1
	ds_store_2addr_b32 v9, v137, v138 offset1:1
	v_and_b32_e32 v2, 0xf0f0f0f, v150
	v_and_b32_e32 v3, 16, v219
	;; [unrolled: 1-line block ×3, first 2 shown]
	s_waitcnt vmcnt(25)
	v_ashrrev_i32_e32 v24, v50, v160
	v_lshlrev_b32_e32 v120, 2, v148
	v_lshlrev_b32_e32 v121, 9, v148
	s_waitcnt vmcnt(24)
	v_and_b32_e32 v122, 0xf0f0f0f, v161
	v_or3_b32 v2, v3, v2, v23
	v_lshlrev_b32_e32 v3, 4, v24
	v_lshlrev_b32_e32 v23, 11, v24
	v_and_b32_e32 v120, 0x100000, v120
	v_and_b32_e32 v121, 0x10000000, v121
	v_lshlrev_b32_e32 v208, 4, v145
	v_and_b32_e32 v3, 16, v3
	v_and_b32_e32 v23, 0x1000, v23
	v_lshlrev_b32_e32 v209, 11, v145
	v_lshrrev_b32_e32 v212, 12, v145
	v_lshrrev_b32_e32 v213, 5, v145
	v_lshlrev_b32_e32 v215, 4, v148
	v_lshlrev_b32_e32 v216, 11, v148
	v_or3_b32 v2, v2, v120, v121
	v_or3_b32 v3, v3, v122, v23
	v_lshrrev_b32_e32 v23, 4, v161
	v_lshrrev_b32_e32 v121, 12, v24
	;; [unrolled: 1-line block ×3, first 2 shown]
	v_lshlrev_b32_e32 v210, 18, v145
	v_lshlrev_b32_e32 v211, 25, v145
	v_and_b32_e32 v147, 0xf0f0f0f, v147
	v_lshlrev_b32_e32 v214, 2, v145
	v_lshlrev_b32_e32 v145, 9, v145
	;; [unrolled: 1-line block ×4, first 2 shown]
	v_and_b32_e32 v208, 16, v208
	v_and_b32_e32 v209, 0x1000, v209
	;; [unrolled: 1-line block ×9, first 2 shown]
	v_ashrrev_i32_e32 v136, v50, v159
	v_and_b32_e32 v210, 0x100000, v210
	v_and_b32_e32 v211, 0x10000000, v211
	v_and_b32_e32 v214, 0x100000, v214
	v_and_b32_e32 v145, 0x10000000, v145
	v_and_b32_e32 v217, 0x100000, v217
	v_or3_b32 v146, v208, v146, v209
	v_or3_b32 v147, v212, v147, v213
	;; [unrolled: 1-line block ×3, first 2 shown]
	v_and_b32_e32 v119, 0x10000000, v218
	v_lshlrev_b32_e32 v120, 18, v24
	v_lshlrev_b32_e32 v135, 25, v24
	;; [unrolled: 1-line block ×4, first 2 shown]
	v_or3_b32 v23, v121, v23, v122
	v_lshlrev_b32_e32 v121, 4, v136
	v_lshlrev_b32_e32 v122, 11, v136
	v_or3_b32 v139, v146, v210, v211
	v_or3_b32 v140, v147, v214, v145
	;; [unrolled: 1-line block ×3, first 2 shown]
	v_and_b32_e32 v120, 0x100000, v120
	v_and_b32_e32 v135, 0x10000000, v135
	;; [unrolled: 1-line block ×4, first 2 shown]
	s_waitcnt vmcnt(23)
	v_and_b32_e32 v138, 0xf0f0f0f, v162
	v_and_b32_e32 v121, 16, v121
	;; [unrolled: 1-line block ×3, first 2 shown]
	ds_store_2addr_b32 v10, v139, v140 offset1:1
	ds_store_2addr_b32 v11, v119, v2 offset1:1
	v_or3_b32 v2, v3, v120, v135
	v_or3_b32 v3, v23, v137, v24
	;; [unrolled: 1-line block ×3, first 2 shown]
	v_lshrrev_b32_e32 v119, 4, v162
	v_lshrrev_b32_e32 v120, 12, v136
	;; [unrolled: 1-line block ×3, first 2 shown]
	v_ashrrev_i32_e32 v135, v50, v158
	v_lshlrev_b32_e32 v23, 18, v136
	v_and_b32_e32 v119, 0xf0f0f0f, v119
	v_and_b32_e32 v120, 16, v120
	;; [unrolled: 1-line block ×3, first 2 shown]
	v_lshlrev_b32_e32 v122, 25, v136
	v_lshlrev_b32_e32 v137, 2, v136
	;; [unrolled: 1-line block ×3, first 2 shown]
	v_and_b32_e32 v23, 0x100000, v23
	v_or3_b32 v119, v120, v119, v121
	v_lshlrev_b32_e32 v120, 4, v135
	v_lshlrev_b32_e32 v121, 11, v135
	v_and_b32_e32 v122, 0x10000000, v122
	v_and_b32_e32 v137, 0x100000, v137
	;; [unrolled: 1-line block ×3, first 2 shown]
	s_waitcnt vmcnt(22)
	v_and_b32_e32 v138, 0xf0f0f0f, v163
	v_and_b32_e32 v120, 16, v120
	;; [unrolled: 1-line block ×3, first 2 shown]
	ds_store_2addr_b32 v12, v2, v3 offset1:1
	v_or3_b32 v2, v24, v23, v122
	v_or3_b32 v3, v119, v137, v136
	v_lshrrev_b32_e32 v119, 4, v163
	v_or3_b32 v24, v120, v138, v121
	v_lshrrev_b32_e32 v120, 12, v135
	v_lshrrev_b32_e32 v121, 5, v135
	v_ashrrev_i32_e32 v123, v50, v123
	v_and_b32_e32 v119, 0xf0f0f0f, v119
	v_lshlrev_b32_e32 v23, 18, v135
	v_and_b32_e32 v120, 16, v120
	v_and_b32_e32 v121, 0x1000, v121
	v_lshlrev_b32_e32 v122, 25, v135
	v_lshlrev_b32_e32 v136, 2, v135
	;; [unrolled: 1-line block ×3, first 2 shown]
	v_and_b32_e32 v23, 0x100000, v23
	v_or3_b32 v119, v120, v119, v121
	v_lshlrev_b32_e32 v120, 4, v123
	v_lshlrev_b32_e32 v121, 11, v123
	v_and_b32_e32 v122, 0x10000000, v122
	v_and_b32_e32 v136, 0x100000, v136
	;; [unrolled: 1-line block ×3, first 2 shown]
	s_waitcnt vmcnt(21)
	v_and_b32_e32 v137, 0xf0f0f0f, v164
	v_and_b32_e32 v120, 16, v120
	;; [unrolled: 1-line block ×3, first 2 shown]
	ds_store_2addr_b32 v13, v2, v3 offset1:1
	v_or3_b32 v2, v24, v23, v122
	v_or3_b32 v3, v119, v136, v135
	v_lshrrev_b32_e32 v119, 4, v164
	v_or3_b32 v24, v120, v137, v121
	v_lshrrev_b32_e32 v120, 12, v123
	v_lshrrev_b32_e32 v121, 5, v123
	s_waitcnt vmcnt(13)
	v_ashrrev_i32_e32 v135, v50, v176
	v_and_b32_e32 v119, 0xf0f0f0f, v119
	v_lshlrev_b32_e32 v23, 18, v123
	v_and_b32_e32 v120, 16, v120
	v_and_b32_e32 v121, 0x1000, v121
	v_lshlrev_b32_e32 v122, 25, v123
	v_lshlrev_b32_e32 v136, 2, v123
	;; [unrolled: 1-line block ×3, first 2 shown]
	v_and_b32_e32 v23, 0x100000, v23
	v_or3_b32 v119, v120, v119, v121
	v_lshlrev_b32_e32 v120, 4, v135
	v_lshlrev_b32_e32 v121, 11, v135
	v_and_b32_e32 v122, 0x10000000, v122
	v_and_b32_e32 v136, 0x100000, v136
	;; [unrolled: 1-line block ×6, first 2 shown]
	ds_store_2addr_b32 v14, v2, v3 offset1:1
	v_or3_b32 v2, v24, v23, v122
	v_or3_b32 v3, v119, v136, v123
	v_lshrrev_b32_e32 v119, 4, v175
	v_or3_b32 v24, v120, v137, v121
	v_lshrrev_b32_e32 v120, 12, v135
	v_lshrrev_b32_e32 v121, 5, v135
	v_ashrrev_i32_e32 v123, v50, v174
	v_and_b32_e32 v119, 0xf0f0f0f, v119
	v_lshlrev_b32_e32 v23, 18, v135
	v_and_b32_e32 v120, 16, v120
	v_and_b32_e32 v121, 0x1000, v121
	v_lshlrev_b32_e32 v122, 25, v135
	v_lshlrev_b32_e32 v136, 2, v135
	;; [unrolled: 1-line block ×3, first 2 shown]
	v_and_b32_e32 v23, 0x100000, v23
	v_or3_b32 v119, v120, v119, v121
	v_lshlrev_b32_e32 v120, 4, v123
	v_lshlrev_b32_e32 v121, 11, v123
	v_and_b32_e32 v122, 0x10000000, v122
	v_and_b32_e32 v136, 0x100000, v136
	;; [unrolled: 1-line block ×6, first 2 shown]
	v_lshlrev_b32_e32 v138, 18, v123
	v_lshlrev_b32_e32 v139, 25, v123
	v_or3_b32 v23, v24, v23, v122
	v_or3_b32 v24, v119, v136, v135
	;; [unrolled: 1-line block ×3, first 2 shown]
	v_and_b32_e32 v120, 0x100000, v138
	v_and_b32_e32 v121, 0x10000000, v139
	v_lshrrev_b32_e32 v122, 4, v173
	v_lshrrev_b32_e32 v135, 12, v123
	;; [unrolled: 1-line block ×3, first 2 shown]
	v_ashrrev_i32_e32 v137, v50, v172
	v_or3_b32 v119, v119, v120, v121
	v_and_b32_e32 v120, 0xf0f0f0f, v122
	v_and_b32_e32 v121, 16, v135
	v_and_b32_e32 v122, 0x1000, v136
	v_lshlrev_b32_e32 v135, 4, v137
	v_lshlrev_b32_e32 v136, 11, v137
	;; [unrolled: 1-line block ×4, first 2 shown]
	v_and_b32_e32 v139, 0xf0f0f0f, v171
	v_and_b32_e32 v135, 16, v135
	;; [unrolled: 1-line block ×3, first 2 shown]
	v_lshlrev_b32_e32 v140, 18, v137
	v_or3_b32 v120, v121, v120, v122
	v_and_b32_e32 v122, 0x10000000, v123
	v_and_b32_e32 v121, 0x100000, v138
	v_or3_b32 v123, v135, v139, v136
	v_and_b32_e32 v135, 0x100000, v140
	v_ashrrev_i32_e32 v140, v50, v170
	v_lshrrev_b32_e32 v136, 4, v171
	v_lshrrev_b32_e32 v138, 12, v137
	;; [unrolled: 1-line block ×3, first 2 shown]
	v_lshlrev_b32_e32 v144, 2, v137
	v_lshlrev_b32_e32 v142, 4, v140
	;; [unrolled: 1-line block ×3, first 2 shown]
	v_and_b32_e32 v136, 0xf0f0f0f, v136
	v_and_b32_e32 v138, 16, v138
	;; [unrolled: 1-line block ×6, first 2 shown]
	v_lshlrev_b32_e32 v141, 25, v137
	v_or3_b32 v136, v138, v136, v139
	v_and_b32_e32 v138, 0x100000, v144
	v_lshrrev_b32_e32 v144, 5, v140
	v_or3_b32 v139, v142, v145, v143
	v_lshrrev_b32_e32 v142, 4, v169
	v_lshrrev_b32_e32 v143, 12, v140
	v_lshlrev_b32_e32 v137, 9, v137
	v_lshlrev_b32_e32 v145, 18, v140
	;; [unrolled: 1-line block ×3, first 2 shown]
	v_and_b32_e32 v142, 0xf0f0f0f, v142
	v_and_b32_e32 v143, 16, v143
	v_and_b32_e32 v144, 0x1000, v144
	v_lshlrev_b32_e32 v147, 2, v140
	v_lshlrev_b32_e32 v140, 9, v140
	v_and_b32_e32 v141, 0x10000000, v141
	v_and_b32_e32 v137, 0x10000000, v137
	;; [unrolled: 1-line block ×4, first 2 shown]
	v_or3_b32 v142, v143, v142, v144
	v_and_b32_e32 v143, 0x100000, v147
	v_and_b32_e32 v140, 0x10000000, v140
	v_or3_b32 v120, v120, v121, v122
	v_or3_b32 v121, v123, v135, v141
	;; [unrolled: 1-line block ×5, first 2 shown]
	ds_store_2addr_b32 v15, v2, v3 offset1:1
	ds_store_2addr_b32 v16, v23, v24 offset1:1
	;; [unrolled: 1-line block ×5, first 2 shown]
	s_waitcnt vmcnt(3)
	ds_store_b32 v114, v131
	s_waitcnt vmcnt(2)
	ds_store_b32 v115, v132
	;; [unrolled: 2-line block ×4, first 2 shown]
	ds_store_b32 v86, v125
	ds_store_b32 v88, v126
	;; [unrolled: 1-line block ×9, first 2 shown]
	v_mov_b32_e32 v124, v104
	v_dual_mov_b32 v119, v108 :: v_dual_mov_b32 v120, v101
	v_dual_mov_b32 v121, v107 :: v_dual_mov_b32 v122, v106
	v_mov_b32_e32 v123, v105
	v_mov_b32_e32 v125, v103
	s_waitcnt lgkmcnt(0)
	s_barrier
	buffer_gl0_inv
.LBB144_7:                              ;   Parent Loop BB144_6 Depth=1
                                        ; =>  This Inner Loop Header: Depth=2
	ds_load_2addr_b32 v[23:24], v120 offset1:1
	ds_load_b128 v[0:3], v121
	ds_load_b128 v[126:129], v121 offset:16
	v_add_nc_u32_e32 v131, 0x2080, v120
	v_add_nc_u32_e32 v132, 0x4100, v120
	;; [unrolled: 1-line block ×3, first 2 shown]
	ds_load_2addr_b32 v[158:159], v120 offset0:2 offset1:3
	ds_load_2addr_b32 v[172:173], v120 offset0:4 offset1:5
	;; [unrolled: 1-line block ×3, first 2 shown]
	ds_load_2addr_b32 v[160:161], v131 offset1:1
	ds_load_2addr_b32 v[162:163], v132 offset1:1
	;; [unrolled: 1-line block ×3, first 2 shown]
	s_add_i32 s0, s0, 4
	s_delay_alu instid0(SALU_CYCLE_1) | instskip(SKIP_3) | instid1(VALU_DEP_1)
	s_cmp_lt_u32 s0, 12
	s_waitcnt lgkmcnt(7)
	v_dot4_i32_iu8 v130, v23, v0, 0 neg_lo:[1,1,0]
	s_waitcnt lgkmcnt(6)
	v_dot4_i32_iu8 v130, v24, v126, v130 neg_lo:[1,1,0]
	;; [unrolled: 2-line block ×4, first 2 shown]
	v_dot4_i32_iu8 v130, v158, v1, v130 neg_lo:[1,1,0]
	s_waitcnt lgkmcnt(0)
	v_dot4_i32_iu8 v0, v164, v0, 0 neg_lo:[1,1,0]
	v_dot4_i32_iu8 v131, v161, v126, v131 neg_lo:[1,1,0]
	;; [unrolled: 1-line block ×3, first 2 shown]
	s_delay_alu instid0(VALU_DEP_3)
	v_dot4_i32_iu8 v0, v165, v126, v0 neg_lo:[1,1,0]
	v_dot4_i32_iu8 v126, v159, v127, v130 neg_lo:[1,1,0]
	v_add_nc_u32_e32 v130, 0x2088, v120
	ds_load_2addr_b32 v[166:167], v130 offset1:1
	s_waitcnt lgkmcnt(0)
	v_dot4_i32_iu8 v130, v166, v1, v131 neg_lo:[1,1,0]
	v_add_nc_u32_e32 v131, 0x4108, v120
	s_delay_alu instid0(VALU_DEP_2) | instskip(SKIP_4) | instid1(VALU_DEP_2)
	v_dot4_i32_iu8 v130, v167, v127, v130 neg_lo:[1,1,0]
	ds_load_2addr_b32 v[168:169], v131 offset1:1
	s_waitcnt lgkmcnt(0)
	v_dot4_i32_iu8 v131, v168, v1, v132 neg_lo:[1,1,0]
	v_add_nc_u32_e32 v132, 0x6188, v120
	v_dot4_i32_iu8 v131, v169, v127, v131 neg_lo:[1,1,0]
	ds_load_2addr_b32 v[170:171], v132 offset1:1
	v_add_nc_u32_e32 v132, 0x4110, v120
	ds_load_2addr_b32 v[174:175], v132 offset1:1
	v_add_nc_u32_e32 v132, 0x6190, v120
	ds_load_2addr_b32 v[176:177], v132 offset1:1
	s_waitcnt lgkmcnt(2)
	v_dot4_i32_iu8 v0, v170, v1, v0 neg_lo:[1,1,0]
	v_dot4_i32_iu8 v1, v172, v2, v126 neg_lo:[1,1,0]
	v_add_nc_u32_e32 v126, 0x2090, v120
	s_delay_alu instid0(VALU_DEP_3) | instskip(NEXT) | instid1(VALU_DEP_3)
	v_dot4_i32_iu8 v0, v171, v127, v0 neg_lo:[1,1,0]
	v_dot4_i32_iu8 v1, v173, v128, v1 neg_lo:[1,1,0]
	ds_load_2addr_b32 v[126:127], v126 offset1:1
	s_waitcnt lgkmcnt(2)
	v_dot4_i32_iu8 v131, v174, v2, v131 neg_lo:[1,1,0]
	v_dot4_i32_iu8 v186, v178, v3, v1 neg_lo:[1,1,0]
	s_waitcnt lgkmcnt(1)
	v_dot4_i32_iu8 v0, v176, v2, v0 neg_lo:[1,1,0]
	s_delay_alu instid0(VALU_DEP_1) | instskip(SKIP_3) | instid1(VALU_DEP_2)
	v_dot4_i32_iu8 v0, v177, v128, v0 neg_lo:[1,1,0]
	s_waitcnt lgkmcnt(0)
	v_dot4_i32_iu8 v130, v126, v2, v130 neg_lo:[1,1,0]
	v_dot4_i32_iu8 v2, v175, v128, v131 neg_lo:[1,1,0]
	;; [unrolled: 1-line block ×3, first 2 shown]
	v_add_nc_u32_e32 v128, 0x2098, v120
	ds_load_b128 v[130:133], v121 offset:1040
	ds_load_2addr_b32 v[180:181], v128 offset1:1
	s_waitcnt lgkmcnt(0)
	v_dot4_i32_iu8 v128, v180, v3, v1 neg_lo:[1,1,0]
	v_add_nc_u32_e32 v1, 0x4118, v120
	ds_load_2addr_b32 v[182:183], v1 offset1:1
	v_add_nc_u32_e32 v1, 0x6198, v120
	v_add_nc_u32_e32 v120, 32, v120
	ds_load_2addr_b32 v[184:185], v1 offset1:1
	s_waitcnt lgkmcnt(1)
	v_dot4_i32_iu8 v187, v182, v3, v2 neg_lo:[1,1,0]
	s_waitcnt lgkmcnt(0)
	v_dot4_i32_iu8 v188, v184, v3, v0 neg_lo:[1,1,0]
	ds_load_b128 v[0:3], v121 offset:1024
	s_waitcnt lgkmcnt(0)
	v_dot4_i32_iu8 v134, v0, v23, 0 neg_lo:[1,1,0]
	v_dot4_i32_iu8 v135, v0, v160, 0 neg_lo:[1,1,0]
	v_dot4_i32_iu8 v136, v0, v162, 0 neg_lo:[1,1,0]
	v_dot4_i32_iu8 v0, v0, v164, 0 neg_lo:[1,1,0]
	s_delay_alu instid0(VALU_DEP_4) | instskip(NEXT) | instid1(VALU_DEP_4)
	v_dot4_i32_iu8 v134, v130, v24, v134 neg_lo:[1,1,0]
	v_dot4_i32_iu8 v135, v130, v161, v135 neg_lo:[1,1,0]
	s_delay_alu instid0(VALU_DEP_4) | instskip(NEXT) | instid1(VALU_DEP_4)
	v_dot4_i32_iu8 v136, v130, v163, v136 neg_lo:[1,1,0]
	v_dot4_i32_iu8 v0, v130, v165, v0 neg_lo:[1,1,0]
	s_delay_alu instid0(VALU_DEP_4) | instskip(NEXT) | instid1(VALU_DEP_4)
	v_dot4_i32_iu8 v130, v1, v158, v134 neg_lo:[1,1,0]
	v_dot4_i32_iu8 v134, v1, v166, v135 neg_lo:[1,1,0]
	s_delay_alu instid0(VALU_DEP_4) | instskip(NEXT) | instid1(VALU_DEP_4)
	v_dot4_i32_iu8 v135, v1, v168, v136 neg_lo:[1,1,0]
	v_dot4_i32_iu8 v0, v1, v170, v0 neg_lo:[1,1,0]
	s_delay_alu instid0(VALU_DEP_4) | instskip(NEXT) | instid1(VALU_DEP_4)
	v_dot4_i32_iu8 v1, v131, v159, v130 neg_lo:[1,1,0]
	v_dot4_i32_iu8 v130, v131, v167, v134 neg_lo:[1,1,0]
	s_delay_alu instid0(VALU_DEP_4) | instskip(NEXT) | instid1(VALU_DEP_4)
	v_dot4_i32_iu8 v134, v131, v169, v135 neg_lo:[1,1,0]
	v_dot4_i32_iu8 v0, v131, v171, v0 neg_lo:[1,1,0]
	s_delay_alu instid0(VALU_DEP_4) | instskip(NEXT) | instid1(VALU_DEP_4)
	v_dot4_i32_iu8 v1, v2, v172, v1 neg_lo:[1,1,0]
	v_dot4_i32_iu8 v130, v2, v126, v130 neg_lo:[1,1,0]
	s_delay_alu instid0(VALU_DEP_4) | instskip(NEXT) | instid1(VALU_DEP_4)
	v_dot4_i32_iu8 v131, v2, v174, v134 neg_lo:[1,1,0]
	v_dot4_i32_iu8 v0, v2, v176, v0 neg_lo:[1,1,0]
	ds_load_b128 v[134:137], v121 offset:2064
	v_dot4_i32_iu8 v1, v132, v173, v1 neg_lo:[1,1,0]
	v_dot4_i32_iu8 v2, v132, v127, v130 neg_lo:[1,1,0]
	v_dot4_i32_iu8 v130, v132, v175, v131 neg_lo:[1,1,0]
	v_dot4_i32_iu8 v0, v132, v177, v0 neg_lo:[1,1,0]
	s_delay_alu instid0(VALU_DEP_4) | instskip(NEXT) | instid1(VALU_DEP_4)
	v_dot4_i32_iu8 v131, v3, v178, v1 neg_lo:[1,1,0]
	v_dot4_i32_iu8 v132, v3, v180, v2 neg_lo:[1,1,0]
	s_delay_alu instid0(VALU_DEP_4) | instskip(NEXT) | instid1(VALU_DEP_4)
	v_dot4_i32_iu8 v130, v3, v182, v130 neg_lo:[1,1,0]
	v_dot4_i32_iu8 v189, v3, v184, v0 neg_lo:[1,1,0]
	ds_load_b128 v[0:3], v121 offset:2048
	v_dot4_i32_iu8 v130, v133, v183, v130 neg_lo:[1,1,0]
	s_waitcnt lgkmcnt(0)
	v_dot4_i32_iu8 v138, v0, v23, 0 neg_lo:[1,1,0]
	v_dot4_i32_iu8 v139, v0, v160, 0 neg_lo:[1,1,0]
	v_dot4_i32_iu8 v140, v0, v162, 0 neg_lo:[1,1,0]
	v_dot4_i32_iu8 v0, v0, v164, 0 neg_lo:[1,1,0]
	s_delay_alu instid0(VALU_DEP_4) | instskip(NEXT) | instid1(VALU_DEP_4)
	v_dot4_i32_iu8 v138, v134, v24, v138 neg_lo:[1,1,0]
	v_dot4_i32_iu8 v139, v134, v161, v139 neg_lo:[1,1,0]
	s_delay_alu instid0(VALU_DEP_4) | instskip(NEXT) | instid1(VALU_DEP_4)
	v_dot4_i32_iu8 v140, v134, v163, v140 neg_lo:[1,1,0]
	v_dot4_i32_iu8 v0, v134, v165, v0 neg_lo:[1,1,0]
	s_delay_alu instid0(VALU_DEP_4) | instskip(NEXT) | instid1(VALU_DEP_4)
	v_dot4_i32_iu8 v134, v1, v158, v138 neg_lo:[1,1,0]
	v_dot4_i32_iu8 v138, v1, v166, v139 neg_lo:[1,1,0]
	s_delay_alu instid0(VALU_DEP_4) | instskip(NEXT) | instid1(VALU_DEP_4)
	v_dot4_i32_iu8 v139, v1, v168, v140 neg_lo:[1,1,0]
	v_dot4_i32_iu8 v0, v1, v170, v0 neg_lo:[1,1,0]
	s_delay_alu instid0(VALU_DEP_4) | instskip(NEXT) | instid1(VALU_DEP_4)
	v_dot4_i32_iu8 v1, v135, v159, v134 neg_lo:[1,1,0]
	v_dot4_i32_iu8 v134, v135, v167, v138 neg_lo:[1,1,0]
	s_delay_alu instid0(VALU_DEP_4) | instskip(NEXT) | instid1(VALU_DEP_4)
	v_dot4_i32_iu8 v138, v135, v169, v139 neg_lo:[1,1,0]
	v_dot4_i32_iu8 v0, v135, v171, v0 neg_lo:[1,1,0]
	s_delay_alu instid0(VALU_DEP_4) | instskip(NEXT) | instid1(VALU_DEP_4)
	v_dot4_i32_iu8 v1, v2, v172, v1 neg_lo:[1,1,0]
	v_dot4_i32_iu8 v134, v2, v126, v134 neg_lo:[1,1,0]
	s_delay_alu instid0(VALU_DEP_4) | instskip(NEXT) | instid1(VALU_DEP_4)
	v_dot4_i32_iu8 v135, v2, v174, v138 neg_lo:[1,1,0]
	v_dot4_i32_iu8 v0, v2, v176, v0 neg_lo:[1,1,0]
	ds_load_b128 v[138:141], v121 offset:3088
	v_dot4_i32_iu8 v1, v136, v173, v1 neg_lo:[1,1,0]
	v_dot4_i32_iu8 v2, v136, v127, v134 neg_lo:[1,1,0]
	v_dot4_i32_iu8 v134, v136, v175, v135 neg_lo:[1,1,0]
	v_dot4_i32_iu8 v0, v136, v177, v0 neg_lo:[1,1,0]
	s_delay_alu instid0(VALU_DEP_4) | instskip(NEXT) | instid1(VALU_DEP_4)
	v_dot4_i32_iu8 v135, v3, v178, v1 neg_lo:[1,1,0]
	v_dot4_i32_iu8 v136, v3, v180, v2 neg_lo:[1,1,0]
	s_delay_alu instid0(VALU_DEP_4) | instskip(NEXT) | instid1(VALU_DEP_4)
	v_dot4_i32_iu8 v134, v3, v182, v134 neg_lo:[1,1,0]
	v_dot4_i32_iu8 v190, v3, v184, v0 neg_lo:[1,1,0]
	ds_load_b128 v[0:3], v121 offset:3072
	v_dot4_i32_iu8 v134, v137, v183, v134 neg_lo:[1,1,0]
	;; [unrolled: 42-line block ×5, first 2 shown]
	s_waitcnt lgkmcnt(0)
	v_dot4_i32_iu8 v154, v0, v23, 0 neg_lo:[1,1,0]
	v_dot4_i32_iu8 v155, v0, v160, 0 neg_lo:[1,1,0]
	;; [unrolled: 1-line block ×4, first 2 shown]
	s_delay_alu instid0(VALU_DEP_4) | instskip(NEXT) | instid1(VALU_DEP_4)
	v_dot4_i32_iu8 v154, v150, v24, v154 neg_lo:[1,1,0]
	v_dot4_i32_iu8 v155, v150, v161, v155 neg_lo:[1,1,0]
	s_delay_alu instid0(VALU_DEP_4) | instskip(NEXT) | instid1(VALU_DEP_4)
	v_dot4_i32_iu8 v156, v150, v163, v156 neg_lo:[1,1,0]
	v_dot4_i32_iu8 v0, v150, v165, v0 neg_lo:[1,1,0]
	;; [unrolled: 3-line block ×8, first 2 shown]
	ds_load_b128 v[154:157], v121 offset:7184
	v_dot4_i32_iu8 v1, v152, v173, v1 neg_lo:[1,1,0]
	v_dot4_i32_iu8 v2, v152, v127, v150 neg_lo:[1,1,0]
	;; [unrolled: 1-line block ×4, first 2 shown]
	s_delay_alu instid0(VALU_DEP_4) | instskip(NEXT) | instid1(VALU_DEP_4)
	v_dot4_i32_iu8 v151, v3, v178, v1 neg_lo:[1,1,0]
	v_dot4_i32_iu8 v152, v3, v180, v2 neg_lo:[1,1,0]
	s_delay_alu instid0(VALU_DEP_4) | instskip(NEXT) | instid1(VALU_DEP_4)
	v_dot4_i32_iu8 v150, v3, v182, v150 neg_lo:[1,1,0]
	v_dot4_i32_iu8 v194, v3, v184, v0 neg_lo:[1,1,0]
	ds_load_b128 v[0:3], v121 offset:7168
	v_add_nc_u32_e32 v121, 32, v121
	v_dot4_i32_iu8 v150, v153, v183, v150 neg_lo:[1,1,0]
	s_waitcnt lgkmcnt(0)
	v_dot4_i32_iu8 v23, v0, v23, 0 neg_lo:[1,1,0]
	s_delay_alu instid0(VALU_DEP_1) | instskip(SKIP_3) | instid1(VALU_DEP_4)
	v_dot4_i32_iu8 v23, v154, v24, v23 neg_lo:[1,1,0]
	v_dot4_i32_iu8 v24, v0, v160, 0 neg_lo:[1,1,0]
	;; [unrolled: 1-line block ×5, first 2 shown]
	s_delay_alu instid0(VALU_DEP_4) | instskip(NEXT) | instid1(VALU_DEP_4)
	v_dot4_i32_iu8 v24, v154, v161, v24 neg_lo:[1,1,0]
	v_dot4_i32_iu8 v160, v154, v163, v160 neg_lo:[1,1,0]
	s_delay_alu instid0(VALU_DEP_4) | instskip(NEXT) | instid1(VALU_DEP_4)
	v_dot4_i32_iu8 v0, v154, v165, v0 neg_lo:[1,1,0]
	v_dot4_i32_iu8 v23, v155, v159, v23 neg_lo:[1,1,0]
	s_delay_alu instid0(VALU_DEP_4) | instskip(NEXT) | instid1(VALU_DEP_4)
	v_dot4_i32_iu8 v24, v1, v166, v24 neg_lo:[1,1,0]
	v_dot4_i32_iu8 v154, v1, v168, v160 neg_lo:[1,1,0]
	s_delay_alu instid0(VALU_DEP_4) | instskip(NEXT) | instid1(VALU_DEP_4)
	v_dot4_i32_iu8 v0, v1, v170, v0 neg_lo:[1,1,0]
	v_dot4_i32_iu8 v1, v2, v172, v23 neg_lo:[1,1,0]
	s_delay_alu instid0(VALU_DEP_4) | instskip(NEXT) | instid1(VALU_DEP_4)
	v_dot4_i32_iu8 v24, v155, v167, v24 neg_lo:[1,1,0]
	v_dot4_i32_iu8 v154, v155, v169, v154 neg_lo:[1,1,0]
	s_delay_alu instid0(VALU_DEP_4) | instskip(NEXT) | instid1(VALU_DEP_4)
	v_dot4_i32_iu8 v0, v155, v171, v0 neg_lo:[1,1,0]
	v_dot4_i32_iu8 v1, v156, v173, v1 neg_lo:[1,1,0]
	s_delay_alu instid0(VALU_DEP_4) | instskip(NEXT) | instid1(VALU_DEP_4)
	v_dot4_i32_iu8 v23, v2, v126, v24 neg_lo:[1,1,0]
	v_dot4_i32_iu8 v24, v2, v174, v154 neg_lo:[1,1,0]
	s_delay_alu instid0(VALU_DEP_4)
	v_dot4_i32_iu8 v0, v2, v176, v0 neg_lo:[1,1,0]
	v_dot4_i32_iu8 v126, v183, v129, v187 neg_lo:[1,1,0]
	;; [unrolled: 1-line block ×7, first 2 shown]
	s_delay_alu instid0(VALU_DEP_4) | instskip(NEXT) | instid1(VALU_DEP_4)
	v_dot4_i32_iu8 v2, v3, v180, v23 neg_lo:[1,1,0]
	v_dot4_i32_iu8 v23, v3, v182, v24 neg_lo:[1,1,0]
	s_delay_alu instid0(VALU_DEP_4)
	v_dot4_i32_iu8 v0, v3, v184, v0 neg_lo:[1,1,0]
	v_dot4_i32_iu8 v3, v179, v129, v186 neg_lo:[1,1,0]
	;; [unrolled: 1-line block ×25, first 2 shown]
	ds_load_b32 v154, v122
	ds_load_b32 v155, v123
	ds_load_b32 v156, v124
	ds_load_b32 v157, v125
	ds_load_2addr_b32 v[0:1], v119 offset1:32
	v_cvt_f32_i32_e32 v3, v3
	v_cvt_f32_i32_e32 v132, v132
	;; [unrolled: 1-line block ×10, first 2 shown]
	v_add_nc_u32_e32 v124, 4, v124
	v_add_nc_u32_e32 v122, 4, v122
	v_add_nc_u32_e32 v125, 4, v125
	v_add_nc_u32_e32 v123, 4, v123
	s_waitcnt lgkmcnt(0)
	v_pk_mul_f16 v158, v0, v154
	v_pk_mul_f16 v159, v0, v155
	;; [unrolled: 1-line block ×8, first 2 shown]
	ds_load_2addr_b32 v[0:1], v119 offset0:64 offset1:96
	v_fma_mix_f32 v3, v158, v3, v158 op_sel:[0,0,1] op_sel_hi:[1,0,1]
	v_fma_mix_f32 v128, v162, v128, v162 op_sel:[0,0,1] op_sel_hi:[1,0,1]
	s_delay_alu instid0(VALU_DEP_2)
	v_add_f32_e32 v40, v40, v3
	v_cvt_f32_i32_e32 v3, v24
	v_cvt_f32_i32_e32 v24, v126
	v_cvt_f32_i32_e32 v126, v127
	v_cvt_f32_i32_e32 v127, v129
	v_cvt_f32_i32_e32 v129, v131
	v_cvt_f32_i32_e32 v131, v134
	v_cvt_f32_i32_e32 v134, v138
	v_cvt_f32_i32_e32 v138, v143
	v_add_f32_e32 v68, v68, v128
	v_cvt_f32_i32_e32 v128, v130
	v_cvt_f32_i32_e32 v130, v133
	;; [unrolled: 1-line block ×4, first 2 shown]
	s_waitcnt lgkmcnt(0)
	v_pk_mul_f16 v166, v154, v0
	v_pk_mul_f16 v167, v155, v0
	;; [unrolled: 1-line block ×8, first 2 shown]
	ds_load_2addr_b32 v[0:1], v119 offset0:128 offset1:160
	v_fma_mix_f32 v132, v166, v132, v166 op_sel:[0,0,1] op_sel_hi:[1,0,1]
	v_fma_mix_f32 v136, v170, v136, v170 op_sel:[0,0,1] op_sel_hi:[1,0,1]
	v_cvt_f32_i32_e32 v142, v149
	v_cvt_f32_i32_e32 v143, v150
	v_fma_mix_f32 v3, v159, v3, v159 op_sel:[0,0,1] op_sel_hi:[1,0,1]
	v_fma_mix_f32 v24, v160, v24, v160 op_sel:[0,0,1] op_sel_hi:[1,0,1]
	v_add_f32_e32 v49, v49, v136
	v_cvt_f32_i32_e32 v136, v141
	v_cvt_f32_i32_e32 v141, v147
	v_fma_mix_f32 v126, v161, v126, v161 op_sel:[0,0,1] op_sel_hi:[1,0,1]
	v_fma_mix_f32 v127, v163, v127, v163 op_sel:[0,0,1] op_sel_hi:[1,0,1]
	;; [unrolled: 1-line block ×8, first 2 shown]
	v_dual_add_f32 v77, v77, v3 :: v_dual_add_f32 v70, v70, v126
	s_waitcnt lgkmcnt(0)
	v_pk_mul_f16 v174, v154, v0
	v_pk_mul_f16 v175, v155, v0
	;; [unrolled: 1-line block ×8, first 2 shown]
	ds_load_2addr_b32 v[0:1], v119 offset0:192 offset1:224
	v_fma_mix_f32 v144, v178, v144, v178 op_sel:[0,0,1] op_sel_hi:[1,0,1]
	v_fma_mix_f32 v138, v177, v138, v177 op_sel:[0,0,1] op_sel_hi:[1,0,1]
	v_add_f32_e32 v64, v64, v132
	v_cvt_f32_i32_e32 v132, v135
	v_cvt_f32_i32_e32 v135, v139
	;; [unrolled: 1-line block ×3, first 2 shown]
	v_add_f32_e32 v39, v39, v138
	v_fma_mix_f32 v140, v174, v140, v174 op_sel:[0,0,1] op_sel_hi:[1,0,1]
	v_fma_mix_f32 v132, v169, v132, v169 op_sel:[0,0,1] op_sel_hi:[1,0,1]
	;; [unrolled: 1-line block ×4, first 2 shown]
	v_add_f32_e32 v36, v36, v144
	v_cvt_f32_i32_e32 v144, v151
	v_add_f32_e32 v43, v43, v140
	v_cvt_f32_i32_e32 v140, v146
	v_add_f32_e32 v35, v35, v139
	v_fma_mix_f32 v136, v175, v136, v175 op_sel:[0,0,1] op_sel_hi:[1,0,1]
	v_fma_mix_f32 v137, v176, v137, v176 op_sel:[0,0,1] op_sel_hi:[1,0,1]
	v_fma_mix_f32 v141, v181, v141, v181 op_sel:[0,0,1] op_sel_hi:[1,0,1]
	s_waitcnt lgkmcnt(0)
	v_pk_mul_f16 v182, v154, v0
	v_pk_mul_f16 v183, v155, v0
	v_pk_mul_f16 v184, v156, v0
	v_pk_mul_f16 v0, v157, v0
	v_pk_mul_f16 v154, v154, v1
	v_pk_mul_f16 v155, v155, v1
	v_pk_mul_f16 v156, v156, v1
	v_pk_mul_f16 v1, v157, v1
	v_fma_mix_f32 v0, v0, v144, v0 op_sel:[0,0,1] op_sel_hi:[1,0,1]
	v_cvt_f32_i32_e32 v144, v153
	v_fma_mix_f32 v148, v182, v148, v182 op_sel:[0,0,1] op_sel_hi:[1,0,1]
	v_fma_mix_f32 v152, v154, v152, v154 op_sel:[0,0,1] op_sel_hi:[1,0,1]
	v_fma_mix_f32 v140, v180, v140, v180 op_sel:[0,0,1] op_sel_hi:[1,0,1]
	v_fma_mix_f32 v142, v183, v142, v183 op_sel:[0,0,1] op_sel_hi:[1,0,1]
	v_fma_mix_f32 v143, v184, v143, v184 op_sel:[0,0,1] op_sel_hi:[1,0,1]
	v_fma_mix_f32 v2, v155, v2, v155 op_sel:[0,0,1] op_sel_hi:[1,0,1]
	v_fma_mix_f32 v23, v156, v23, v156 op_sel:[0,0,1] op_sel_hi:[1,0,1]
	v_fma_mix_f32 v1, v1, v144, v1 op_sel:[0,0,1] op_sel_hi:[1,0,1]
	v_dual_add_f32 v32, v32, v148 :: v_dual_add_f32 v33, v33, v141
	v_dual_add_f32 v28, v28, v152 :: v_dual_add_f32 v31, v31, v142
	;; [unrolled: 1-line block ×4, first 2 shown]
	v_add_f32_e32 v25, v25, v1
	v_add_f32_e32 v65, v65, v129
	;; [unrolled: 1-line block ×6, first 2 shown]
	v_dual_add_f32 v45, v45, v134 :: v_dual_add_f32 v44, v44, v135
	v_dual_add_f32 v42, v42, v136 :: v_dual_add_f32 v41, v41, v137
	v_add_f32_e32 v34, v34, v140
	v_dual_add_f32 v30, v30, v143 :: v_dual_add_f32 v29, v29, v0
	v_add_f32_e32 v26, v26, v23
	v_add_nc_u32_e32 v119, 4, v119
	s_cbranch_scc1 .LBB144_7
; %bb.8:                                ;   in Loop: Header=BB144_6 Depth=1
	s_or_b32 s0, s5, 4
	s_delay_alu instid0(SALU_CYCLE_1)
	s_cmp_ge_i32 s0, s4
	s_barrier
	buffer_gl0_inv
	s_cbranch_scc1 .LBB144_5
; %bb.9:                                ;   in Loop: Header=BB144_6 Depth=1
	v_add_nc_u32_e32 v125, s5, v102
	v_add_nc_u32_e32 v118, 4, v118
	s_mov_b32 s0, 12
	s_delay_alu instid0(VALU_DEP_2)
	v_add_nc_u32_e32 v2, v125, v85
	v_add_nc_u32_e32 v23, v125, v87
	;; [unrolled: 1-line block ×5, first 2 shown]
	v_mad_i64_i32 v[0:1], null, v2, 36, v[20:21]
	v_add_nc_u32_e32 v126, v125, v95
	v_mad_i64_i32 v[2:3], null, v23, 36, v[20:21]
	v_add_nc_u32_e32 v127, v125, v97
	;; [unrolled: 2-line block ×3, first 2 shown]
	v_mad_i64_i32 v[119:120], null, v121, 36, v[20:21]
	v_mad_i64_i32 v[121:122], null, v123, 36, v[20:21]
	;; [unrolled: 1-line block ×5, first 2 shown]
	v_mad_u64_u32 v[129:130], null, v118, 36, s[2:3]
	s_clause 0x8
	global_load_b32 v0, v[0:1], off offset:4
	global_load_b32 v1, v[2:3], off offset:4
	;; [unrolled: 1-line block ×8, first 2 shown]
	global_load_b32 v127, v[129:130], off
	v_mov_b32_e32 v121, v112
	v_dual_mov_b32 v118, v108 :: v_dual_mov_b32 v119, v107
	v_mov_b32_e32 v120, v113
	v_dual_mov_b32 v122, v111 :: v_dual_mov_b32 v123, v110
	v_mov_b32_e32 v124, v109
	s_waitcnt vmcnt(8)
	ds_store_b32 v86, v0
	s_waitcnt vmcnt(7)
	ds_store_b32 v88, v1
	;; [unrolled: 2-line block ×9, first 2 shown]
	s_waitcnt lgkmcnt(0)
	s_barrier
	buffer_gl0_inv
.LBB144_10:                             ;   Parent Loop BB144_6 Depth=1
                                        ; =>  This Inner Loop Header: Depth=2
	ds_load_2addr_b32 v[23:24], v120 offset1:1
	ds_load_b128 v[0:3], v119
	ds_load_b128 v[125:128], v119 offset:16
	ds_load_2addr_b32 v[157:158], v120 offset0:2 offset1:3
	v_add_nc_u32_e32 v130, 0x2080, v120
	v_add_nc_u32_e32 v131, 0x4100, v120
	;; [unrolled: 1-line block ×3, first 2 shown]
	ds_load_2addr_b32 v[171:172], v120 offset0:4 offset1:5
	ds_load_2addr_b32 v[177:178], v120 offset0:6 offset1:7
	ds_load_2addr_b32 v[159:160], v130 offset1:1
	ds_load_2addr_b32 v[161:162], v131 offset1:1
	;; [unrolled: 1-line block ×3, first 2 shown]
	s_add_i32 s0, s0, 4
	s_delay_alu instid0(SALU_CYCLE_1) | instskip(SKIP_3) | instid1(VALU_DEP_1)
	s_cmp_lt_u32 s0, 28
	s_waitcnt lgkmcnt(7)
	v_dot4_i32_iu8 v129, v23, v0, 0 neg_lo:[1,1,0]
	s_waitcnt lgkmcnt(6)
	v_dot4_i32_iu8 v129, v24, v125, v129 neg_lo:[1,1,0]
	;; [unrolled: 2-line block ×4, first 2 shown]
	v_dot4_i32_iu8 v129, v157, v1, v129 neg_lo:[1,1,0]
	s_waitcnt lgkmcnt(0)
	v_dot4_i32_iu8 v0, v163, v0, 0 neg_lo:[1,1,0]
	v_dot4_i32_iu8 v130, v160, v125, v130 neg_lo:[1,1,0]
	;; [unrolled: 1-line block ×3, first 2 shown]
	s_delay_alu instid0(VALU_DEP_3)
	v_dot4_i32_iu8 v0, v164, v125, v0 neg_lo:[1,1,0]
	v_dot4_i32_iu8 v125, v158, v126, v129 neg_lo:[1,1,0]
	v_add_nc_u32_e32 v129, 0x2088, v120
	ds_load_2addr_b32 v[165:166], v129 offset1:1
	s_waitcnt lgkmcnt(0)
	v_dot4_i32_iu8 v129, v165, v1, v130 neg_lo:[1,1,0]
	v_add_nc_u32_e32 v130, 0x4108, v120
	s_delay_alu instid0(VALU_DEP_2) | instskip(SKIP_4) | instid1(VALU_DEP_2)
	v_dot4_i32_iu8 v129, v166, v126, v129 neg_lo:[1,1,0]
	ds_load_2addr_b32 v[167:168], v130 offset1:1
	s_waitcnt lgkmcnt(0)
	v_dot4_i32_iu8 v130, v167, v1, v131 neg_lo:[1,1,0]
	v_add_nc_u32_e32 v131, 0x6188, v120
	v_dot4_i32_iu8 v130, v168, v126, v130 neg_lo:[1,1,0]
	ds_load_2addr_b32 v[169:170], v131 offset1:1
	v_add_nc_u32_e32 v131, 0x4110, v120
	ds_load_2addr_b32 v[173:174], v131 offset1:1
	v_add_nc_u32_e32 v131, 0x6190, v120
	ds_load_2addr_b32 v[175:176], v131 offset1:1
	s_waitcnt lgkmcnt(2)
	v_dot4_i32_iu8 v0, v169, v1, v0 neg_lo:[1,1,0]
	v_dot4_i32_iu8 v1, v171, v2, v125 neg_lo:[1,1,0]
	v_add_nc_u32_e32 v125, 0x2090, v120
	s_delay_alu instid0(VALU_DEP_3) | instskip(NEXT) | instid1(VALU_DEP_3)
	v_dot4_i32_iu8 v0, v170, v126, v0 neg_lo:[1,1,0]
	v_dot4_i32_iu8 v1, v172, v127, v1 neg_lo:[1,1,0]
	ds_load_2addr_b32 v[125:126], v125 offset1:1
	s_waitcnt lgkmcnt(2)
	v_dot4_i32_iu8 v130, v173, v2, v130 neg_lo:[1,1,0]
	v_dot4_i32_iu8 v185, v177, v3, v1 neg_lo:[1,1,0]
	s_waitcnt lgkmcnt(1)
	v_dot4_i32_iu8 v0, v175, v2, v0 neg_lo:[1,1,0]
	s_delay_alu instid0(VALU_DEP_1) | instskip(SKIP_3) | instid1(VALU_DEP_2)
	v_dot4_i32_iu8 v0, v176, v127, v0 neg_lo:[1,1,0]
	s_waitcnt lgkmcnt(0)
	v_dot4_i32_iu8 v129, v125, v2, v129 neg_lo:[1,1,0]
	v_dot4_i32_iu8 v2, v174, v127, v130 neg_lo:[1,1,0]
	v_dot4_i32_iu8 v1, v126, v127, v129 neg_lo:[1,1,0]
	v_add_nc_u32_e32 v127, 0x2098, v120
	ds_load_b128 v[129:132], v119 offset:1040
	ds_load_2addr_b32 v[179:180], v127 offset1:1
	s_waitcnt lgkmcnt(0)
	v_dot4_i32_iu8 v127, v179, v3, v1 neg_lo:[1,1,0]
	v_add_nc_u32_e32 v1, 0x4118, v120
	ds_load_2addr_b32 v[181:182], v1 offset1:1
	v_add_nc_u32_e32 v1, 0x6198, v120
	v_add_nc_u32_e32 v120, 32, v120
	ds_load_2addr_b32 v[183:184], v1 offset1:1
	s_waitcnt lgkmcnt(1)
	v_dot4_i32_iu8 v186, v181, v3, v2 neg_lo:[1,1,0]
	s_waitcnt lgkmcnt(0)
	v_dot4_i32_iu8 v187, v183, v3, v0 neg_lo:[1,1,0]
	ds_load_b128 v[0:3], v119 offset:1024
	s_waitcnt lgkmcnt(0)
	v_dot4_i32_iu8 v133, v0, v23, 0 neg_lo:[1,1,0]
	v_dot4_i32_iu8 v134, v0, v159, 0 neg_lo:[1,1,0]
	v_dot4_i32_iu8 v135, v0, v161, 0 neg_lo:[1,1,0]
	v_dot4_i32_iu8 v0, v0, v163, 0 neg_lo:[1,1,0]
	s_delay_alu instid0(VALU_DEP_4) | instskip(NEXT) | instid1(VALU_DEP_4)
	v_dot4_i32_iu8 v133, v129, v24, v133 neg_lo:[1,1,0]
	v_dot4_i32_iu8 v134, v129, v160, v134 neg_lo:[1,1,0]
	s_delay_alu instid0(VALU_DEP_4) | instskip(NEXT) | instid1(VALU_DEP_4)
	v_dot4_i32_iu8 v135, v129, v162, v135 neg_lo:[1,1,0]
	v_dot4_i32_iu8 v0, v129, v164, v0 neg_lo:[1,1,0]
	s_delay_alu instid0(VALU_DEP_4) | instskip(NEXT) | instid1(VALU_DEP_4)
	v_dot4_i32_iu8 v129, v1, v157, v133 neg_lo:[1,1,0]
	v_dot4_i32_iu8 v133, v1, v165, v134 neg_lo:[1,1,0]
	s_delay_alu instid0(VALU_DEP_4) | instskip(NEXT) | instid1(VALU_DEP_4)
	v_dot4_i32_iu8 v134, v1, v167, v135 neg_lo:[1,1,0]
	v_dot4_i32_iu8 v0, v1, v169, v0 neg_lo:[1,1,0]
	s_delay_alu instid0(VALU_DEP_4) | instskip(NEXT) | instid1(VALU_DEP_4)
	v_dot4_i32_iu8 v1, v130, v158, v129 neg_lo:[1,1,0]
	v_dot4_i32_iu8 v129, v130, v166, v133 neg_lo:[1,1,0]
	s_delay_alu instid0(VALU_DEP_4) | instskip(NEXT) | instid1(VALU_DEP_4)
	v_dot4_i32_iu8 v133, v130, v168, v134 neg_lo:[1,1,0]
	v_dot4_i32_iu8 v0, v130, v170, v0 neg_lo:[1,1,0]
	s_delay_alu instid0(VALU_DEP_4) | instskip(NEXT) | instid1(VALU_DEP_4)
	v_dot4_i32_iu8 v1, v2, v171, v1 neg_lo:[1,1,0]
	v_dot4_i32_iu8 v129, v2, v125, v129 neg_lo:[1,1,0]
	s_delay_alu instid0(VALU_DEP_4) | instskip(NEXT) | instid1(VALU_DEP_4)
	v_dot4_i32_iu8 v130, v2, v173, v133 neg_lo:[1,1,0]
	v_dot4_i32_iu8 v0, v2, v175, v0 neg_lo:[1,1,0]
	ds_load_b128 v[133:136], v119 offset:2064
	v_dot4_i32_iu8 v1, v131, v172, v1 neg_lo:[1,1,0]
	v_dot4_i32_iu8 v2, v131, v126, v129 neg_lo:[1,1,0]
	v_dot4_i32_iu8 v129, v131, v174, v130 neg_lo:[1,1,0]
	v_dot4_i32_iu8 v0, v131, v176, v0 neg_lo:[1,1,0]
	s_delay_alu instid0(VALU_DEP_4) | instskip(NEXT) | instid1(VALU_DEP_4)
	v_dot4_i32_iu8 v130, v3, v177, v1 neg_lo:[1,1,0]
	v_dot4_i32_iu8 v131, v3, v179, v2 neg_lo:[1,1,0]
	s_delay_alu instid0(VALU_DEP_4) | instskip(NEXT) | instid1(VALU_DEP_4)
	v_dot4_i32_iu8 v129, v3, v181, v129 neg_lo:[1,1,0]
	v_dot4_i32_iu8 v188, v3, v183, v0 neg_lo:[1,1,0]
	ds_load_b128 v[0:3], v119 offset:2048
	v_dot4_i32_iu8 v129, v132, v182, v129 neg_lo:[1,1,0]
	s_waitcnt lgkmcnt(0)
	v_dot4_i32_iu8 v137, v0, v23, 0 neg_lo:[1,1,0]
	v_dot4_i32_iu8 v138, v0, v159, 0 neg_lo:[1,1,0]
	v_dot4_i32_iu8 v139, v0, v161, 0 neg_lo:[1,1,0]
	v_dot4_i32_iu8 v0, v0, v163, 0 neg_lo:[1,1,0]
	s_delay_alu instid0(VALU_DEP_4) | instskip(NEXT) | instid1(VALU_DEP_4)
	v_dot4_i32_iu8 v137, v133, v24, v137 neg_lo:[1,1,0]
	v_dot4_i32_iu8 v138, v133, v160, v138 neg_lo:[1,1,0]
	s_delay_alu instid0(VALU_DEP_4) | instskip(NEXT) | instid1(VALU_DEP_4)
	v_dot4_i32_iu8 v139, v133, v162, v139 neg_lo:[1,1,0]
	v_dot4_i32_iu8 v0, v133, v164, v0 neg_lo:[1,1,0]
	s_delay_alu instid0(VALU_DEP_4) | instskip(NEXT) | instid1(VALU_DEP_4)
	v_dot4_i32_iu8 v133, v1, v157, v137 neg_lo:[1,1,0]
	v_dot4_i32_iu8 v137, v1, v165, v138 neg_lo:[1,1,0]
	s_delay_alu instid0(VALU_DEP_4) | instskip(NEXT) | instid1(VALU_DEP_4)
	v_dot4_i32_iu8 v138, v1, v167, v139 neg_lo:[1,1,0]
	v_dot4_i32_iu8 v0, v1, v169, v0 neg_lo:[1,1,0]
	s_delay_alu instid0(VALU_DEP_4) | instskip(NEXT) | instid1(VALU_DEP_4)
	v_dot4_i32_iu8 v1, v134, v158, v133 neg_lo:[1,1,0]
	v_dot4_i32_iu8 v133, v134, v166, v137 neg_lo:[1,1,0]
	s_delay_alu instid0(VALU_DEP_4) | instskip(NEXT) | instid1(VALU_DEP_4)
	v_dot4_i32_iu8 v137, v134, v168, v138 neg_lo:[1,1,0]
	v_dot4_i32_iu8 v0, v134, v170, v0 neg_lo:[1,1,0]
	s_delay_alu instid0(VALU_DEP_4) | instskip(NEXT) | instid1(VALU_DEP_4)
	v_dot4_i32_iu8 v1, v2, v171, v1 neg_lo:[1,1,0]
	v_dot4_i32_iu8 v133, v2, v125, v133 neg_lo:[1,1,0]
	s_delay_alu instid0(VALU_DEP_4) | instskip(NEXT) | instid1(VALU_DEP_4)
	v_dot4_i32_iu8 v134, v2, v173, v137 neg_lo:[1,1,0]
	v_dot4_i32_iu8 v0, v2, v175, v0 neg_lo:[1,1,0]
	ds_load_b128 v[137:140], v119 offset:3088
	v_dot4_i32_iu8 v1, v135, v172, v1 neg_lo:[1,1,0]
	v_dot4_i32_iu8 v2, v135, v126, v133 neg_lo:[1,1,0]
	v_dot4_i32_iu8 v133, v135, v174, v134 neg_lo:[1,1,0]
	v_dot4_i32_iu8 v0, v135, v176, v0 neg_lo:[1,1,0]
	s_delay_alu instid0(VALU_DEP_4) | instskip(NEXT) | instid1(VALU_DEP_4)
	v_dot4_i32_iu8 v134, v3, v177, v1 neg_lo:[1,1,0]
	v_dot4_i32_iu8 v135, v3, v179, v2 neg_lo:[1,1,0]
	s_delay_alu instid0(VALU_DEP_4) | instskip(NEXT) | instid1(VALU_DEP_4)
	v_dot4_i32_iu8 v133, v3, v181, v133 neg_lo:[1,1,0]
	v_dot4_i32_iu8 v189, v3, v183, v0 neg_lo:[1,1,0]
	ds_load_b128 v[0:3], v119 offset:3072
	v_dot4_i32_iu8 v133, v136, v182, v133 neg_lo:[1,1,0]
	;; [unrolled: 42-line block ×5, first 2 shown]
	s_waitcnt lgkmcnt(0)
	v_dot4_i32_iu8 v153, v0, v23, 0 neg_lo:[1,1,0]
	v_dot4_i32_iu8 v154, v0, v159, 0 neg_lo:[1,1,0]
	;; [unrolled: 1-line block ×4, first 2 shown]
	s_delay_alu instid0(VALU_DEP_4) | instskip(NEXT) | instid1(VALU_DEP_4)
	v_dot4_i32_iu8 v153, v149, v24, v153 neg_lo:[1,1,0]
	v_dot4_i32_iu8 v154, v149, v160, v154 neg_lo:[1,1,0]
	s_delay_alu instid0(VALU_DEP_4) | instskip(NEXT) | instid1(VALU_DEP_4)
	v_dot4_i32_iu8 v155, v149, v162, v155 neg_lo:[1,1,0]
	v_dot4_i32_iu8 v0, v149, v164, v0 neg_lo:[1,1,0]
	;; [unrolled: 3-line block ×8, first 2 shown]
	ds_load_b128 v[153:156], v119 offset:7184
	v_dot4_i32_iu8 v1, v151, v172, v1 neg_lo:[1,1,0]
	v_dot4_i32_iu8 v2, v151, v126, v149 neg_lo:[1,1,0]
	;; [unrolled: 1-line block ×4, first 2 shown]
	s_delay_alu instid0(VALU_DEP_4) | instskip(NEXT) | instid1(VALU_DEP_4)
	v_dot4_i32_iu8 v150, v3, v177, v1 neg_lo:[1,1,0]
	v_dot4_i32_iu8 v151, v3, v179, v2 neg_lo:[1,1,0]
	s_delay_alu instid0(VALU_DEP_4) | instskip(NEXT) | instid1(VALU_DEP_4)
	v_dot4_i32_iu8 v149, v3, v181, v149 neg_lo:[1,1,0]
	v_dot4_i32_iu8 v193, v3, v183, v0 neg_lo:[1,1,0]
	ds_load_b128 v[0:3], v119 offset:7168
	v_add_nc_u32_e32 v119, 32, v119
	v_dot4_i32_iu8 v149, v152, v182, v149 neg_lo:[1,1,0]
	s_waitcnt lgkmcnt(0)
	v_dot4_i32_iu8 v23, v0, v23, 0 neg_lo:[1,1,0]
	s_delay_alu instid0(VALU_DEP_1) | instskip(SKIP_3) | instid1(VALU_DEP_4)
	v_dot4_i32_iu8 v23, v153, v24, v23 neg_lo:[1,1,0]
	v_dot4_i32_iu8 v24, v0, v159, 0 neg_lo:[1,1,0]
	;; [unrolled: 1-line block ×5, first 2 shown]
	s_delay_alu instid0(VALU_DEP_4) | instskip(NEXT) | instid1(VALU_DEP_4)
	v_dot4_i32_iu8 v24, v153, v160, v24 neg_lo:[1,1,0]
	v_dot4_i32_iu8 v159, v153, v162, v159 neg_lo:[1,1,0]
	s_delay_alu instid0(VALU_DEP_4) | instskip(NEXT) | instid1(VALU_DEP_4)
	v_dot4_i32_iu8 v0, v153, v164, v0 neg_lo:[1,1,0]
	v_dot4_i32_iu8 v23, v154, v158, v23 neg_lo:[1,1,0]
	;; [unrolled: 3-line block ×7, first 2 shown]
	s_delay_alu instid0(VALU_DEP_4)
	v_dot4_i32_iu8 v0, v2, v175, v0 neg_lo:[1,1,0]
	v_dot4_i32_iu8 v125, v182, v128, v186 neg_lo:[1,1,0]
	;; [unrolled: 1-line block ×7, first 2 shown]
	s_delay_alu instid0(VALU_DEP_4) | instskip(NEXT) | instid1(VALU_DEP_4)
	v_dot4_i32_iu8 v2, v3, v179, v23 neg_lo:[1,1,0]
	v_dot4_i32_iu8 v23, v3, v181, v24 neg_lo:[1,1,0]
	s_delay_alu instid0(VALU_DEP_4)
	v_dot4_i32_iu8 v0, v3, v183, v0 neg_lo:[1,1,0]
	v_dot4_i32_iu8 v3, v178, v128, v185 neg_lo:[1,1,0]
	;; [unrolled: 1-line block ×25, first 2 shown]
	ds_load_b32 v153, v121
	ds_load_b32 v154, v122
	;; [unrolled: 1-line block ×4, first 2 shown]
	ds_load_2addr_b32 v[0:1], v118 offset1:32
	v_cvt_f32_i32_e32 v143, v143
	v_cvt_f32_i32_e32 v3, v3
	;; [unrolled: 1-line block ×10, first 2 shown]
	v_add_nc_u32_e32 v124, 4, v124
	v_add_nc_u32_e32 v123, 4, v123
	;; [unrolled: 1-line block ×4, first 2 shown]
	s_waitcnt lgkmcnt(0)
	v_pk_mul_f16 v157, v0, v153
	v_pk_mul_f16 v158, v0, v154
	;; [unrolled: 1-line block ×8, first 2 shown]
	ds_load_2addr_b32 v[0:1], v118 offset0:64 offset1:96
	v_fma_mix_f32 v3, v157, v3, v157 op_sel:[0,0,1] op_sel_hi:[1,0,1]
	v_fma_mix_f32 v127, v161, v127, v161 op_sel:[0,0,1] op_sel_hi:[1,0,1]
	s_delay_alu instid0(VALU_DEP_2)
	v_add_f32_e32 v40, v40, v3
	v_cvt_f32_i32_e32 v3, v24
	v_cvt_f32_i32_e32 v24, v125
	;; [unrolled: 1-line block ×3, first 2 shown]
	v_add_f32_e32 v68, v68, v127
	v_cvt_f32_i32_e32 v126, v128
	v_cvt_f32_i32_e32 v127, v129
	;; [unrolled: 1-line block ×9, first 2 shown]
	s_waitcnt lgkmcnt(0)
	v_pk_mul_f16 v165, v153, v0
	v_pk_mul_f16 v166, v154, v0
	;; [unrolled: 1-line block ×8, first 2 shown]
	ds_load_2addr_b32 v[0:1], v118 offset0:128 offset1:160
	v_fma_mix_f32 v131, v165, v131, v165 op_sel:[0,0,1] op_sel_hi:[1,0,1]
	v_fma_mix_f32 v135, v169, v135, v169 op_sel:[0,0,1] op_sel_hi:[1,0,1]
	v_cvt_f32_i32_e32 v141, v148
	v_cvt_f32_i32_e32 v142, v149
	v_fma_mix_f32 v3, v158, v3, v158 op_sel:[0,0,1] op_sel_hi:[1,0,1]
	v_add_f32_e32 v64, v64, v131
	v_cvt_f32_i32_e32 v131, v134
	v_add_f32_e32 v49, v49, v135
	v_cvt_f32_i32_e32 v134, v138
	v_cvt_f32_i32_e32 v135, v140
	;; [unrolled: 1-line block ×4, first 2 shown]
	v_fma_mix_f32 v24, v159, v24, v159 op_sel:[0,0,1] op_sel_hi:[1,0,1]
	v_fma_mix_f32 v125, v160, v125, v160 op_sel:[0,0,1] op_sel_hi:[1,0,1]
	;; [unrolled: 1-line block ×7, first 2 shown]
	s_waitcnt lgkmcnt(0)
	v_pk_mul_f16 v173, v153, v0
	v_pk_mul_f16 v174, v154, v0
	;; [unrolled: 1-line block ×8, first 2 shown]
	ds_load_2addr_b32 v[0:1], v118 offset0:192 offset1:224
	v_fma_mix_f32 v143, v177, v143, v177 op_sel:[0,0,1] op_sel_hi:[1,0,1]
	v_fma_mix_f32 v139, v173, v139, v173 op_sel:[0,0,1] op_sel_hi:[1,0,1]
	;; [unrolled: 1-line block ×5, first 2 shown]
	v_add_f32_e32 v36, v36, v143
	v_cvt_f32_i32_e32 v143, v150
	v_add_f32_e32 v43, v43, v139
	v_cvt_f32_i32_e32 v139, v145
	v_fma_mix_f32 v134, v172, v134, v172 op_sel:[0,0,1] op_sel_hi:[1,0,1]
	v_fma_mix_f32 v135, v174, v135, v174 op_sel:[0,0,1] op_sel_hi:[1,0,1]
	;; [unrolled: 1-line block ×7, first 2 shown]
	v_dual_add_f32 v77, v77, v3 :: v_dual_add_f32 v72, v72, v24
	v_add_f32_e32 v67, v67, v126
	s_waitcnt lgkmcnt(0)
	v_pk_mul_f16 v181, v153, v0
	v_pk_mul_f16 v182, v154, v0
	;; [unrolled: 1-line block ×8, first 2 shown]
	v_fma_mix_f32 v0, v0, v143, v0 op_sel:[0,0,1] op_sel_hi:[1,0,1]
	v_cvt_f32_i32_e32 v143, v152
	v_fma_mix_f32 v147, v181, v147, v181 op_sel:[0,0,1] op_sel_hi:[1,0,1]
	v_fma_mix_f32 v151, v153, v151, v153 op_sel:[0,0,1] op_sel_hi:[1,0,1]
	;; [unrolled: 1-line block ×7, first 2 shown]
	v_add_f32_e32 v32, v32, v147
	v_add_f32_e32 v28, v28, v151
	;; [unrolled: 1-line block ×3, first 2 shown]
	v_dual_add_f32 v66, v66, v127 :: v_dual_add_f32 v65, v65, v128
	v_dual_add_f32 v42, v42, v135 :: v_dual_add_f32 v63, v63, v129
	;; [unrolled: 1-line block ×3, first 2 shown]
	v_add_f32_e32 v26, v26, v23
	v_dual_add_f32 v55, v55, v131 :: v_dual_add_f32 v30, v30, v142
	v_add_f32_e32 v47, v47, v132
	v_dual_add_f32 v45, v45, v133 :: v_dual_add_f32 v44, v44, v134
	v_dual_add_f32 v41, v41, v136 :: v_dual_add_nc_u32 v118, 4, v118
	v_add_f32_e32 v39, v39, v137
	v_add_f32_e32 v35, v35, v138
	v_add_f32_e32 v33, v33, v140
	v_add_f32_e32 v31, v31, v141
	v_add_f32_e32 v29, v29, v0
	v_add_f32_e32 v27, v27, v2
	v_add_f32_e32 v25, v25, v1
	s_cbranch_scc1 .LBB144_10
; %bb.11:                               ;   in Loop: Header=BB144_6 Depth=1
	s_barrier
	buffer_gl0_inv
	s_branch .LBB144_5
.LBB144_12:
	v_dual_mov_b32 v1, v37 :: v_dual_mov_b32 v0, v38
.LBB144_13:
	s_mov_b32 s0, exec_lo
	v_cmpx_gt_u32_e64 s6, v48
	s_cbranch_execz .LBB144_64
; %bb.14:
	s_delay_alu instid0(VALU_DEP_2) | instskip(SKIP_1) | instid1(VALU_DEP_2)
	v_add_nc_u32_e32 v0, s12, v0
	v_mul_lo_u32 v5, v48, s10
	v_cmp_gt_u32_e32 vcc_lo, s10, v0
	s_and_saveexec_b32 s1, vcc_lo
	s_cbranch_execz .LBB144_16
; %bb.15:
	s_delay_alu instid0(VALU_DEP_2) | instskip(SKIP_1) | instid1(VALU_DEP_2)
	v_dual_mov_b32 v3, 0 :: v_dual_add_nc_u32 v2, v0, v5
	v_cvt_f16_f32_e32 v4, v40
	v_lshlrev_b64 v[2:3], 1, v[2:3]
	s_waitcnt lgkmcnt(0)
	s_delay_alu instid0(VALU_DEP_1) | instskip(NEXT) | instid1(VALU_DEP_1)
	v_add_co_u32 v2, s0, s8, v2
	v_add_co_ci_u32_e64 v3, s0, s9, v3, s0
	global_store_b16 v[2:3], v4, off
.LBB144_16:
	s_or_b32 exec_lo, exec_lo, s1
	v_add_nc_u32_e32 v2, 32, v0
	s_delay_alu instid0(VALU_DEP_1) | instskip(NEXT) | instid1(VALU_DEP_1)
	v_cmp_gt_u32_e64 s0, s10, v2
	s_and_saveexec_b32 s2, s0
	s_cbranch_execz .LBB144_18
; %bb.17:
	v_dual_mov_b32 v4, 0 :: v_dual_add_nc_u32 v3, v2, v5
	v_cvt_f16_f32_e32 v6, v77
	s_delay_alu instid0(VALU_DEP_2) | instskip(SKIP_1) | instid1(VALU_DEP_1)
	v_lshlrev_b64 v[3:4], 1, v[3:4]
	s_waitcnt lgkmcnt(0)
	v_add_co_u32 v3, s1, s8, v3
	s_delay_alu instid0(VALU_DEP_1)
	v_add_co_ci_u32_e64 v4, s1, s9, v4, s1
	global_store_b16 v[3:4], v6, off
.LBB144_18:
	s_or_b32 exec_lo, exec_lo, s2
	v_add_nc_u32_e32 v3, 64, v0
	s_delay_alu instid0(VALU_DEP_1) | instskip(NEXT) | instid1(VALU_DEP_1)
	v_cmp_gt_u32_e64 s1, s10, v3
	s_and_saveexec_b32 s3, s1
	s_cbranch_execz .LBB144_20
; %bb.19:
	v_dual_mov_b32 v7, 0 :: v_dual_add_nc_u32 v6, v3, v5
	v_cvt_f16_f32_e32 v4, v72
	s_delay_alu instid0(VALU_DEP_2) | instskip(SKIP_1) | instid1(VALU_DEP_1)
	v_lshlrev_b64 v[6:7], 1, v[6:7]
	s_waitcnt lgkmcnt(0)
	v_add_co_u32 v6, s2, s8, v6
	s_delay_alu instid0(VALU_DEP_1)
	v_add_co_ci_u32_e64 v7, s2, s9, v7, s2
	global_store_b16 v[6:7], v4, off
.LBB144_20:
	;; [unrolled: 17-line block ×3, first 2 shown]
	s_or_b32 exec_lo, exec_lo, s4
	v_add3_u32 v5, v1, s11, 8
	s_delay_alu instid0(VALU_DEP_1) | instskip(NEXT) | instid1(VALU_DEP_1)
	v_cmp_gt_u32_e64 s3, s6, v5
	s_and_b32 exec_lo, exec_lo, s3
	s_cbranch_execz .LBB144_64
; %bb.23:
	v_mul_lo_u32 v5, v5, s10
	s_and_saveexec_b32 s4, vcc_lo
	s_cbranch_execnz .LBB144_65
; %bb.24:
	s_or_b32 exec_lo, exec_lo, s4
	s_and_saveexec_b32 s4, s0
	s_cbranch_execnz .LBB144_66
.LBB144_25:
	s_or_b32 exec_lo, exec_lo, s4
	s_and_saveexec_b32 s4, s1
	s_cbranch_execnz .LBB144_67
.LBB144_26:
	s_or_b32 exec_lo, exec_lo, s4
	s_and_saveexec_b32 s4, s2
	s_cbranch_execz .LBB144_28
.LBB144_27:
	v_dual_mov_b32 v6, 0 :: v_dual_add_nc_u32 v5, v5, v4
	v_cvt_f16_f32_e32 v7, v65
	s_delay_alu instid0(VALU_DEP_2) | instskip(SKIP_1) | instid1(VALU_DEP_1)
	v_lshlrev_b64 v[5:6], 1, v[5:6]
	s_waitcnt lgkmcnt(0)
	v_add_co_u32 v5, s3, s8, v5
	s_delay_alu instid0(VALU_DEP_1)
	v_add_co_ci_u32_e64 v6, s3, s9, v6, s3
	global_store_b16 v[5:6], v7, off
.LBB144_28:
	s_or_b32 exec_lo, exec_lo, s4
	v_add3_u32 v5, v1, s11, 16
	s_delay_alu instid0(VALU_DEP_1) | instskip(NEXT) | instid1(VALU_DEP_1)
	v_cmp_gt_u32_e64 s3, s6, v5
	s_and_b32 exec_lo, exec_lo, s3
	s_cbranch_execz .LBB144_64
; %bb.29:
	v_mul_lo_u32 v5, v5, s10
	s_and_saveexec_b32 s4, vcc_lo
	s_cbranch_execnz .LBB144_68
; %bb.30:
	s_or_b32 exec_lo, exec_lo, s4
	s_and_saveexec_b32 s4, s0
	s_cbranch_execnz .LBB144_69
.LBB144_31:
	s_or_b32 exec_lo, exec_lo, s4
	s_and_saveexec_b32 s4, s1
	s_cbranch_execnz .LBB144_70
.LBB144_32:
	s_or_b32 exec_lo, exec_lo, s4
	s_and_saveexec_b32 s4, s2
	s_cbranch_execz .LBB144_34
.LBB144_33:
	v_dual_mov_b32 v6, 0 :: v_dual_add_nc_u32 v5, v5, v4
	v_cvt_f16_f32_e32 v7, v55
	s_delay_alu instid0(VALU_DEP_2) | instskip(SKIP_1) | instid1(VALU_DEP_1)
	v_lshlrev_b64 v[5:6], 1, v[5:6]
	s_waitcnt lgkmcnt(0)
	v_add_co_u32 v5, s3, s8, v5
	s_delay_alu instid0(VALU_DEP_1)
	v_add_co_ci_u32_e64 v6, s3, s9, v6, s3
	global_store_b16 v[5:6], v7, off
.LBB144_34:
	s_or_b32 exec_lo, exec_lo, s4
	v_add3_u32 v5, v1, s11, 24
	s_delay_alu instid0(VALU_DEP_1) | instskip(NEXT) | instid1(VALU_DEP_1)
	v_cmp_gt_u32_e64 s3, s6, v5
	s_and_b32 exec_lo, exec_lo, s3
	s_cbranch_execz .LBB144_64
; %bb.35:
	v_mul_lo_u32 v5, v5, s10
	s_and_saveexec_b32 s4, vcc_lo
	s_cbranch_execnz .LBB144_71
; %bb.36:
	s_or_b32 exec_lo, exec_lo, s4
	s_and_saveexec_b32 s4, s0
	s_cbranch_execnz .LBB144_72
.LBB144_37:
	s_or_b32 exec_lo, exec_lo, s4
	s_and_saveexec_b32 s4, s1
	s_cbranch_execnz .LBB144_73
.LBB144_38:
	s_or_b32 exec_lo, exec_lo, s4
	s_and_saveexec_b32 s4, s2
	s_cbranch_execz .LBB144_40
.LBB144_39:
	v_dual_mov_b32 v6, 0 :: v_dual_add_nc_u32 v5, v5, v4
	v_cvt_f16_f32_e32 v7, v44
	s_delay_alu instid0(VALU_DEP_2) | instskip(SKIP_1) | instid1(VALU_DEP_1)
	v_lshlrev_b64 v[5:6], 1, v[5:6]
	s_waitcnt lgkmcnt(0)
	v_add_co_u32 v5, s3, s8, v5
	s_delay_alu instid0(VALU_DEP_1)
	v_add_co_ci_u32_e64 v6, s3, s9, v6, s3
	global_store_b16 v[5:6], v7, off
.LBB144_40:
	s_or_b32 exec_lo, exec_lo, s4
	v_add3_u32 v5, v1, s11, 32
	s_delay_alu instid0(VALU_DEP_1) | instskip(NEXT) | instid1(VALU_DEP_1)
	v_cmp_gt_u32_e64 s3, s6, v5
	s_and_b32 exec_lo, exec_lo, s3
	s_cbranch_execz .LBB144_64
; %bb.41:
	v_mul_lo_u32 v5, v5, s10
	s_and_saveexec_b32 s4, vcc_lo
	s_cbranch_execnz .LBB144_74
; %bb.42:
	s_or_b32 exec_lo, exec_lo, s4
	s_and_saveexec_b32 s4, s0
	s_cbranch_execnz .LBB144_75
.LBB144_43:
	s_or_b32 exec_lo, exec_lo, s4
	s_and_saveexec_b32 s4, s1
	s_cbranch_execnz .LBB144_76
.LBB144_44:
	s_or_b32 exec_lo, exec_lo, s4
	s_and_saveexec_b32 s4, s2
	s_cbranch_execz .LBB144_46
.LBB144_45:
	v_dual_mov_b32 v6, 0 :: v_dual_add_nc_u32 v5, v5, v4
	v_cvt_f16_f32_e32 v7, v39
	s_delay_alu instid0(VALU_DEP_2) | instskip(SKIP_1) | instid1(VALU_DEP_1)
	v_lshlrev_b64 v[5:6], 1, v[5:6]
	s_waitcnt lgkmcnt(0)
	v_add_co_u32 v5, s3, s8, v5
	s_delay_alu instid0(VALU_DEP_1)
	v_add_co_ci_u32_e64 v6, s3, s9, v6, s3
	global_store_b16 v[5:6], v7, off
.LBB144_46:
	s_or_b32 exec_lo, exec_lo, s4
	v_add3_u32 v5, v1, s11, 40
	s_delay_alu instid0(VALU_DEP_1) | instskip(NEXT) | instid1(VALU_DEP_1)
	v_cmp_gt_u32_e64 s3, s6, v5
	s_and_b32 exec_lo, exec_lo, s3
	s_cbranch_execz .LBB144_64
; %bb.47:
	v_mul_lo_u32 v5, v5, s10
	s_and_saveexec_b32 s4, vcc_lo
	s_cbranch_execnz .LBB144_77
; %bb.48:
	s_or_b32 exec_lo, exec_lo, s4
	s_and_saveexec_b32 s4, s0
	s_cbranch_execnz .LBB144_78
.LBB144_49:
	s_or_b32 exec_lo, exec_lo, s4
	s_and_saveexec_b32 s4, s1
	s_cbranch_execnz .LBB144_79
.LBB144_50:
	s_or_b32 exec_lo, exec_lo, s4
	s_and_saveexec_b32 s4, s2
	s_cbranch_execz .LBB144_52
.LBB144_51:
	v_dual_mov_b32 v6, 0 :: v_dual_add_nc_u32 v5, v5, v4
	v_cvt_f16_f32_e32 v7, v33
	s_delay_alu instid0(VALU_DEP_2) | instskip(SKIP_1) | instid1(VALU_DEP_1)
	v_lshlrev_b64 v[5:6], 1, v[5:6]
	s_waitcnt lgkmcnt(0)
	v_add_co_u32 v5, s3, s8, v5
	s_delay_alu instid0(VALU_DEP_1)
	v_add_co_ci_u32_e64 v6, s3, s9, v6, s3
	global_store_b16 v[5:6], v7, off
.LBB144_52:
	s_or_b32 exec_lo, exec_lo, s4
	v_add3_u32 v5, v1, s11, 48
	s_delay_alu instid0(VALU_DEP_1) | instskip(NEXT) | instid1(VALU_DEP_1)
	v_cmp_gt_u32_e64 s3, s6, v5
	s_and_b32 exec_lo, exec_lo, s3
	s_cbranch_execz .LBB144_64
; %bb.53:
	v_mul_lo_u32 v5, v5, s10
	s_and_saveexec_b32 s4, vcc_lo
	s_cbranch_execnz .LBB144_80
; %bb.54:
	s_or_b32 exec_lo, exec_lo, s4
	s_and_saveexec_b32 s4, s0
	s_cbranch_execnz .LBB144_81
.LBB144_55:
	s_or_b32 exec_lo, exec_lo, s4
	s_and_saveexec_b32 s4, s1
	s_cbranch_execnz .LBB144_82
.LBB144_56:
	s_or_b32 exec_lo, exec_lo, s4
	s_and_saveexec_b32 s4, s2
	s_cbranch_execz .LBB144_58
.LBB144_57:
	v_dual_mov_b32 v6, 0 :: v_dual_add_nc_u32 v5, v5, v4
	v_cvt_f16_f32_e32 v7, v29
	s_delay_alu instid0(VALU_DEP_2) | instskip(SKIP_1) | instid1(VALU_DEP_1)
	v_lshlrev_b64 v[5:6], 1, v[5:6]
	s_waitcnt lgkmcnt(0)
	v_add_co_u32 v5, s3, s8, v5
	s_delay_alu instid0(VALU_DEP_1)
	v_add_co_ci_u32_e64 v6, s3, s9, v6, s3
	global_store_b16 v[5:6], v7, off
.LBB144_58:
	s_or_b32 exec_lo, exec_lo, s4
	v_add3_u32 v1, v1, s11, 56
	s_delay_alu instid0(VALU_DEP_1) | instskip(NEXT) | instid1(VALU_DEP_1)
	v_cmp_gt_u32_e64 s3, s6, v1
	s_and_b32 exec_lo, exec_lo, s3
	s_cbranch_execz .LBB144_64
; %bb.59:
	v_mul_lo_u32 v1, v1, s10
	s_and_saveexec_b32 s3, vcc_lo
	s_cbranch_execnz .LBB144_83
; %bb.60:
	s_or_b32 exec_lo, exec_lo, s3
	s_and_saveexec_b32 s3, s0
	s_cbranch_execnz .LBB144_84
.LBB144_61:
	s_or_b32 exec_lo, exec_lo, s3
	s_and_saveexec_b32 s0, s1
	s_cbranch_execnz .LBB144_85
.LBB144_62:
	s_or_b32 exec_lo, exec_lo, s0
	s_delay_alu instid0(SALU_CYCLE_1)
	s_and_b32 exec_lo, exec_lo, s2
	s_cbranch_execz .LBB144_64
.LBB144_63:
	v_dual_mov_b32 v1, 0 :: v_dual_add_nc_u32 v0, v1, v4
	v_cvt_f16_f32_e32 v2, v25
	s_delay_alu instid0(VALU_DEP_2) | instskip(SKIP_1) | instid1(VALU_DEP_1)
	v_lshlrev_b64 v[0:1], 1, v[0:1]
	s_waitcnt lgkmcnt(0)
	v_add_co_u32 v0, vcc_lo, s8, v0
	s_delay_alu instid0(VALU_DEP_2)
	v_add_co_ci_u32_e32 v1, vcc_lo, s9, v1, vcc_lo
	global_store_b16 v[0:1], v2, off
.LBB144_64:
	s_nop 0
	s_sendmsg sendmsg(MSG_DEALLOC_VGPRS)
	s_endpgm
.LBB144_65:
	s_delay_alu instid0(VALU_DEP_1) | instskip(SKIP_1) | instid1(VALU_DEP_2)
	v_dual_mov_b32 v7, 0 :: v_dual_add_nc_u32 v6, v5, v0
	v_cvt_f16_f32_e32 v8, v68
	v_lshlrev_b64 v[6:7], 1, v[6:7]
	s_waitcnt lgkmcnt(0)
	s_delay_alu instid0(VALU_DEP_1) | instskip(NEXT) | instid1(VALU_DEP_1)
	v_add_co_u32 v6, s3, s8, v6
	v_add_co_ci_u32_e64 v7, s3, s9, v7, s3
	global_store_b16 v[6:7], v8, off
	s_or_b32 exec_lo, exec_lo, s4
	s_and_saveexec_b32 s4, s0
	s_cbranch_execz .LBB144_25
.LBB144_66:
	s_delay_alu instid0(VALU_DEP_1) | instskip(SKIP_1) | instid1(VALU_DEP_2)
	v_dual_mov_b32 v7, 0 :: v_dual_add_nc_u32 v6, v5, v2
	v_cvt_f16_f32_e32 v8, v67
	v_lshlrev_b64 v[6:7], 1, v[6:7]
	s_waitcnt lgkmcnt(0)
	s_delay_alu instid0(VALU_DEP_1) | instskip(NEXT) | instid1(VALU_DEP_1)
	v_add_co_u32 v6, s3, s8, v6
	v_add_co_ci_u32_e64 v7, s3, s9, v7, s3
	global_store_b16 v[6:7], v8, off
	s_or_b32 exec_lo, exec_lo, s4
	s_and_saveexec_b32 s4, s1
	s_cbranch_execz .LBB144_26
.LBB144_67:
	v_dual_mov_b32 v7, 0 :: v_dual_add_nc_u32 v6, v5, v3
	v_cvt_f16_f32_e32 v8, v66
	s_delay_alu instid0(VALU_DEP_2) | instskip(SKIP_1) | instid1(VALU_DEP_1)
	v_lshlrev_b64 v[6:7], 1, v[6:7]
	s_waitcnt lgkmcnt(0)
	v_add_co_u32 v6, s3, s8, v6
	s_delay_alu instid0(VALU_DEP_1)
	v_add_co_ci_u32_e64 v7, s3, s9, v7, s3
	global_store_b16 v[6:7], v8, off
	s_or_b32 exec_lo, exec_lo, s4
	s_and_saveexec_b32 s4, s2
	s_cbranch_execnz .LBB144_27
	s_branch .LBB144_28
.LBB144_68:
	s_delay_alu instid0(VALU_DEP_1) | instskip(SKIP_1) | instid1(VALU_DEP_2)
	v_dual_mov_b32 v7, 0 :: v_dual_add_nc_u32 v6, v5, v0
	v_cvt_f16_f32_e32 v8, v64
	v_lshlrev_b64 v[6:7], 1, v[6:7]
	s_waitcnt lgkmcnt(0)
	s_delay_alu instid0(VALU_DEP_1) | instskip(NEXT) | instid1(VALU_DEP_1)
	v_add_co_u32 v6, s3, s8, v6
	v_add_co_ci_u32_e64 v7, s3, s9, v7, s3
	global_store_b16 v[6:7], v8, off
	s_or_b32 exec_lo, exec_lo, s4
	s_and_saveexec_b32 s4, s0
	s_cbranch_execz .LBB144_31
.LBB144_69:
	s_delay_alu instid0(VALU_DEP_1) | instskip(SKIP_1) | instid1(VALU_DEP_2)
	v_dual_mov_b32 v7, 0 :: v_dual_add_nc_u32 v6, v5, v2
	v_cvt_f16_f32_e32 v8, v63
	v_lshlrev_b64 v[6:7], 1, v[6:7]
	s_waitcnt lgkmcnt(0)
	s_delay_alu instid0(VALU_DEP_1) | instskip(NEXT) | instid1(VALU_DEP_1)
	v_add_co_u32 v6, s3, s8, v6
	v_add_co_ci_u32_e64 v7, s3, s9, v7, s3
	global_store_b16 v[6:7], v8, off
	s_or_b32 exec_lo, exec_lo, s4
	s_and_saveexec_b32 s4, s1
	s_cbranch_execz .LBB144_32
.LBB144_70:
	v_dual_mov_b32 v7, 0 :: v_dual_add_nc_u32 v6, v5, v3
	v_cvt_f16_f32_e32 v8, v59
	s_delay_alu instid0(VALU_DEP_2) | instskip(SKIP_1) | instid1(VALU_DEP_1)
	v_lshlrev_b64 v[6:7], 1, v[6:7]
	s_waitcnt lgkmcnt(0)
	v_add_co_u32 v6, s3, s8, v6
	s_delay_alu instid0(VALU_DEP_1)
	v_add_co_ci_u32_e64 v7, s3, s9, v7, s3
	global_store_b16 v[6:7], v8, off
	s_or_b32 exec_lo, exec_lo, s4
	s_and_saveexec_b32 s4, s2
	s_cbranch_execnz .LBB144_33
	s_branch .LBB144_34
.LBB144_71:
	s_delay_alu instid0(VALU_DEP_1) | instskip(SKIP_1) | instid1(VALU_DEP_2)
	v_dual_mov_b32 v7, 0 :: v_dual_add_nc_u32 v6, v5, v0
	v_cvt_f16_f32_e32 v8, v49
	v_lshlrev_b64 v[6:7], 1, v[6:7]
	s_waitcnt lgkmcnt(0)
	s_delay_alu instid0(VALU_DEP_1) | instskip(NEXT) | instid1(VALU_DEP_1)
	v_add_co_u32 v6, s3, s8, v6
	v_add_co_ci_u32_e64 v7, s3, s9, v7, s3
	global_store_b16 v[6:7], v8, off
	s_or_b32 exec_lo, exec_lo, s4
	s_and_saveexec_b32 s4, s0
	s_cbranch_execz .LBB144_37
.LBB144_72:
	s_delay_alu instid0(VALU_DEP_1) | instskip(SKIP_1) | instid1(VALU_DEP_2)
	v_dual_mov_b32 v7, 0 :: v_dual_add_nc_u32 v6, v5, v2
	v_cvt_f16_f32_e32 v8, v47
	v_lshlrev_b64 v[6:7], 1, v[6:7]
	s_waitcnt lgkmcnt(0)
	s_delay_alu instid0(VALU_DEP_1) | instskip(NEXT) | instid1(VALU_DEP_1)
	v_add_co_u32 v6, s3, s8, v6
	v_add_co_ci_u32_e64 v7, s3, s9, v7, s3
	global_store_b16 v[6:7], v8, off
	s_or_b32 exec_lo, exec_lo, s4
	s_and_saveexec_b32 s4, s1
	s_cbranch_execz .LBB144_38
.LBB144_73:
	v_dual_mov_b32 v7, 0 :: v_dual_add_nc_u32 v6, v5, v3
	v_cvt_f16_f32_e32 v8, v45
	s_delay_alu instid0(VALU_DEP_2) | instskip(SKIP_1) | instid1(VALU_DEP_1)
	v_lshlrev_b64 v[6:7], 1, v[6:7]
	s_waitcnt lgkmcnt(0)
	v_add_co_u32 v6, s3, s8, v6
	s_delay_alu instid0(VALU_DEP_1)
	v_add_co_ci_u32_e64 v7, s3, s9, v7, s3
	global_store_b16 v[6:7], v8, off
	s_or_b32 exec_lo, exec_lo, s4
	s_and_saveexec_b32 s4, s2
	s_cbranch_execnz .LBB144_39
	s_branch .LBB144_40
.LBB144_74:
	s_delay_alu instid0(VALU_DEP_1) | instskip(SKIP_1) | instid1(VALU_DEP_2)
	v_dual_mov_b32 v7, 0 :: v_dual_add_nc_u32 v6, v5, v0
	v_cvt_f16_f32_e32 v8, v43
	v_lshlrev_b64 v[6:7], 1, v[6:7]
	s_waitcnt lgkmcnt(0)
	s_delay_alu instid0(VALU_DEP_1) | instskip(NEXT) | instid1(VALU_DEP_1)
	v_add_co_u32 v6, s3, s8, v6
	v_add_co_ci_u32_e64 v7, s3, s9, v7, s3
	global_store_b16 v[6:7], v8, off
	s_or_b32 exec_lo, exec_lo, s4
	s_and_saveexec_b32 s4, s0
	s_cbranch_execz .LBB144_43
.LBB144_75:
	s_delay_alu instid0(VALU_DEP_1) | instskip(SKIP_1) | instid1(VALU_DEP_2)
	v_dual_mov_b32 v7, 0 :: v_dual_add_nc_u32 v6, v5, v2
	v_cvt_f16_f32_e32 v8, v42
	v_lshlrev_b64 v[6:7], 1, v[6:7]
	s_waitcnt lgkmcnt(0)
	s_delay_alu instid0(VALU_DEP_1) | instskip(NEXT) | instid1(VALU_DEP_1)
	v_add_co_u32 v6, s3, s8, v6
	v_add_co_ci_u32_e64 v7, s3, s9, v7, s3
	global_store_b16 v[6:7], v8, off
	s_or_b32 exec_lo, exec_lo, s4
	s_and_saveexec_b32 s4, s1
	s_cbranch_execz .LBB144_44
.LBB144_76:
	v_dual_mov_b32 v7, 0 :: v_dual_add_nc_u32 v6, v5, v3
	v_cvt_f16_f32_e32 v8, v41
	s_delay_alu instid0(VALU_DEP_2) | instskip(SKIP_1) | instid1(VALU_DEP_1)
	v_lshlrev_b64 v[6:7], 1, v[6:7]
	s_waitcnt lgkmcnt(0)
	v_add_co_u32 v6, s3, s8, v6
	s_delay_alu instid0(VALU_DEP_1)
	v_add_co_ci_u32_e64 v7, s3, s9, v7, s3
	global_store_b16 v[6:7], v8, off
	s_or_b32 exec_lo, exec_lo, s4
	s_and_saveexec_b32 s4, s2
	s_cbranch_execnz .LBB144_45
	s_branch .LBB144_46
.LBB144_77:
	s_delay_alu instid0(VALU_DEP_1) | instskip(SKIP_1) | instid1(VALU_DEP_2)
	v_dual_mov_b32 v7, 0 :: v_dual_add_nc_u32 v6, v5, v0
	v_cvt_f16_f32_e32 v8, v36
	v_lshlrev_b64 v[6:7], 1, v[6:7]
	s_waitcnt lgkmcnt(0)
	s_delay_alu instid0(VALU_DEP_1) | instskip(NEXT) | instid1(VALU_DEP_1)
	v_add_co_u32 v6, s3, s8, v6
	v_add_co_ci_u32_e64 v7, s3, s9, v7, s3
	global_store_b16 v[6:7], v8, off
	s_or_b32 exec_lo, exec_lo, s4
	s_and_saveexec_b32 s4, s0
	s_cbranch_execz .LBB144_49
.LBB144_78:
	s_delay_alu instid0(VALU_DEP_1) | instskip(SKIP_1) | instid1(VALU_DEP_2)
	v_dual_mov_b32 v7, 0 :: v_dual_add_nc_u32 v6, v5, v2
	v_cvt_f16_f32_e32 v8, v35
	v_lshlrev_b64 v[6:7], 1, v[6:7]
	s_waitcnt lgkmcnt(0)
	s_delay_alu instid0(VALU_DEP_1) | instskip(NEXT) | instid1(VALU_DEP_1)
	v_add_co_u32 v6, s3, s8, v6
	v_add_co_ci_u32_e64 v7, s3, s9, v7, s3
	global_store_b16 v[6:7], v8, off
	s_or_b32 exec_lo, exec_lo, s4
	s_and_saveexec_b32 s4, s1
	s_cbranch_execz .LBB144_50
.LBB144_79:
	v_dual_mov_b32 v7, 0 :: v_dual_add_nc_u32 v6, v5, v3
	v_cvt_f16_f32_e32 v8, v34
	s_delay_alu instid0(VALU_DEP_2) | instskip(SKIP_1) | instid1(VALU_DEP_1)
	v_lshlrev_b64 v[6:7], 1, v[6:7]
	s_waitcnt lgkmcnt(0)
	v_add_co_u32 v6, s3, s8, v6
	s_delay_alu instid0(VALU_DEP_1)
	v_add_co_ci_u32_e64 v7, s3, s9, v7, s3
	global_store_b16 v[6:7], v8, off
	s_or_b32 exec_lo, exec_lo, s4
	s_and_saveexec_b32 s4, s2
	s_cbranch_execnz .LBB144_51
	s_branch .LBB144_52
.LBB144_80:
	s_delay_alu instid0(VALU_DEP_1) | instskip(SKIP_1) | instid1(VALU_DEP_2)
	v_dual_mov_b32 v7, 0 :: v_dual_add_nc_u32 v6, v5, v0
	v_cvt_f16_f32_e32 v8, v32
	v_lshlrev_b64 v[6:7], 1, v[6:7]
	s_waitcnt lgkmcnt(0)
	s_delay_alu instid0(VALU_DEP_1) | instskip(NEXT) | instid1(VALU_DEP_1)
	v_add_co_u32 v6, s3, s8, v6
	v_add_co_ci_u32_e64 v7, s3, s9, v7, s3
	global_store_b16 v[6:7], v8, off
	s_or_b32 exec_lo, exec_lo, s4
	s_and_saveexec_b32 s4, s0
	s_cbranch_execz .LBB144_55
.LBB144_81:
	s_delay_alu instid0(VALU_DEP_1) | instskip(SKIP_1) | instid1(VALU_DEP_2)
	v_dual_mov_b32 v7, 0 :: v_dual_add_nc_u32 v6, v5, v2
	v_cvt_f16_f32_e32 v8, v31
	v_lshlrev_b64 v[6:7], 1, v[6:7]
	s_waitcnt lgkmcnt(0)
	s_delay_alu instid0(VALU_DEP_1) | instskip(NEXT) | instid1(VALU_DEP_1)
	v_add_co_u32 v6, s3, s8, v6
	v_add_co_ci_u32_e64 v7, s3, s9, v7, s3
	global_store_b16 v[6:7], v8, off
	s_or_b32 exec_lo, exec_lo, s4
	s_and_saveexec_b32 s4, s1
	s_cbranch_execz .LBB144_56
.LBB144_82:
	v_dual_mov_b32 v7, 0 :: v_dual_add_nc_u32 v6, v5, v3
	v_cvt_f16_f32_e32 v8, v30
	s_delay_alu instid0(VALU_DEP_2) | instskip(SKIP_1) | instid1(VALU_DEP_1)
	v_lshlrev_b64 v[6:7], 1, v[6:7]
	s_waitcnt lgkmcnt(0)
	v_add_co_u32 v6, s3, s8, v6
	s_delay_alu instid0(VALU_DEP_1)
	v_add_co_ci_u32_e64 v7, s3, s9, v7, s3
	global_store_b16 v[6:7], v8, off
	s_or_b32 exec_lo, exec_lo, s4
	s_and_saveexec_b32 s4, s2
	s_cbranch_execnz .LBB144_57
	s_branch .LBB144_58
.LBB144_83:
	s_delay_alu instid0(VALU_DEP_1) | instskip(SKIP_1) | instid1(VALU_DEP_2)
	v_dual_mov_b32 v6, 0 :: v_dual_add_nc_u32 v5, v1, v0
	v_cvt_f16_f32_e32 v0, v28
	v_lshlrev_b64 v[5:6], 1, v[5:6]
	s_waitcnt lgkmcnt(0)
	s_delay_alu instid0(VALU_DEP_1) | instskip(NEXT) | instid1(VALU_DEP_2)
	v_add_co_u32 v5, vcc_lo, s8, v5
	v_add_co_ci_u32_e32 v6, vcc_lo, s9, v6, vcc_lo
	global_store_b16 v[5:6], v0, off
	s_or_b32 exec_lo, exec_lo, s3
	s_and_saveexec_b32 s3, s0
	s_cbranch_execz .LBB144_61
.LBB144_84:
	s_delay_alu instid0(VALU_DEP_1) | instskip(SKIP_1) | instid1(VALU_DEP_2)
	v_dual_mov_b32 v6, 0 :: v_dual_add_nc_u32 v5, v1, v2
	v_cvt_f16_f32_e32 v0, v27
	v_lshlrev_b64 v[5:6], 1, v[5:6]
	s_waitcnt lgkmcnt(0)
	s_delay_alu instid0(VALU_DEP_1) | instskip(NEXT) | instid1(VALU_DEP_2)
	v_add_co_u32 v5, vcc_lo, s8, v5
	v_add_co_ci_u32_e32 v6, vcc_lo, s9, v6, vcc_lo
	global_store_b16 v[5:6], v0, off
	s_or_b32 exec_lo, exec_lo, s3
	s_and_saveexec_b32 s0, s1
	s_cbranch_execz .LBB144_62
.LBB144_85:
	v_dual_mov_b32 v3, 0 :: v_dual_add_nc_u32 v2, v1, v3
	v_cvt_f16_f32_e32 v0, v26
	s_delay_alu instid0(VALU_DEP_2) | instskip(SKIP_1) | instid1(VALU_DEP_1)
	v_lshlrev_b64 v[2:3], 1, v[2:3]
	s_waitcnt lgkmcnt(0)
	v_add_co_u32 v2, vcc_lo, s8, v2
	s_delay_alu instid0(VALU_DEP_2) | instskip(SKIP_2) | instid1(SALU_CYCLE_1)
	v_add_co_ci_u32_e32 v3, vcc_lo, s9, v3, vcc_lo
	global_store_b16 v[2:3], v0, off
	s_or_b32 exec_lo, exec_lo, s0
	s_and_b32 exec_lo, exec_lo, s2
	s_cbranch_execnz .LBB144_63
	s_branch .LBB144_64
	.section	.rodata,"a",@progbits
	.p2align	6, 0x0
	.amdhsa_kernel _ZL12mul_mat_q5_1IN3c104HalfELb1EEvPKvS3_PT_iiiii
		.amdhsa_group_segment_fixed_size 46720
		.amdhsa_private_segment_fixed_size 0
		.amdhsa_kernarg_size 44
		.amdhsa_user_sgpr_count 14
		.amdhsa_user_sgpr_dispatch_ptr 0
		.amdhsa_user_sgpr_queue_ptr 0
		.amdhsa_user_sgpr_kernarg_segment_ptr 1
		.amdhsa_user_sgpr_dispatch_id 0
		.amdhsa_user_sgpr_private_segment_size 0
		.amdhsa_wavefront_size32 1
		.amdhsa_uses_dynamic_stack 0
		.amdhsa_enable_private_segment 0
		.amdhsa_system_sgpr_workgroup_id_x 1
		.amdhsa_system_sgpr_workgroup_id_y 1
		.amdhsa_system_sgpr_workgroup_id_z 0
		.amdhsa_system_sgpr_workgroup_info 0
		.amdhsa_system_vgpr_workitem_id 1
		.amdhsa_next_free_vgpr 221
		.amdhsa_next_free_sgpr 16
		.amdhsa_reserve_vcc 1
		.amdhsa_float_round_mode_32 0
		.amdhsa_float_round_mode_16_64 0
		.amdhsa_float_denorm_mode_32 3
		.amdhsa_float_denorm_mode_16_64 3
		.amdhsa_dx10_clamp 1
		.amdhsa_ieee_mode 1
		.amdhsa_fp16_overflow 0
		.amdhsa_workgroup_processor_mode 1
		.amdhsa_memory_ordered 1
		.amdhsa_forward_progress 0
		.amdhsa_shared_vgpr_count 0
		.amdhsa_exception_fp_ieee_invalid_op 0
		.amdhsa_exception_fp_denorm_src 0
		.amdhsa_exception_fp_ieee_div_zero 0
		.amdhsa_exception_fp_ieee_overflow 0
		.amdhsa_exception_fp_ieee_underflow 0
		.amdhsa_exception_fp_ieee_inexact 0
		.amdhsa_exception_int_div_zero 0
	.end_amdhsa_kernel
	.section	.text._ZL12mul_mat_q5_1IN3c104HalfELb1EEvPKvS3_PT_iiiii,"axG",@progbits,_ZL12mul_mat_q5_1IN3c104HalfELb1EEvPKvS3_PT_iiiii,comdat
.Lfunc_end144:
	.size	_ZL12mul_mat_q5_1IN3c104HalfELb1EEvPKvS3_PT_iiiii, .Lfunc_end144-_ZL12mul_mat_q5_1IN3c104HalfELb1EEvPKvS3_PT_iiiii
                                        ; -- End function
	.section	.AMDGPU.csdata,"",@progbits
; Kernel info:
; codeLenInByte = 15988
; NumSgprs: 18
; NumVgprs: 221
; ScratchSize: 0
; MemoryBound: 0
; FloatMode: 240
; IeeeMode: 1
; LDSByteSize: 46720 bytes/workgroup (compile time only)
; SGPRBlocks: 2
; VGPRBlocks: 27
; NumSGPRsForWavesPerEU: 18
; NumVGPRsForWavesPerEU: 221
; Occupancy: 4
; WaveLimiterHint : 0
; COMPUTE_PGM_RSRC2:SCRATCH_EN: 0
; COMPUTE_PGM_RSRC2:USER_SGPR: 14
; COMPUTE_PGM_RSRC2:TRAP_HANDLER: 0
; COMPUTE_PGM_RSRC2:TGID_X_EN: 1
; COMPUTE_PGM_RSRC2:TGID_Y_EN: 1
; COMPUTE_PGM_RSRC2:TGID_Z_EN: 0
; COMPUTE_PGM_RSRC2:TIDIG_COMP_CNT: 1
	.section	.text._ZL12mul_mat_q8_0IN3c104HalfELb0EEvPKvS3_PT_iiiii,"axG",@progbits,_ZL12mul_mat_q8_0IN3c104HalfELb0EEvPKvS3_PT_iiiii,comdat
	.globl	_ZL12mul_mat_q8_0IN3c104HalfELb0EEvPKvS3_PT_iiiii ; -- Begin function _ZL12mul_mat_q8_0IN3c104HalfELb0EEvPKvS3_PT_iiiii
	.p2align	8
	.type	_ZL12mul_mat_q8_0IN3c104HalfELb0EEvPKvS3_PT_iiiii,@function
_ZL12mul_mat_q8_0IN3c104HalfELb0EEvPKvS3_PT_iiiii: ; @_ZL12mul_mat_q8_0IN3c104HalfELb0EEvPKvS3_PT_iiiii
; %bb.0:
	s_clause 0x1
	s_load_b32 s11, s[0:1], 0x18
	s_load_b128 s[4:7], s[0:1], 0x20
	v_bfe_u32 v53, v0, 10, 10
	v_and_b32_e32 v54, 0x3ff, v0
	s_waitcnt lgkmcnt(0)
	s_lshl_b32 s7, s15, 6
	s_cmp_gt_i32 s11, 31
	s_cbranch_scc1 .LBB145_2
; %bb.1:
	v_bfe_u32 v1, v0, 10, 10
	v_and_b32_e32 v0, 0x3ff, v0
	s_mov_b32 s2, 0
	s_mov_b32 s3, 0
	s_delay_alu instid0(VALU_DEP_2)
	v_add_nc_u32_e32 v58, s7, v1
	s_branch .LBB145_3
.LBB145_2:
	s_mov_b32 s2, -1
                                        ; implicit-def: $sgpr3
                                        ; implicit-def: $vgpr1
                                        ; implicit-def: $vgpr0
                                        ; implicit-def: $vgpr58
.LBB145_3:
	s_load_b64 s[8:9], s[0:1], 0x10
	v_dual_mov_b32 v36, s3 :: v_dual_mov_b32 v59, s3
	v_dual_mov_b32 v40, s3 :: v_dual_mov_b32 v63, s3
	;; [unrolled: 1-line block ×16, first 2 shown]
	s_and_not1_b32 vcc_lo, exec_lo, s2
	s_lshl_b32 s10, s14, 7
	s_cbranch_vccnz .LBB145_9
; %bb.4:
	s_load_b128 s[0:3], s[0:1], 0x0
	s_ashr_i32 s12, s11, 31
	v_dual_mov_b32 v65, 0 :: v_dual_add_nc_u32 v58, s7, v53
	s_ashr_i32 s13, s5, 31
	s_lshr_b32 s12, s12, 27
	s_lshr_b32 s13, s13, 27
	s_add_i32 s11, s11, s12
	v_dual_mov_b32 v67, 0 :: v_dual_add_nc_u32 v0, 8, v58
	s_add_i32 s12, s5, s13
	s_ashr_i32 s5, s11, 5
	v_dual_mov_b32 v62, 0 :: v_dual_add_nc_u32 v5, 16, v58
	s_mul_i32 s11, s5, s10
	v_dual_mov_b32 v70, 0 :: v_dual_add_nc_u32 v9, 24, v58
	v_dual_mov_b32 v66, 0 :: v_dual_add_nc_u32 v11, 32, v58
	s_mul_hi_i32 s13, s11, 34
	s_mul_i32 s11, s11, 34
	v_cvt_f64_u32_e32 v[3:4], v0
	v_dual_mov_b32 v57, 0 :: v_dual_add_nc_u32 v0, 40, v58
	v_dual_mov_b32 v56, 0 :: v_dual_add_nc_u32 v15, 48, v58
	;; [unrolled: 1-line block ×3, first 2 shown]
	s_ashr_i32 s12, s12, 5
	s_waitcnt lgkmcnt(0)
	s_add_u32 s0, s0, s11
	s_addc_u32 s1, s1, s13
	s_add_i32 s11, s4, -1
	v_cvt_f64_u32_e32 v[1:2], v58
	v_cvt_f64_u32_e32 v[5:6], v5
	v_cvt_f64_i32_e32 v[7:8], s11
	v_cvt_f64_u32_e32 v[9:10], v9
	v_cvt_f64_u32_e32 v[11:12], v11
	;; [unrolled: 1-line block ×5, first 2 shown]
	v_mul_lo_u32 v72, s5, v53
	s_lshl_b32 s13, s5, 3
	v_dual_mov_b32 v38, 0 :: v_dual_mov_b32 v55, 0
	v_mov_b32_e32 v52, 0
	v_dual_mov_b32 v48, 0 :: v_dual_mov_b32 v37, 0
	v_dual_mov_b32 v46, 0 :: v_dual_lshlrev_b32 v19, 2, v54
	v_add_nc_u32_e32 v73, s13, v72
	v_dual_mov_b32 v47, 0 :: v_dual_lshlrev_b32 v20, 3, v53
	v_lshrrev_b32_e32 v21, 2, v54
	v_dual_mov_b32 v64, 0 :: v_dual_add_nc_u32 v25, 64, v54
	s_delay_alu instid0(VALU_DEP_4) | instskip(SKIP_2) | instid1(VALU_DEP_3)
	v_add_nc_u32_e32 v76, s13, v73
	v_dual_mov_b32 v61, 0 :: v_dual_add_nc_u32 v26, 0x60, v54
	v_dual_mov_b32 v69, 0 :: v_dual_and_b32 v74, 28, v19
	v_add_nc_u32_e32 v77, s13, v76
	v_mad_u32_u24 v75, 0x84, v53, v19
	v_dual_mov_b32 v60, 0 :: v_dual_add_nc_u32 v19, v21, v20
	v_add_nc_u16 v20, v21, v20
	s_delay_alu instid0(VALU_DEP_4) | instskip(SKIP_1) | instid1(VALU_DEP_4)
	v_add_nc_u32_e32 v79, s13, v77
	v_dual_mov_b32 v51, 0 :: v_dual_and_b32 v0, 3, v54
	v_mul_lo_u32 v97, s5, v19
	s_delay_alu instid0(VALU_DEP_4) | instskip(NEXT) | instid1(VALU_DEP_4)
	v_lshrrev_b16 v20, 1, v20
	v_add_nc_u32_e32 v84, s13, v79
	s_delay_alu instid0(VALU_DEP_4)
	v_dual_mov_b32 v68, 0 :: v_dual_lshlrev_b32 v21, 2, v0
	v_min_f64 v[1:2], v[1:2], v[7:8]
	v_min_f64 v[3:4], v[3:4], v[7:8]
	;; [unrolled: 1-line block ×8, first 2 shown]
	v_add_nc_u32_e32 v89, s13, v84
	v_lshrrev_b32_e32 v17, 1, v26
	v_lshrrev_b32_e32 v18, 1, v25
	v_lshlrev_b32_e32 v25, 4, v19
	v_add_nc_u32_e32 v26, 64, v19
	v_add_nc_u32_e32 v94, s13, v89
	v_and_b32_e32 v19, 63, v19
	v_dual_mov_b32 v39, 0 :: v_dual_add_nc_u32 v24, 32, v54
	v_lshrrev_b32_e32 v71, 3, v54
	s_delay_alu instid0(VALU_DEP_4) | instskip(SKIP_2) | instid1(VALU_DEP_3)
	v_add_nc_u32_e32 v98, s13, v94
	v_dual_mov_b32 v43, 0 :: v_dual_and_b32 v22, 31, v54
	v_dual_mov_b32 v42, 0 :: v_dual_lshlrev_b32 v23, 7, v53
	v_add_nc_u32_e32 v100, s13, v98
	v_lshrrev_b32_e32 v24, 1, v24
	v_dual_mov_b32 v49, 0 :: v_dual_add_nc_u32 v78, 0x420, v75
	s_delay_alu instid0(VALU_DEP_4) | instskip(NEXT) | instid1(VALU_DEP_4)
	v_lshl_or_b32 v22, v22, 2, v23
	v_add_nc_u32_e32 v104, s13, v100
	v_dual_mov_b32 v45, 0 :: v_dual_add_nc_u32 v80, 0x840, v75
	v_dual_mov_b32 v44, 0 :: v_dual_add_nc_u32 v81, 0xc60, v75
	s_delay_alu instid0(VALU_DEP_3)
	v_add_nc_u32_e32 v109, s13, v104
	v_dual_mov_b32 v41, 0 :: v_dual_add_nc_u32 v82, 0x1080, v75
	v_dual_mov_b32 v40, 0 :: v_dual_add_nc_u32 v83, 0x14a0, v75
	v_cvt_i32_f64_e32 v27, v[1:2]
	v_cvt_i32_f64_e32 v28, v[3:4]
	;; [unrolled: 1-line block ×8, first 2 shown]
	v_and_b32_e32 v1, 0x7fc, v20
	v_or_b32_e32 v3, s7, v19
	v_lshrrev_b32_e32 v2, 1, v26
	v_add_nc_u32_e32 v110, s13, v109
	v_lshl_or_b32 v4, v19, 4, v21
	v_add3_u32 v12, v1, v21, 0x6200
	v_add_co_u32 v1, s14, s2, v74
	v_min_i32_e32 v14, s11, v3
	v_and_b32_e32 v13, 0xffc, v2
	v_add_nc_u32_e32 v112, s13, v110
	v_add_nc_u32_e32 v114, 0x6a40, v4
	v_lshlrev_b32_e32 v8, 4, v26
	v_mad_u64_u32 v[3:4], null, v14, s12, v[0:1]
	s_delay_alu instid0(VALU_DEP_4)
	v_add_nc_u32_e32 v113, s13, v112
	v_add3_u32 v13, v13, v21, 0x6200
	v_lshlrev_b32_e32 v4, 4, v54
	v_dual_mov_b32 v36, 0 :: v_dual_add_nc_u32 v85, 0x18c0, v75
	v_dual_mov_b32 v63, 0 :: v_dual_add_nc_u32 v86, 0x1ce0, v75
	v_add_nc_u32_e32 v87, 0x2100, v75
	v_dual_mov_b32 v59, 0 :: v_dual_add_nc_u32 v88, 0x2520, v75
	v_add_nc_u32_e32 v90, 0x2940, v75
	v_add_nc_u32_e32 v91, 0x2d60, v75
	;; [unrolled: 1-line block ×5, first 2 shown]
	v_mul_lo_u32 v116, s12, v27
	v_mul_lo_u32 v117, s12, v28
	;; [unrolled: 1-line block ×5, first 2 shown]
	v_and_b32_e32 v5, 0xfc, v17
	v_and_b32_e32 v6, 0xfc, v18
	v_mul_lo_u32 v123, s12, v7
	v_and_b32_e32 v7, 0xfc, v24
	v_lshlrev_b32_e32 v9, 2, v71
	v_mul_lo_u32 v121, s12, v10
	v_mul_lo_u32 v122, s12, v11
	v_add_nc_u32_e32 v96, 0x3de0, v75
	v_add_nc_u32_e32 v99, 0x4200, v22
	;; [unrolled: 1-line block ×9, first 2 shown]
	v_lshl_add_u32 v111, s5, 6, v97
	v_add_co_ci_u32_e64 v2, null, s3, 0, s14
	v_add_nc_u32_e32 v115, s13, v113
	v_mul_u32_u24_e32 v124, 0x84, v54
	v_add_nc_u32_e32 v125, 0x4200, v23
	v_add3_u32 v126, v4, v5, 0x6800
	v_add3_u32 v127, v4, v6, 0x6600
	;; [unrolled: 1-line block ×4, first 2 shown]
	v_lshl_add_u32 v130, v53, 4, 0x6a40
	v_add_nc_u32_e32 v131, v12, v25
	v_add_nc_u32_e32 v132, v13, v8
	s_mov_b32 s11, 0
.LBB145_5:                              ; =>This Loop Header: Depth=1
                                        ;     Child Loop BB145_6 Depth 2
	s_delay_alu instid0(SALU_CYCLE_1)
	s_mul_i32 s12, s11, 34
	s_mul_hi_u32 s13, s11, 34
	s_add_u32 s12, s0, s12
	s_addc_u32 s13, s1, s13
	v_mov_b32_e32 v135, v128
	v_mad_u64_u32 v[4:5], null, v71, 34, s[12:13]
	v_dual_mov_b32 v139, v124 :: v_dual_mov_b32 v134, v129
	v_mov_b32_e32 v133, v130
	v_dual_mov_b32 v137, v126 :: v_dual_mov_b32 v136, v127
	v_mov_b32_e32 v138, v125
	v_add_co_u32 v4, vcc_lo, v4, v74
	v_add_co_ci_u32_e32 v5, vcc_lo, 0, v5, vcc_lo
	s_delay_alu instid0(VALU_DEP_2) | instskip(NEXT) | instid1(VALU_DEP_2)
	v_add_co_u32 v4, vcc_lo, v4, 2
	v_add_co_ci_u32_e32 v5, vcc_lo, 0, v5, vcc_lo
	s_delay_alu instid0(VALU_DEP_1)
	v_mad_u64_u32 v[6:7], null, v72, 34, v[4:5]
	v_mad_u64_u32 v[8:9], null, v73, 34, v[4:5]
	;; [unrolled: 1-line block ×8, first 2 shown]
	s_clause 0x7
	global_load_b32 v26, v[6:7], off
	global_load_b32 v27, v[8:9], off
	global_load_b32 v28, v[10:11], off
	global_load_b32 v29, v[12:13], off
	global_load_b32 v30, v[14:15], off
	global_load_b32 v31, v[16:17], off
	global_load_b32 v32, v[18:19], off
	global_load_b32 v33, v[20:21], off
	v_mad_u64_u32 v[16:17], null, v0, 34, s[12:13]
	v_mad_u64_u32 v[6:7], null, v98, 34, v[4:5]
	;; [unrolled: 1-line block ×11, first 2 shown]
	v_add_nc_u32_e32 v17, s11, v3
	v_add_nc_u32_e32 v16, s11, v71
	s_clause 0x9
	global_load_b32 v34, v[6:7], off
	global_load_b32 v35, v[8:9], off
	;; [unrolled: 1-line block ×8, first 2 shown]
	global_load_u16 v22, v[4:5], off
	global_load_u16 v23, v[24:25], off
	v_mad_u64_u32 v[6:7], null, v17, 36, s[2:3]
	v_add_nc_u32_e32 v8, v16, v117
	v_add_nc_u32_e32 v9, v16, v118
	;; [unrolled: 1-line block ×5, first 2 shown]
	v_mad_i64_i32 v[4:5], null, v8, 36, v[1:2]
	v_add_nc_u32_e32 v17, v16, v122
	global_load_b32 v25, v[6:7], off
	v_mad_i64_i32 v[6:7], null, v9, 36, v[1:2]
	v_add_nc_u32_e32 v18, v16, v123
	v_add_nc_u32_e32 v24, v16, v116
	v_mad_i64_i32 v[8:9], null, v10, 36, v[1:2]
	v_mad_i64_i32 v[10:11], null, v12, 36, v[1:2]
	v_mad_i64_i32 v[12:13], null, v14, 36, v[1:2]
	v_mad_i64_i32 v[14:15], null, v17, 36, v[1:2]
	v_mad_i64_i32 v[16:17], null, v18, 36, v[1:2]
	v_mad_i64_i32 v[18:19], null, v24, 36, v[1:2]
	s_clause 0x7
	global_load_b32 v4, v[4:5], off offset:4
	global_load_b32 v5, v[6:7], off offset:4
	;; [unrolled: 1-line block ×8, first 2 shown]
	s_mov_b32 s12, -8
	s_waitcnt vmcnt(10)
	v_cvt_f32_f16_e32 v12, v22
	s_waitcnt vmcnt(9)
	v_cvt_f32_f16_e32 v13, v23
	;; [unrolled: 2-line block ×3, first 2 shown]
	ds_store_b32 v131, v12
	ds_store_b32 v132, v13
	ds_store_b32 v75, v26
	ds_store_b32 v78, v27
	ds_store_b32 v80, v28
	ds_store_b32 v81, v29
	ds_store_b32 v82, v30
	ds_store_b32 v83, v31
	ds_store_b32 v85, v32
	ds_store_b32 v86, v33
	ds_store_b32 v87, v34
	ds_store_b32 v88, v35
	ds_store_b32 v90, v140
	ds_store_b32 v91, v141
	ds_store_b32 v92, v142
	ds_store_b32 v93, v143
	ds_store_b32 v95, v20
	ds_store_b32 v96, v21
	s_waitcnt vmcnt(7)
	ds_store_b32 v101, v4
	s_waitcnt vmcnt(6)
	ds_store_b32 v102, v5
	;; [unrolled: 2-line block ×8, first 2 shown]
	ds_store_b32 v114, v14
	s_waitcnt lgkmcnt(0)
	s_barrier
	buffer_gl0_inv
.LBB145_6:                              ;   Parent Loop BB145_5 Depth=1
                                        ; =>  This Inner Loop Header: Depth=2
	ds_load_2addr_b32 v[151:152], v133 offset1:32
	ds_load_b128 v[30:33], v138
	ds_load_b128 v[144:147], v138 offset:16
	ds_load_b32 v140, v134
	ds_load_2addr_b32 v[4:5], v139 offset1:1
	v_add_nc_u32_e32 v19, 0x1098, v139
	s_add_i32 s12, s12, 8
	v_add_nc_u32_e32 v134, 4, v134
	s_cmp_lt_u32 s12, 24
	s_waitcnt lgkmcnt(1)
	v_mul_f32_e32 v13, v151, v140
	s_waitcnt lgkmcnt(0)
	v_dot4_i32_iu8 v6, v4, v30, 0 neg_lo:[1,1,0]
	v_mul_f32_e32 v154, v140, v152
	s_delay_alu instid0(VALU_DEP_2) | instskip(SKIP_3) | instid1(VALU_DEP_1)
	v_dot4_i32_iu8 v8, v5, v31, v6 neg_lo:[1,1,0]
	ds_load_2addr_b32 v[6:7], v139 offset0:2 offset1:3
	s_waitcnt lgkmcnt(0)
	v_dot4_i32_iu8 v8, v6, v32, v8 neg_lo:[1,1,0]
	v_dot4_i32_iu8 v10, v7, v33, v8 neg_lo:[1,1,0]
	ds_load_2addr_b32 v[8:9], v139 offset0:4 offset1:5
	s_waitcnt lgkmcnt(0)
	v_dot4_i32_iu8 v10, v8, v144, v10 neg_lo:[1,1,0]
	s_delay_alu instid0(VALU_DEP_1) | instskip(SKIP_3) | instid1(VALU_DEP_1)
	v_dot4_i32_iu8 v12, v9, v145, v10 neg_lo:[1,1,0]
	ds_load_2addr_b32 v[10:11], v139 offset0:6 offset1:7
	s_waitcnt lgkmcnt(0)
	v_dot4_i32_iu8 v12, v10, v146, v12 neg_lo:[1,1,0]
	v_dot4_i32_iu8 v12, v11, v147, v12 neg_lo:[1,1,0]
	s_delay_alu instid0(VALU_DEP_1) | instskip(NEXT) | instid1(VALU_DEP_1)
	v_cvt_f32_i32_e32 v12, v12
	v_dual_fmac_f32 v65, v13, v12 :: v_dual_add_nc_u32 v12, 0x1080, v139
	ds_load_b32 v141, v135
	ds_load_2addr_b32 v[12:13], v12 offset1:1
	ds_load_2addr_b32 v[20:21], v19 offset1:1
	v_add_nc_u32_e32 v135, 4, v135
	s_waitcnt lgkmcnt(2)
	v_mul_f32_e32 v19, v151, v141
	s_waitcnt lgkmcnt(1)
	v_dot4_i32_iu8 v14, v12, v30, 0 neg_lo:[1,1,0]
	s_delay_alu instid0(VALU_DEP_1) | instskip(SKIP_4) | instid1(VALU_DEP_1)
	v_dot4_i32_iu8 v16, v13, v31, v14 neg_lo:[1,1,0]
	v_add_nc_u32_e32 v14, 0x1088, v139
	ds_load_2addr_b32 v[14:15], v14 offset1:1
	s_waitcnt lgkmcnt(0)
	v_dot4_i32_iu8 v16, v14, v32, v16 neg_lo:[1,1,0]
	v_dot4_i32_iu8 v18, v15, v33, v16 neg_lo:[1,1,0]
	v_add_nc_u32_e32 v16, 0x1090, v139
	ds_load_2addr_b32 v[16:17], v16 offset1:1
	s_waitcnt lgkmcnt(0)
	v_dot4_i32_iu8 v18, v16, v144, v18 neg_lo:[1,1,0]
	s_delay_alu instid0(VALU_DEP_1) | instskip(NEXT) | instid1(VALU_DEP_1)
	v_dot4_i32_iu8 v18, v17, v145, v18 neg_lo:[1,1,0]
	v_dot4_i32_iu8 v18, v20, v146, v18 neg_lo:[1,1,0]
	s_delay_alu instid0(VALU_DEP_1) | instskip(NEXT) | instid1(VALU_DEP_1)
	v_dot4_i32_iu8 v18, v21, v147, v18 neg_lo:[1,1,0]
	v_cvt_f32_i32_e32 v18, v18
	s_delay_alu instid0(VALU_DEP_1)
	v_fmac_f32_e32 v70, v19, v18
	v_add_nc_u32_e32 v18, 0x2100, v139
	ds_load_b32 v142, v136
	ds_load_2addr_b32 v[18:19], v18 offset1:1
	s_waitcnt lgkmcnt(1)
	v_dual_mul_f32 v29, v151, v142 :: v_dual_add_nc_u32 v136, 4, v136
	s_waitcnt lgkmcnt(0)
	v_dot4_i32_iu8 v22, v18, v30, 0 neg_lo:[1,1,0]
	s_delay_alu instid0(VALU_DEP_1) | instskip(SKIP_4) | instid1(VALU_DEP_1)
	v_dot4_i32_iu8 v24, v19, v31, v22 neg_lo:[1,1,0]
	v_add_nc_u32_e32 v22, 0x2108, v139
	ds_load_2addr_b32 v[22:23], v22 offset1:1
	s_waitcnt lgkmcnt(0)
	v_dot4_i32_iu8 v24, v22, v32, v24 neg_lo:[1,1,0]
	v_dot4_i32_iu8 v26, v23, v33, v24 neg_lo:[1,1,0]
	v_add_nc_u32_e32 v24, 0x2110, v139
	ds_load_2addr_b32 v[24:25], v24 offset1:1
	s_waitcnt lgkmcnt(0)
	v_dot4_i32_iu8 v26, v24, v144, v26 neg_lo:[1,1,0]
	s_delay_alu instid0(VALU_DEP_1) | instskip(SKIP_4) | instid1(VALU_DEP_1)
	v_dot4_i32_iu8 v28, v25, v145, v26 neg_lo:[1,1,0]
	v_add_nc_u32_e32 v26, 0x2118, v139
	ds_load_2addr_b32 v[26:27], v26 offset1:1
	s_waitcnt lgkmcnt(0)
	v_dot4_i32_iu8 v28, v26, v146, v28 neg_lo:[1,1,0]
	v_dot4_i32_iu8 v28, v27, v147, v28 neg_lo:[1,1,0]
	s_delay_alu instid0(VALU_DEP_1) | instskip(NEXT) | instid1(VALU_DEP_1)
	v_cvt_f32_i32_e32 v28, v28
	v_dual_fmac_f32 v69, v29, v28 :: v_dual_add_nc_u32 v28, 0x3180, v139
	ds_load_b32 v143, v137
	ds_load_2addr_b32 v[28:29], v28 offset1:1
	v_add_nc_u32_e32 v137, 4, v137
	s_waitcnt lgkmcnt(0)
	v_dot4_i32_iu8 v30, v28, v30, 0 neg_lo:[1,1,0]
	s_delay_alu instid0(VALU_DEP_1) | instskip(SKIP_4) | instid1(VALU_DEP_1)
	v_dot4_i32_iu8 v34, v29, v31, v30 neg_lo:[1,1,0]
	v_add_nc_u32_e32 v30, 0x3188, v139
	ds_load_2addr_b32 v[30:31], v30 offset1:1
	s_waitcnt lgkmcnt(0)
	v_dot4_i32_iu8 v32, v30, v32, v34 neg_lo:[1,1,0]
	v_dot4_i32_iu8 v34, v31, v33, v32 neg_lo:[1,1,0]
	v_add_nc_u32_e32 v32, 0x3190, v139
	ds_load_2addr_b32 v[32:33], v32 offset1:1
	s_waitcnt lgkmcnt(0)
	v_dot4_i32_iu8 v34, v32, v144, v34 neg_lo:[1,1,0]
	s_delay_alu instid0(VALU_DEP_1)
	v_dot4_i32_iu8 v144, v33, v145, v34 neg_lo:[1,1,0]
	v_add_nc_u32_e32 v34, 0x3198, v139
	v_mul_f32_e32 v145, v151, v143
	v_add_nc_u32_e32 v139, 32, v139
	ds_load_2addr_b32 v[34:35], v34 offset1:1
	s_waitcnt lgkmcnt(0)
	v_dot4_i32_iu8 v144, v34, v146, v144 neg_lo:[1,1,0]
	s_delay_alu instid0(VALU_DEP_1) | instskip(NEXT) | instid1(VALU_DEP_1)
	v_dot4_i32_iu8 v144, v35, v147, v144 neg_lo:[1,1,0]
	v_cvt_f32_i32_e32 v144, v144
	s_delay_alu instid0(VALU_DEP_1) | instskip(SKIP_4) | instid1(VALU_DEP_1)
	v_fmac_f32_e32 v68, v145, v144
	ds_load_b128 v[144:147], v138 offset:1024
	ds_load_b128 v[148:151], v138 offset:1040
	s_waitcnt lgkmcnt(1)
	v_dot4_i32_iu8 v153, v144, v4, 0 neg_lo:[1,1,0]
	v_dot4_i32_iu8 v153, v145, v5, v153 neg_lo:[1,1,0]
	s_delay_alu instid0(VALU_DEP_1) | instskip(NEXT) | instid1(VALU_DEP_1)
	v_dot4_i32_iu8 v153, v146, v6, v153 neg_lo:[1,1,0]
	v_dot4_i32_iu8 v153, v147, v7, v153 neg_lo:[1,1,0]
	s_waitcnt lgkmcnt(0)
	s_delay_alu instid0(VALU_DEP_1) | instskip(NEXT) | instid1(VALU_DEP_1)
	v_dot4_i32_iu8 v153, v148, v8, v153 neg_lo:[1,1,0]
	v_dot4_i32_iu8 v153, v149, v9, v153 neg_lo:[1,1,0]
	s_delay_alu instid0(VALU_DEP_1) | instskip(NEXT) | instid1(VALU_DEP_1)
	v_dot4_i32_iu8 v153, v150, v10, v153 neg_lo:[1,1,0]
	v_dot4_i32_iu8 v153, v151, v11, v153 neg_lo:[1,1,0]
	s_delay_alu instid0(VALU_DEP_1) | instskip(NEXT) | instid1(VALU_DEP_1)
	v_cvt_f32_i32_e32 v153, v153
	v_dual_fmac_f32 v67, v154, v153 :: v_dual_mul_f32 v154, v141, v152
	v_dot4_i32_iu8 v153, v144, v12, 0 neg_lo:[1,1,0]
	s_delay_alu instid0(VALU_DEP_1) | instskip(NEXT) | instid1(VALU_DEP_1)
	v_dot4_i32_iu8 v153, v145, v13, v153 neg_lo:[1,1,0]
	v_dot4_i32_iu8 v153, v146, v14, v153 neg_lo:[1,1,0]
	s_delay_alu instid0(VALU_DEP_1) | instskip(NEXT) | instid1(VALU_DEP_1)
	v_dot4_i32_iu8 v153, v147, v15, v153 neg_lo:[1,1,0]
	;; [unrolled: 3-line block ×4, first 2 shown]
	v_cvt_f32_i32_e32 v153, v153
	s_delay_alu instid0(VALU_DEP_1) | instskip(SKIP_3) | instid1(VALU_DEP_3)
	v_fmac_f32_e32 v66, v154, v153
	v_dot4_i32_iu8 v153, v144, v18, 0 neg_lo:[1,1,0]
	v_dot4_i32_iu8 v144, v144, v28, 0 neg_lo:[1,1,0]
	v_mul_f32_e32 v154, v142, v152
	v_dot4_i32_iu8 v153, v145, v19, v153 neg_lo:[1,1,0]
	s_delay_alu instid0(VALU_DEP_3) | instskip(SKIP_1) | instid1(VALU_DEP_3)
	v_dot4_i32_iu8 v144, v145, v29, v144 neg_lo:[1,1,0]
	v_mul_f32_e32 v145, v143, v152
	v_dot4_i32_iu8 v153, v146, v22, v153 neg_lo:[1,1,0]
	s_delay_alu instid0(VALU_DEP_3) | instskip(NEXT) | instid1(VALU_DEP_2)
	v_dot4_i32_iu8 v144, v146, v30, v144 neg_lo:[1,1,0]
	v_dot4_i32_iu8 v153, v147, v23, v153 neg_lo:[1,1,0]
	s_delay_alu instid0(VALU_DEP_2) | instskip(NEXT) | instid1(VALU_DEP_2)
	v_dot4_i32_iu8 v144, v147, v31, v144 neg_lo:[1,1,0]
	v_dot4_i32_iu8 v153, v148, v24, v153 neg_lo:[1,1,0]
	s_delay_alu instid0(VALU_DEP_2) | instskip(NEXT) | instid1(VALU_DEP_2)
	;; [unrolled: 3-line block ×5, first 2 shown]
	v_dot4_i32_iu8 v144, v151, v35, v144 neg_lo:[1,1,0]
	v_cvt_f32_i32_e32 v153, v153
	s_delay_alu instid0(VALU_DEP_2) | instskip(NEXT) | instid1(VALU_DEP_1)
	v_cvt_f32_i32_e32 v144, v144
	v_dual_fmac_f32 v64, v154, v153 :: v_dual_fmac_f32 v63, v145, v144
	ds_load_2addr_b32 v[152:153], v133 offset0:64 offset1:96
	ds_load_b128 v[144:147], v138 offset:2048
	ds_load_b128 v[148:151], v138 offset:2064
	s_waitcnt lgkmcnt(2)
	v_mul_f32_e32 v155, v140, v152
	s_waitcnt lgkmcnt(1)
	v_dot4_i32_iu8 v154, v144, v4, 0 neg_lo:[1,1,0]
	s_delay_alu instid0(VALU_DEP_1) | instskip(NEXT) | instid1(VALU_DEP_1)
	v_dot4_i32_iu8 v154, v145, v5, v154 neg_lo:[1,1,0]
	v_dot4_i32_iu8 v154, v146, v6, v154 neg_lo:[1,1,0]
	s_delay_alu instid0(VALU_DEP_1) | instskip(SKIP_1) | instid1(VALU_DEP_1)
	v_dot4_i32_iu8 v154, v147, v7, v154 neg_lo:[1,1,0]
	s_waitcnt lgkmcnt(0)
	v_dot4_i32_iu8 v154, v148, v8, v154 neg_lo:[1,1,0]
	s_delay_alu instid0(VALU_DEP_1) | instskip(NEXT) | instid1(VALU_DEP_1)
	v_dot4_i32_iu8 v154, v149, v9, v154 neg_lo:[1,1,0]
	v_dot4_i32_iu8 v154, v150, v10, v154 neg_lo:[1,1,0]
	s_delay_alu instid0(VALU_DEP_1) | instskip(NEXT) | instid1(VALU_DEP_1)
	v_dot4_i32_iu8 v154, v151, v11, v154 neg_lo:[1,1,0]
	v_cvt_f32_i32_e32 v154, v154
	s_delay_alu instid0(VALU_DEP_1) | instskip(SKIP_2) | instid1(VALU_DEP_2)
	v_fmac_f32_e32 v62, v155, v154
	v_dot4_i32_iu8 v154, v144, v12, 0 neg_lo:[1,1,0]
	v_mul_f32_e32 v155, v141, v152
	v_dot4_i32_iu8 v154, v145, v13, v154 neg_lo:[1,1,0]
	s_delay_alu instid0(VALU_DEP_1) | instskip(NEXT) | instid1(VALU_DEP_1)
	v_dot4_i32_iu8 v154, v146, v14, v154 neg_lo:[1,1,0]
	v_dot4_i32_iu8 v154, v147, v15, v154 neg_lo:[1,1,0]
	s_delay_alu instid0(VALU_DEP_1) | instskip(NEXT) | instid1(VALU_DEP_1)
	v_dot4_i32_iu8 v154, v148, v16, v154 neg_lo:[1,1,0]
	;; [unrolled: 3-line block ×3, first 2 shown]
	v_dot4_i32_iu8 v154, v151, v21, v154 neg_lo:[1,1,0]
	s_delay_alu instid0(VALU_DEP_1) | instskip(NEXT) | instid1(VALU_DEP_1)
	v_cvt_f32_i32_e32 v154, v154
	v_fmac_f32_e32 v61, v155, v154
	v_dot4_i32_iu8 v154, v144, v18, 0 neg_lo:[1,1,0]
	v_dot4_i32_iu8 v144, v144, v28, 0 neg_lo:[1,1,0]
	v_mul_f32_e32 v155, v142, v152
	s_delay_alu instid0(VALU_DEP_3) | instskip(NEXT) | instid1(VALU_DEP_3)
	v_dot4_i32_iu8 v154, v145, v19, v154 neg_lo:[1,1,0]
	v_dot4_i32_iu8 v144, v145, v29, v144 neg_lo:[1,1,0]
	v_mul_f32_e32 v145, v143, v152
	s_delay_alu instid0(VALU_DEP_3) | instskip(NEXT) | instid1(VALU_DEP_3)
	v_dot4_i32_iu8 v154, v146, v22, v154 neg_lo:[1,1,0]
	v_dot4_i32_iu8 v144, v146, v30, v144 neg_lo:[1,1,0]
	s_delay_alu instid0(VALU_DEP_2) | instskip(NEXT) | instid1(VALU_DEP_2)
	v_dot4_i32_iu8 v154, v147, v23, v154 neg_lo:[1,1,0]
	v_dot4_i32_iu8 v144, v147, v31, v144 neg_lo:[1,1,0]
	s_delay_alu instid0(VALU_DEP_2) | instskip(NEXT) | instid1(VALU_DEP_2)
	;; [unrolled: 3-line block ×6, first 2 shown]
	v_cvt_f32_i32_e32 v154, v154
	v_cvt_f32_i32_e32 v144, v144
	s_delay_alu instid0(VALU_DEP_1)
	v_dual_fmac_f32 v60, v155, v154 :: v_dual_fmac_f32 v59, v145, v144
	ds_load_b128 v[144:147], v138 offset:3072
	ds_load_b128 v[148:151], v138 offset:3088
	v_mul_f32_e32 v154, v140, v153
	s_waitcnt lgkmcnt(1)
	v_dot4_i32_iu8 v152, v144, v4, 0 neg_lo:[1,1,0]
	s_delay_alu instid0(VALU_DEP_1) | instskip(NEXT) | instid1(VALU_DEP_1)
	v_dot4_i32_iu8 v152, v145, v5, v152 neg_lo:[1,1,0]
	v_dot4_i32_iu8 v152, v146, v6, v152 neg_lo:[1,1,0]
	s_delay_alu instid0(VALU_DEP_1) | instskip(SKIP_1) | instid1(VALU_DEP_1)
	v_dot4_i32_iu8 v152, v147, v7, v152 neg_lo:[1,1,0]
	s_waitcnt lgkmcnt(0)
	v_dot4_i32_iu8 v152, v148, v8, v152 neg_lo:[1,1,0]
	s_delay_alu instid0(VALU_DEP_1) | instskip(NEXT) | instid1(VALU_DEP_1)
	v_dot4_i32_iu8 v152, v149, v9, v152 neg_lo:[1,1,0]
	v_dot4_i32_iu8 v152, v150, v10, v152 neg_lo:[1,1,0]
	s_delay_alu instid0(VALU_DEP_1) | instskip(NEXT) | instid1(VALU_DEP_1)
	v_dot4_i32_iu8 v152, v151, v11, v152 neg_lo:[1,1,0]
	v_cvt_f32_i32_e32 v152, v152
	s_delay_alu instid0(VALU_DEP_1) | instskip(SKIP_2) | instid1(VALU_DEP_2)
	v_fmac_f32_e32 v57, v154, v152
	v_dot4_i32_iu8 v152, v144, v12, 0 neg_lo:[1,1,0]
	v_mul_f32_e32 v154, v141, v153
	v_dot4_i32_iu8 v152, v145, v13, v152 neg_lo:[1,1,0]
	s_delay_alu instid0(VALU_DEP_1) | instskip(NEXT) | instid1(VALU_DEP_1)
	v_dot4_i32_iu8 v152, v146, v14, v152 neg_lo:[1,1,0]
	v_dot4_i32_iu8 v152, v147, v15, v152 neg_lo:[1,1,0]
	s_delay_alu instid0(VALU_DEP_1) | instskip(NEXT) | instid1(VALU_DEP_1)
	v_dot4_i32_iu8 v152, v148, v16, v152 neg_lo:[1,1,0]
	;; [unrolled: 3-line block ×3, first 2 shown]
	v_dot4_i32_iu8 v152, v151, v21, v152 neg_lo:[1,1,0]
	s_delay_alu instid0(VALU_DEP_1) | instskip(NEXT) | instid1(VALU_DEP_1)
	v_cvt_f32_i32_e32 v152, v152
	v_fmac_f32_e32 v56, v154, v152
	v_dot4_i32_iu8 v152, v144, v18, 0 neg_lo:[1,1,0]
	v_dot4_i32_iu8 v144, v144, v28, 0 neg_lo:[1,1,0]
	v_mul_f32_e32 v154, v142, v153
	s_delay_alu instid0(VALU_DEP_3) | instskip(NEXT) | instid1(VALU_DEP_3)
	v_dot4_i32_iu8 v152, v145, v19, v152 neg_lo:[1,1,0]
	v_dot4_i32_iu8 v144, v145, v29, v144 neg_lo:[1,1,0]
	v_mul_f32_e32 v145, v143, v153
	s_delay_alu instid0(VALU_DEP_3) | instskip(NEXT) | instid1(VALU_DEP_3)
	v_dot4_i32_iu8 v152, v146, v22, v152 neg_lo:[1,1,0]
	v_dot4_i32_iu8 v144, v146, v30, v144 neg_lo:[1,1,0]
	s_delay_alu instid0(VALU_DEP_2) | instskip(NEXT) | instid1(VALU_DEP_2)
	v_dot4_i32_iu8 v152, v147, v23, v152 neg_lo:[1,1,0]
	v_dot4_i32_iu8 v144, v147, v31, v144 neg_lo:[1,1,0]
	s_delay_alu instid0(VALU_DEP_2) | instskip(NEXT) | instid1(VALU_DEP_2)
	;; [unrolled: 3-line block ×6, first 2 shown]
	v_cvt_f32_i32_e32 v152, v152
	v_cvt_f32_i32_e32 v144, v144
	s_delay_alu instid0(VALU_DEP_2) | instskip(NEXT) | instid1(VALU_DEP_2)
	v_fmac_f32_e32 v55, v154, v152
	v_fmac_f32_e32 v52, v145, v144
	ds_load_2addr_b32 v[152:153], v133 offset0:128 offset1:160
	ds_load_b128 v[144:147], v138 offset:4096
	ds_load_b128 v[148:151], v138 offset:4112
	s_waitcnt lgkmcnt(2)
	v_mul_f32_e32 v155, v140, v152
	s_waitcnt lgkmcnt(1)
	v_dot4_i32_iu8 v154, v144, v4, 0 neg_lo:[1,1,0]
	s_delay_alu instid0(VALU_DEP_1) | instskip(NEXT) | instid1(VALU_DEP_1)
	v_dot4_i32_iu8 v154, v145, v5, v154 neg_lo:[1,1,0]
	v_dot4_i32_iu8 v154, v146, v6, v154 neg_lo:[1,1,0]
	s_delay_alu instid0(VALU_DEP_1) | instskip(SKIP_1) | instid1(VALU_DEP_1)
	v_dot4_i32_iu8 v154, v147, v7, v154 neg_lo:[1,1,0]
	s_waitcnt lgkmcnt(0)
	v_dot4_i32_iu8 v154, v148, v8, v154 neg_lo:[1,1,0]
	s_delay_alu instid0(VALU_DEP_1) | instskip(NEXT) | instid1(VALU_DEP_1)
	v_dot4_i32_iu8 v154, v149, v9, v154 neg_lo:[1,1,0]
	v_dot4_i32_iu8 v154, v150, v10, v154 neg_lo:[1,1,0]
	s_delay_alu instid0(VALU_DEP_1) | instskip(NEXT) | instid1(VALU_DEP_1)
	v_dot4_i32_iu8 v154, v151, v11, v154 neg_lo:[1,1,0]
	v_cvt_f32_i32_e32 v154, v154
	s_delay_alu instid0(VALU_DEP_1) | instskip(SKIP_2) | instid1(VALU_DEP_2)
	v_fmac_f32_e32 v51, v155, v154
	v_dot4_i32_iu8 v154, v144, v12, 0 neg_lo:[1,1,0]
	v_mul_f32_e32 v155, v141, v152
	v_dot4_i32_iu8 v154, v145, v13, v154 neg_lo:[1,1,0]
	s_delay_alu instid0(VALU_DEP_1) | instskip(NEXT) | instid1(VALU_DEP_1)
	v_dot4_i32_iu8 v154, v146, v14, v154 neg_lo:[1,1,0]
	v_dot4_i32_iu8 v154, v147, v15, v154 neg_lo:[1,1,0]
	s_delay_alu instid0(VALU_DEP_1) | instskip(NEXT) | instid1(VALU_DEP_1)
	v_dot4_i32_iu8 v154, v148, v16, v154 neg_lo:[1,1,0]
	v_dot4_i32_iu8 v154, v149, v17, v154 neg_lo:[1,1,0]
	s_delay_alu instid0(VALU_DEP_1) | instskip(NEXT) | instid1(VALU_DEP_1)
	v_dot4_i32_iu8 v154, v150, v20, v154 neg_lo:[1,1,0]
	v_dot4_i32_iu8 v154, v151, v21, v154 neg_lo:[1,1,0]
	s_delay_alu instid0(VALU_DEP_1) | instskip(NEXT) | instid1(VALU_DEP_1)
	v_cvt_f32_i32_e32 v154, v154
	v_dual_fmac_f32 v50, v155, v154 :: v_dual_mul_f32 v155, v142, v152
	v_dot4_i32_iu8 v154, v144, v18, 0 neg_lo:[1,1,0]
	v_dot4_i32_iu8 v144, v144, v28, 0 neg_lo:[1,1,0]
	s_delay_alu instid0(VALU_DEP_2) | instskip(NEXT) | instid1(VALU_DEP_2)
	v_dot4_i32_iu8 v154, v145, v19, v154 neg_lo:[1,1,0]
	v_dot4_i32_iu8 v144, v145, v29, v144 neg_lo:[1,1,0]
	v_mul_f32_e32 v145, v143, v152
	s_delay_alu instid0(VALU_DEP_3) | instskip(NEXT) | instid1(VALU_DEP_3)
	v_dot4_i32_iu8 v154, v146, v22, v154 neg_lo:[1,1,0]
	v_dot4_i32_iu8 v144, v146, v30, v144 neg_lo:[1,1,0]
	s_delay_alu instid0(VALU_DEP_2) | instskip(NEXT) | instid1(VALU_DEP_2)
	v_dot4_i32_iu8 v154, v147, v23, v154 neg_lo:[1,1,0]
	v_dot4_i32_iu8 v144, v147, v31, v144 neg_lo:[1,1,0]
	s_delay_alu instid0(VALU_DEP_2) | instskip(NEXT) | instid1(VALU_DEP_2)
	;; [unrolled: 3-line block ×6, first 2 shown]
	v_cvt_f32_i32_e32 v154, v154
	v_cvt_f32_i32_e32 v144, v144
	s_delay_alu instid0(VALU_DEP_1)
	v_dual_fmac_f32 v49, v155, v154 :: v_dual_fmac_f32 v48, v145, v144
	ds_load_b128 v[144:147], v138 offset:5120
	ds_load_b128 v[148:151], v138 offset:5136
	v_mul_f32_e32 v154, v140, v153
	s_waitcnt lgkmcnt(1)
	v_dot4_i32_iu8 v152, v144, v4, 0 neg_lo:[1,1,0]
	s_delay_alu instid0(VALU_DEP_1) | instskip(NEXT) | instid1(VALU_DEP_1)
	v_dot4_i32_iu8 v152, v145, v5, v152 neg_lo:[1,1,0]
	v_dot4_i32_iu8 v152, v146, v6, v152 neg_lo:[1,1,0]
	s_delay_alu instid0(VALU_DEP_1) | instskip(SKIP_1) | instid1(VALU_DEP_1)
	v_dot4_i32_iu8 v152, v147, v7, v152 neg_lo:[1,1,0]
	s_waitcnt lgkmcnt(0)
	v_dot4_i32_iu8 v152, v148, v8, v152 neg_lo:[1,1,0]
	s_delay_alu instid0(VALU_DEP_1) | instskip(NEXT) | instid1(VALU_DEP_1)
	v_dot4_i32_iu8 v152, v149, v9, v152 neg_lo:[1,1,0]
	v_dot4_i32_iu8 v152, v150, v10, v152 neg_lo:[1,1,0]
	s_delay_alu instid0(VALU_DEP_1) | instskip(NEXT) | instid1(VALU_DEP_1)
	v_dot4_i32_iu8 v152, v151, v11, v152 neg_lo:[1,1,0]
	v_cvt_f32_i32_e32 v152, v152
	s_delay_alu instid0(VALU_DEP_1) | instskip(SKIP_1) | instid1(VALU_DEP_1)
	v_dual_fmac_f32 v47, v154, v152 :: v_dual_mul_f32 v154, v141, v153
	v_dot4_i32_iu8 v152, v144, v12, 0 neg_lo:[1,1,0]
	v_dot4_i32_iu8 v152, v145, v13, v152 neg_lo:[1,1,0]
	s_delay_alu instid0(VALU_DEP_1) | instskip(NEXT) | instid1(VALU_DEP_1)
	v_dot4_i32_iu8 v152, v146, v14, v152 neg_lo:[1,1,0]
	v_dot4_i32_iu8 v152, v147, v15, v152 neg_lo:[1,1,0]
	s_delay_alu instid0(VALU_DEP_1) | instskip(NEXT) | instid1(VALU_DEP_1)
	;; [unrolled: 3-line block ×4, first 2 shown]
	v_cvt_f32_i32_e32 v152, v152
	v_fmac_f32_e32 v46, v154, v152
	v_dot4_i32_iu8 v152, v144, v18, 0 neg_lo:[1,1,0]
	v_dot4_i32_iu8 v144, v144, v28, 0 neg_lo:[1,1,0]
	v_mul_f32_e32 v154, v142, v153
	s_delay_alu instid0(VALU_DEP_3) | instskip(NEXT) | instid1(VALU_DEP_3)
	v_dot4_i32_iu8 v152, v145, v19, v152 neg_lo:[1,1,0]
	v_dot4_i32_iu8 v144, v145, v29, v144 neg_lo:[1,1,0]
	v_mul_f32_e32 v145, v143, v153
	s_delay_alu instid0(VALU_DEP_3) | instskip(NEXT) | instid1(VALU_DEP_3)
	v_dot4_i32_iu8 v152, v146, v22, v152 neg_lo:[1,1,0]
	v_dot4_i32_iu8 v144, v146, v30, v144 neg_lo:[1,1,0]
	s_delay_alu instid0(VALU_DEP_2) | instskip(NEXT) | instid1(VALU_DEP_2)
	v_dot4_i32_iu8 v152, v147, v23, v152 neg_lo:[1,1,0]
	v_dot4_i32_iu8 v144, v147, v31, v144 neg_lo:[1,1,0]
	s_delay_alu instid0(VALU_DEP_2) | instskip(NEXT) | instid1(VALU_DEP_2)
	;; [unrolled: 3-line block ×6, first 2 shown]
	v_cvt_f32_i32_e32 v152, v152
	v_cvt_f32_i32_e32 v144, v144
	s_delay_alu instid0(VALU_DEP_2) | instskip(NEXT) | instid1(VALU_DEP_2)
	v_fmac_f32_e32 v45, v154, v152
	v_fmac_f32_e32 v44, v145, v144
	ds_load_2addr_b32 v[152:153], v133 offset0:192 offset1:224
	ds_load_b128 v[144:147], v138 offset:6144
	ds_load_b128 v[148:151], v138 offset:6160
	v_add_nc_u32_e32 v133, 4, v133
	s_waitcnt lgkmcnt(2)
	v_mul_f32_e32 v155, v140, v152
	s_waitcnt lgkmcnt(1)
	v_dot4_i32_iu8 v154, v144, v4, 0 neg_lo:[1,1,0]
	s_delay_alu instid0(VALU_DEP_1) | instskip(NEXT) | instid1(VALU_DEP_1)
	v_dot4_i32_iu8 v154, v145, v5, v154 neg_lo:[1,1,0]
	v_dot4_i32_iu8 v154, v146, v6, v154 neg_lo:[1,1,0]
	s_delay_alu instid0(VALU_DEP_1) | instskip(SKIP_1) | instid1(VALU_DEP_1)
	v_dot4_i32_iu8 v154, v147, v7, v154 neg_lo:[1,1,0]
	s_waitcnt lgkmcnt(0)
	v_dot4_i32_iu8 v154, v148, v8, v154 neg_lo:[1,1,0]
	s_delay_alu instid0(VALU_DEP_1) | instskip(NEXT) | instid1(VALU_DEP_1)
	v_dot4_i32_iu8 v154, v149, v9, v154 neg_lo:[1,1,0]
	v_dot4_i32_iu8 v154, v150, v10, v154 neg_lo:[1,1,0]
	s_delay_alu instid0(VALU_DEP_1) | instskip(NEXT) | instid1(VALU_DEP_1)
	v_dot4_i32_iu8 v154, v151, v11, v154 neg_lo:[1,1,0]
	v_cvt_f32_i32_e32 v154, v154
	s_delay_alu instid0(VALU_DEP_1) | instskip(SKIP_2) | instid1(VALU_DEP_2)
	v_fmac_f32_e32 v43, v155, v154
	v_dot4_i32_iu8 v154, v144, v12, 0 neg_lo:[1,1,0]
	v_mul_f32_e32 v155, v141, v152
	v_dot4_i32_iu8 v154, v145, v13, v154 neg_lo:[1,1,0]
	s_delay_alu instid0(VALU_DEP_1) | instskip(NEXT) | instid1(VALU_DEP_1)
	v_dot4_i32_iu8 v154, v146, v14, v154 neg_lo:[1,1,0]
	v_dot4_i32_iu8 v154, v147, v15, v154 neg_lo:[1,1,0]
	s_delay_alu instid0(VALU_DEP_1) | instskip(NEXT) | instid1(VALU_DEP_1)
	v_dot4_i32_iu8 v154, v148, v16, v154 neg_lo:[1,1,0]
	v_dot4_i32_iu8 v154, v149, v17, v154 neg_lo:[1,1,0]
	s_delay_alu instid0(VALU_DEP_1) | instskip(NEXT) | instid1(VALU_DEP_1)
	v_dot4_i32_iu8 v154, v150, v20, v154 neg_lo:[1,1,0]
	v_dot4_i32_iu8 v154, v151, v21, v154 neg_lo:[1,1,0]
	s_delay_alu instid0(VALU_DEP_1) | instskip(NEXT) | instid1(VALU_DEP_1)
	v_cvt_f32_i32_e32 v154, v154
	v_fmac_f32_e32 v42, v155, v154
	v_dot4_i32_iu8 v154, v144, v18, 0 neg_lo:[1,1,0]
	v_dot4_i32_iu8 v144, v144, v28, 0 neg_lo:[1,1,0]
	v_mul_f32_e32 v155, v142, v152
	s_delay_alu instid0(VALU_DEP_3) | instskip(NEXT) | instid1(VALU_DEP_3)
	v_dot4_i32_iu8 v154, v145, v19, v154 neg_lo:[1,1,0]
	v_dot4_i32_iu8 v144, v145, v29, v144 neg_lo:[1,1,0]
	v_mul_f32_e32 v145, v143, v152
	s_delay_alu instid0(VALU_DEP_3) | instskip(NEXT) | instid1(VALU_DEP_3)
	v_dot4_i32_iu8 v154, v146, v22, v154 neg_lo:[1,1,0]
	v_dot4_i32_iu8 v144, v146, v30, v144 neg_lo:[1,1,0]
	s_delay_alu instid0(VALU_DEP_2) | instskip(NEXT) | instid1(VALU_DEP_2)
	v_dot4_i32_iu8 v154, v147, v23, v154 neg_lo:[1,1,0]
	v_dot4_i32_iu8 v144, v147, v31, v144 neg_lo:[1,1,0]
	s_delay_alu instid0(VALU_DEP_2) | instskip(NEXT) | instid1(VALU_DEP_2)
	;; [unrolled: 3-line block ×6, first 2 shown]
	v_cvt_f32_i32_e32 v154, v154
	v_cvt_f32_i32_e32 v144, v144
	s_delay_alu instid0(VALU_DEP_1)
	v_fmac_f32_e32 v40, v145, v144
	ds_load_b128 v[144:147], v138 offset:7168
	ds_load_b128 v[148:151], v138 offset:7184
	v_add_nc_u32_e32 v138, 32, v138
	v_fmac_f32_e32 v41, v155, v154
	s_waitcnt lgkmcnt(1)
	v_dot4_i32_iu8 v4, v144, v4, 0 neg_lo:[1,1,0]
	s_delay_alu instid0(VALU_DEP_1) | instskip(SKIP_1) | instid1(VALU_DEP_2)
	v_dot4_i32_iu8 v4, v145, v5, v4 neg_lo:[1,1,0]
	v_mul_f32_e32 v5, v140, v153
	v_dot4_i32_iu8 v4, v146, v6, v4 neg_lo:[1,1,0]
	s_delay_alu instid0(VALU_DEP_1) | instskip(SKIP_1) | instid1(VALU_DEP_1)
	v_dot4_i32_iu8 v4, v147, v7, v4 neg_lo:[1,1,0]
	s_waitcnt lgkmcnt(0)
	v_dot4_i32_iu8 v4, v148, v8, v4 neg_lo:[1,1,0]
	s_delay_alu instid0(VALU_DEP_1) | instskip(NEXT) | instid1(VALU_DEP_1)
	v_dot4_i32_iu8 v4, v149, v9, v4 neg_lo:[1,1,0]
	v_dot4_i32_iu8 v4, v150, v10, v4 neg_lo:[1,1,0]
	s_delay_alu instid0(VALU_DEP_1) | instskip(NEXT) | instid1(VALU_DEP_1)
	v_dot4_i32_iu8 v4, v151, v11, v4 neg_lo:[1,1,0]
	v_cvt_f32_i32_e32 v4, v4
	s_delay_alu instid0(VALU_DEP_1) | instskip(SKIP_2) | instid1(VALU_DEP_2)
	v_fmac_f32_e32 v39, v5, v4
	v_dot4_i32_iu8 v4, v144, v12, 0 neg_lo:[1,1,0]
	v_mul_f32_e32 v5, v141, v153
	v_dot4_i32_iu8 v4, v145, v13, v4 neg_lo:[1,1,0]
	s_delay_alu instid0(VALU_DEP_1) | instskip(NEXT) | instid1(VALU_DEP_1)
	v_dot4_i32_iu8 v4, v146, v14, v4 neg_lo:[1,1,0]
	v_dot4_i32_iu8 v4, v147, v15, v4 neg_lo:[1,1,0]
	s_delay_alu instid0(VALU_DEP_1) | instskip(NEXT) | instid1(VALU_DEP_1)
	v_dot4_i32_iu8 v4, v148, v16, v4 neg_lo:[1,1,0]
	;; [unrolled: 3-line block ×3, first 2 shown]
	v_dot4_i32_iu8 v4, v151, v21, v4 neg_lo:[1,1,0]
	s_delay_alu instid0(VALU_DEP_1) | instskip(NEXT) | instid1(VALU_DEP_1)
	v_cvt_f32_i32_e32 v4, v4
	v_fmac_f32_e32 v38, v5, v4
	v_dot4_i32_iu8 v4, v144, v18, 0 neg_lo:[1,1,0]
	v_mul_f32_e32 v5, v142, v153
	s_delay_alu instid0(VALU_DEP_2) | instskip(NEXT) | instid1(VALU_DEP_1)
	v_dot4_i32_iu8 v4, v145, v19, v4 neg_lo:[1,1,0]
	v_dot4_i32_iu8 v4, v146, v22, v4 neg_lo:[1,1,0]
	s_delay_alu instid0(VALU_DEP_1) | instskip(NEXT) | instid1(VALU_DEP_1)
	v_dot4_i32_iu8 v4, v147, v23, v4 neg_lo:[1,1,0]
	v_dot4_i32_iu8 v4, v148, v24, v4 neg_lo:[1,1,0]
	s_delay_alu instid0(VALU_DEP_1) | instskip(NEXT) | instid1(VALU_DEP_1)
	;; [unrolled: 3-line block ×3, first 2 shown]
	v_dot4_i32_iu8 v4, v151, v27, v4 neg_lo:[1,1,0]
	v_cvt_f32_i32_e32 v4, v4
	s_delay_alu instid0(VALU_DEP_1) | instskip(SKIP_2) | instid1(VALU_DEP_1)
	v_fmac_f32_e32 v37, v5, v4
	v_mul_f32_e32 v5, v143, v153
	v_dot4_i32_iu8 v4, v144, v28, 0 neg_lo:[1,1,0]
	v_dot4_i32_iu8 v4, v145, v29, v4 neg_lo:[1,1,0]
	s_delay_alu instid0(VALU_DEP_1) | instskip(NEXT) | instid1(VALU_DEP_1)
	v_dot4_i32_iu8 v4, v146, v30, v4 neg_lo:[1,1,0]
	v_dot4_i32_iu8 v4, v147, v31, v4 neg_lo:[1,1,0]
	s_delay_alu instid0(VALU_DEP_1) | instskip(NEXT) | instid1(VALU_DEP_1)
	;; [unrolled: 3-line block ×4, first 2 shown]
	v_cvt_f32_i32_e32 v4, v4
	v_fmac_f32_e32 v36, v5, v4
	s_cbranch_scc1 .LBB145_6
; %bb.7:                                ;   in Loop: Header=BB145_5 Depth=1
	s_add_i32 s11, s11, 4
	s_delay_alu instid0(SALU_CYCLE_1)
	s_cmp_ge_i32 s11, s5
	s_barrier
	buffer_gl0_inv
	s_cbranch_scc0 .LBB145_5
; %bb.8:
	v_dual_mov_b32 v1, v53 :: v_dual_mov_b32 v0, v54
.LBB145_9:
	s_mov_b32 s0, exec_lo
	v_cmpx_gt_u32_e64 s4, v58
	s_cbranch_execz .LBB145_60
; %bb.10:
	s_delay_alu instid0(VALU_DEP_2) | instskip(SKIP_1) | instid1(VALU_DEP_2)
	v_add_nc_u32_e32 v0, s10, v0
	v_mul_lo_u32 v5, v58, s6
	v_cmp_gt_u32_e32 vcc_lo, s6, v0
	s_and_saveexec_b32 s1, vcc_lo
	s_cbranch_execz .LBB145_12
; %bb.11:
	s_delay_alu instid0(VALU_DEP_2) | instskip(SKIP_1) | instid1(VALU_DEP_2)
	v_dual_mov_b32 v3, 0 :: v_dual_add_nc_u32 v2, v0, v5
	v_cvt_f16_f32_e32 v4, v65
	v_lshlrev_b64 v[2:3], 1, v[2:3]
	s_waitcnt lgkmcnt(0)
	s_delay_alu instid0(VALU_DEP_1) | instskip(NEXT) | instid1(VALU_DEP_1)
	v_add_co_u32 v2, s0, s8, v2
	v_add_co_ci_u32_e64 v3, s0, s9, v3, s0
	global_store_b16 v[2:3], v4, off
.LBB145_12:
	s_or_b32 exec_lo, exec_lo, s1
	v_add_nc_u32_e32 v2, 32, v0
	s_delay_alu instid0(VALU_DEP_1) | instskip(NEXT) | instid1(VALU_DEP_1)
	v_cmp_gt_u32_e64 s0, s6, v2
	s_and_saveexec_b32 s2, s0
	s_cbranch_execz .LBB145_14
; %bb.13:
	v_dual_mov_b32 v4, 0 :: v_dual_add_nc_u32 v3, v2, v5
	v_cvt_f16_f32_e32 v6, v70
	s_delay_alu instid0(VALU_DEP_2) | instskip(SKIP_1) | instid1(VALU_DEP_1)
	v_lshlrev_b64 v[3:4], 1, v[3:4]
	s_waitcnt lgkmcnt(0)
	v_add_co_u32 v3, s1, s8, v3
	s_delay_alu instid0(VALU_DEP_1)
	v_add_co_ci_u32_e64 v4, s1, s9, v4, s1
	global_store_b16 v[3:4], v6, off
.LBB145_14:
	s_or_b32 exec_lo, exec_lo, s2
	v_add_nc_u32_e32 v3, 64, v0
	s_delay_alu instid0(VALU_DEP_1) | instskip(NEXT) | instid1(VALU_DEP_1)
	v_cmp_gt_u32_e64 s1, s6, v3
	s_and_saveexec_b32 s3, s1
	s_cbranch_execz .LBB145_16
; %bb.15:
	v_dual_mov_b32 v7, 0 :: v_dual_add_nc_u32 v6, v3, v5
	v_cvt_f16_f32_e32 v4, v69
	s_delay_alu instid0(VALU_DEP_2) | instskip(SKIP_1) | instid1(VALU_DEP_1)
	v_lshlrev_b64 v[6:7], 1, v[6:7]
	s_waitcnt lgkmcnt(0)
	v_add_co_u32 v6, s2, s8, v6
	s_delay_alu instid0(VALU_DEP_1)
	v_add_co_ci_u32_e64 v7, s2, s9, v7, s2
	global_store_b16 v[6:7], v4, off
.LBB145_16:
	;; [unrolled: 17-line block ×3, first 2 shown]
	s_or_b32 exec_lo, exec_lo, s5
	v_add3_u32 v5, v1, s7, 8
	s_delay_alu instid0(VALU_DEP_1) | instskip(NEXT) | instid1(VALU_DEP_1)
	v_cmp_gt_u32_e64 s3, s4, v5
	s_and_b32 exec_lo, exec_lo, s3
	s_cbranch_execz .LBB145_60
; %bb.19:
	v_mul_lo_u32 v5, v5, s6
	s_and_saveexec_b32 s5, vcc_lo
	s_cbranch_execnz .LBB145_61
; %bb.20:
	s_or_b32 exec_lo, exec_lo, s5
	s_and_saveexec_b32 s5, s0
	s_cbranch_execnz .LBB145_62
.LBB145_21:
	s_or_b32 exec_lo, exec_lo, s5
	s_and_saveexec_b32 s5, s1
	s_cbranch_execnz .LBB145_63
.LBB145_22:
	s_or_b32 exec_lo, exec_lo, s5
	s_and_saveexec_b32 s5, s2
	s_cbranch_execz .LBB145_24
.LBB145_23:
	v_dual_mov_b32 v6, 0 :: v_dual_add_nc_u32 v5, v5, v4
	v_cvt_f16_f32_e32 v7, v63
	s_delay_alu instid0(VALU_DEP_2) | instskip(SKIP_1) | instid1(VALU_DEP_1)
	v_lshlrev_b64 v[5:6], 1, v[5:6]
	s_waitcnt lgkmcnt(0)
	v_add_co_u32 v5, s3, s8, v5
	s_delay_alu instid0(VALU_DEP_1)
	v_add_co_ci_u32_e64 v6, s3, s9, v6, s3
	global_store_b16 v[5:6], v7, off
.LBB145_24:
	s_or_b32 exec_lo, exec_lo, s5
	v_add3_u32 v5, v1, s7, 16
	s_delay_alu instid0(VALU_DEP_1) | instskip(NEXT) | instid1(VALU_DEP_1)
	v_cmp_gt_u32_e64 s3, s4, v5
	s_and_b32 exec_lo, exec_lo, s3
	s_cbranch_execz .LBB145_60
; %bb.25:
	v_mul_lo_u32 v5, v5, s6
	s_and_saveexec_b32 s5, vcc_lo
	s_cbranch_execnz .LBB145_64
; %bb.26:
	s_or_b32 exec_lo, exec_lo, s5
	s_and_saveexec_b32 s5, s0
	s_cbranch_execnz .LBB145_65
.LBB145_27:
	s_or_b32 exec_lo, exec_lo, s5
	s_and_saveexec_b32 s5, s1
	s_cbranch_execnz .LBB145_66
.LBB145_28:
	s_or_b32 exec_lo, exec_lo, s5
	s_and_saveexec_b32 s5, s2
	s_cbranch_execz .LBB145_30
.LBB145_29:
	v_dual_mov_b32 v6, 0 :: v_dual_add_nc_u32 v5, v5, v4
	v_cvt_f16_f32_e32 v7, v59
	s_delay_alu instid0(VALU_DEP_2) | instskip(SKIP_1) | instid1(VALU_DEP_1)
	v_lshlrev_b64 v[5:6], 1, v[5:6]
	s_waitcnt lgkmcnt(0)
	v_add_co_u32 v5, s3, s8, v5
	s_delay_alu instid0(VALU_DEP_1)
	v_add_co_ci_u32_e64 v6, s3, s9, v6, s3
	global_store_b16 v[5:6], v7, off
.LBB145_30:
	s_or_b32 exec_lo, exec_lo, s5
	v_add3_u32 v5, v1, s7, 24
	s_delay_alu instid0(VALU_DEP_1) | instskip(NEXT) | instid1(VALU_DEP_1)
	v_cmp_gt_u32_e64 s3, s4, v5
	s_and_b32 exec_lo, exec_lo, s3
	s_cbranch_execz .LBB145_60
; %bb.31:
	v_mul_lo_u32 v5, v5, s6
	s_and_saveexec_b32 s5, vcc_lo
	s_cbranch_execnz .LBB145_67
; %bb.32:
	s_or_b32 exec_lo, exec_lo, s5
	s_and_saveexec_b32 s5, s0
	s_cbranch_execnz .LBB145_68
.LBB145_33:
	s_or_b32 exec_lo, exec_lo, s5
	s_and_saveexec_b32 s5, s1
	s_cbranch_execnz .LBB145_69
.LBB145_34:
	s_or_b32 exec_lo, exec_lo, s5
	s_and_saveexec_b32 s5, s2
	s_cbranch_execz .LBB145_36
.LBB145_35:
	v_dual_mov_b32 v6, 0 :: v_dual_add_nc_u32 v5, v5, v4
	v_cvt_f16_f32_e32 v7, v52
	s_delay_alu instid0(VALU_DEP_2) | instskip(SKIP_1) | instid1(VALU_DEP_1)
	v_lshlrev_b64 v[5:6], 1, v[5:6]
	s_waitcnt lgkmcnt(0)
	v_add_co_u32 v5, s3, s8, v5
	s_delay_alu instid0(VALU_DEP_1)
	v_add_co_ci_u32_e64 v6, s3, s9, v6, s3
	global_store_b16 v[5:6], v7, off
.LBB145_36:
	s_or_b32 exec_lo, exec_lo, s5
	v_add3_u32 v5, v1, s7, 32
	s_delay_alu instid0(VALU_DEP_1) | instskip(NEXT) | instid1(VALU_DEP_1)
	v_cmp_gt_u32_e64 s3, s4, v5
	s_and_b32 exec_lo, exec_lo, s3
	s_cbranch_execz .LBB145_60
; %bb.37:
	v_mul_lo_u32 v5, v5, s6
	s_and_saveexec_b32 s5, vcc_lo
	s_cbranch_execnz .LBB145_70
; %bb.38:
	s_or_b32 exec_lo, exec_lo, s5
	s_and_saveexec_b32 s5, s0
	s_cbranch_execnz .LBB145_71
.LBB145_39:
	s_or_b32 exec_lo, exec_lo, s5
	s_and_saveexec_b32 s5, s1
	s_cbranch_execnz .LBB145_72
.LBB145_40:
	s_or_b32 exec_lo, exec_lo, s5
	s_and_saveexec_b32 s5, s2
	s_cbranch_execz .LBB145_42
.LBB145_41:
	v_dual_mov_b32 v6, 0 :: v_dual_add_nc_u32 v5, v5, v4
	v_cvt_f16_f32_e32 v7, v48
	s_delay_alu instid0(VALU_DEP_2) | instskip(SKIP_1) | instid1(VALU_DEP_1)
	v_lshlrev_b64 v[5:6], 1, v[5:6]
	s_waitcnt lgkmcnt(0)
	v_add_co_u32 v5, s3, s8, v5
	s_delay_alu instid0(VALU_DEP_1)
	v_add_co_ci_u32_e64 v6, s3, s9, v6, s3
	global_store_b16 v[5:6], v7, off
.LBB145_42:
	s_or_b32 exec_lo, exec_lo, s5
	v_add3_u32 v5, v1, s7, 40
	s_delay_alu instid0(VALU_DEP_1) | instskip(NEXT) | instid1(VALU_DEP_1)
	v_cmp_gt_u32_e64 s3, s4, v5
	s_and_b32 exec_lo, exec_lo, s3
	s_cbranch_execz .LBB145_60
; %bb.43:
	v_mul_lo_u32 v5, v5, s6
	s_and_saveexec_b32 s5, vcc_lo
	s_cbranch_execnz .LBB145_73
; %bb.44:
	s_or_b32 exec_lo, exec_lo, s5
	s_and_saveexec_b32 s5, s0
	s_cbranch_execnz .LBB145_74
.LBB145_45:
	s_or_b32 exec_lo, exec_lo, s5
	s_and_saveexec_b32 s5, s1
	s_cbranch_execnz .LBB145_75
.LBB145_46:
	s_or_b32 exec_lo, exec_lo, s5
	s_and_saveexec_b32 s5, s2
	s_cbranch_execz .LBB145_48
.LBB145_47:
	v_dual_mov_b32 v6, 0 :: v_dual_add_nc_u32 v5, v5, v4
	v_cvt_f16_f32_e32 v7, v44
	s_delay_alu instid0(VALU_DEP_2) | instskip(SKIP_1) | instid1(VALU_DEP_1)
	v_lshlrev_b64 v[5:6], 1, v[5:6]
	s_waitcnt lgkmcnt(0)
	v_add_co_u32 v5, s3, s8, v5
	s_delay_alu instid0(VALU_DEP_1)
	v_add_co_ci_u32_e64 v6, s3, s9, v6, s3
	global_store_b16 v[5:6], v7, off
.LBB145_48:
	s_or_b32 exec_lo, exec_lo, s5
	v_add3_u32 v5, v1, s7, 48
	s_delay_alu instid0(VALU_DEP_1) | instskip(NEXT) | instid1(VALU_DEP_1)
	v_cmp_gt_u32_e64 s3, s4, v5
	s_and_b32 exec_lo, exec_lo, s3
	s_cbranch_execz .LBB145_60
; %bb.49:
	v_mul_lo_u32 v5, v5, s6
	s_and_saveexec_b32 s5, vcc_lo
	s_cbranch_execnz .LBB145_76
; %bb.50:
	s_or_b32 exec_lo, exec_lo, s5
	s_and_saveexec_b32 s5, s0
	s_cbranch_execnz .LBB145_77
.LBB145_51:
	s_or_b32 exec_lo, exec_lo, s5
	s_and_saveexec_b32 s5, s1
	s_cbranch_execnz .LBB145_78
.LBB145_52:
	s_or_b32 exec_lo, exec_lo, s5
	s_and_saveexec_b32 s5, s2
	s_cbranch_execz .LBB145_54
.LBB145_53:
	v_dual_mov_b32 v6, 0 :: v_dual_add_nc_u32 v5, v5, v4
	v_cvt_f16_f32_e32 v7, v40
	s_delay_alu instid0(VALU_DEP_2) | instskip(SKIP_1) | instid1(VALU_DEP_1)
	v_lshlrev_b64 v[5:6], 1, v[5:6]
	s_waitcnt lgkmcnt(0)
	v_add_co_u32 v5, s3, s8, v5
	s_delay_alu instid0(VALU_DEP_1)
	v_add_co_ci_u32_e64 v6, s3, s9, v6, s3
	global_store_b16 v[5:6], v7, off
.LBB145_54:
	s_or_b32 exec_lo, exec_lo, s5
	v_add3_u32 v1, v1, s7, 56
	s_delay_alu instid0(VALU_DEP_1) | instskip(NEXT) | instid1(VALU_DEP_1)
	v_cmp_gt_u32_e64 s3, s4, v1
	s_and_b32 exec_lo, exec_lo, s3
	s_cbranch_execz .LBB145_60
; %bb.55:
	v_mul_lo_u32 v1, v1, s6
	s_and_saveexec_b32 s3, vcc_lo
	s_cbranch_execnz .LBB145_79
; %bb.56:
	s_or_b32 exec_lo, exec_lo, s3
	s_and_saveexec_b32 s3, s0
	s_cbranch_execnz .LBB145_80
.LBB145_57:
	s_or_b32 exec_lo, exec_lo, s3
	s_and_saveexec_b32 s0, s1
	s_cbranch_execnz .LBB145_81
.LBB145_58:
	s_or_b32 exec_lo, exec_lo, s0
	s_delay_alu instid0(SALU_CYCLE_1)
	s_and_b32 exec_lo, exec_lo, s2
	s_cbranch_execz .LBB145_60
.LBB145_59:
	v_dual_mov_b32 v1, 0 :: v_dual_add_nc_u32 v0, v1, v4
	v_cvt_f16_f32_e32 v2, v36
	s_delay_alu instid0(VALU_DEP_2) | instskip(SKIP_1) | instid1(VALU_DEP_1)
	v_lshlrev_b64 v[0:1], 1, v[0:1]
	s_waitcnt lgkmcnt(0)
	v_add_co_u32 v0, vcc_lo, s8, v0
	s_delay_alu instid0(VALU_DEP_2)
	v_add_co_ci_u32_e32 v1, vcc_lo, s9, v1, vcc_lo
	global_store_b16 v[0:1], v2, off
.LBB145_60:
	s_nop 0
	s_sendmsg sendmsg(MSG_DEALLOC_VGPRS)
	s_endpgm
.LBB145_61:
	s_delay_alu instid0(VALU_DEP_1) | instskip(SKIP_1) | instid1(VALU_DEP_2)
	v_dual_mov_b32 v7, 0 :: v_dual_add_nc_u32 v6, v5, v0
	v_cvt_f16_f32_e32 v8, v67
	v_lshlrev_b64 v[6:7], 1, v[6:7]
	s_waitcnt lgkmcnt(0)
	s_delay_alu instid0(VALU_DEP_1) | instskip(NEXT) | instid1(VALU_DEP_1)
	v_add_co_u32 v6, s3, s8, v6
	v_add_co_ci_u32_e64 v7, s3, s9, v7, s3
	global_store_b16 v[6:7], v8, off
	s_or_b32 exec_lo, exec_lo, s5
	s_and_saveexec_b32 s5, s0
	s_cbranch_execz .LBB145_21
.LBB145_62:
	s_delay_alu instid0(VALU_DEP_1) | instskip(SKIP_1) | instid1(VALU_DEP_2)
	v_dual_mov_b32 v7, 0 :: v_dual_add_nc_u32 v6, v5, v2
	v_cvt_f16_f32_e32 v8, v66
	v_lshlrev_b64 v[6:7], 1, v[6:7]
	s_waitcnt lgkmcnt(0)
	s_delay_alu instid0(VALU_DEP_1) | instskip(NEXT) | instid1(VALU_DEP_1)
	v_add_co_u32 v6, s3, s8, v6
	v_add_co_ci_u32_e64 v7, s3, s9, v7, s3
	global_store_b16 v[6:7], v8, off
	s_or_b32 exec_lo, exec_lo, s5
	s_and_saveexec_b32 s5, s1
	s_cbranch_execz .LBB145_22
.LBB145_63:
	v_dual_mov_b32 v7, 0 :: v_dual_add_nc_u32 v6, v5, v3
	v_cvt_f16_f32_e32 v8, v64
	s_delay_alu instid0(VALU_DEP_2) | instskip(SKIP_1) | instid1(VALU_DEP_1)
	v_lshlrev_b64 v[6:7], 1, v[6:7]
	s_waitcnt lgkmcnt(0)
	v_add_co_u32 v6, s3, s8, v6
	s_delay_alu instid0(VALU_DEP_1)
	v_add_co_ci_u32_e64 v7, s3, s9, v7, s3
	global_store_b16 v[6:7], v8, off
	s_or_b32 exec_lo, exec_lo, s5
	s_and_saveexec_b32 s5, s2
	s_cbranch_execnz .LBB145_23
	s_branch .LBB145_24
.LBB145_64:
	s_delay_alu instid0(VALU_DEP_1) | instskip(SKIP_1) | instid1(VALU_DEP_2)
	v_dual_mov_b32 v7, 0 :: v_dual_add_nc_u32 v6, v5, v0
	v_cvt_f16_f32_e32 v8, v62
	v_lshlrev_b64 v[6:7], 1, v[6:7]
	s_waitcnt lgkmcnt(0)
	s_delay_alu instid0(VALU_DEP_1) | instskip(NEXT) | instid1(VALU_DEP_1)
	v_add_co_u32 v6, s3, s8, v6
	v_add_co_ci_u32_e64 v7, s3, s9, v7, s3
	global_store_b16 v[6:7], v8, off
	s_or_b32 exec_lo, exec_lo, s5
	s_and_saveexec_b32 s5, s0
	s_cbranch_execz .LBB145_27
.LBB145_65:
	s_delay_alu instid0(VALU_DEP_1) | instskip(SKIP_1) | instid1(VALU_DEP_2)
	v_dual_mov_b32 v7, 0 :: v_dual_add_nc_u32 v6, v5, v2
	v_cvt_f16_f32_e32 v8, v61
	v_lshlrev_b64 v[6:7], 1, v[6:7]
	s_waitcnt lgkmcnt(0)
	s_delay_alu instid0(VALU_DEP_1) | instskip(NEXT) | instid1(VALU_DEP_1)
	v_add_co_u32 v6, s3, s8, v6
	v_add_co_ci_u32_e64 v7, s3, s9, v7, s3
	global_store_b16 v[6:7], v8, off
	s_or_b32 exec_lo, exec_lo, s5
	s_and_saveexec_b32 s5, s1
	s_cbranch_execz .LBB145_28
.LBB145_66:
	v_dual_mov_b32 v7, 0 :: v_dual_add_nc_u32 v6, v5, v3
	v_cvt_f16_f32_e32 v8, v60
	s_delay_alu instid0(VALU_DEP_2) | instskip(SKIP_1) | instid1(VALU_DEP_1)
	v_lshlrev_b64 v[6:7], 1, v[6:7]
	s_waitcnt lgkmcnt(0)
	v_add_co_u32 v6, s3, s8, v6
	s_delay_alu instid0(VALU_DEP_1)
	v_add_co_ci_u32_e64 v7, s3, s9, v7, s3
	global_store_b16 v[6:7], v8, off
	s_or_b32 exec_lo, exec_lo, s5
	s_and_saveexec_b32 s5, s2
	s_cbranch_execnz .LBB145_29
	s_branch .LBB145_30
.LBB145_67:
	s_delay_alu instid0(VALU_DEP_1) | instskip(SKIP_1) | instid1(VALU_DEP_2)
	v_dual_mov_b32 v7, 0 :: v_dual_add_nc_u32 v6, v5, v0
	v_cvt_f16_f32_e32 v8, v57
	v_lshlrev_b64 v[6:7], 1, v[6:7]
	s_waitcnt lgkmcnt(0)
	s_delay_alu instid0(VALU_DEP_1) | instskip(NEXT) | instid1(VALU_DEP_1)
	v_add_co_u32 v6, s3, s8, v6
	v_add_co_ci_u32_e64 v7, s3, s9, v7, s3
	global_store_b16 v[6:7], v8, off
	s_or_b32 exec_lo, exec_lo, s5
	s_and_saveexec_b32 s5, s0
	s_cbranch_execz .LBB145_33
.LBB145_68:
	s_delay_alu instid0(VALU_DEP_1) | instskip(SKIP_1) | instid1(VALU_DEP_2)
	v_dual_mov_b32 v7, 0 :: v_dual_add_nc_u32 v6, v5, v2
	v_cvt_f16_f32_e32 v8, v56
	v_lshlrev_b64 v[6:7], 1, v[6:7]
	s_waitcnt lgkmcnt(0)
	s_delay_alu instid0(VALU_DEP_1) | instskip(NEXT) | instid1(VALU_DEP_1)
	v_add_co_u32 v6, s3, s8, v6
	v_add_co_ci_u32_e64 v7, s3, s9, v7, s3
	global_store_b16 v[6:7], v8, off
	s_or_b32 exec_lo, exec_lo, s5
	s_and_saveexec_b32 s5, s1
	s_cbranch_execz .LBB145_34
.LBB145_69:
	v_dual_mov_b32 v7, 0 :: v_dual_add_nc_u32 v6, v5, v3
	v_cvt_f16_f32_e32 v8, v55
	s_delay_alu instid0(VALU_DEP_2) | instskip(SKIP_1) | instid1(VALU_DEP_1)
	v_lshlrev_b64 v[6:7], 1, v[6:7]
	s_waitcnt lgkmcnt(0)
	v_add_co_u32 v6, s3, s8, v6
	s_delay_alu instid0(VALU_DEP_1)
	v_add_co_ci_u32_e64 v7, s3, s9, v7, s3
	global_store_b16 v[6:7], v8, off
	s_or_b32 exec_lo, exec_lo, s5
	s_and_saveexec_b32 s5, s2
	s_cbranch_execnz .LBB145_35
	s_branch .LBB145_36
.LBB145_70:
	s_delay_alu instid0(VALU_DEP_1) | instskip(SKIP_1) | instid1(VALU_DEP_2)
	v_dual_mov_b32 v7, 0 :: v_dual_add_nc_u32 v6, v5, v0
	v_cvt_f16_f32_e32 v8, v51
	v_lshlrev_b64 v[6:7], 1, v[6:7]
	s_waitcnt lgkmcnt(0)
	s_delay_alu instid0(VALU_DEP_1) | instskip(NEXT) | instid1(VALU_DEP_1)
	v_add_co_u32 v6, s3, s8, v6
	v_add_co_ci_u32_e64 v7, s3, s9, v7, s3
	global_store_b16 v[6:7], v8, off
	s_or_b32 exec_lo, exec_lo, s5
	s_and_saveexec_b32 s5, s0
	s_cbranch_execz .LBB145_39
.LBB145_71:
	s_delay_alu instid0(VALU_DEP_1) | instskip(SKIP_1) | instid1(VALU_DEP_2)
	v_dual_mov_b32 v7, 0 :: v_dual_add_nc_u32 v6, v5, v2
	v_cvt_f16_f32_e32 v8, v50
	v_lshlrev_b64 v[6:7], 1, v[6:7]
	s_waitcnt lgkmcnt(0)
	s_delay_alu instid0(VALU_DEP_1) | instskip(NEXT) | instid1(VALU_DEP_1)
	v_add_co_u32 v6, s3, s8, v6
	v_add_co_ci_u32_e64 v7, s3, s9, v7, s3
	global_store_b16 v[6:7], v8, off
	s_or_b32 exec_lo, exec_lo, s5
	s_and_saveexec_b32 s5, s1
	s_cbranch_execz .LBB145_40
.LBB145_72:
	v_dual_mov_b32 v7, 0 :: v_dual_add_nc_u32 v6, v5, v3
	v_cvt_f16_f32_e32 v8, v49
	s_delay_alu instid0(VALU_DEP_2) | instskip(SKIP_1) | instid1(VALU_DEP_1)
	v_lshlrev_b64 v[6:7], 1, v[6:7]
	s_waitcnt lgkmcnt(0)
	v_add_co_u32 v6, s3, s8, v6
	s_delay_alu instid0(VALU_DEP_1)
	v_add_co_ci_u32_e64 v7, s3, s9, v7, s3
	global_store_b16 v[6:7], v8, off
	s_or_b32 exec_lo, exec_lo, s5
	s_and_saveexec_b32 s5, s2
	s_cbranch_execnz .LBB145_41
	s_branch .LBB145_42
.LBB145_73:
	s_delay_alu instid0(VALU_DEP_1) | instskip(SKIP_1) | instid1(VALU_DEP_2)
	v_dual_mov_b32 v7, 0 :: v_dual_add_nc_u32 v6, v5, v0
	v_cvt_f16_f32_e32 v8, v47
	v_lshlrev_b64 v[6:7], 1, v[6:7]
	s_waitcnt lgkmcnt(0)
	s_delay_alu instid0(VALU_DEP_1) | instskip(NEXT) | instid1(VALU_DEP_1)
	v_add_co_u32 v6, s3, s8, v6
	v_add_co_ci_u32_e64 v7, s3, s9, v7, s3
	global_store_b16 v[6:7], v8, off
	s_or_b32 exec_lo, exec_lo, s5
	s_and_saveexec_b32 s5, s0
	s_cbranch_execz .LBB145_45
.LBB145_74:
	s_delay_alu instid0(VALU_DEP_1) | instskip(SKIP_1) | instid1(VALU_DEP_2)
	v_dual_mov_b32 v7, 0 :: v_dual_add_nc_u32 v6, v5, v2
	v_cvt_f16_f32_e32 v8, v46
	v_lshlrev_b64 v[6:7], 1, v[6:7]
	s_waitcnt lgkmcnt(0)
	s_delay_alu instid0(VALU_DEP_1) | instskip(NEXT) | instid1(VALU_DEP_1)
	v_add_co_u32 v6, s3, s8, v6
	v_add_co_ci_u32_e64 v7, s3, s9, v7, s3
	global_store_b16 v[6:7], v8, off
	s_or_b32 exec_lo, exec_lo, s5
	s_and_saveexec_b32 s5, s1
	s_cbranch_execz .LBB145_46
.LBB145_75:
	v_dual_mov_b32 v7, 0 :: v_dual_add_nc_u32 v6, v5, v3
	v_cvt_f16_f32_e32 v8, v45
	s_delay_alu instid0(VALU_DEP_2) | instskip(SKIP_1) | instid1(VALU_DEP_1)
	v_lshlrev_b64 v[6:7], 1, v[6:7]
	s_waitcnt lgkmcnt(0)
	v_add_co_u32 v6, s3, s8, v6
	s_delay_alu instid0(VALU_DEP_1)
	v_add_co_ci_u32_e64 v7, s3, s9, v7, s3
	global_store_b16 v[6:7], v8, off
	s_or_b32 exec_lo, exec_lo, s5
	s_and_saveexec_b32 s5, s2
	s_cbranch_execnz .LBB145_47
	s_branch .LBB145_48
.LBB145_76:
	s_delay_alu instid0(VALU_DEP_1) | instskip(SKIP_1) | instid1(VALU_DEP_2)
	v_dual_mov_b32 v7, 0 :: v_dual_add_nc_u32 v6, v5, v0
	v_cvt_f16_f32_e32 v8, v43
	v_lshlrev_b64 v[6:7], 1, v[6:7]
	s_waitcnt lgkmcnt(0)
	s_delay_alu instid0(VALU_DEP_1) | instskip(NEXT) | instid1(VALU_DEP_1)
	v_add_co_u32 v6, s3, s8, v6
	v_add_co_ci_u32_e64 v7, s3, s9, v7, s3
	global_store_b16 v[6:7], v8, off
	s_or_b32 exec_lo, exec_lo, s5
	s_and_saveexec_b32 s5, s0
	s_cbranch_execz .LBB145_51
.LBB145_77:
	s_delay_alu instid0(VALU_DEP_1) | instskip(SKIP_1) | instid1(VALU_DEP_2)
	v_dual_mov_b32 v7, 0 :: v_dual_add_nc_u32 v6, v5, v2
	v_cvt_f16_f32_e32 v8, v42
	v_lshlrev_b64 v[6:7], 1, v[6:7]
	s_waitcnt lgkmcnt(0)
	s_delay_alu instid0(VALU_DEP_1) | instskip(NEXT) | instid1(VALU_DEP_1)
	v_add_co_u32 v6, s3, s8, v6
	v_add_co_ci_u32_e64 v7, s3, s9, v7, s3
	global_store_b16 v[6:7], v8, off
	s_or_b32 exec_lo, exec_lo, s5
	s_and_saveexec_b32 s5, s1
	s_cbranch_execz .LBB145_52
.LBB145_78:
	v_dual_mov_b32 v7, 0 :: v_dual_add_nc_u32 v6, v5, v3
	v_cvt_f16_f32_e32 v8, v41
	s_delay_alu instid0(VALU_DEP_2) | instskip(SKIP_1) | instid1(VALU_DEP_1)
	v_lshlrev_b64 v[6:7], 1, v[6:7]
	s_waitcnt lgkmcnt(0)
	v_add_co_u32 v6, s3, s8, v6
	s_delay_alu instid0(VALU_DEP_1)
	v_add_co_ci_u32_e64 v7, s3, s9, v7, s3
	global_store_b16 v[6:7], v8, off
	s_or_b32 exec_lo, exec_lo, s5
	s_and_saveexec_b32 s5, s2
	s_cbranch_execnz .LBB145_53
	s_branch .LBB145_54
.LBB145_79:
	s_delay_alu instid0(VALU_DEP_1) | instskip(SKIP_1) | instid1(VALU_DEP_2)
	v_dual_mov_b32 v6, 0 :: v_dual_add_nc_u32 v5, v1, v0
	v_cvt_f16_f32_e32 v0, v39
	v_lshlrev_b64 v[5:6], 1, v[5:6]
	s_waitcnt lgkmcnt(0)
	s_delay_alu instid0(VALU_DEP_1) | instskip(NEXT) | instid1(VALU_DEP_2)
	v_add_co_u32 v5, vcc_lo, s8, v5
	v_add_co_ci_u32_e32 v6, vcc_lo, s9, v6, vcc_lo
	global_store_b16 v[5:6], v0, off
	s_or_b32 exec_lo, exec_lo, s3
	s_and_saveexec_b32 s3, s0
	s_cbranch_execz .LBB145_57
.LBB145_80:
	s_delay_alu instid0(VALU_DEP_1) | instskip(SKIP_1) | instid1(VALU_DEP_2)
	v_dual_mov_b32 v6, 0 :: v_dual_add_nc_u32 v5, v1, v2
	v_cvt_f16_f32_e32 v0, v38
	v_lshlrev_b64 v[5:6], 1, v[5:6]
	s_waitcnt lgkmcnt(0)
	s_delay_alu instid0(VALU_DEP_1) | instskip(NEXT) | instid1(VALU_DEP_2)
	v_add_co_u32 v5, vcc_lo, s8, v5
	v_add_co_ci_u32_e32 v6, vcc_lo, s9, v6, vcc_lo
	global_store_b16 v[5:6], v0, off
	s_or_b32 exec_lo, exec_lo, s3
	s_and_saveexec_b32 s0, s1
	s_cbranch_execz .LBB145_58
.LBB145_81:
	v_dual_mov_b32 v3, 0 :: v_dual_add_nc_u32 v2, v1, v3
	v_cvt_f16_f32_e32 v0, v37
	s_delay_alu instid0(VALU_DEP_2) | instskip(SKIP_1) | instid1(VALU_DEP_1)
	v_lshlrev_b64 v[2:3], 1, v[2:3]
	s_waitcnt lgkmcnt(0)
	v_add_co_u32 v2, vcc_lo, s8, v2
	s_delay_alu instid0(VALU_DEP_2) | instskip(SKIP_2) | instid1(SALU_CYCLE_1)
	v_add_co_ci_u32_e32 v3, vcc_lo, s9, v3, vcc_lo
	global_store_b16 v[2:3], v0, off
	s_or_b32 exec_lo, exec_lo, s0
	s_and_b32 exec_lo, exec_lo, s2
	s_cbranch_execnz .LBB145_59
	s_branch .LBB145_60
	.section	.rodata,"a",@progbits
	.p2align	6, 0x0
	.amdhsa_kernel _ZL12mul_mat_q8_0IN3c104HalfELb0EEvPKvS3_PT_iiiii
		.amdhsa_group_segment_fixed_size 28224
		.amdhsa_private_segment_fixed_size 0
		.amdhsa_kernarg_size 44
		.amdhsa_user_sgpr_count 14
		.amdhsa_user_sgpr_dispatch_ptr 0
		.amdhsa_user_sgpr_queue_ptr 0
		.amdhsa_user_sgpr_kernarg_segment_ptr 1
		.amdhsa_user_sgpr_dispatch_id 0
		.amdhsa_user_sgpr_private_segment_size 0
		.amdhsa_wavefront_size32 1
		.amdhsa_uses_dynamic_stack 0
		.amdhsa_enable_private_segment 0
		.amdhsa_system_sgpr_workgroup_id_x 1
		.amdhsa_system_sgpr_workgroup_id_y 1
		.amdhsa_system_sgpr_workgroup_id_z 0
		.amdhsa_system_sgpr_workgroup_info 0
		.amdhsa_system_vgpr_workitem_id 1
		.amdhsa_next_free_vgpr 156
		.amdhsa_next_free_sgpr 16
		.amdhsa_reserve_vcc 1
		.amdhsa_float_round_mode_32 0
		.amdhsa_float_round_mode_16_64 0
		.amdhsa_float_denorm_mode_32 3
		.amdhsa_float_denorm_mode_16_64 3
		.amdhsa_dx10_clamp 1
		.amdhsa_ieee_mode 1
		.amdhsa_fp16_overflow 0
		.amdhsa_workgroup_processor_mode 1
		.amdhsa_memory_ordered 1
		.amdhsa_forward_progress 0
		.amdhsa_shared_vgpr_count 0
		.amdhsa_exception_fp_ieee_invalid_op 0
		.amdhsa_exception_fp_denorm_src 0
		.amdhsa_exception_fp_ieee_div_zero 0
		.amdhsa_exception_fp_ieee_overflow 0
		.amdhsa_exception_fp_ieee_underflow 0
		.amdhsa_exception_fp_ieee_inexact 0
		.amdhsa_exception_int_div_zero 0
	.end_amdhsa_kernel
	.section	.text._ZL12mul_mat_q8_0IN3c104HalfELb0EEvPKvS3_PT_iiiii,"axG",@progbits,_ZL12mul_mat_q8_0IN3c104HalfELb0EEvPKvS3_PT_iiiii,comdat
.Lfunc_end145:
	.size	_ZL12mul_mat_q8_0IN3c104HalfELb0EEvPKvS3_PT_iiiii, .Lfunc_end145-_ZL12mul_mat_q8_0IN3c104HalfELb0EEvPKvS3_PT_iiiii
                                        ; -- End function
	.section	.AMDGPU.csdata,"",@progbits
; Kernel info:
; codeLenInByte = 8584
; NumSgprs: 18
; NumVgprs: 156
; ScratchSize: 0
; MemoryBound: 0
; FloatMode: 240
; IeeeMode: 1
; LDSByteSize: 28224 bytes/workgroup (compile time only)
; SGPRBlocks: 2
; VGPRBlocks: 19
; NumSGPRsForWavesPerEU: 18
; NumVGPRsForWavesPerEU: 156
; Occupancy: 8
; WaveLimiterHint : 0
; COMPUTE_PGM_RSRC2:SCRATCH_EN: 0
; COMPUTE_PGM_RSRC2:USER_SGPR: 14
; COMPUTE_PGM_RSRC2:TRAP_HANDLER: 0
; COMPUTE_PGM_RSRC2:TGID_X_EN: 1
; COMPUTE_PGM_RSRC2:TGID_Y_EN: 1
; COMPUTE_PGM_RSRC2:TGID_Z_EN: 0
; COMPUTE_PGM_RSRC2:TIDIG_COMP_CNT: 1
	.section	.text._ZL12mul_mat_q8_0IN3c104HalfELb1EEvPKvS3_PT_iiiii,"axG",@progbits,_ZL12mul_mat_q8_0IN3c104HalfELb1EEvPKvS3_PT_iiiii,comdat
	.globl	_ZL12mul_mat_q8_0IN3c104HalfELb1EEvPKvS3_PT_iiiii ; -- Begin function _ZL12mul_mat_q8_0IN3c104HalfELb1EEvPKvS3_PT_iiiii
	.p2align	8
	.type	_ZL12mul_mat_q8_0IN3c104HalfELb1EEvPKvS3_PT_iiiii,@function
_ZL12mul_mat_q8_0IN3c104HalfELb1EEvPKvS3_PT_iiiii: ; @_ZL12mul_mat_q8_0IN3c104HalfELb1EEvPKvS3_PT_iiiii
; %bb.0:
	s_clause 0x1
	s_load_b128 s[4:7], s[0:1], 0x18
	s_load_b32 s10, s[0:1], 0x28
	v_bfe_u32 v66, v0, 10, 10
	v_and_b32_e32 v67, 0x3ff, v0
	s_lshl_b32 s11, s15, 6
	s_waitcnt lgkmcnt(0)
	s_cmp_gt_i32 s4, 31
	s_cbranch_scc1 .LBB146_2
; %bb.1:
	v_bfe_u32 v1, v0, 10, 10
	v_and_b32_e32 v0, 0x3ff, v0
	s_mov_b32 s2, 0
	s_mov_b32 s3, 0
	s_delay_alu instid0(VALU_DEP_2)
	v_add_nc_u32_e32 v75, s11, v1
	s_branch .LBB146_3
.LBB146_2:
	s_mov_b32 s2, -1
                                        ; implicit-def: $sgpr3
                                        ; implicit-def: $vgpr1
                                        ; implicit-def: $vgpr0
                                        ; implicit-def: $vgpr75
.LBB146_3:
	s_load_b64 s[8:9], s[0:1], 0x10
	v_dual_mov_b32 v52, s3 :: v_dual_mov_b32 v71, s3
	v_dual_mov_b32 v56, s3 :: v_dual_mov_b32 v77, s3
	;; [unrolled: 1-line block ×15, first 2 shown]
	v_mov_b32_e32 v74, s3
	v_mov_b32_e32 v92, s3
	s_and_not1_b32 vcc_lo, exec_lo, s2
	s_lshl_b32 s12, s14, 7
	s_cbranch_vccnz .LBB146_9
; %bb.4:
	s_load_b128 s[0:3], s[0:1], 0x0
	s_ashr_i32 s13, s4, 31
	s_ashr_i32 s14, s7, 31
	s_lshr_b32 s13, s13, 27
	v_dual_mov_b32 v92, 0 :: v_dual_add_nc_u32 v33, 8, v66
	s_add_i32 s4, s4, s13
	s_lshr_b32 s13, s14, 27
	s_ashr_i32 s4, s4, 5
	s_add_i32 s7, s7, s13
	s_mul_i32 s13, s4, s12
	s_ashr_i32 s7, s7, 5
	s_mul_i32 s14, s13, 34
	s_mul_hi_i32 s13, s13, 34
	v_dual_mov_b32 v87, 0 :: v_dual_add_nc_u32 v34, 16, v66
	v_dual_mov_b32 v74, 0 :: v_dual_add_nc_u32 v35, 24, v66
	;; [unrolled: 1-line block ×3, first 2 shown]
	s_waitcnt lgkmcnt(0)
	s_add_u32 s0, s0, s14
	s_addc_u32 s1, s1, s13
	s_not_b32 s13, s12
	v_dual_mov_b32 v69, 0 :: v_dual_lshlrev_b32 v18, 2, v67
	s_add_i32 s5, s13, s5
	v_dual_mov_b32 v90, 0 :: v_dual_add_nc_u32 v37, 40, v66
	v_min_i32_e32 v2, s5, v66
	v_min_i32_e32 v3, s5, v33
	;; [unrolled: 1-line block ×5, first 2 shown]
	v_mad_u64_u32 v[0:1], null, 0x84, v2, v[18:19]
	v_min_i32_e32 v7, s5, v37
	v_mul_lo_u32 v80, v2, s4
	v_mad_u64_u32 v[1:2], null, 0x84, v3, v[18:19]
	v_dual_mov_b32 v59, 0 :: v_dual_add_nc_u32 v38, 48, v66
	v_dual_mov_b32 v84, 0 :: v_dual_add_nc_u32 v75, s11, v66
	v_mul_lo_u32 v81, v3, s4
	v_mad_u64_u32 v[2:3], null, 0x84, v4, v[18:19]
	v_mul_lo_u32 v82, v4, s4
	v_mad_u64_u32 v[3:4], null, 0x84, v5, v[18:19]
	;; [unrolled: 2-line block ×4, first 2 shown]
	v_min_i32_e32 v8, s5, v38
	v_dual_mov_b32 v55, 0 :: v_dual_add_nc_u32 v6, 8, v75
	v_dual_mov_b32 v62, 0 :: v_dual_add_nc_u32 v9, 16, v75
	v_mul_lo_u32 v86, v7, s4
	s_delay_alu instid0(VALU_DEP_3) | instskip(SKIP_1) | instid1(VALU_DEP_4)
	v_cvt_f64_u32_e32 v[16:17], v6
	v_mad_u64_u32 v[6:7], null, 0x84, v8, v[18:19]
	v_cvt_f64_u32_e32 v[19:20], v9
	s_add_i32 s13, s6, -1
	v_dual_mov_b32 v97, 0 :: v_dual_add_nc_u32 v10, 24, v75
	v_cvt_f64_i32_e32 v[14:15], s13
	v_dual_mov_b32 v58, 0 :: v_dual_add_nc_u32 v7, 32, v75
	s_delay_alu instid0(VALU_DEP_3)
	v_cvt_f64_u32_e32 v[21:22], v10
	v_dual_mov_b32 v89, 0 :: v_dual_add_nc_u32 v10, 40, v75
	v_dual_mov_b32 v54, 0 :: v_dual_add_nc_u32 v11, 48, v75
	;; [unrolled: 1-line block ×3, first 2 shown]
	v_mul_lo_u32 v91, v8, s4
	v_dual_mov_b32 v73, 0 :: v_dual_add_nc_u32 v8, 64, v66
	v_cvt_f64_u32_e32 v[23:24], v7
	v_cvt_f64_u32_e32 v[25:26], v10
	;; [unrolled: 1-line block ×3, first 2 shown]
	v_dual_mov_b32 v65, 0 :: v_dual_add_nc_u32 v10, 0x48, v66
	v_dual_mov_b32 v94, 0 :: v_dual_add_nc_u32 v11, 56, v75
	;; [unrolled: 1-line block ×3, first 2 shown]
	v_min_i32_e32 v9, s5, v39
	v_min_i32_e32 v31, s5, v8
	s_delay_alu instid0(VALU_DEP_4)
	v_cvt_f64_u32_e32 v[29:30], v11
	v_min_i32_e32 v11, s5, v10
	v_min_i32_e32 v32, s5, v32
	v_cvt_f64_u32_e32 v[12:13], v75
	v_mul_lo_u32 v95, v9, s4
	v_mul_lo_u32 v96, v31, s4
	v_mul_lo_u32 v98, v11, s4
	v_lshrrev_b32_e32 v42, 2, v67
	v_mov_b32_e32 v78, 0
	v_mul_lo_u32 v99, v32, s4
	v_mad_u64_u32 v[7:8], null, 0x84, v9, v[18:19]
	v_mad_u64_u32 v[8:9], null, 0x84, v31, v[18:19]
	;; [unrolled: 1-line block ×4, first 2 shown]
	v_min_f64 v[19:20], v[19:20], v[14:15]
	v_min_f64 v[21:22], v[21:22], v[14:15]
	v_add_nc_u32_e32 v31, 0x58, v66
	v_min_f64 v[16:17], v[16:17], v[14:15]
	v_dual_mov_b32 v72, 0 :: v_dual_add_nc_u32 v41, 0x60, v66
	v_mov_b32_e32 v88, 0
	s_delay_alu instid0(VALU_DEP_4) | instskip(SKIP_3) | instid1(VALU_DEP_4)
	v_min_i32_e32 v40, s5, v31
	v_dual_mov_b32 v64, 0 :: v_dual_add_nc_u32 v43, 0x70, v66
	v_min_f64 v[23:24], v[23:24], v[14:15]
	v_min_f64 v[25:26], v[25:26], v[14:15]
	v_mul_lo_u32 v100, v40, s4
	v_min_i32_e32 v41, s5, v41
	v_min_f64 v[27:28], v[27:28], v[14:15]
	v_mov_b32_e32 v60, 0
	v_min_i32_e32 v43, s5, v43
	v_dual_mov_b32 v70, 0 :: v_dual_and_b32 v79, 28, v18
	v_mul_lo_u32 v101, v41, s4
	v_min_f64 v[29:30], v[29:30], v[14:15]
	s_delay_alu instid0(VALU_DEP_4)
	v_mul_lo_u32 v103, v43, s4
	v_lshrrev_b32_e32 v76, 3, v67
	v_min_f64 v[31:32], v[12:13], v[14:15]
	v_add_nc_u32_e32 v13, 0x68, v66
	v_mov_b32_e32 v57, 0
	v_mul_u32_u24_e32 v124, 0x84, v67
	v_lshl_add_u32 v130, v66, 4, 0x6a40
	v_dual_mov_b32 v71, 0 :: v_dual_mov_b32 v56, 0
	v_dual_mov_b32 v52, 0 :: v_dual_mov_b32 v93, 0
	v_mov_b32_e32 v77, 0
	v_mov_b32_e32 v53, 0
	v_mad_u64_u32 v[11:12], null, 0x84, v40, v[18:19]
	v_lshl_add_u32 v40, v66, 3, v42
	v_min_i32_e32 v42, s5, v13
	v_mad_u64_u32 v[12:13], null, 0x84, v41, v[18:19]
	v_cvt_i32_f64_e32 v21, v[21:22]
	s_delay_alu instid0(VALU_DEP_4)
	v_min_i32_e32 v44, s5, v40
	v_add_nc_u32_e32 v41, 64, v40
	v_mul_lo_u32 v102, v42, s4
	v_cvt_i32_f64_e32 v22, v[23:24]
	v_cvt_i32_f64_e32 v24, v[25:26]
	v_ashrrev_i32_e32 v13, 31, v44
	v_min_i32_e32 v41, s5, v41
	v_cvt_i32_f64_e32 v25, v[27:28]
	v_cvt_i32_f64_e32 v47, v[19:20]
	v_lshlrev_b32_e32 v26, 4, v44
	v_lshrrev_b32_e32 v15, 29, v13
	v_ashrrev_i32_e32 v46, 31, v41
	v_mad_u64_u32 v[13:14], null, 0x84, v42, v[18:19]
	v_add_nc_u32_e32 v42, 0x78, v66
	s_delay_alu instid0(VALU_DEP_4) | instskip(SKIP_2) | instid1(VALU_DEP_4)
	v_add_nc_u32_e32 v45, v44, v15
	v_mad_u64_u32 v[14:15], null, 0x84, v43, v[18:19]
	v_cvt_i32_f64_e32 v31, v[31:32]
	v_min_i32_e32 v42, s5, v42
	s_delay_alu instid0(VALU_DEP_4)
	v_ashrrev_i32_e32 v43, 3, v45
	v_lshrrev_b32_e32 v45, 29, v46
	v_and_b32_e32 v15, 3, v67
	v_cvt_i32_f64_e32 v28, v[29:30]
	v_mul_lo_u32 v106, v41, s4
	v_lshlrev_b32_e32 v32, 2, v43
	v_add_nc_u32_e32 v45, v41, v45
	v_cvt_i32_f64_e32 v43, v[16:17]
	v_mad_u64_u32 v[16:17], null, 0x84, v42, v[18:19]
	v_and_b32_e32 v18, 63, v40
	s_delay_alu instid0(VALU_DEP_4)
	v_ashrrev_i32_e32 v17, 3, v45
	v_lshlrev_b32_e32 v46, 2, v15
	v_lshlrev_b32_e32 v29, 4, v41
	;; [unrolled: 1-line block ×3, first 2 shown]
	v_or_b32_e32 v19, s11, v18
	v_lshlrev_b32_e32 v17, 2, v17
	v_mul_lo_u32 v114, s7, v21
	v_mul_lo_u32 v104, v42, s4
	v_add3_u32 v23, v32, v46, 0x6200
	v_min_i32_e32 v30, s13, v19
	v_add3_u32 v27, v17, v46, 0x6200
	v_and_b32_e32 v17, 31, v67
	v_mul_lo_u32 v116, s7, v22
	v_mul_lo_u32 v118, s7, v24
	v_mad_u64_u32 v[19:20], null, v30, s7, v[15:16]
	s_delay_alu instid0(VALU_DEP_4)
	v_lshlrev_b32_e32 v40, 2, v17
	v_add_nc_u32_e32 v24, 32, v67
	v_lshl_or_b32 v32, v18, 4, v46
	v_mul_lo_u32 v120, s7, v25
	v_lshlrev_b32_e32 v25, 2, v76
	v_lshl_or_b32 v20, v33, 7, v40
	v_lshl_or_b32 v21, v36, 7, v40
	;; [unrolled: 1-line block ×3, first 2 shown]
	v_or_b32_e32 v42, v41, v40
	v_lshl_or_b32 v30, v34, 7, v40
	v_add_nc_u32_e32 v111, 0x4200, v20
	v_lshl_or_b32 v20, v35, 7, v40
	v_add_nc_u32_e32 v117, 0x4200, v21
	v_add_nc_u32_e32 v121, 0x4200, v22
	;; [unrolled: 1-line block ×5, first 2 shown]
	v_lshl_or_b32 v20, v37, 7, v40
	v_mul_lo_u32 v105, v44, s4
	v_mul_lo_u32 v108, s7, v31
	;; [unrolled: 1-line block ×4, first 2 shown]
	v_add_nc_u32_e32 v119, 0x4200, v20
	v_lshl_or_b32 v20, v39, 7, v40
	v_mul_lo_u32 v122, s7, v28
	v_add_co_u32 v17, s5, s2, v79
	s_delay_alu instid0(VALU_DEP_1) | instskip(NEXT) | instid1(VALU_DEP_4)
	v_add_co_ci_u32_e64 v18, null, s3, 0, s5
	v_add_nc_u32_e32 v123, 0x4200, v20
	v_lshrrev_b32_e32 v20, 1, v21
	v_lshrrev_b32_e32 v21, 1, v22
	;; [unrolled: 1-line block ×3, first 2 shown]
	v_lshlrev_b32_e32 v24, 4, v67
	v_add_nc_u32_e32 v107, 0x6a40, v32
	v_and_b32_e32 v20, 0xfc, v20
	v_and_b32_e32 v21, 0xfc, v21
	;; [unrolled: 1-line block ×3, first 2 shown]
	v_add_nc_u32_e32 v109, 0x4200, v42
	v_add_nc_u32_e32 v113, 0x4200, v30
	v_add_nc_u32_e32 v125, 0x4200, v41
	v_add3_u32 v126, v24, v20, 0x6800
	v_add3_u32 v127, v24, v21, 0x6600
	;; [unrolled: 1-line block ×4, first 2 shown]
	v_add_nc_u32_e32 v131, v23, v26
	v_add_nc_u32_e32 v132, v27, v29
	s_mov_b32 s5, 0
.LBB146_5:                              ; =>This Loop Header: Depth=1
                                        ;     Child Loop BB146_6 Depth 2
	s_delay_alu instid0(SALU_CYCLE_1)
	s_mul_i32 s7, s5, 34
	s_mul_hi_u32 s13, s5, 34
	s_add_u32 s14, s0, s7
	s_addc_u32 s15, s1, s13
	v_dual_mov_b32 v133, v130 :: v_dual_add_nc_u32 v50, s5, v19
	v_mad_u64_u32 v[20:21], null, v76, 34, s[14:15]
	v_dual_mov_b32 v134, v129 :: v_dual_add_nc_u32 v51, s5, v76
	v_mov_b32_e32 v136, v127
	v_mov_b32_e32 v138, v125
	s_mov_b32 s7, -8
	v_mov_b32_e32 v135, v128
	v_add_co_u32 v20, vcc_lo, v20, v79
	v_add_co_ci_u32_e32 v21, vcc_lo, 0, v21, vcc_lo
	v_mov_b32_e32 v139, v124
	s_delay_alu instid0(VALU_DEP_3) | instskip(NEXT) | instid1(VALU_DEP_3)
	v_add_co_u32 v20, vcc_lo, v20, 2
	v_add_co_ci_u32_e32 v21, vcc_lo, 0, v21, vcc_lo
	v_mov_b32_e32 v137, v126
	s_delay_alu instid0(VALU_DEP_2)
	v_mad_i64_i32 v[22:23], null, v80, 34, v[20:21]
	v_mad_i64_i32 v[24:25], null, v81, 34, v[20:21]
	;; [unrolled: 1-line block ×8, first 2 shown]
	s_clause 0x7
	global_load_b32 v42, v[22:23], off
	global_load_b32 v43, v[24:25], off
	;; [unrolled: 1-line block ×8, first 2 shown]
	v_mad_u64_u32 v[32:33], null, v15, 34, s[14:15]
	v_mad_i64_i32 v[22:23], null, v96, 34, v[20:21]
	v_mad_i64_i32 v[24:25], null, v98, 34, v[20:21]
	v_mad_i64_i32 v[26:27], null, v99, 34, v[20:21]
	v_mad_i64_i32 v[28:29], null, v100, 34, v[20:21]
	v_mad_i64_i32 v[30:31], null, v101, 34, v[20:21]
	v_mad_i64_i32 v[34:35], null, v102, 34, v[20:21]
	v_mad_i64_i32 v[36:37], null, v103, 34, v[20:21]
	v_mad_i64_i32 v[38:39], null, v104, 34, v[20:21]
	v_mad_i64_i32 v[20:21], null, v105, 34, v[32:33]
	v_mad_i64_i32 v[40:41], null, v106, 34, v[32:33]
	v_mad_u64_u32 v[32:33], null, v50, 36, s[2:3]
	s_clause 0x9
	global_load_b32 v50, v[22:23], off
	global_load_b32 v140, v[24:25], off
	;; [unrolled: 1-line block ×8, first 2 shown]
	global_load_u16 v38, v[20:21], off
	global_load_u16 v39, v[40:41], off
	v_add_nc_u32_e32 v22, v51, v110
	v_add_nc_u32_e32 v24, v51, v112
	;; [unrolled: 1-line block ×5, first 2 shown]
	global_load_b32 v41, v[32:33], off
	v_mad_i64_i32 v[20:21], null, v22, 36, v[17:18]
	v_add_nc_u32_e32 v32, v51, v120
	v_mad_i64_i32 v[22:23], null, v24, 36, v[17:18]
	v_add_nc_u32_e32 v34, v51, v122
	v_add_nc_u32_e32 v40, v51, v108
	v_mad_i64_i32 v[24:25], null, v26, 36, v[17:18]
	v_mad_i64_i32 v[26:27], null, v28, 36, v[17:18]
	;; [unrolled: 1-line block ×6, first 2 shown]
	s_clause 0x7
	global_load_b32 v20, v[20:21], off offset:4
	global_load_b32 v21, v[22:23], off offset:4
	;; [unrolled: 1-line block ×8, first 2 shown]
	s_waitcnt vmcnt(10)
	v_cvt_f32_f16_e32 v29, v38
	s_waitcnt vmcnt(9)
	v_cvt_f32_f16_e32 v30, v39
	;; [unrolled: 2-line block ×3, first 2 shown]
	ds_store_b32 v0, v42
	ds_store_b32 v1, v43
	;; [unrolled: 1-line block ×18, first 2 shown]
	s_waitcnt vmcnt(7)
	ds_store_b32 v111, v20
	s_waitcnt vmcnt(6)
	ds_store_b32 v113, v21
	;; [unrolled: 2-line block ×8, first 2 shown]
	ds_store_b32 v107, v28
	s_waitcnt lgkmcnt(0)
	s_barrier
	buffer_gl0_inv
.LBB146_6:                              ;   Parent Loop BB146_5 Depth=1
                                        ; =>  This Inner Loop Header: Depth=2
	ds_load_2addr_b32 v[151:152], v133 offset1:32
	ds_load_b128 v[46:49], v138
	ds_load_b128 v[144:147], v138 offset:16
	ds_load_b32 v140, v134
	ds_load_2addr_b32 v[20:21], v139 offset1:1
	v_add_nc_u32_e32 v35, 0x1098, v139
	s_add_i32 s7, s7, 8
	v_add_nc_u32_e32 v134, 4, v134
	s_cmp_lt_u32 s7, 24
	s_waitcnt lgkmcnt(1)
	v_mul_f32_e32 v29, v151, v140
	s_waitcnt lgkmcnt(0)
	v_dot4_i32_iu8 v22, v20, v46, 0 neg_lo:[1,1,0]
	v_mul_f32_e32 v154, v140, v152
	s_delay_alu instid0(VALU_DEP_2) | instskip(SKIP_3) | instid1(VALU_DEP_1)
	v_dot4_i32_iu8 v24, v21, v47, v22 neg_lo:[1,1,0]
	ds_load_2addr_b32 v[22:23], v139 offset0:2 offset1:3
	s_waitcnt lgkmcnt(0)
	v_dot4_i32_iu8 v24, v22, v48, v24 neg_lo:[1,1,0]
	v_dot4_i32_iu8 v26, v23, v49, v24 neg_lo:[1,1,0]
	ds_load_2addr_b32 v[24:25], v139 offset0:4 offset1:5
	s_waitcnt lgkmcnt(0)
	v_dot4_i32_iu8 v26, v24, v144, v26 neg_lo:[1,1,0]
	s_delay_alu instid0(VALU_DEP_1) | instskip(SKIP_3) | instid1(VALU_DEP_1)
	v_dot4_i32_iu8 v28, v25, v145, v26 neg_lo:[1,1,0]
	ds_load_2addr_b32 v[26:27], v139 offset0:6 offset1:7
	s_waitcnt lgkmcnt(0)
	v_dot4_i32_iu8 v28, v26, v146, v28 neg_lo:[1,1,0]
	v_dot4_i32_iu8 v28, v27, v147, v28 neg_lo:[1,1,0]
	s_delay_alu instid0(VALU_DEP_1) | instskip(NEXT) | instid1(VALU_DEP_1)
	v_cvt_f32_i32_e32 v28, v28
	v_dual_fmac_f32 v69, v29, v28 :: v_dual_add_nc_u32 v28, 0x1080, v139
	ds_load_b32 v141, v135
	ds_load_2addr_b32 v[28:29], v28 offset1:1
	ds_load_2addr_b32 v[36:37], v35 offset1:1
	v_add_nc_u32_e32 v135, 4, v135
	s_waitcnt lgkmcnt(2)
	v_mul_f32_e32 v35, v151, v141
	s_waitcnt lgkmcnt(1)
	v_dot4_i32_iu8 v30, v28, v46, 0 neg_lo:[1,1,0]
	s_delay_alu instid0(VALU_DEP_1) | instskip(SKIP_4) | instid1(VALU_DEP_1)
	v_dot4_i32_iu8 v32, v29, v47, v30 neg_lo:[1,1,0]
	v_add_nc_u32_e32 v30, 0x1088, v139
	ds_load_2addr_b32 v[30:31], v30 offset1:1
	s_waitcnt lgkmcnt(0)
	v_dot4_i32_iu8 v32, v30, v48, v32 neg_lo:[1,1,0]
	v_dot4_i32_iu8 v34, v31, v49, v32 neg_lo:[1,1,0]
	v_add_nc_u32_e32 v32, 0x1090, v139
	ds_load_2addr_b32 v[32:33], v32 offset1:1
	s_waitcnt lgkmcnt(0)
	v_dot4_i32_iu8 v34, v32, v144, v34 neg_lo:[1,1,0]
	s_delay_alu instid0(VALU_DEP_1) | instskip(NEXT) | instid1(VALU_DEP_1)
	v_dot4_i32_iu8 v34, v33, v145, v34 neg_lo:[1,1,0]
	v_dot4_i32_iu8 v34, v36, v146, v34 neg_lo:[1,1,0]
	s_delay_alu instid0(VALU_DEP_1) | instskip(NEXT) | instid1(VALU_DEP_1)
	v_dot4_i32_iu8 v34, v37, v147, v34 neg_lo:[1,1,0]
	v_cvt_f32_i32_e32 v34, v34
	s_delay_alu instid0(VALU_DEP_1)
	v_dual_fmac_f32 v97, v35, v34 :: v_dual_add_nc_u32 v34, 0x2100, v139
	ds_load_b32 v142, v136
	ds_load_2addr_b32 v[34:35], v34 offset1:1
	s_waitcnt lgkmcnt(1)
	v_dual_mul_f32 v45, v151, v142 :: v_dual_add_nc_u32 v136, 4, v136
	s_waitcnt lgkmcnt(0)
	v_dot4_i32_iu8 v38, v34, v46, 0 neg_lo:[1,1,0]
	s_delay_alu instid0(VALU_DEP_1) | instskip(SKIP_4) | instid1(VALU_DEP_1)
	v_dot4_i32_iu8 v40, v35, v47, v38 neg_lo:[1,1,0]
	v_add_nc_u32_e32 v38, 0x2108, v139
	ds_load_2addr_b32 v[38:39], v38 offset1:1
	s_waitcnt lgkmcnt(0)
	v_dot4_i32_iu8 v40, v38, v48, v40 neg_lo:[1,1,0]
	v_dot4_i32_iu8 v42, v39, v49, v40 neg_lo:[1,1,0]
	v_add_nc_u32_e32 v40, 0x2110, v139
	ds_load_2addr_b32 v[40:41], v40 offset1:1
	s_waitcnt lgkmcnt(0)
	v_dot4_i32_iu8 v42, v40, v144, v42 neg_lo:[1,1,0]
	s_delay_alu instid0(VALU_DEP_1) | instskip(SKIP_4) | instid1(VALU_DEP_1)
	v_dot4_i32_iu8 v44, v41, v145, v42 neg_lo:[1,1,0]
	v_add_nc_u32_e32 v42, 0x2118, v139
	ds_load_2addr_b32 v[42:43], v42 offset1:1
	s_waitcnt lgkmcnt(0)
	v_dot4_i32_iu8 v44, v42, v146, v44 neg_lo:[1,1,0]
	v_dot4_i32_iu8 v44, v43, v147, v44 neg_lo:[1,1,0]
	s_delay_alu instid0(VALU_DEP_1) | instskip(NEXT) | instid1(VALU_DEP_1)
	v_cvt_f32_i32_e32 v44, v44
	v_fmac_f32_e32 v94, v45, v44
	v_add_nc_u32_e32 v44, 0x3180, v139
	ds_load_b32 v143, v137
	ds_load_2addr_b32 v[44:45], v44 offset1:1
	v_add_nc_u32_e32 v137, 4, v137
	s_waitcnt lgkmcnt(0)
	v_dot4_i32_iu8 v46, v44, v46, 0 neg_lo:[1,1,0]
	s_delay_alu instid0(VALU_DEP_1) | instskip(SKIP_4) | instid1(VALU_DEP_1)
	v_dot4_i32_iu8 v50, v45, v47, v46 neg_lo:[1,1,0]
	v_add_nc_u32_e32 v46, 0x3188, v139
	ds_load_2addr_b32 v[46:47], v46 offset1:1
	s_waitcnt lgkmcnt(0)
	v_dot4_i32_iu8 v48, v46, v48, v50 neg_lo:[1,1,0]
	v_dot4_i32_iu8 v50, v47, v49, v48 neg_lo:[1,1,0]
	v_add_nc_u32_e32 v48, 0x3190, v139
	ds_load_2addr_b32 v[48:49], v48 offset1:1
	s_waitcnt lgkmcnt(0)
	v_dot4_i32_iu8 v50, v48, v144, v50 neg_lo:[1,1,0]
	s_delay_alu instid0(VALU_DEP_1)
	v_dot4_i32_iu8 v144, v49, v145, v50 neg_lo:[1,1,0]
	v_add_nc_u32_e32 v50, 0x3198, v139
	v_mul_f32_e32 v145, v151, v143
	v_add_nc_u32_e32 v139, 32, v139
	ds_load_2addr_b32 v[50:51], v50 offset1:1
	s_waitcnt lgkmcnt(0)
	v_dot4_i32_iu8 v144, v50, v146, v144 neg_lo:[1,1,0]
	s_delay_alu instid0(VALU_DEP_1) | instskip(NEXT) | instid1(VALU_DEP_1)
	v_dot4_i32_iu8 v144, v51, v147, v144 neg_lo:[1,1,0]
	v_cvt_f32_i32_e32 v144, v144
	s_delay_alu instid0(VALU_DEP_1) | instskip(SKIP_4) | instid1(VALU_DEP_1)
	v_fmac_f32_e32 v93, v145, v144
	ds_load_b128 v[144:147], v138 offset:1024
	ds_load_b128 v[148:151], v138 offset:1040
	s_waitcnt lgkmcnt(1)
	v_dot4_i32_iu8 v153, v144, v20, 0 neg_lo:[1,1,0]
	v_dot4_i32_iu8 v153, v145, v21, v153 neg_lo:[1,1,0]
	s_delay_alu instid0(VALU_DEP_1) | instskip(NEXT) | instid1(VALU_DEP_1)
	v_dot4_i32_iu8 v153, v146, v22, v153 neg_lo:[1,1,0]
	v_dot4_i32_iu8 v153, v147, v23, v153 neg_lo:[1,1,0]
	s_waitcnt lgkmcnt(0)
	s_delay_alu instid0(VALU_DEP_1) | instskip(NEXT) | instid1(VALU_DEP_1)
	v_dot4_i32_iu8 v153, v148, v24, v153 neg_lo:[1,1,0]
	v_dot4_i32_iu8 v153, v149, v25, v153 neg_lo:[1,1,0]
	s_delay_alu instid0(VALU_DEP_1) | instskip(NEXT) | instid1(VALU_DEP_1)
	v_dot4_i32_iu8 v153, v150, v26, v153 neg_lo:[1,1,0]
	v_dot4_i32_iu8 v153, v151, v27, v153 neg_lo:[1,1,0]
	s_delay_alu instid0(VALU_DEP_1) | instskip(NEXT) | instid1(VALU_DEP_1)
	v_cvt_f32_i32_e32 v153, v153
	v_fmac_f32_e32 v92, v154, v153
	v_dot4_i32_iu8 v153, v144, v28, 0 neg_lo:[1,1,0]
	v_mul_f32_e32 v154, v141, v152
	s_delay_alu instid0(VALU_DEP_2) | instskip(NEXT) | instid1(VALU_DEP_1)
	v_dot4_i32_iu8 v153, v145, v29, v153 neg_lo:[1,1,0]
	v_dot4_i32_iu8 v153, v146, v30, v153 neg_lo:[1,1,0]
	s_delay_alu instid0(VALU_DEP_1) | instskip(NEXT) | instid1(VALU_DEP_1)
	v_dot4_i32_iu8 v153, v147, v31, v153 neg_lo:[1,1,0]
	v_dot4_i32_iu8 v153, v148, v32, v153 neg_lo:[1,1,0]
	s_delay_alu instid0(VALU_DEP_1) | instskip(NEXT) | instid1(VALU_DEP_1)
	;; [unrolled: 3-line block ×3, first 2 shown]
	v_dot4_i32_iu8 v153, v151, v37, v153 neg_lo:[1,1,0]
	v_cvt_f32_i32_e32 v153, v153
	s_delay_alu instid0(VALU_DEP_1) | instskip(SKIP_3) | instid1(VALU_DEP_3)
	v_fmac_f32_e32 v90, v154, v153
	v_dot4_i32_iu8 v153, v144, v34, 0 neg_lo:[1,1,0]
	v_dot4_i32_iu8 v144, v144, v44, 0 neg_lo:[1,1,0]
	v_mul_f32_e32 v154, v142, v152
	v_dot4_i32_iu8 v153, v145, v35, v153 neg_lo:[1,1,0]
	s_delay_alu instid0(VALU_DEP_3) | instskip(SKIP_1) | instid1(VALU_DEP_3)
	v_dot4_i32_iu8 v144, v145, v45, v144 neg_lo:[1,1,0]
	v_mul_f32_e32 v145, v143, v152
	v_dot4_i32_iu8 v153, v146, v38, v153 neg_lo:[1,1,0]
	s_delay_alu instid0(VALU_DEP_3) | instskip(NEXT) | instid1(VALU_DEP_2)
	v_dot4_i32_iu8 v144, v146, v46, v144 neg_lo:[1,1,0]
	v_dot4_i32_iu8 v153, v147, v39, v153 neg_lo:[1,1,0]
	s_delay_alu instid0(VALU_DEP_2) | instskip(NEXT) | instid1(VALU_DEP_2)
	v_dot4_i32_iu8 v144, v147, v47, v144 neg_lo:[1,1,0]
	v_dot4_i32_iu8 v153, v148, v40, v153 neg_lo:[1,1,0]
	s_delay_alu instid0(VALU_DEP_2) | instskip(NEXT) | instid1(VALU_DEP_2)
	;; [unrolled: 3-line block ×5, first 2 shown]
	v_dot4_i32_iu8 v144, v151, v51, v144 neg_lo:[1,1,0]
	v_cvt_f32_i32_e32 v153, v153
	s_delay_alu instid0(VALU_DEP_2) | instskip(NEXT) | instid1(VALU_DEP_1)
	v_cvt_f32_i32_e32 v144, v144
	v_dual_fmac_f32 v89, v154, v153 :: v_dual_fmac_f32 v88, v145, v144
	ds_load_2addr_b32 v[152:153], v133 offset0:64 offset1:96
	ds_load_b128 v[144:147], v138 offset:2048
	ds_load_b128 v[148:151], v138 offset:2064
	s_waitcnt lgkmcnt(2)
	v_mul_f32_e32 v155, v140, v152
	s_waitcnt lgkmcnt(1)
	v_dot4_i32_iu8 v154, v144, v20, 0 neg_lo:[1,1,0]
	s_delay_alu instid0(VALU_DEP_1) | instskip(NEXT) | instid1(VALU_DEP_1)
	v_dot4_i32_iu8 v154, v145, v21, v154 neg_lo:[1,1,0]
	v_dot4_i32_iu8 v154, v146, v22, v154 neg_lo:[1,1,0]
	s_delay_alu instid0(VALU_DEP_1) | instskip(SKIP_1) | instid1(VALU_DEP_1)
	v_dot4_i32_iu8 v154, v147, v23, v154 neg_lo:[1,1,0]
	s_waitcnt lgkmcnt(0)
	v_dot4_i32_iu8 v154, v148, v24, v154 neg_lo:[1,1,0]
	s_delay_alu instid0(VALU_DEP_1) | instskip(NEXT) | instid1(VALU_DEP_1)
	v_dot4_i32_iu8 v154, v149, v25, v154 neg_lo:[1,1,0]
	v_dot4_i32_iu8 v154, v150, v26, v154 neg_lo:[1,1,0]
	s_delay_alu instid0(VALU_DEP_1) | instskip(NEXT) | instid1(VALU_DEP_1)
	v_dot4_i32_iu8 v154, v151, v27, v154 neg_lo:[1,1,0]
	v_cvt_f32_i32_e32 v154, v154
	s_delay_alu instid0(VALU_DEP_1) | instskip(SKIP_2) | instid1(VALU_DEP_2)
	v_fmac_f32_e32 v87, v155, v154
	v_dot4_i32_iu8 v154, v144, v28, 0 neg_lo:[1,1,0]
	v_mul_f32_e32 v155, v141, v152
	v_dot4_i32_iu8 v154, v145, v29, v154 neg_lo:[1,1,0]
	s_delay_alu instid0(VALU_DEP_1) | instskip(NEXT) | instid1(VALU_DEP_1)
	v_dot4_i32_iu8 v154, v146, v30, v154 neg_lo:[1,1,0]
	v_dot4_i32_iu8 v154, v147, v31, v154 neg_lo:[1,1,0]
	s_delay_alu instid0(VALU_DEP_1) | instskip(NEXT) | instid1(VALU_DEP_1)
	v_dot4_i32_iu8 v154, v148, v32, v154 neg_lo:[1,1,0]
	;; [unrolled: 3-line block ×3, first 2 shown]
	v_dot4_i32_iu8 v154, v151, v37, v154 neg_lo:[1,1,0]
	s_delay_alu instid0(VALU_DEP_1) | instskip(NEXT) | instid1(VALU_DEP_1)
	v_cvt_f32_i32_e32 v154, v154
	v_dual_fmac_f32 v84, v155, v154 :: v_dual_mul_f32 v155, v142, v152
	v_dot4_i32_iu8 v154, v144, v34, 0 neg_lo:[1,1,0]
	v_dot4_i32_iu8 v144, v144, v44, 0 neg_lo:[1,1,0]
	s_delay_alu instid0(VALU_DEP_2) | instskip(NEXT) | instid1(VALU_DEP_2)
	v_dot4_i32_iu8 v154, v145, v35, v154 neg_lo:[1,1,0]
	v_dot4_i32_iu8 v144, v145, v45, v144 neg_lo:[1,1,0]
	v_mul_f32_e32 v145, v143, v152
	s_delay_alu instid0(VALU_DEP_3) | instskip(NEXT) | instid1(VALU_DEP_3)
	v_dot4_i32_iu8 v154, v146, v38, v154 neg_lo:[1,1,0]
	v_dot4_i32_iu8 v144, v146, v46, v144 neg_lo:[1,1,0]
	s_delay_alu instid0(VALU_DEP_2) | instskip(NEXT) | instid1(VALU_DEP_2)
	v_dot4_i32_iu8 v154, v147, v39, v154 neg_lo:[1,1,0]
	v_dot4_i32_iu8 v144, v147, v47, v144 neg_lo:[1,1,0]
	s_delay_alu instid0(VALU_DEP_2) | instskip(NEXT) | instid1(VALU_DEP_2)
	;; [unrolled: 3-line block ×6, first 2 shown]
	v_cvt_f32_i32_e32 v154, v154
	v_cvt_f32_i32_e32 v144, v144
	s_delay_alu instid0(VALU_DEP_1)
	v_dual_fmac_f32 v78, v155, v154 :: v_dual_fmac_f32 v77, v145, v144
	ds_load_b128 v[144:147], v138 offset:3072
	ds_load_b128 v[148:151], v138 offset:3088
	v_mul_f32_e32 v154, v140, v153
	s_waitcnt lgkmcnt(1)
	v_dot4_i32_iu8 v152, v144, v20, 0 neg_lo:[1,1,0]
	s_delay_alu instid0(VALU_DEP_1) | instskip(NEXT) | instid1(VALU_DEP_1)
	v_dot4_i32_iu8 v152, v145, v21, v152 neg_lo:[1,1,0]
	v_dot4_i32_iu8 v152, v146, v22, v152 neg_lo:[1,1,0]
	s_delay_alu instid0(VALU_DEP_1) | instskip(SKIP_1) | instid1(VALU_DEP_1)
	v_dot4_i32_iu8 v152, v147, v23, v152 neg_lo:[1,1,0]
	s_waitcnt lgkmcnt(0)
	v_dot4_i32_iu8 v152, v148, v24, v152 neg_lo:[1,1,0]
	s_delay_alu instid0(VALU_DEP_1) | instskip(NEXT) | instid1(VALU_DEP_1)
	v_dot4_i32_iu8 v152, v149, v25, v152 neg_lo:[1,1,0]
	v_dot4_i32_iu8 v152, v150, v26, v152 neg_lo:[1,1,0]
	s_delay_alu instid0(VALU_DEP_1) | instskip(NEXT) | instid1(VALU_DEP_1)
	v_dot4_i32_iu8 v152, v151, v27, v152 neg_lo:[1,1,0]
	v_cvt_f32_i32_e32 v152, v152
	s_delay_alu instid0(VALU_DEP_1) | instskip(SKIP_2) | instid1(VALU_DEP_2)
	v_fmac_f32_e32 v74, v154, v152
	v_dot4_i32_iu8 v152, v144, v28, 0 neg_lo:[1,1,0]
	v_mul_f32_e32 v154, v141, v153
	v_dot4_i32_iu8 v152, v145, v29, v152 neg_lo:[1,1,0]
	s_delay_alu instid0(VALU_DEP_1) | instskip(NEXT) | instid1(VALU_DEP_1)
	v_dot4_i32_iu8 v152, v146, v30, v152 neg_lo:[1,1,0]
	v_dot4_i32_iu8 v152, v147, v31, v152 neg_lo:[1,1,0]
	s_delay_alu instid0(VALU_DEP_1) | instskip(NEXT) | instid1(VALU_DEP_1)
	v_dot4_i32_iu8 v152, v148, v32, v152 neg_lo:[1,1,0]
	;; [unrolled: 3-line block ×3, first 2 shown]
	v_dot4_i32_iu8 v152, v151, v37, v152 neg_lo:[1,1,0]
	s_delay_alu instid0(VALU_DEP_1) | instskip(NEXT) | instid1(VALU_DEP_1)
	v_cvt_f32_i32_e32 v152, v152
	v_fmac_f32_e32 v73, v154, v152
	v_dot4_i32_iu8 v152, v144, v34, 0 neg_lo:[1,1,0]
	v_dot4_i32_iu8 v144, v144, v44, 0 neg_lo:[1,1,0]
	v_mul_f32_e32 v154, v142, v153
	s_delay_alu instid0(VALU_DEP_3) | instskip(NEXT) | instid1(VALU_DEP_3)
	v_dot4_i32_iu8 v152, v145, v35, v152 neg_lo:[1,1,0]
	v_dot4_i32_iu8 v144, v145, v45, v144 neg_lo:[1,1,0]
	v_mul_f32_e32 v145, v143, v153
	s_delay_alu instid0(VALU_DEP_3) | instskip(NEXT) | instid1(VALU_DEP_3)
	v_dot4_i32_iu8 v152, v146, v38, v152 neg_lo:[1,1,0]
	v_dot4_i32_iu8 v144, v146, v46, v144 neg_lo:[1,1,0]
	s_delay_alu instid0(VALU_DEP_2) | instskip(NEXT) | instid1(VALU_DEP_2)
	v_dot4_i32_iu8 v152, v147, v39, v152 neg_lo:[1,1,0]
	v_dot4_i32_iu8 v144, v147, v47, v144 neg_lo:[1,1,0]
	s_delay_alu instid0(VALU_DEP_2) | instskip(NEXT) | instid1(VALU_DEP_2)
	;; [unrolled: 3-line block ×6, first 2 shown]
	v_cvt_f32_i32_e32 v152, v152
	v_cvt_f32_i32_e32 v144, v144
	s_delay_alu instid0(VALU_DEP_2) | instskip(NEXT) | instid1(VALU_DEP_2)
	v_fmac_f32_e32 v72, v154, v152
	v_fmac_f32_e32 v71, v145, v144
	ds_load_2addr_b32 v[152:153], v133 offset0:128 offset1:160
	ds_load_b128 v[144:147], v138 offset:4096
	ds_load_b128 v[148:151], v138 offset:4112
	s_waitcnt lgkmcnt(2)
	v_mul_f32_e32 v155, v140, v152
	s_waitcnt lgkmcnt(1)
	v_dot4_i32_iu8 v154, v144, v20, 0 neg_lo:[1,1,0]
	s_delay_alu instid0(VALU_DEP_1) | instskip(NEXT) | instid1(VALU_DEP_1)
	v_dot4_i32_iu8 v154, v145, v21, v154 neg_lo:[1,1,0]
	v_dot4_i32_iu8 v154, v146, v22, v154 neg_lo:[1,1,0]
	s_delay_alu instid0(VALU_DEP_1) | instskip(SKIP_1) | instid1(VALU_DEP_1)
	v_dot4_i32_iu8 v154, v147, v23, v154 neg_lo:[1,1,0]
	s_waitcnt lgkmcnt(0)
	v_dot4_i32_iu8 v154, v148, v24, v154 neg_lo:[1,1,0]
	s_delay_alu instid0(VALU_DEP_1) | instskip(NEXT) | instid1(VALU_DEP_1)
	v_dot4_i32_iu8 v154, v149, v25, v154 neg_lo:[1,1,0]
	v_dot4_i32_iu8 v154, v150, v26, v154 neg_lo:[1,1,0]
	s_delay_alu instid0(VALU_DEP_1) | instskip(NEXT) | instid1(VALU_DEP_1)
	v_dot4_i32_iu8 v154, v151, v27, v154 neg_lo:[1,1,0]
	v_cvt_f32_i32_e32 v154, v154
	s_delay_alu instid0(VALU_DEP_1) | instskip(SKIP_2) | instid1(VALU_DEP_2)
	v_fmac_f32_e32 v70, v155, v154
	v_dot4_i32_iu8 v154, v144, v28, 0 neg_lo:[1,1,0]
	v_mul_f32_e32 v155, v141, v152
	v_dot4_i32_iu8 v154, v145, v29, v154 neg_lo:[1,1,0]
	s_delay_alu instid0(VALU_DEP_1) | instskip(NEXT) | instid1(VALU_DEP_1)
	v_dot4_i32_iu8 v154, v146, v30, v154 neg_lo:[1,1,0]
	v_dot4_i32_iu8 v154, v147, v31, v154 neg_lo:[1,1,0]
	s_delay_alu instid0(VALU_DEP_1) | instskip(NEXT) | instid1(VALU_DEP_1)
	v_dot4_i32_iu8 v154, v148, v32, v154 neg_lo:[1,1,0]
	;; [unrolled: 3-line block ×3, first 2 shown]
	v_dot4_i32_iu8 v154, v151, v37, v154 neg_lo:[1,1,0]
	s_delay_alu instid0(VALU_DEP_1) | instskip(NEXT) | instid1(VALU_DEP_1)
	v_cvt_f32_i32_e32 v154, v154
	v_fmac_f32_e32 v68, v155, v154
	v_dot4_i32_iu8 v154, v144, v34, 0 neg_lo:[1,1,0]
	v_dot4_i32_iu8 v144, v144, v44, 0 neg_lo:[1,1,0]
	v_mul_f32_e32 v155, v142, v152
	s_delay_alu instid0(VALU_DEP_3) | instskip(NEXT) | instid1(VALU_DEP_3)
	v_dot4_i32_iu8 v154, v145, v35, v154 neg_lo:[1,1,0]
	v_dot4_i32_iu8 v144, v145, v45, v144 neg_lo:[1,1,0]
	v_mul_f32_e32 v145, v143, v152
	s_delay_alu instid0(VALU_DEP_3) | instskip(NEXT) | instid1(VALU_DEP_3)
	v_dot4_i32_iu8 v154, v146, v38, v154 neg_lo:[1,1,0]
	v_dot4_i32_iu8 v144, v146, v46, v144 neg_lo:[1,1,0]
	s_delay_alu instid0(VALU_DEP_2) | instskip(NEXT) | instid1(VALU_DEP_2)
	v_dot4_i32_iu8 v154, v147, v39, v154 neg_lo:[1,1,0]
	v_dot4_i32_iu8 v144, v147, v47, v144 neg_lo:[1,1,0]
	s_delay_alu instid0(VALU_DEP_2) | instskip(NEXT) | instid1(VALU_DEP_2)
	;; [unrolled: 3-line block ×6, first 2 shown]
	v_cvt_f32_i32_e32 v154, v154
	v_cvt_f32_i32_e32 v144, v144
	s_delay_alu instid0(VALU_DEP_2) | instskip(NEXT) | instid1(VALU_DEP_2)
	v_dual_fmac_f32 v65, v155, v154 :: v_dual_mul_f32 v154, v140, v153
	v_fmac_f32_e32 v64, v145, v144
	ds_load_b128 v[144:147], v138 offset:5120
	ds_load_b128 v[148:151], v138 offset:5136
	s_waitcnt lgkmcnt(1)
	v_dot4_i32_iu8 v152, v144, v20, 0 neg_lo:[1,1,0]
	s_delay_alu instid0(VALU_DEP_1) | instskip(NEXT) | instid1(VALU_DEP_1)
	v_dot4_i32_iu8 v152, v145, v21, v152 neg_lo:[1,1,0]
	v_dot4_i32_iu8 v152, v146, v22, v152 neg_lo:[1,1,0]
	s_delay_alu instid0(VALU_DEP_1) | instskip(SKIP_1) | instid1(VALU_DEP_1)
	v_dot4_i32_iu8 v152, v147, v23, v152 neg_lo:[1,1,0]
	s_waitcnt lgkmcnt(0)
	v_dot4_i32_iu8 v152, v148, v24, v152 neg_lo:[1,1,0]
	s_delay_alu instid0(VALU_DEP_1) | instskip(NEXT) | instid1(VALU_DEP_1)
	v_dot4_i32_iu8 v152, v149, v25, v152 neg_lo:[1,1,0]
	v_dot4_i32_iu8 v152, v150, v26, v152 neg_lo:[1,1,0]
	s_delay_alu instid0(VALU_DEP_1) | instskip(NEXT) | instid1(VALU_DEP_1)
	v_dot4_i32_iu8 v152, v151, v27, v152 neg_lo:[1,1,0]
	v_cvt_f32_i32_e32 v152, v152
	s_delay_alu instid0(VALU_DEP_1) | instskip(SKIP_2) | instid1(VALU_DEP_2)
	v_fmac_f32_e32 v63, v154, v152
	v_dot4_i32_iu8 v152, v144, v28, 0 neg_lo:[1,1,0]
	v_mul_f32_e32 v154, v141, v153
	v_dot4_i32_iu8 v152, v145, v29, v152 neg_lo:[1,1,0]
	s_delay_alu instid0(VALU_DEP_1) | instskip(NEXT) | instid1(VALU_DEP_1)
	v_dot4_i32_iu8 v152, v146, v30, v152 neg_lo:[1,1,0]
	v_dot4_i32_iu8 v152, v147, v31, v152 neg_lo:[1,1,0]
	s_delay_alu instid0(VALU_DEP_1) | instskip(NEXT) | instid1(VALU_DEP_1)
	v_dot4_i32_iu8 v152, v148, v32, v152 neg_lo:[1,1,0]
	;; [unrolled: 3-line block ×3, first 2 shown]
	v_dot4_i32_iu8 v152, v151, v37, v152 neg_lo:[1,1,0]
	s_delay_alu instid0(VALU_DEP_1) | instskip(NEXT) | instid1(VALU_DEP_1)
	v_cvt_f32_i32_e32 v152, v152
	v_fmac_f32_e32 v62, v154, v152
	v_dot4_i32_iu8 v152, v144, v34, 0 neg_lo:[1,1,0]
	v_dot4_i32_iu8 v144, v144, v44, 0 neg_lo:[1,1,0]
	v_mul_f32_e32 v154, v142, v153
	s_delay_alu instid0(VALU_DEP_3) | instskip(NEXT) | instid1(VALU_DEP_3)
	v_dot4_i32_iu8 v152, v145, v35, v152 neg_lo:[1,1,0]
	v_dot4_i32_iu8 v144, v145, v45, v144 neg_lo:[1,1,0]
	v_mul_f32_e32 v145, v143, v153
	s_delay_alu instid0(VALU_DEP_3) | instskip(NEXT) | instid1(VALU_DEP_3)
	v_dot4_i32_iu8 v152, v146, v38, v152 neg_lo:[1,1,0]
	v_dot4_i32_iu8 v144, v146, v46, v144 neg_lo:[1,1,0]
	s_delay_alu instid0(VALU_DEP_2) | instskip(NEXT) | instid1(VALU_DEP_2)
	v_dot4_i32_iu8 v152, v147, v39, v152 neg_lo:[1,1,0]
	v_dot4_i32_iu8 v144, v147, v47, v144 neg_lo:[1,1,0]
	s_delay_alu instid0(VALU_DEP_2) | instskip(NEXT) | instid1(VALU_DEP_2)
	v_dot4_i32_iu8 v152, v148, v40, v152 neg_lo:[1,1,0]
	v_dot4_i32_iu8 v144, v148, v48, v144 neg_lo:[1,1,0]
	s_delay_alu instid0(VALU_DEP_2) | instskip(NEXT) | instid1(VALU_DEP_2)
	v_dot4_i32_iu8 v152, v149, v41, v152 neg_lo:[1,1,0]
	v_dot4_i32_iu8 v144, v149, v49, v144 neg_lo:[1,1,0]
	s_delay_alu instid0(VALU_DEP_2) | instskip(NEXT) | instid1(VALU_DEP_2)
	v_dot4_i32_iu8 v152, v150, v42, v152 neg_lo:[1,1,0]
	v_dot4_i32_iu8 v144, v150, v50, v144 neg_lo:[1,1,0]
	s_delay_alu instid0(VALU_DEP_2) | instskip(NEXT) | instid1(VALU_DEP_2)
	v_dot4_i32_iu8 v152, v151, v43, v152 neg_lo:[1,1,0]
	v_dot4_i32_iu8 v144, v151, v51, v144 neg_lo:[1,1,0]
	s_delay_alu instid0(VALU_DEP_2) | instskip(NEXT) | instid1(VALU_DEP_2)
	v_cvt_f32_i32_e32 v152, v152
	v_cvt_f32_i32_e32 v144, v144
	s_delay_alu instid0(VALU_DEP_2) | instskip(NEXT) | instid1(VALU_DEP_2)
	v_fmac_f32_e32 v61, v154, v152
	v_fmac_f32_e32 v60, v145, v144
	ds_load_2addr_b32 v[152:153], v133 offset0:192 offset1:224
	ds_load_b128 v[144:147], v138 offset:6144
	ds_load_b128 v[148:151], v138 offset:6160
	v_add_nc_u32_e32 v133, 4, v133
	s_waitcnt lgkmcnt(2)
	v_mul_f32_e32 v155, v140, v152
	s_waitcnt lgkmcnt(1)
	v_dot4_i32_iu8 v154, v144, v20, 0 neg_lo:[1,1,0]
	s_delay_alu instid0(VALU_DEP_1) | instskip(NEXT) | instid1(VALU_DEP_1)
	v_dot4_i32_iu8 v154, v145, v21, v154 neg_lo:[1,1,0]
	v_dot4_i32_iu8 v154, v146, v22, v154 neg_lo:[1,1,0]
	s_delay_alu instid0(VALU_DEP_1) | instskip(SKIP_1) | instid1(VALU_DEP_1)
	v_dot4_i32_iu8 v154, v147, v23, v154 neg_lo:[1,1,0]
	s_waitcnt lgkmcnt(0)
	v_dot4_i32_iu8 v154, v148, v24, v154 neg_lo:[1,1,0]
	s_delay_alu instid0(VALU_DEP_1) | instskip(NEXT) | instid1(VALU_DEP_1)
	v_dot4_i32_iu8 v154, v149, v25, v154 neg_lo:[1,1,0]
	v_dot4_i32_iu8 v154, v150, v26, v154 neg_lo:[1,1,0]
	s_delay_alu instid0(VALU_DEP_1) | instskip(NEXT) | instid1(VALU_DEP_1)
	v_dot4_i32_iu8 v154, v151, v27, v154 neg_lo:[1,1,0]
	v_cvt_f32_i32_e32 v154, v154
	s_delay_alu instid0(VALU_DEP_1) | instskip(SKIP_2) | instid1(VALU_DEP_2)
	v_fmac_f32_e32 v59, v155, v154
	v_dot4_i32_iu8 v154, v144, v28, 0 neg_lo:[1,1,0]
	v_mul_f32_e32 v155, v141, v152
	v_dot4_i32_iu8 v154, v145, v29, v154 neg_lo:[1,1,0]
	s_delay_alu instid0(VALU_DEP_1) | instskip(NEXT) | instid1(VALU_DEP_1)
	v_dot4_i32_iu8 v154, v146, v30, v154 neg_lo:[1,1,0]
	v_dot4_i32_iu8 v154, v147, v31, v154 neg_lo:[1,1,0]
	s_delay_alu instid0(VALU_DEP_1) | instskip(NEXT) | instid1(VALU_DEP_1)
	v_dot4_i32_iu8 v154, v148, v32, v154 neg_lo:[1,1,0]
	;; [unrolled: 3-line block ×3, first 2 shown]
	v_dot4_i32_iu8 v154, v151, v37, v154 neg_lo:[1,1,0]
	s_delay_alu instid0(VALU_DEP_1) | instskip(NEXT) | instid1(VALU_DEP_1)
	v_cvt_f32_i32_e32 v154, v154
	v_fmac_f32_e32 v58, v155, v154
	v_dot4_i32_iu8 v154, v144, v34, 0 neg_lo:[1,1,0]
	v_dot4_i32_iu8 v144, v144, v44, 0 neg_lo:[1,1,0]
	v_mul_f32_e32 v155, v142, v152
	s_delay_alu instid0(VALU_DEP_3) | instskip(NEXT) | instid1(VALU_DEP_3)
	v_dot4_i32_iu8 v154, v145, v35, v154 neg_lo:[1,1,0]
	v_dot4_i32_iu8 v144, v145, v45, v144 neg_lo:[1,1,0]
	v_mul_f32_e32 v145, v143, v152
	s_delay_alu instid0(VALU_DEP_3) | instskip(NEXT) | instid1(VALU_DEP_3)
	v_dot4_i32_iu8 v154, v146, v38, v154 neg_lo:[1,1,0]
	v_dot4_i32_iu8 v144, v146, v46, v144 neg_lo:[1,1,0]
	s_delay_alu instid0(VALU_DEP_2) | instskip(NEXT) | instid1(VALU_DEP_2)
	v_dot4_i32_iu8 v154, v147, v39, v154 neg_lo:[1,1,0]
	v_dot4_i32_iu8 v144, v147, v47, v144 neg_lo:[1,1,0]
	s_delay_alu instid0(VALU_DEP_2) | instskip(NEXT) | instid1(VALU_DEP_2)
	;; [unrolled: 3-line block ×6, first 2 shown]
	v_cvt_f32_i32_e32 v154, v154
	v_cvt_f32_i32_e32 v144, v144
	s_delay_alu instid0(VALU_DEP_1)
	v_fmac_f32_e32 v56, v145, v144
	ds_load_b128 v[144:147], v138 offset:7168
	ds_load_b128 v[148:151], v138 offset:7184
	v_add_nc_u32_e32 v138, 32, v138
	v_fmac_f32_e32 v57, v155, v154
	s_waitcnt lgkmcnt(1)
	v_dot4_i32_iu8 v20, v144, v20, 0 neg_lo:[1,1,0]
	s_delay_alu instid0(VALU_DEP_1) | instskip(SKIP_1) | instid1(VALU_DEP_2)
	v_dot4_i32_iu8 v20, v145, v21, v20 neg_lo:[1,1,0]
	v_mul_f32_e32 v21, v140, v153
	v_dot4_i32_iu8 v20, v146, v22, v20 neg_lo:[1,1,0]
	s_delay_alu instid0(VALU_DEP_1) | instskip(SKIP_1) | instid1(VALU_DEP_1)
	v_dot4_i32_iu8 v20, v147, v23, v20 neg_lo:[1,1,0]
	s_waitcnt lgkmcnt(0)
	v_dot4_i32_iu8 v20, v148, v24, v20 neg_lo:[1,1,0]
	s_delay_alu instid0(VALU_DEP_1) | instskip(NEXT) | instid1(VALU_DEP_1)
	v_dot4_i32_iu8 v20, v149, v25, v20 neg_lo:[1,1,0]
	v_dot4_i32_iu8 v20, v150, v26, v20 neg_lo:[1,1,0]
	s_delay_alu instid0(VALU_DEP_1) | instskip(NEXT) | instid1(VALU_DEP_1)
	v_dot4_i32_iu8 v20, v151, v27, v20 neg_lo:[1,1,0]
	v_cvt_f32_i32_e32 v20, v20
	s_delay_alu instid0(VALU_DEP_1) | instskip(SKIP_2) | instid1(VALU_DEP_2)
	v_fmac_f32_e32 v55, v21, v20
	v_dot4_i32_iu8 v20, v144, v28, 0 neg_lo:[1,1,0]
	v_mul_f32_e32 v21, v141, v153
	v_dot4_i32_iu8 v20, v145, v29, v20 neg_lo:[1,1,0]
	s_delay_alu instid0(VALU_DEP_1) | instskip(NEXT) | instid1(VALU_DEP_1)
	v_dot4_i32_iu8 v20, v146, v30, v20 neg_lo:[1,1,0]
	v_dot4_i32_iu8 v20, v147, v31, v20 neg_lo:[1,1,0]
	s_delay_alu instid0(VALU_DEP_1) | instskip(NEXT) | instid1(VALU_DEP_1)
	v_dot4_i32_iu8 v20, v148, v32, v20 neg_lo:[1,1,0]
	;; [unrolled: 3-line block ×3, first 2 shown]
	v_dot4_i32_iu8 v20, v151, v37, v20 neg_lo:[1,1,0]
	s_delay_alu instid0(VALU_DEP_1) | instskip(NEXT) | instid1(VALU_DEP_1)
	v_cvt_f32_i32_e32 v20, v20
	v_fmac_f32_e32 v54, v21, v20
	v_dot4_i32_iu8 v20, v144, v34, 0 neg_lo:[1,1,0]
	v_mul_f32_e32 v21, v142, v153
	s_delay_alu instid0(VALU_DEP_2) | instskip(NEXT) | instid1(VALU_DEP_1)
	v_dot4_i32_iu8 v20, v145, v35, v20 neg_lo:[1,1,0]
	v_dot4_i32_iu8 v20, v146, v38, v20 neg_lo:[1,1,0]
	s_delay_alu instid0(VALU_DEP_1) | instskip(NEXT) | instid1(VALU_DEP_1)
	v_dot4_i32_iu8 v20, v147, v39, v20 neg_lo:[1,1,0]
	v_dot4_i32_iu8 v20, v148, v40, v20 neg_lo:[1,1,0]
	s_delay_alu instid0(VALU_DEP_1) | instskip(NEXT) | instid1(VALU_DEP_1)
	v_dot4_i32_iu8 v20, v149, v41, v20 neg_lo:[1,1,0]
	v_dot4_i32_iu8 v20, v150, v42, v20 neg_lo:[1,1,0]
	s_delay_alu instid0(VALU_DEP_1) | instskip(NEXT) | instid1(VALU_DEP_1)
	v_dot4_i32_iu8 v20, v151, v43, v20 neg_lo:[1,1,0]
	v_cvt_f32_i32_e32 v20, v20
	s_delay_alu instid0(VALU_DEP_1) | instskip(SKIP_2) | instid1(VALU_DEP_2)
	v_fmac_f32_e32 v53, v21, v20
	v_dot4_i32_iu8 v20, v144, v44, 0 neg_lo:[1,1,0]
	v_mul_f32_e32 v21, v143, v153
	v_dot4_i32_iu8 v20, v145, v45, v20 neg_lo:[1,1,0]
	s_delay_alu instid0(VALU_DEP_1) | instskip(NEXT) | instid1(VALU_DEP_1)
	v_dot4_i32_iu8 v20, v146, v46, v20 neg_lo:[1,1,0]
	v_dot4_i32_iu8 v20, v147, v47, v20 neg_lo:[1,1,0]
	s_delay_alu instid0(VALU_DEP_1) | instskip(NEXT) | instid1(VALU_DEP_1)
	v_dot4_i32_iu8 v20, v148, v48, v20 neg_lo:[1,1,0]
	;; [unrolled: 3-line block ×3, first 2 shown]
	v_dot4_i32_iu8 v20, v151, v51, v20 neg_lo:[1,1,0]
	s_delay_alu instid0(VALU_DEP_1) | instskip(NEXT) | instid1(VALU_DEP_1)
	v_cvt_f32_i32_e32 v20, v20
	v_fmac_f32_e32 v52, v21, v20
	s_cbranch_scc1 .LBB146_6
; %bb.7:                                ;   in Loop: Header=BB146_5 Depth=1
	s_add_i32 s5, s5, 4
	s_delay_alu instid0(SALU_CYCLE_1)
	s_cmp_ge_i32 s5, s4
	s_barrier
	buffer_gl0_inv
	s_cbranch_scc0 .LBB146_5
; %bb.8:
	v_dual_mov_b32 v1, v66 :: v_dual_mov_b32 v0, v67
.LBB146_9:
	s_mov_b32 s0, exec_lo
	v_cmpx_gt_u32_e64 s6, v75
	s_cbranch_execz .LBB146_60
; %bb.10:
	s_delay_alu instid0(VALU_DEP_2) | instskip(SKIP_1) | instid1(VALU_DEP_2)
	v_add_nc_u32_e32 v0, s12, v0
	v_mul_lo_u32 v5, v75, s10
	v_cmp_gt_u32_e32 vcc_lo, s10, v0
	s_and_saveexec_b32 s1, vcc_lo
	s_cbranch_execz .LBB146_12
; %bb.11:
	s_delay_alu instid0(VALU_DEP_2) | instskip(SKIP_1) | instid1(VALU_DEP_2)
	v_dual_mov_b32 v3, 0 :: v_dual_add_nc_u32 v2, v0, v5
	v_cvt_f16_f32_e32 v4, v69
	v_lshlrev_b64 v[2:3], 1, v[2:3]
	s_waitcnt lgkmcnt(0)
	s_delay_alu instid0(VALU_DEP_1) | instskip(NEXT) | instid1(VALU_DEP_1)
	v_add_co_u32 v2, s0, s8, v2
	v_add_co_ci_u32_e64 v3, s0, s9, v3, s0
	global_store_b16 v[2:3], v4, off
.LBB146_12:
	s_or_b32 exec_lo, exec_lo, s1
	v_add_nc_u32_e32 v2, 32, v0
	s_delay_alu instid0(VALU_DEP_1) | instskip(NEXT) | instid1(VALU_DEP_1)
	v_cmp_gt_u32_e64 s0, s10, v2
	s_and_saveexec_b32 s2, s0
	s_cbranch_execz .LBB146_14
; %bb.13:
	v_dual_mov_b32 v4, 0 :: v_dual_add_nc_u32 v3, v2, v5
	v_cvt_f16_f32_e32 v6, v97
	s_delay_alu instid0(VALU_DEP_2) | instskip(SKIP_1) | instid1(VALU_DEP_1)
	v_lshlrev_b64 v[3:4], 1, v[3:4]
	s_waitcnt lgkmcnt(0)
	v_add_co_u32 v3, s1, s8, v3
	s_delay_alu instid0(VALU_DEP_1)
	v_add_co_ci_u32_e64 v4, s1, s9, v4, s1
	global_store_b16 v[3:4], v6, off
.LBB146_14:
	s_or_b32 exec_lo, exec_lo, s2
	v_add_nc_u32_e32 v3, 64, v0
	s_delay_alu instid0(VALU_DEP_1) | instskip(NEXT) | instid1(VALU_DEP_1)
	v_cmp_gt_u32_e64 s1, s10, v3
	s_and_saveexec_b32 s3, s1
	s_cbranch_execz .LBB146_16
; %bb.15:
	v_dual_mov_b32 v7, 0 :: v_dual_add_nc_u32 v6, v3, v5
	v_cvt_f16_f32_e32 v4, v94
	s_delay_alu instid0(VALU_DEP_2) | instskip(SKIP_1) | instid1(VALU_DEP_1)
	v_lshlrev_b64 v[6:7], 1, v[6:7]
	s_waitcnt lgkmcnt(0)
	v_add_co_u32 v6, s2, s8, v6
	s_delay_alu instid0(VALU_DEP_1)
	v_add_co_ci_u32_e64 v7, s2, s9, v7, s2
	global_store_b16 v[6:7], v4, off
.LBB146_16:
	;; [unrolled: 17-line block ×3, first 2 shown]
	s_or_b32 exec_lo, exec_lo, s4
	v_add3_u32 v5, v1, s11, 8
	s_delay_alu instid0(VALU_DEP_1) | instskip(NEXT) | instid1(VALU_DEP_1)
	v_cmp_gt_u32_e64 s3, s6, v5
	s_and_b32 exec_lo, exec_lo, s3
	s_cbranch_execz .LBB146_60
; %bb.19:
	v_mul_lo_u32 v5, v5, s10
	s_and_saveexec_b32 s4, vcc_lo
	s_cbranch_execnz .LBB146_61
; %bb.20:
	s_or_b32 exec_lo, exec_lo, s4
	s_and_saveexec_b32 s4, s0
	s_cbranch_execnz .LBB146_62
.LBB146_21:
	s_or_b32 exec_lo, exec_lo, s4
	s_and_saveexec_b32 s4, s1
	s_cbranch_execnz .LBB146_63
.LBB146_22:
	s_or_b32 exec_lo, exec_lo, s4
	s_and_saveexec_b32 s4, s2
	s_cbranch_execz .LBB146_24
.LBB146_23:
	v_dual_mov_b32 v6, 0 :: v_dual_add_nc_u32 v5, v5, v4
	v_cvt_f16_f32_e32 v7, v88
	s_delay_alu instid0(VALU_DEP_2) | instskip(SKIP_1) | instid1(VALU_DEP_1)
	v_lshlrev_b64 v[5:6], 1, v[5:6]
	s_waitcnt lgkmcnt(0)
	v_add_co_u32 v5, s3, s8, v5
	s_delay_alu instid0(VALU_DEP_1)
	v_add_co_ci_u32_e64 v6, s3, s9, v6, s3
	global_store_b16 v[5:6], v7, off
.LBB146_24:
	s_or_b32 exec_lo, exec_lo, s4
	v_add3_u32 v5, v1, s11, 16
	s_delay_alu instid0(VALU_DEP_1) | instskip(NEXT) | instid1(VALU_DEP_1)
	v_cmp_gt_u32_e64 s3, s6, v5
	s_and_b32 exec_lo, exec_lo, s3
	s_cbranch_execz .LBB146_60
; %bb.25:
	v_mul_lo_u32 v5, v5, s10
	s_and_saveexec_b32 s4, vcc_lo
	s_cbranch_execnz .LBB146_64
; %bb.26:
	s_or_b32 exec_lo, exec_lo, s4
	s_and_saveexec_b32 s4, s0
	s_cbranch_execnz .LBB146_65
.LBB146_27:
	s_or_b32 exec_lo, exec_lo, s4
	s_and_saveexec_b32 s4, s1
	s_cbranch_execnz .LBB146_66
.LBB146_28:
	s_or_b32 exec_lo, exec_lo, s4
	s_and_saveexec_b32 s4, s2
	s_cbranch_execz .LBB146_30
.LBB146_29:
	v_dual_mov_b32 v6, 0 :: v_dual_add_nc_u32 v5, v5, v4
	v_cvt_f16_f32_e32 v7, v77
	s_delay_alu instid0(VALU_DEP_2) | instskip(SKIP_1) | instid1(VALU_DEP_1)
	v_lshlrev_b64 v[5:6], 1, v[5:6]
	s_waitcnt lgkmcnt(0)
	v_add_co_u32 v5, s3, s8, v5
	s_delay_alu instid0(VALU_DEP_1)
	v_add_co_ci_u32_e64 v6, s3, s9, v6, s3
	global_store_b16 v[5:6], v7, off
.LBB146_30:
	s_or_b32 exec_lo, exec_lo, s4
	v_add3_u32 v5, v1, s11, 24
	s_delay_alu instid0(VALU_DEP_1) | instskip(NEXT) | instid1(VALU_DEP_1)
	v_cmp_gt_u32_e64 s3, s6, v5
	s_and_b32 exec_lo, exec_lo, s3
	s_cbranch_execz .LBB146_60
; %bb.31:
	v_mul_lo_u32 v5, v5, s10
	s_and_saveexec_b32 s4, vcc_lo
	s_cbranch_execnz .LBB146_67
; %bb.32:
	s_or_b32 exec_lo, exec_lo, s4
	s_and_saveexec_b32 s4, s0
	s_cbranch_execnz .LBB146_68
.LBB146_33:
	s_or_b32 exec_lo, exec_lo, s4
	s_and_saveexec_b32 s4, s1
	s_cbranch_execnz .LBB146_69
.LBB146_34:
	s_or_b32 exec_lo, exec_lo, s4
	s_and_saveexec_b32 s4, s2
	s_cbranch_execz .LBB146_36
.LBB146_35:
	v_dual_mov_b32 v6, 0 :: v_dual_add_nc_u32 v5, v5, v4
	v_cvt_f16_f32_e32 v7, v71
	s_delay_alu instid0(VALU_DEP_2) | instskip(SKIP_1) | instid1(VALU_DEP_1)
	v_lshlrev_b64 v[5:6], 1, v[5:6]
	s_waitcnt lgkmcnt(0)
	v_add_co_u32 v5, s3, s8, v5
	s_delay_alu instid0(VALU_DEP_1)
	v_add_co_ci_u32_e64 v6, s3, s9, v6, s3
	global_store_b16 v[5:6], v7, off
.LBB146_36:
	s_or_b32 exec_lo, exec_lo, s4
	v_add3_u32 v5, v1, s11, 32
	s_delay_alu instid0(VALU_DEP_1) | instskip(NEXT) | instid1(VALU_DEP_1)
	v_cmp_gt_u32_e64 s3, s6, v5
	s_and_b32 exec_lo, exec_lo, s3
	s_cbranch_execz .LBB146_60
; %bb.37:
	v_mul_lo_u32 v5, v5, s10
	s_and_saveexec_b32 s4, vcc_lo
	s_cbranch_execnz .LBB146_70
; %bb.38:
	s_or_b32 exec_lo, exec_lo, s4
	s_and_saveexec_b32 s4, s0
	s_cbranch_execnz .LBB146_71
.LBB146_39:
	s_or_b32 exec_lo, exec_lo, s4
	s_and_saveexec_b32 s4, s1
	s_cbranch_execnz .LBB146_72
.LBB146_40:
	s_or_b32 exec_lo, exec_lo, s4
	s_and_saveexec_b32 s4, s2
	s_cbranch_execz .LBB146_42
.LBB146_41:
	v_dual_mov_b32 v6, 0 :: v_dual_add_nc_u32 v5, v5, v4
	v_cvt_f16_f32_e32 v7, v64
	s_delay_alu instid0(VALU_DEP_2) | instskip(SKIP_1) | instid1(VALU_DEP_1)
	v_lshlrev_b64 v[5:6], 1, v[5:6]
	s_waitcnt lgkmcnt(0)
	v_add_co_u32 v5, s3, s8, v5
	s_delay_alu instid0(VALU_DEP_1)
	v_add_co_ci_u32_e64 v6, s3, s9, v6, s3
	global_store_b16 v[5:6], v7, off
.LBB146_42:
	s_or_b32 exec_lo, exec_lo, s4
	v_add3_u32 v5, v1, s11, 40
	s_delay_alu instid0(VALU_DEP_1) | instskip(NEXT) | instid1(VALU_DEP_1)
	v_cmp_gt_u32_e64 s3, s6, v5
	s_and_b32 exec_lo, exec_lo, s3
	s_cbranch_execz .LBB146_60
; %bb.43:
	v_mul_lo_u32 v5, v5, s10
	s_and_saveexec_b32 s4, vcc_lo
	s_cbranch_execnz .LBB146_73
; %bb.44:
	s_or_b32 exec_lo, exec_lo, s4
	s_and_saveexec_b32 s4, s0
	s_cbranch_execnz .LBB146_74
.LBB146_45:
	s_or_b32 exec_lo, exec_lo, s4
	s_and_saveexec_b32 s4, s1
	s_cbranch_execnz .LBB146_75
.LBB146_46:
	s_or_b32 exec_lo, exec_lo, s4
	s_and_saveexec_b32 s4, s2
	s_cbranch_execz .LBB146_48
.LBB146_47:
	v_dual_mov_b32 v6, 0 :: v_dual_add_nc_u32 v5, v5, v4
	v_cvt_f16_f32_e32 v7, v60
	s_delay_alu instid0(VALU_DEP_2) | instskip(SKIP_1) | instid1(VALU_DEP_1)
	v_lshlrev_b64 v[5:6], 1, v[5:6]
	s_waitcnt lgkmcnt(0)
	v_add_co_u32 v5, s3, s8, v5
	s_delay_alu instid0(VALU_DEP_1)
	v_add_co_ci_u32_e64 v6, s3, s9, v6, s3
	global_store_b16 v[5:6], v7, off
.LBB146_48:
	s_or_b32 exec_lo, exec_lo, s4
	v_add3_u32 v5, v1, s11, 48
	s_delay_alu instid0(VALU_DEP_1) | instskip(NEXT) | instid1(VALU_DEP_1)
	v_cmp_gt_u32_e64 s3, s6, v5
	s_and_b32 exec_lo, exec_lo, s3
	s_cbranch_execz .LBB146_60
; %bb.49:
	v_mul_lo_u32 v5, v5, s10
	s_and_saveexec_b32 s4, vcc_lo
	s_cbranch_execnz .LBB146_76
; %bb.50:
	s_or_b32 exec_lo, exec_lo, s4
	s_and_saveexec_b32 s4, s0
	s_cbranch_execnz .LBB146_77
.LBB146_51:
	s_or_b32 exec_lo, exec_lo, s4
	s_and_saveexec_b32 s4, s1
	s_cbranch_execnz .LBB146_78
.LBB146_52:
	s_or_b32 exec_lo, exec_lo, s4
	s_and_saveexec_b32 s4, s2
	s_cbranch_execz .LBB146_54
.LBB146_53:
	v_dual_mov_b32 v6, 0 :: v_dual_add_nc_u32 v5, v5, v4
	v_cvt_f16_f32_e32 v7, v56
	s_delay_alu instid0(VALU_DEP_2) | instskip(SKIP_1) | instid1(VALU_DEP_1)
	v_lshlrev_b64 v[5:6], 1, v[5:6]
	s_waitcnt lgkmcnt(0)
	v_add_co_u32 v5, s3, s8, v5
	s_delay_alu instid0(VALU_DEP_1)
	v_add_co_ci_u32_e64 v6, s3, s9, v6, s3
	global_store_b16 v[5:6], v7, off
.LBB146_54:
	s_or_b32 exec_lo, exec_lo, s4
	v_add3_u32 v1, v1, s11, 56
	s_delay_alu instid0(VALU_DEP_1) | instskip(NEXT) | instid1(VALU_DEP_1)
	v_cmp_gt_u32_e64 s3, s6, v1
	s_and_b32 exec_lo, exec_lo, s3
	s_cbranch_execz .LBB146_60
; %bb.55:
	v_mul_lo_u32 v1, v1, s10
	s_and_saveexec_b32 s3, vcc_lo
	s_cbranch_execnz .LBB146_79
; %bb.56:
	s_or_b32 exec_lo, exec_lo, s3
	s_and_saveexec_b32 s3, s0
	s_cbranch_execnz .LBB146_80
.LBB146_57:
	s_or_b32 exec_lo, exec_lo, s3
	s_and_saveexec_b32 s0, s1
	s_cbranch_execnz .LBB146_81
.LBB146_58:
	s_or_b32 exec_lo, exec_lo, s0
	s_delay_alu instid0(SALU_CYCLE_1)
	s_and_b32 exec_lo, exec_lo, s2
	s_cbranch_execz .LBB146_60
.LBB146_59:
	v_dual_mov_b32 v1, 0 :: v_dual_add_nc_u32 v0, v1, v4
	v_cvt_f16_f32_e32 v2, v52
	s_delay_alu instid0(VALU_DEP_2) | instskip(SKIP_1) | instid1(VALU_DEP_1)
	v_lshlrev_b64 v[0:1], 1, v[0:1]
	s_waitcnt lgkmcnt(0)
	v_add_co_u32 v0, vcc_lo, s8, v0
	s_delay_alu instid0(VALU_DEP_2)
	v_add_co_ci_u32_e32 v1, vcc_lo, s9, v1, vcc_lo
	global_store_b16 v[0:1], v2, off
.LBB146_60:
	s_nop 0
	s_sendmsg sendmsg(MSG_DEALLOC_VGPRS)
	s_endpgm
.LBB146_61:
	s_delay_alu instid0(VALU_DEP_1) | instskip(SKIP_1) | instid1(VALU_DEP_2)
	v_dual_mov_b32 v7, 0 :: v_dual_add_nc_u32 v6, v5, v0
	v_cvt_f16_f32_e32 v8, v92
	v_lshlrev_b64 v[6:7], 1, v[6:7]
	s_waitcnt lgkmcnt(0)
	s_delay_alu instid0(VALU_DEP_1) | instskip(NEXT) | instid1(VALU_DEP_1)
	v_add_co_u32 v6, s3, s8, v6
	v_add_co_ci_u32_e64 v7, s3, s9, v7, s3
	global_store_b16 v[6:7], v8, off
	s_or_b32 exec_lo, exec_lo, s4
	s_and_saveexec_b32 s4, s0
	s_cbranch_execz .LBB146_21
.LBB146_62:
	s_delay_alu instid0(VALU_DEP_1) | instskip(SKIP_1) | instid1(VALU_DEP_2)
	v_dual_mov_b32 v7, 0 :: v_dual_add_nc_u32 v6, v5, v2
	v_cvt_f16_f32_e32 v8, v90
	v_lshlrev_b64 v[6:7], 1, v[6:7]
	s_waitcnt lgkmcnt(0)
	s_delay_alu instid0(VALU_DEP_1) | instskip(NEXT) | instid1(VALU_DEP_1)
	v_add_co_u32 v6, s3, s8, v6
	v_add_co_ci_u32_e64 v7, s3, s9, v7, s3
	global_store_b16 v[6:7], v8, off
	s_or_b32 exec_lo, exec_lo, s4
	s_and_saveexec_b32 s4, s1
	s_cbranch_execz .LBB146_22
.LBB146_63:
	v_dual_mov_b32 v7, 0 :: v_dual_add_nc_u32 v6, v5, v3
	v_cvt_f16_f32_e32 v8, v89
	s_delay_alu instid0(VALU_DEP_2) | instskip(SKIP_1) | instid1(VALU_DEP_1)
	v_lshlrev_b64 v[6:7], 1, v[6:7]
	s_waitcnt lgkmcnt(0)
	v_add_co_u32 v6, s3, s8, v6
	s_delay_alu instid0(VALU_DEP_1)
	v_add_co_ci_u32_e64 v7, s3, s9, v7, s3
	global_store_b16 v[6:7], v8, off
	s_or_b32 exec_lo, exec_lo, s4
	s_and_saveexec_b32 s4, s2
	s_cbranch_execnz .LBB146_23
	s_branch .LBB146_24
.LBB146_64:
	s_delay_alu instid0(VALU_DEP_1) | instskip(SKIP_1) | instid1(VALU_DEP_2)
	v_dual_mov_b32 v7, 0 :: v_dual_add_nc_u32 v6, v5, v0
	v_cvt_f16_f32_e32 v8, v87
	v_lshlrev_b64 v[6:7], 1, v[6:7]
	s_waitcnt lgkmcnt(0)
	s_delay_alu instid0(VALU_DEP_1) | instskip(NEXT) | instid1(VALU_DEP_1)
	v_add_co_u32 v6, s3, s8, v6
	v_add_co_ci_u32_e64 v7, s3, s9, v7, s3
	global_store_b16 v[6:7], v8, off
	s_or_b32 exec_lo, exec_lo, s4
	s_and_saveexec_b32 s4, s0
	s_cbranch_execz .LBB146_27
.LBB146_65:
	s_delay_alu instid0(VALU_DEP_1) | instskip(SKIP_1) | instid1(VALU_DEP_2)
	v_dual_mov_b32 v7, 0 :: v_dual_add_nc_u32 v6, v5, v2
	v_cvt_f16_f32_e32 v8, v84
	v_lshlrev_b64 v[6:7], 1, v[6:7]
	s_waitcnt lgkmcnt(0)
	s_delay_alu instid0(VALU_DEP_1) | instskip(NEXT) | instid1(VALU_DEP_1)
	v_add_co_u32 v6, s3, s8, v6
	v_add_co_ci_u32_e64 v7, s3, s9, v7, s3
	global_store_b16 v[6:7], v8, off
	s_or_b32 exec_lo, exec_lo, s4
	s_and_saveexec_b32 s4, s1
	s_cbranch_execz .LBB146_28
.LBB146_66:
	v_dual_mov_b32 v7, 0 :: v_dual_add_nc_u32 v6, v5, v3
	v_cvt_f16_f32_e32 v8, v78
	s_delay_alu instid0(VALU_DEP_2) | instskip(SKIP_1) | instid1(VALU_DEP_1)
	v_lshlrev_b64 v[6:7], 1, v[6:7]
	s_waitcnt lgkmcnt(0)
	v_add_co_u32 v6, s3, s8, v6
	s_delay_alu instid0(VALU_DEP_1)
	v_add_co_ci_u32_e64 v7, s3, s9, v7, s3
	global_store_b16 v[6:7], v8, off
	s_or_b32 exec_lo, exec_lo, s4
	s_and_saveexec_b32 s4, s2
	s_cbranch_execnz .LBB146_29
	s_branch .LBB146_30
.LBB146_67:
	s_delay_alu instid0(VALU_DEP_1) | instskip(SKIP_1) | instid1(VALU_DEP_2)
	v_dual_mov_b32 v7, 0 :: v_dual_add_nc_u32 v6, v5, v0
	v_cvt_f16_f32_e32 v8, v74
	v_lshlrev_b64 v[6:7], 1, v[6:7]
	s_waitcnt lgkmcnt(0)
	s_delay_alu instid0(VALU_DEP_1) | instskip(NEXT) | instid1(VALU_DEP_1)
	v_add_co_u32 v6, s3, s8, v6
	v_add_co_ci_u32_e64 v7, s3, s9, v7, s3
	global_store_b16 v[6:7], v8, off
	s_or_b32 exec_lo, exec_lo, s4
	s_and_saveexec_b32 s4, s0
	s_cbranch_execz .LBB146_33
.LBB146_68:
	s_delay_alu instid0(VALU_DEP_1) | instskip(SKIP_1) | instid1(VALU_DEP_2)
	v_dual_mov_b32 v7, 0 :: v_dual_add_nc_u32 v6, v5, v2
	v_cvt_f16_f32_e32 v8, v73
	v_lshlrev_b64 v[6:7], 1, v[6:7]
	s_waitcnt lgkmcnt(0)
	s_delay_alu instid0(VALU_DEP_1) | instskip(NEXT) | instid1(VALU_DEP_1)
	v_add_co_u32 v6, s3, s8, v6
	v_add_co_ci_u32_e64 v7, s3, s9, v7, s3
	global_store_b16 v[6:7], v8, off
	s_or_b32 exec_lo, exec_lo, s4
	s_and_saveexec_b32 s4, s1
	s_cbranch_execz .LBB146_34
.LBB146_69:
	v_dual_mov_b32 v7, 0 :: v_dual_add_nc_u32 v6, v5, v3
	v_cvt_f16_f32_e32 v8, v72
	s_delay_alu instid0(VALU_DEP_2) | instskip(SKIP_1) | instid1(VALU_DEP_1)
	v_lshlrev_b64 v[6:7], 1, v[6:7]
	s_waitcnt lgkmcnt(0)
	v_add_co_u32 v6, s3, s8, v6
	s_delay_alu instid0(VALU_DEP_1)
	v_add_co_ci_u32_e64 v7, s3, s9, v7, s3
	global_store_b16 v[6:7], v8, off
	s_or_b32 exec_lo, exec_lo, s4
	s_and_saveexec_b32 s4, s2
	s_cbranch_execnz .LBB146_35
	s_branch .LBB146_36
.LBB146_70:
	s_delay_alu instid0(VALU_DEP_1) | instskip(SKIP_1) | instid1(VALU_DEP_2)
	v_dual_mov_b32 v7, 0 :: v_dual_add_nc_u32 v6, v5, v0
	v_cvt_f16_f32_e32 v8, v70
	v_lshlrev_b64 v[6:7], 1, v[6:7]
	s_waitcnt lgkmcnt(0)
	s_delay_alu instid0(VALU_DEP_1) | instskip(NEXT) | instid1(VALU_DEP_1)
	v_add_co_u32 v6, s3, s8, v6
	v_add_co_ci_u32_e64 v7, s3, s9, v7, s3
	global_store_b16 v[6:7], v8, off
	s_or_b32 exec_lo, exec_lo, s4
	s_and_saveexec_b32 s4, s0
	s_cbranch_execz .LBB146_39
.LBB146_71:
	s_delay_alu instid0(VALU_DEP_1) | instskip(SKIP_1) | instid1(VALU_DEP_2)
	v_dual_mov_b32 v7, 0 :: v_dual_add_nc_u32 v6, v5, v2
	v_cvt_f16_f32_e32 v8, v68
	v_lshlrev_b64 v[6:7], 1, v[6:7]
	s_waitcnt lgkmcnt(0)
	s_delay_alu instid0(VALU_DEP_1) | instskip(NEXT) | instid1(VALU_DEP_1)
	v_add_co_u32 v6, s3, s8, v6
	v_add_co_ci_u32_e64 v7, s3, s9, v7, s3
	global_store_b16 v[6:7], v8, off
	s_or_b32 exec_lo, exec_lo, s4
	s_and_saveexec_b32 s4, s1
	s_cbranch_execz .LBB146_40
.LBB146_72:
	v_dual_mov_b32 v7, 0 :: v_dual_add_nc_u32 v6, v5, v3
	v_cvt_f16_f32_e32 v8, v65
	s_delay_alu instid0(VALU_DEP_2) | instskip(SKIP_1) | instid1(VALU_DEP_1)
	v_lshlrev_b64 v[6:7], 1, v[6:7]
	s_waitcnt lgkmcnt(0)
	v_add_co_u32 v6, s3, s8, v6
	s_delay_alu instid0(VALU_DEP_1)
	v_add_co_ci_u32_e64 v7, s3, s9, v7, s3
	global_store_b16 v[6:7], v8, off
	s_or_b32 exec_lo, exec_lo, s4
	s_and_saveexec_b32 s4, s2
	s_cbranch_execnz .LBB146_41
	s_branch .LBB146_42
.LBB146_73:
	s_delay_alu instid0(VALU_DEP_1) | instskip(SKIP_1) | instid1(VALU_DEP_2)
	v_dual_mov_b32 v7, 0 :: v_dual_add_nc_u32 v6, v5, v0
	v_cvt_f16_f32_e32 v8, v63
	v_lshlrev_b64 v[6:7], 1, v[6:7]
	s_waitcnt lgkmcnt(0)
	s_delay_alu instid0(VALU_DEP_1) | instskip(NEXT) | instid1(VALU_DEP_1)
	v_add_co_u32 v6, s3, s8, v6
	v_add_co_ci_u32_e64 v7, s3, s9, v7, s3
	global_store_b16 v[6:7], v8, off
	s_or_b32 exec_lo, exec_lo, s4
	s_and_saveexec_b32 s4, s0
	s_cbranch_execz .LBB146_45
.LBB146_74:
	s_delay_alu instid0(VALU_DEP_1) | instskip(SKIP_1) | instid1(VALU_DEP_2)
	v_dual_mov_b32 v7, 0 :: v_dual_add_nc_u32 v6, v5, v2
	v_cvt_f16_f32_e32 v8, v62
	v_lshlrev_b64 v[6:7], 1, v[6:7]
	s_waitcnt lgkmcnt(0)
	s_delay_alu instid0(VALU_DEP_1) | instskip(NEXT) | instid1(VALU_DEP_1)
	v_add_co_u32 v6, s3, s8, v6
	v_add_co_ci_u32_e64 v7, s3, s9, v7, s3
	global_store_b16 v[6:7], v8, off
	s_or_b32 exec_lo, exec_lo, s4
	s_and_saveexec_b32 s4, s1
	s_cbranch_execz .LBB146_46
.LBB146_75:
	v_dual_mov_b32 v7, 0 :: v_dual_add_nc_u32 v6, v5, v3
	v_cvt_f16_f32_e32 v8, v61
	s_delay_alu instid0(VALU_DEP_2) | instskip(SKIP_1) | instid1(VALU_DEP_1)
	v_lshlrev_b64 v[6:7], 1, v[6:7]
	s_waitcnt lgkmcnt(0)
	v_add_co_u32 v6, s3, s8, v6
	s_delay_alu instid0(VALU_DEP_1)
	v_add_co_ci_u32_e64 v7, s3, s9, v7, s3
	global_store_b16 v[6:7], v8, off
	s_or_b32 exec_lo, exec_lo, s4
	s_and_saveexec_b32 s4, s2
	s_cbranch_execnz .LBB146_47
	s_branch .LBB146_48
.LBB146_76:
	s_delay_alu instid0(VALU_DEP_1) | instskip(SKIP_1) | instid1(VALU_DEP_2)
	v_dual_mov_b32 v7, 0 :: v_dual_add_nc_u32 v6, v5, v0
	v_cvt_f16_f32_e32 v8, v59
	v_lshlrev_b64 v[6:7], 1, v[6:7]
	s_waitcnt lgkmcnt(0)
	s_delay_alu instid0(VALU_DEP_1) | instskip(NEXT) | instid1(VALU_DEP_1)
	v_add_co_u32 v6, s3, s8, v6
	v_add_co_ci_u32_e64 v7, s3, s9, v7, s3
	global_store_b16 v[6:7], v8, off
	s_or_b32 exec_lo, exec_lo, s4
	s_and_saveexec_b32 s4, s0
	s_cbranch_execz .LBB146_51
.LBB146_77:
	s_delay_alu instid0(VALU_DEP_1) | instskip(SKIP_1) | instid1(VALU_DEP_2)
	v_dual_mov_b32 v7, 0 :: v_dual_add_nc_u32 v6, v5, v2
	v_cvt_f16_f32_e32 v8, v58
	v_lshlrev_b64 v[6:7], 1, v[6:7]
	s_waitcnt lgkmcnt(0)
	s_delay_alu instid0(VALU_DEP_1) | instskip(NEXT) | instid1(VALU_DEP_1)
	v_add_co_u32 v6, s3, s8, v6
	v_add_co_ci_u32_e64 v7, s3, s9, v7, s3
	global_store_b16 v[6:7], v8, off
	s_or_b32 exec_lo, exec_lo, s4
	s_and_saveexec_b32 s4, s1
	s_cbranch_execz .LBB146_52
.LBB146_78:
	v_dual_mov_b32 v7, 0 :: v_dual_add_nc_u32 v6, v5, v3
	v_cvt_f16_f32_e32 v8, v57
	s_delay_alu instid0(VALU_DEP_2) | instskip(SKIP_1) | instid1(VALU_DEP_1)
	v_lshlrev_b64 v[6:7], 1, v[6:7]
	s_waitcnt lgkmcnt(0)
	v_add_co_u32 v6, s3, s8, v6
	s_delay_alu instid0(VALU_DEP_1)
	v_add_co_ci_u32_e64 v7, s3, s9, v7, s3
	global_store_b16 v[6:7], v8, off
	s_or_b32 exec_lo, exec_lo, s4
	s_and_saveexec_b32 s4, s2
	s_cbranch_execnz .LBB146_53
	s_branch .LBB146_54
.LBB146_79:
	s_delay_alu instid0(VALU_DEP_1) | instskip(SKIP_1) | instid1(VALU_DEP_2)
	v_dual_mov_b32 v6, 0 :: v_dual_add_nc_u32 v5, v1, v0
	v_cvt_f16_f32_e32 v0, v55
	v_lshlrev_b64 v[5:6], 1, v[5:6]
	s_waitcnt lgkmcnt(0)
	s_delay_alu instid0(VALU_DEP_1) | instskip(NEXT) | instid1(VALU_DEP_2)
	v_add_co_u32 v5, vcc_lo, s8, v5
	v_add_co_ci_u32_e32 v6, vcc_lo, s9, v6, vcc_lo
	global_store_b16 v[5:6], v0, off
	s_or_b32 exec_lo, exec_lo, s3
	s_and_saveexec_b32 s3, s0
	s_cbranch_execz .LBB146_57
.LBB146_80:
	s_delay_alu instid0(VALU_DEP_1) | instskip(SKIP_1) | instid1(VALU_DEP_2)
	v_dual_mov_b32 v6, 0 :: v_dual_add_nc_u32 v5, v1, v2
	v_cvt_f16_f32_e32 v0, v54
	v_lshlrev_b64 v[5:6], 1, v[5:6]
	s_waitcnt lgkmcnt(0)
	s_delay_alu instid0(VALU_DEP_1) | instskip(NEXT) | instid1(VALU_DEP_2)
	v_add_co_u32 v5, vcc_lo, s8, v5
	v_add_co_ci_u32_e32 v6, vcc_lo, s9, v6, vcc_lo
	global_store_b16 v[5:6], v0, off
	s_or_b32 exec_lo, exec_lo, s3
	s_and_saveexec_b32 s0, s1
	s_cbranch_execz .LBB146_58
.LBB146_81:
	v_dual_mov_b32 v3, 0 :: v_dual_add_nc_u32 v2, v1, v3
	v_cvt_f16_f32_e32 v0, v53
	s_delay_alu instid0(VALU_DEP_2) | instskip(SKIP_1) | instid1(VALU_DEP_1)
	v_lshlrev_b64 v[2:3], 1, v[2:3]
	s_waitcnt lgkmcnt(0)
	v_add_co_u32 v2, vcc_lo, s8, v2
	s_delay_alu instid0(VALU_DEP_2) | instskip(SKIP_2) | instid1(SALU_CYCLE_1)
	v_add_co_ci_u32_e32 v3, vcc_lo, s9, v3, vcc_lo
	global_store_b16 v[2:3], v0, off
	s_or_b32 exec_lo, exec_lo, s0
	s_and_b32 exec_lo, exec_lo, s2
	s_cbranch_execnz .LBB146_59
	s_branch .LBB146_60
	.section	.rodata,"a",@progbits
	.p2align	6, 0x0
	.amdhsa_kernel _ZL12mul_mat_q8_0IN3c104HalfELb1EEvPKvS3_PT_iiiii
		.amdhsa_group_segment_fixed_size 28224
		.amdhsa_private_segment_fixed_size 0
		.amdhsa_kernarg_size 44
		.amdhsa_user_sgpr_count 14
		.amdhsa_user_sgpr_dispatch_ptr 0
		.amdhsa_user_sgpr_queue_ptr 0
		.amdhsa_user_sgpr_kernarg_segment_ptr 1
		.amdhsa_user_sgpr_dispatch_id 0
		.amdhsa_user_sgpr_private_segment_size 0
		.amdhsa_wavefront_size32 1
		.amdhsa_uses_dynamic_stack 0
		.amdhsa_enable_private_segment 0
		.amdhsa_system_sgpr_workgroup_id_x 1
		.amdhsa_system_sgpr_workgroup_id_y 1
		.amdhsa_system_sgpr_workgroup_id_z 0
		.amdhsa_system_sgpr_workgroup_info 0
		.amdhsa_system_vgpr_workitem_id 1
		.amdhsa_next_free_vgpr 156
		.amdhsa_next_free_sgpr 16
		.amdhsa_reserve_vcc 1
		.amdhsa_float_round_mode_32 0
		.amdhsa_float_round_mode_16_64 0
		.amdhsa_float_denorm_mode_32 3
		.amdhsa_float_denorm_mode_16_64 3
		.amdhsa_dx10_clamp 1
		.amdhsa_ieee_mode 1
		.amdhsa_fp16_overflow 0
		.amdhsa_workgroup_processor_mode 1
		.amdhsa_memory_ordered 1
		.amdhsa_forward_progress 0
		.amdhsa_shared_vgpr_count 0
		.amdhsa_exception_fp_ieee_invalid_op 0
		.amdhsa_exception_fp_denorm_src 0
		.amdhsa_exception_fp_ieee_div_zero 0
		.amdhsa_exception_fp_ieee_overflow 0
		.amdhsa_exception_fp_ieee_underflow 0
		.amdhsa_exception_fp_ieee_inexact 0
		.amdhsa_exception_int_div_zero 0
	.end_amdhsa_kernel
	.section	.text._ZL12mul_mat_q8_0IN3c104HalfELb1EEvPKvS3_PT_iiiii,"axG",@progbits,_ZL12mul_mat_q8_0IN3c104HalfELb1EEvPKvS3_PT_iiiii,comdat
.Lfunc_end146:
	.size	_ZL12mul_mat_q8_0IN3c104HalfELb1EEvPKvS3_PT_iiiii, .Lfunc_end146-_ZL12mul_mat_q8_0IN3c104HalfELb1EEvPKvS3_PT_iiiii
                                        ; -- End function
	.section	.AMDGPU.csdata,"",@progbits
; Kernel info:
; codeLenInByte = 8940
; NumSgprs: 18
; NumVgprs: 156
; ScratchSize: 0
; MemoryBound: 0
; FloatMode: 240
; IeeeMode: 1
; LDSByteSize: 28224 bytes/workgroup (compile time only)
; SGPRBlocks: 2
; VGPRBlocks: 19
; NumSGPRsForWavesPerEU: 18
; NumVGPRsForWavesPerEU: 156
; Occupancy: 8
; WaveLimiterHint : 0
; COMPUTE_PGM_RSRC2:SCRATCH_EN: 0
; COMPUTE_PGM_RSRC2:USER_SGPR: 14
; COMPUTE_PGM_RSRC2:TRAP_HANDLER: 0
; COMPUTE_PGM_RSRC2:TGID_X_EN: 1
; COMPUTE_PGM_RSRC2:TGID_Y_EN: 1
; COMPUTE_PGM_RSRC2:TGID_Z_EN: 0
; COMPUTE_PGM_RSRC2:TIDIG_COMP_CNT: 1
	.section	.text._ZL12mul_mat_q2_KIN3c104HalfELb0EEvPKvS3_PT_iiiii,"axG",@progbits,_ZL12mul_mat_q2_KIN3c104HalfELb0EEvPKvS3_PT_iiiii,comdat
	.globl	_ZL12mul_mat_q2_KIN3c104HalfELb0EEvPKvS3_PT_iiiii ; -- Begin function _ZL12mul_mat_q2_KIN3c104HalfELb0EEvPKvS3_PT_iiiii
	.p2align	8
	.type	_ZL12mul_mat_q2_KIN3c104HalfELb0EEvPKvS3_PT_iiiii,@function
_ZL12mul_mat_q2_KIN3c104HalfELb0EEvPKvS3_PT_iiiii: ; @_ZL12mul_mat_q2_KIN3c104HalfELb0EEvPKvS3_PT_iiiii
; %bb.0:
	s_clause 0x1
	s_load_b32 s11, s[0:1], 0x18
	s_load_b128 s[4:7], s[0:1], 0x20
	v_bfe_u32 v1, v0, 10, 10
	s_waitcnt lgkmcnt(0)
	s_lshl_b32 s7, s15, 6
	scratch_store_b32 off, v1, off offset:420 ; 4-byte Folded Spill
	v_and_b32_e32 v1, 0x3ff, v0
	scratch_store_b32 off, v1, off offset:136 ; 4-byte Folded Spill
	s_cmpk_gt_i32 s11, 0xff
	s_cbranch_scc1 .LBB147_2
; %bb.1:
	v_bfe_u32 v1, v0, 10, 10
	v_and_b32_e32 v0, 0x3ff, v0
	s_mov_b32 s2, 0
	s_mov_b32 s3, 0
	s_delay_alu instid0(VALU_DEP_2)
	v_add_nc_u32_e32 v2, s7, v1
	s_branch .LBB147_3
.LBB147_2:
	s_mov_b32 s2, -1
                                        ; implicit-def: $sgpr3
                                        ; implicit-def: $vgpr1
                                        ; implicit-def: $vgpr0
                                        ; implicit-def: $vgpr2
.LBB147_3:
	s_load_b64 s[8:9], s[0:1], 0x10
	v_dual_mov_b32 v177, s3 :: v_dual_mov_b32 v30, s3
	v_dual_mov_b32 v105, s3 :: v_dual_mov_b32 v36, s3
	;; [unrolled: 1-line block ×13, first 2 shown]
	v_mov_b32_e32 v27, s3
	v_mov_b32_e32 v39, s3
	;; [unrolled: 1-line block ×6, first 2 shown]
	s_and_not1_b32 vcc_lo, exec_lo, s2
	s_lshl_b32 s10, s14, 7
	s_cbranch_vccnz .LBB147_15
; %bb.4:
	s_clause 0x1
	scratch_load_b32 v27, off, off offset:136
	scratch_load_b32 v26, off, off offset:420
	s_load_b128 s[0:3], s[0:1], 0x0
	s_ashr_i32 s15, s11, 31
	s_ashr_i32 s16, s5, 31
	s_lshr_b32 s15, s15, 24
	v_mov_b32_e32 v194, 0
	s_add_i32 s11, s11, s15
	s_lshr_b32 s15, s16, 27
	s_ashr_i32 s11, s11, 8
	s_add_i32 s5, s5, s15
	s_mul_i32 s15, s11, s10
	s_ashr_i32 s5, s5, 5
	s_mul_i32 s16, s15, 0x54
	s_mul_hi_i32 s15, s15, 0x54
	s_movk_i32 s12, 0x1080
	s_movk_i32 s13, 0x2100
	;; [unrolled: 1-line block ×3, first 2 shown]
	v_mov_b32_e32 v41, 0
	v_dual_mov_b32 v33, 0 :: v_dual_mov_b32 v238, 0
	v_mov_b32_e32 v214, 0
	s_waitcnt lgkmcnt(0)
	s_add_u32 s0, s0, s16
	s_addc_u32 s1, s1, s15
	s_lshl_b32 s15, s11, 3
	s_add_i32 s16, s4, -1
	v_mov_b32_e32 v39, 0
	v_mov_b32_e32 v197, 0
	;; [unrolled: 1-line block ×4, first 2 shown]
	v_dual_mov_b32 v31, 0 :: v_dual_mov_b32 v82, 0
	v_mov_b32_e32 v216, 0
	v_mov_b32_e32 v78, 0
	v_dual_mov_b32 v232, 0 :: v_dual_mov_b32 v191, 0
	v_dual_mov_b32 v181, 0 :: v_dual_mov_b32 v54, 0
	v_mov_b32_e32 v127, 0
	v_mov_b32_e32 v213, 0
	v_dual_mov_b32 v187, 0 :: v_dual_mov_b32 v36, 0
	v_mov_b32_e32 v105, 0
	s_waitcnt vmcnt(1)
	v_dual_mov_b32 v177, 0 :: v_dual_lshlrev_b32 v18, 2, v27
	s_waitcnt vmcnt(0)
	v_mad_i32_i24 v2, s11, v26, s15
	v_add_nc_u32_e32 v13, s7, v26
	v_and_b32_e32 v24, 1, v27
	v_mul_i32_i24_e32 v30, s11, v26
	v_and_b32_e32 v29, 60, v18
	v_add_nc_u32_e32 v5, s15, v2
	scratch_store_b32 off, v2, off offset:232 ; 4-byte Folded Spill
	v_cvt_f64_u32_e32 v[0:1], v13
	v_cvt_f64_i32_e32 v[2:3], s16
	s_clause 0x1
	scratch_store_b32 off, v13, off offset:424
	scratch_store_b32 off, v30, off offset:268
	v_add_nc_u32_e32 v11, s15, v5
	s_clause 0x1
	scratch_store_b32 off, v5, off offset:236
	scratch_store_b32 off, v24, off offset:228
	v_add_nc_u32_e32 v4, 8, v13
	v_add_nc_u32_e32 v6, 16, v13
	;; [unrolled: 1-line block ×3, first 2 shown]
	scratch_store_b32 off, v11, off offset:240 ; 4-byte Folded Spill
	v_add_nc_u32_e32 v8, 24, v13
	v_add_nc_u32_e32 v10, 32, v13
	;; [unrolled: 1-line block ×4, first 2 shown]
	scratch_store_b32 off, v15, off offset:244 ; 4-byte Folded Spill
	v_add_nc_u32_e32 v14, 48, v13
	v_add_nc_u32_e32 v16, 56, v13
	v_cvt_f64_u32_e32 v[4:5], v4
	v_add_nc_u32_e32 v25, s15, v23
	s_clause 0x1
	scratch_store_b32 off, v23, off offset:248
	scratch_store_b32 off, v29, off offset:256
	v_mad_u32_u24 v29, 0x84, v26, v18
	v_cvt_f64_u32_e32 v[6:7], v6
	scratch_store_b32 off, v25, off offset:252 ; 4-byte Folded Spill
	v_add_nc_u32_e32 v25, s15, v25
	v_cvt_f64_u32_e32 v[8:9], v8
	v_add_nc_u32_e32 v30, 0x420, v29
	s_clause 0x1
	scratch_store_b32 off, v30, off offset:272
	scratch_store_b32 off, v25, off offset:264
	v_add_nc_u32_e32 v30, 0x840, v29
	v_cvt_f64_u32_e32 v[10:11], v10
	v_cvt_f64_u32_e32 v[12:13], v12
	;; [unrolled: 1-line block ×4, first 2 shown]
	scratch_store_b32 off, v30, off offset:280 ; 4-byte Folded Spill
	v_add_nc_u32_e32 v30, 0xc60, v29
	v_add_nc_u32_e32 v25, s15, v25
	v_min_f64 v[0:1], v[0:1], v[2:3]
	v_lshlrev_b32_e32 v19, 4, v26
	v_lshrrev_b32_e32 v20, 1, v27
	scratch_store_b32 off, v30, off offset:284 ; 4-byte Folded Spill
	v_add_nc_u32_e32 v30, 0x1080, v29
	v_lshlrev_b32_e32 v24, 2, v24
	v_lshrrev_b32_e32 v22, 3, v27
	v_add_nc_u32_e32 v20, v20, v19
	v_and_b32_e32 v23, 7, v27
	scratch_store_b32 off, v30, off offset:288 ; 4-byte Folded Spill
	v_add_nc_u32_e32 v30, 0x14a0, v29
	s_clause 0x1
	scratch_store_b32 off, v30, off offset:292
	scratch_store_b32 off, v25, off offset:276
	v_add_nc_u32_e32 v30, 0x18c0, v29
	v_add_nc_u32_e32 v25, s15, v25
	v_min_f64 v[4:5], v[4:5], v[2:3]
	v_lshl_add_u32 v22, v26, 2, v22
	v_min_f64 v[6:7], v[6:7], v[2:3]
	scratch_store_b32 off, v30, off offset:300 ; 4-byte Folded Spill
	v_add_nc_u32_e32 v30, 0x1ce0, v29
	v_min_f64 v[8:9], v[8:9], v[2:3]
	v_cmp_lt_u32_e32 vcc_lo, 3, v23
	v_lshrrev_b32_e32 v28, 4, v27
	v_mul_u32_u24_e32 v66, 0x84, v27
	scratch_store_b32 off, v30, off offset:304 ; 4-byte Folded Spill
	v_add_nc_u32_e32 v30, 0x2100, v29
	v_lshlrev_b32_e32 v68, 5, v27
	v_mad_u32_u24 v135, 0x84, v27, s12
	v_min_f64 v[10:11], v[10:11], v[2:3]
	v_min_f64 v[12:13], v[12:13], v[2:3]
	scratch_store_b32 off, v30, off offset:308 ; 4-byte Folded Spill
	v_add_nc_u32_e32 v30, 0x2520, v29
	s_clause 0x1
	scratch_store_b32 off, v30, off offset:312
	scratch_store_b32 off, v25, off offset:296
	v_add_nc_u32_e32 v30, 0x2940, v29
	v_add_nc_u32_e32 v25, s15, v25
	v_min_f64 v[14:15], v[14:15], v[2:3]
	v_min_f64 v[2:3], v[16:17], v[2:3]
	v_add_nc_u32_e32 v16, 0x35a0, v29
	scratch_store_b32 off, v30, off offset:320 ; 4-byte Folded Spill
	v_add_nc_u32_e32 v30, 0x2d60, v29
	scratch_store_b32 off, v25, off offset:316 ; 4-byte Folded Spill
	;; [unrolled: 2-line block ×3, first 2 shown]
	v_cvt_i32_f64_e32 v1, v[0:1]
	scratch_store_b32 off, v30, off offset:324 ; 4-byte Folded Spill
	v_add_nc_u32_e32 v30, 0x3180, v29
	scratch_store_b32 off, v25, off offset:328 ; 4-byte Folded Spill
	v_add_nc_u32_e32 v0, 64, v22
	v_mad_u32_u24 v140, 0x84, v27, s13
	v_cvt_i32_f64_e32 v4, v[4:5]
	scratch_store_b32 off, v30, off offset:332 ; 4-byte Folded Spill
	v_add_nc_u32_e32 v30, s15, v25
	v_and_b32_e32 v25, 0x7f, v20
	v_lshrrev_b32_e32 v20, 2, v20
	v_cvt_i32_f64_e32 v5, v[6:7]
	v_cvt_i32_f64_e32 v7, v[8:9]
	scratch_store_b32 off, v30, off offset:336 ; 4-byte Folded Spill
	v_add_nc_u32_e32 v30, s15, v30
	v_lshl_or_b32 v16, v25, 3, v24
	v_add_nc_u32_e32 v24, 0x39c0, v29
	v_and_b32_e32 v17, 28, v20
	v_lshrrev_b32_e32 v8, 2, v27
	s_clause 0x2
	scratch_store_b32 off, v30, off offset:340
	scratch_store_b32 off, v24, off offset:352
	scratch_store_b32 off, v29, off offset:260
	v_add_nc_u32_e32 v24, 0x3de0, v29
	v_add_nc_u32_e32 v20, s15, v30
	v_add3_u32 v16, v16, v17, 0x7280
	v_lshlrev_b32_e32 v17, 2, v23
	v_cndmask_b32_e64 v23, 0, 1, vcc_lo
	scratch_store_b32 off, v24, off offset:356 ; 4-byte Folded Spill
	v_mul_i32_i24_e32 v24, s11, v25
	v_cvt_i32_f64_e32 v9, v[10:11]
	v_and_b32_e32 v10, 0xffc, v0
	v_add_nc_u32_e32 v6, 0x60, v22
	v_lshl_add_u32 v8, v26, 3, v8
	s_clause 0x2
	scratch_store_b32 off, v24, off offset:360
	scratch_store_b32 off, v16, off offset:364
	;; [unrolled: 1-line block ×3, first 2 shown]
	v_add_nc_u32_e32 v16, s15, v20
	s_lshl_b32 s15, s11, 5
	v_add_nc_u32_e32 v20, 32, v22
	v_mad_i32_i24 v25, s11, v22, s15
	s_clause 0x1
	scratch_store_b32 off, v23, off offset:372
	scratch_store_b32 off, v16, off offset:368
	v_and_b32_e32 v23, 12, v18
	v_cvt_i32_f64_e32 v2, v[2:3]
	scratch_store_b32 off, v25, off offset:384 ; 4-byte Folded Spill
	v_add_nc_u32_e32 v25, s15, v25
	v_add3_u32 v3, v10, v17, 0x6200
	scratch_store_b32 off, v23, off offset:376 ; 4-byte Folded Spill
	v_mul_i32_i24_e32 v23, s11, v22
	v_lshlrev_b32_e32 v10, 5, v0
	scratch_store_b32 off, v25, off offset:388 ; 4-byte Folded Spill
	v_add_nc_u32_e32 v0, s15, v25
	v_and_b32_e32 v16, 0x7fc, v22
	scratch_store_b32 off, v23, off offset:380 ; 4-byte Folded Spill
	v_and_b32_e32 v23, 0xffc, v20
	v_cvt_i32_f64_e32 v11, v[12:13]
	scratch_store_b32 off, v0, off offset:392 ; 4-byte Folded Spill
	v_and_b32_e32 v12, 0xffc, v6
	v_and_b32_e32 v8, 63, v8
	;; [unrolled: 1-line block ×3, first 2 shown]
	v_add3_u32 v16, v16, v17, 0x6200
	v_add3_u32 v23, v23, v17, 0x6200
	v_cvt_i32_f64_e32 v13, v[14:15]
	v_add3_u32 v12, v12, v17, 0x6200
	v_and_b32_e32 v15, 28, v18
	v_or_b32_e32 v17, s7, v8
	v_lshlrev_b32_e32 v18, 2, v0
	v_lshlrev_b32_e32 v24, 5, v22
	;; [unrolled: 1-line block ×3, first 2 shown]
	v_add_co_u32 v25, s15, s2, v15
	v_min_i32_e32 v15, s16, v17
	v_lshl_or_b32 v8, v8, 4, v18
	v_add_co_ci_u32_e64 v26, null, s3, 0, s15
	v_and_b32_e32 v14, 31, v27
	s_delay_alu instid0(VALU_DEP_4) | instskip(NEXT) | instid1(VALU_DEP_4)
	v_mad_u64_u32 v[17:18], null, v15, s5, v[0:1]
	v_add_nc_u32_e32 v0, 0x76a0, v8
	scratch_store_b64 off, v[25:26], off offset:140 ; 8-byte Folded Spill
	v_lshl_or_b32 v14, v14, 2, v22
	v_lshlrev_b32_e32 v20, 5, v20
	v_lshlrev_b32_e32 v6, 5, v6
	scratch_store_b32 off, v0, off offset:148 ; 4-byte Folded Spill
	v_mul_lo_u32 v0, s5, v1
	scratch_store_b64 off, v[17:18], off offset:396 ; 8-byte Folded Spill
	v_add_nc_u32_e32 v1, 64, v27
	v_mad_u32_u24 v150, 0x84, v27, s14
	v_mov_b32_e32 v29, 0
	v_dual_mov_b32 v15, 0 :: v_dual_mov_b32 v30, 0
	scratch_store_b32 off, v0, off offset:152 ; 4-byte Folded Spill
	v_add_nc_u32_e32 v0, 0x4200, v14
	scratch_store_b32 off, v0, off offset:156 ; 4-byte Folded Spill
	v_mul_lo_u32 v0, s5, v4
	v_lshlrev_b32_e32 v4, 3, v27
	scratch_store_b32 off, v0, off offset:160 ; 4-byte Folded Spill
	v_add_nc_u32_e32 v0, 0x4600, v14
	scratch_store_b32 off, v0, off offset:164 ; 4-byte Folded Spill
	v_mul_lo_u32 v0, s5, v5
	v_add_nc_u32_e32 v5, 0x60, v27
	s_delay_alu instid0(VALU_DEP_1)
	v_and_b32_e32 v26, 0x1fc, v5
	scratch_store_b32 off, v0, off offset:168 ; 4-byte Folded Spill
	v_add_nc_u32_e32 v0, 0x4a00, v14
	scratch_store_b32 off, v0, off offset:172 ; 4-byte Folded Spill
	v_mul_lo_u32 v0, s5, v7
	scratch_store_b32 off, v0, off offset:176 ; 4-byte Folded Spill
	v_add_nc_u32_e32 v0, 0x4e00, v14
	scratch_store_b32 off, v0, off offset:180 ; 4-byte Folded Spill
	v_mul_lo_u32 v0, s5, v9
	v_lshlrev_b32_e32 v9, 3, v1
	scratch_store_b32 off, v0, off offset:184 ; 4-byte Folded Spill
	v_add_nc_u32_e32 v0, 0x5200, v14
	scratch_store_b32 off, v0, off offset:188 ; 4-byte Folded Spill
	v_mul_lo_u32 v0, s5, v11
	v_lshlrev_b32_e32 v11, 3, v5
	scratch_store_b32 off, v0, off offset:192 ; 4-byte Folded Spill
	v_add_nc_u32_e32 v0, 0x5600, v14
	scratch_store_b32 off, v0, off offset:196 ; 4-byte Folded Spill
	v_mul_lo_u32 v0, s5, v13
	v_mov_b32_e32 v13, 0
	scratch_store_b32 off, v0, off offset:200 ; 4-byte Folded Spill
	v_add_nc_u32_e32 v0, 0x5a00, v14
	scratch_store_b32 off, v0, off offset:204 ; 4-byte Folded Spill
	v_mul_lo_u32 v0, s5, v2
	v_lshlrev_b32_e32 v2, 2, v28
	s_mov_b32 s5, 0
	s_delay_alu instid0(VALU_DEP_1) | instskip(SKIP_2) | instid1(VALU_DEP_2)
	v_add3_u32 v69, v2, v4, 0x7280
	v_lshrrev_b32_e32 v2, 2, v1
	v_lshrrev_b32_e32 v4, 2, v5
	v_and_b32_e32 v2, 0x7c, v2
	s_delay_alu instid0(VALU_DEP_2) | instskip(NEXT) | instid1(VALU_DEP_2)
	v_and_b32_e32 v4, 0x7c, v4
	v_add3_u32 v141, v9, v2, 0x7280
	v_add_nc_u32_e32 v2, 0x76a0, v19
	scratch_store_b32 off, v0, off offset:208 ; 4-byte Folded Spill
	v_add_nc_u32_e32 v0, 0x5e00, v14
	v_add3_u32 v153, v11, v4, 0x7280
	v_and_b32_e32 v9, 0xfc, v27
	v_add_nc_u32_e32 v11, 0x6e08, v26
	scratch_store_b32 off, v0, off offset:212 ; 4-byte Folded Spill
	v_dual_mov_b32 v27, 0 :: v_dual_add_nc_u32 v0, 32, v27
	v_add_nc_u32_e32 v21, 0x6208, v9
	s_delay_alu instid0(VALU_DEP_2) | instskip(SKIP_1) | instid1(VALU_DEP_2)
	v_lshrrev_b32_e32 v7, 2, v0
	v_lshlrev_b32_e32 v8, 3, v0
	v_and_b32_e32 v7, 0x7c, v7
	s_delay_alu instid0(VALU_DEP_1)
	v_add3_u32 v136, v8, v7, 0x7280
	v_and_b32_e32 v8, 0x1fc, v0
	v_add_nc_u32_e32 v0, 0x4200, v22
	scratch_store_b32 off, v2, off offset:216 ; 4-byte Folded Spill
	v_and_b32_e32 v7, 0x1fc, v1
	v_add_nc_u32_e32 v17, 0x6608, v8
	scratch_store_b32 off, v0, off offset:220 ; 4-byte Folded Spill
	v_add_nc_u32_e32 v0, v16, v24
	scratch_store_b32 off, v28, off offset:224 ; 4-byte Folded Spill
	v_mov_b32_e32 v16, 0
	v_add_nc_u32_e32 v14, 0x6a08, v7
	scratch_store_b32 off, v0, off offset:404 ; 4-byte Folded Spill
	v_dual_mov_b32 v23, 0 :: v_dual_add_nc_u32 v0, v23, v20
	scratch_store_b32 off, v0, off offset:408 ; 4-byte Folded Spill
	v_add_nc_u32_e32 v0, v3, v10
	scratch_store_b32 off, v0, off offset:412 ; 4-byte Folded Spill
	v_add_nc_u32_e32 v0, v12, v6
	v_mov_b32_e32 v12, 0
	v_mov_b32_e32 v6, 0
	s_clause 0x11
	scratch_store_b32 off, v0, off offset:416
	scratch_store_b32 off, v66, off offset:48
	;; [unrolled: 1-line block ×18, first 2 shown]
	s_branch .LBB147_6
.LBB147_5:                              ;   in Loop: Header=BB147_6 Depth=1
	s_add_i32 s5, s5, 2
	s_delay_alu instid0(SALU_CYCLE_1)
	s_cmp_ge_i32 s5, s11
	s_cbranch_scc1 .LBB147_14
.LBB147_6:                              ; =>This Loop Header: Depth=1
                                        ;     Child Loop BB147_8 Depth 2
                                        ;       Child Loop BB147_10 Depth 3
                                        ;       Child Loop BB147_12 Depth 3
	s_clause 0x1
	scratch_load_b32 v2, off, off offset:224
	scratch_load_b32 v4, off, off offset:268
	s_mul_i32 s12, s5, 0x54
	s_mul_hi_u32 s13, s5, 0x54
	s_add_u32 s12, s0, s12
	s_addc_u32 s13, s1, s13
	s_mov_b32 s14, 0
	s_waitcnt vmcnt(1)
	v_mad_u64_u32 v[0:1], null, 0x54, v2, s[12:13]
	scratch_load_b32 v2, off, off offset:256 ; 4-byte Folded Reload
	s_waitcnt vmcnt(0)
	v_add_co_u32 v0, vcc_lo, v0, v2
	v_add_co_ci_u32_e32 v1, vcc_lo, 0, v1, vcc_lo
	s_delay_alu instid0(VALU_DEP_2) | instskip(NEXT) | instid1(VALU_DEP_2)
	v_add_co_u32 v0, vcc_lo, v0, 16
	v_add_co_ci_u32_e32 v1, vcc_lo, 0, v1, vcc_lo
	s_delay_alu instid0(VALU_DEP_1)
	v_mad_u64_u32 v[2:3], null, 0x54, v4, v[0:1]
	scratch_load_b32 v4, off, off offset:232 ; 4-byte Folded Reload
	s_waitcnt vmcnt(0)
	v_mad_u64_u32 v[18:19], null, 0x54, v4, v[0:1]
	scratch_load_b32 v4, off, off offset:236 ; 4-byte Folded Reload
	s_waitcnt vmcnt(0)
	;; [unrolled: 3-line block ×7, first 2 shown]
	v_mad_u64_u32 v[50:51], null, 0x54, v4, v[0:1]
	s_clause 0x7
	global_load_b32 v4, v[2:3], off
	global_load_b32 v25, v[18:19], off
	global_load_b32 v28, v[34:35], off
	global_load_b32 v38, v[42:43], off
	global_load_b32 v40, v[44:45], off
	global_load_b32 v63, v[46:47], off
	global_load_b32 v64, v[48:49], off
	global_load_b32 v65, v[50:51], off
	scratch_load_b32 v5, off, off offset:276 ; 4-byte Folded Reload
	s_waitcnt vmcnt(0)
	v_mad_u64_u32 v[2:3], null, 0x54, v5, v[0:1]
	scratch_load_b32 v5, off, off offset:296 ; 4-byte Folded Reload
	s_waitcnt vmcnt(0)
	v_mad_u64_u32 v[18:19], null, 0x54, v5, v[0:1]
	;; [unrolled: 3-line block ×9, first 2 shown]
	scratch_load_b32 v5, off, off offset:376 ; 4-byte Folded Reload
	s_lshl_b32 s12, s5, 3
	s_mov_b32 s13, 0
	s_waitcnt vmcnt(0)
	v_add_co_u32 v46, vcc_lo, v46, v5
	scratch_load_b32 v5, off, off offset:368 ; 4-byte Folded Reload
	v_add_co_ci_u32_e32 v47, vcc_lo, 0, v47, vcc_lo
	s_waitcnt vmcnt(0)
	v_mad_u64_u32 v[55:56], null, 0x54, v5, v[0:1]
	scratch_load_b32 v5, off, off offset:228 ; 4-byte Folded Reload
	s_waitcnt vmcnt(0)
	v_mad_u64_u32 v[0:1], null, 0x54, v5, v[52:53]
	scratch_load_b32 v5, off, off offset:380 ; 4-byte Folded Reload
	;; [unrolled: 3-line block ×5, first 2 shown]
	s_waitcnt vmcnt(0)
	v_mad_u64_u32 v[61:62], null, 0x54, v5, v[46:47]
	s_clause 0xc
	global_load_b32 v2, v[2:3], off
	global_load_b32 v3, v[18:19], off
	;; [unrolled: 1-line block ×8, first 2 shown]
	global_load_b32 v0, v[0:1], off offset:80
	global_load_b32 v1, v[52:53], off
	global_load_b32 v44, v[57:58], off
	;; [unrolled: 1-line block ×4, first 2 shown]
	scratch_load_b64 v[47:48], off, off offset:396 ; 8-byte Folded Reload
	s_waitcnt vmcnt(0)
	v_add_nc_u32_e32 v5, s12, v47
	scratch_store_b32 off, v5, off offset:132 ; 4-byte Folded Spill
	scratch_load_b32 v5, off, off offset:260 ; 4-byte Folded Reload
	s_waitcnt vmcnt(0)
	ds_store_b32 v5, v4
	scratch_load_b32 v4, off, off offset:272 ; 4-byte Folded Reload
	s_waitcnt vmcnt(0)
	ds_store_b32 v4, v25
	;; [unrolled: 3-line block ×21, first 2 shown]
	s_branch .LBB147_8
.LBB147_7:                              ;   in Loop: Header=BB147_8 Depth=2
                                        ; implicit-def: $sgpr14
                                        ; implicit-def: $sgpr13
	s_cbranch_execnz .LBB147_5
.LBB147_8:                              ;   Parent Loop BB147_6 Depth=1
                                        ; =>  This Loop Header: Depth=2
                                        ;       Child Loop BB147_10 Depth 3
                                        ;       Child Loop BB147_12 Depth 3
	s_lshr_b32 s15, s14, 1
	s_delay_alu instid0(SALU_CYCLE_1) | instskip(NEXT) | instid1(SALU_CYCLE_1)
	s_or_b32 s15, s15, s5
	s_cmp_lt_i32 s15, s11
	s_cbranch_scc0 .LBB147_7
; %bb.9:                                ;   in Loop: Header=BB147_8 Depth=2
	s_clause 0x1
	scratch_load_b32 v0, off, off offset:136
	scratch_load_b32 v5, off, off offset:208
	s_or_b32 s16, s14, 1
	s_lshl_b32 s17, s14, 3
	s_mov_b32 s18, 0
	s_lshl_b32 s15, s16, 3
	scratch_load_b64 v[52:53], off, off offset:140 ; 8-byte Folded Reload
	s_waitcnt vmcnt(2)
	v_lshl_add_u32 v0, s14, 5, v0
	s_delay_alu instid0(VALU_DEP_1) | instskip(NEXT) | instid1(VALU_DEP_1)
	v_lshrrev_b32_e32 v0, 3, v0
	v_add_nc_u32_e32 v4, s12, v0
	scratch_load_b32 v0, off, off offset:132 ; 4-byte Folded Reload
	s_waitcnt vmcnt(0)
	v_lshl_add_u32 v25, s14, 2, v0
	scratch_load_b32 v0, off, off offset:152 ; 4-byte Folded Reload
	v_mad_u64_u32 v[44:45], null, v25, 36, s[2:3]
	s_waitcnt vmcnt(0)
	v_add_nc_u32_e32 v2, v4, v0
	scratch_load_b32 v0, off, off offset:160 ; 4-byte Folded Reload
	s_waitcnt vmcnt(0)
	v_add_nc_u32_e32 v18, v4, v0
	scratch_load_b32 v0, off, off offset:168 ; 4-byte Folded Reload
	;; [unrolled: 3-line block ×4, first 2 shown]
	v_mad_i64_i32 v[34:35], null, v38, 36, v[52:53]
	s_waitcnt vmcnt(0)
	v_add_nc_u32_e32 v40, v4, v0
	scratch_load_b32 v0, off, off offset:192 ; 4-byte Folded Reload
	v_mad_i64_i32 v[42:43], null, v40, 36, v[52:53]
	s_waitcnt vmcnt(0)
	v_add_nc_u32_e32 v48, v4, v0
	scratch_load_b32 v0, off, off offset:200 ; 4-byte Folded Reload
	v_mad_i64_i32 v[46:47], null, v48, 36, v[52:53]
	s_waitcnt vmcnt(0)
	v_add_nc_u32_e32 v50, v4, v0
	v_mad_i64_i32 v[0:1], null, v2, 36, v[52:53]
	v_mad_i64_i32 v[2:3], null, v18, 36, v[52:53]
	;; [unrolled: 1-line block ×3, first 2 shown]
	v_add_nc_u32_e32 v4, v4, v5
	v_mad_i64_i32 v[48:49], null, v50, 36, v[52:53]
	s_delay_alu instid0(VALU_DEP_2)
	v_mad_i64_i32 v[50:51], null, v4, 36, v[52:53]
	s_clause 0x8
	global_load_b32 v4, v[44:45], off
	global_load_b32 v2, v[2:3], off offset:4
	global_load_b32 v3, v[18:19], off offset:4
	;; [unrolled: 1-line block ×8, first 2 shown]
	s_clause 0x1
	scratch_load_b32 v124, off, off offset:220
	scratch_load_b32 v125, off, off offset:216
	s_waitcnt vmcnt(10)
	v_cvt_f32_f16_e32 v1, v4
	scratch_load_b32 v4, off, off offset:164 ; 4-byte Folded Reload
	s_waitcnt vmcnt(0)
	ds_store_b32 v4, v2
	scratch_load_b32 v2, off, off offset:172 ; 4-byte Folded Reload
	s_waitcnt vmcnt(0)
	ds_store_b32 v2, v3
	;; [unrolled: 3-line block ×9, first 2 shown]
	s_waitcnt lgkmcnt(0)
	s_waitcnt_vscnt null, 0x0
	s_barrier
	buffer_gl0_inv
.LBB147_10:                             ;   Parent Loop BB147_6 Depth=1
                                        ;     Parent Loop BB147_8 Depth=2
                                        ; =>    This Inner Loop Header: Depth=3
	s_clause 0x4
	scratch_store_b32 off, v127, off offset:16
	scratch_store_b32 off, v105, off offset:12
	;; [unrolled: 1-line block ×4, first 2 shown]
	scratch_store_b32 off, v6, off
	ds_load_2addr_b32 v[3:4], v125 offset1:32
	ds_load_b128 v[42:45], v124
	ds_load_b128 v[46:49], v124 offset:16
	scratch_load_b32 v5, off, off offset:112 ; 4-byte Folded Reload
	s_add_i32 s21, s13, s18
	v_add_nc_u32_e32 v126, s18, v68
	s_and_b32 s20, s21, 0x3ffffff8
	s_lshr_b32 s21, s21, 2
	s_lshl_b32 s20, s20, 2
	s_and_b32 s21, s21, 0x3ffffffc
	s_and_b32 s19, s17, -16
	v_add_nc_u32_e32 v28, s21, v69
	s_add_i32 s17, s17, 2
	s_waitcnt lgkmcnt(1)
	v_ashrrev_i32_e32 v88, 24, v42
	v_ashrrev_i32_e32 v92, 24, v43
	v_bfe_i32 v87, v42, 16, 8
	v_bfe_i32 v91, v43, 16, 8
	v_ashrrev_i32_e32 v96, 24, v44
	v_ashrrev_i32_e32 v100, 24, v45
	v_add_nc_u32_e32 v18, v92, v88
	v_bfe_i32 v86, v42, 8, 8
	v_bfe_i32 v90, v43, 8, 8
	;; [unrolled: 1-line block ×4, first 2 shown]
	v_add3_u32 v127, v18, v96, v100
	v_add_nc_u32_e32 v18, v91, v87
	v_bfe_i32 v85, v42, 0, 8
	v_bfe_i32 v89, v43, 0, 8
	;; [unrolled: 1-line block ×4, first 2 shown]
	v_add3_u32 v128, v18, v95, v99
	v_add_nc_u32_e32 v18, v90, v86
	v_bfe_i32 v93, v44, 0, 8
	v_bfe_i32 v97, v45, 0, 8
	s_waitcnt lgkmcnt(0)
	v_bfe_i32 v112, v48, 0, 8
	v_bfe_i32 v113, v48, 8, 8
	v_add3_u32 v105, v18, v94, v98
	v_add_nc_u32_e32 v18, v89, v85
	v_bfe_i32 v114, v48, 16, 8
	v_ashrrev_i32_e32 v115, 24, v48
	v_bfe_i32 v116, v49, 0, 8
	v_bfe_i32 v117, v49, 8, 8
	v_add3_u32 v106, v18, v93, v97
	v_add_nc_u32_e32 v18, s20, v66
	v_bfe_i32 v118, v49, 16, 8
	v_ashrrev_i32_e32 v123, 24, v49
	v_bfe_i32 v0, v47, 0, 8
	v_bfe_i32 v109, v47, 8, 8
	ds_load_2addr_b32 v[34:35], v18 offset1:1
	v_bfe_i32 v110, v47, 16, 8
	v_ashrrev_i32_e32 v111, 24, v47
	v_bfe_i32 v101, v46, 0, 8
	v_bfe_i32 v102, v46, 8, 8
	v_ashrrev_i32_e32 v104, 24, v46
	v_bfe_i32 v103, v46, 16, 8
	s_delay_alu instid0(VALU_DEP_2) | instskip(NEXT) | instid1(VALU_DEP_1)
	v_add_nc_u32_e32 v1, v111, v104
	v_add3_u32 v2, v1, v115, v123
	s_delay_alu instid0(VALU_DEP_3)
	v_add_nc_u32_e32 v1, v110, v103
	s_waitcnt lgkmcnt(0)
	v_ashrrev_i32_e32 v25, s18, v34
	v_ashrrev_i32_e32 v38, s18, v35
	ds_load_2addr_b32 v[34:35], v18 offset0:2 offset1:3
	v_add3_u32 v19, v1, v114, v118
	v_add_nc_u32_e32 v1, v109, v102
	v_and_b32_e32 v44, 3, v25
	v_and_b32_e32 v50, 3, v38
	v_bfe_u32 v47, v25, 16, 2
	v_bfe_u32 v55, v25, 24, 2
	;; [unrolled: 1-line block ×3, first 2 shown]
	v_mul_i32_i24_e32 v52, v44, v85
	v_bfe_u32 v56, v38, 16, 2
	v_mul_i32_i24_e32 v68, v47, v87
	v_bfe_u32 v58, v38, 24, 2
	v_mul_i32_i24_e32 v69, v53, v90
	v_mad_i32_i24 v52, v50, v89, v52
	v_mul_i32_i24_e32 v70, v56, v91
	v_add3_u32 v46, v1, v113, v117
	v_mul_i32_i24_e32 v38, v58, v92
	v_add_nc_u32_e32 v1, v0, v101
	s_waitcnt lgkmcnt(0)
	v_ashrrev_i32_e32 v40, s18, v34
	v_ashrrev_i32_e32 v43, s18, v35
	ds_load_2addr_b32 v[34:35], v18 offset0:4 offset1:5
	v_add3_u32 v1, v1, v112, v116
	v_and_b32_e32 v57, 3, v40
	v_and_b32_e32 v61, 3, v43
	v_bfe_u32 v59, v40, 8, 2
	v_bfe_u32 v60, v40, 16, 2
	;; [unrolled: 1-line block ×3, first 2 shown]
	v_mul_i32_i24_e32 v71, v57, v93
	v_mul_i32_i24_e32 v74, v61, v97
	;; [unrolled: 1-line block ×4, first 2 shown]
	v_bfe_u32 v63, v43, 8, 2
	v_mul_i32_i24_e32 v40, v62, v96
	v_bfe_u32 v64, v43, 16, 2
	v_bfe_u32 v65, v43, 24, 2
	s_delay_alu instid0(VALU_DEP_4) | instskip(NEXT) | instid1(VALU_DEP_3)
	v_mul_i32_i24_e32 v75, v63, v98
	v_mul_i32_i24_e32 v76, v64, v99
	s_waitcnt lgkmcnt(0)
	v_ashrrev_i32_e32 v45, s18, v34
	v_ashrrev_i32_e32 v48, s18, v35
	ds_load_2addr_b32 v[34:35], v18 offset0:6 offset1:7
	v_mul_i32_i24_e32 v43, v65, v100
	s_waitcnt lgkmcnt(0)
	v_ashrrev_i32_e32 v49, s18, v34
	v_ashrrev_i32_e32 v51, s18, v35
	s_delay_alu instid0(VALU_DEP_2) | instskip(NEXT) | instid1(VALU_DEP_2)
	v_bfe_u32 v77, v49, 8, 2
	v_and_b32_e32 v82, 3, v51
	v_bfe_u32 v78, v49, 16, 2
	v_bfe_u32 v119, v49, 24, 2
	;; [unrolled: 1-line block ×3, first 2 shown]
	v_mul_i32_i24_e32 v130, v77, v113
	v_mul_i32_i24_e32 v132, v82, v116
	;; [unrolled: 1-line block ×3, first 2 shown]
	v_bfe_u32 v121, v51, 16, 2
	v_mul_i32_i24_e32 v133, v120, v117
	v_bfe_u32 v122, v51, 24, 2
	s_delay_alu instid0(VALU_DEP_3) | instskip(NEXT) | instid1(VALU_DEP_2)
	v_mul_i32_i24_e32 v134, v121, v118
	v_mul_i32_i24_e32 v51, v122, v123
	s_waitcnt vmcnt(0)
	v_add3_u32 v18, v5, s19, v126
	ds_load_b32 v183, v28
	ds_load_u16 v18, v18 offset:25088
	scratch_load_b32 v5, off, off offset:108 ; 4-byte Folded Reload
	s_waitcnt lgkmcnt(0)
	v_bfe_u32 v192, v18, 4, 4
	v_lshrrev_b16 v35, 8, v18
	s_delay_alu instid0(VALU_DEP_2) | instskip(NEXT) | instid1(VALU_DEP_1)
	v_mul_lo_u32 v42, 0x1010101, v192
	v_bfe_i32 v28, v42, 8, 8
	v_bfe_i32 v34, v42, 16, 8
	v_lshrrev_b32_e32 v196, 24, v42
	v_bfe_u32 v42, v25, 8, 2
	v_mul_i32_i24_e32 v25, v55, v88
	s_delay_alu instid0(VALU_DEP_2) | instskip(NEXT) | instid1(VALU_DEP_1)
	v_mul_i32_i24_e32 v66, v42, v86
	v_add3_u32 v52, v52, v71, v66
	v_and_b32_e32 v71, 3, v48
	v_and_b32_e32 v66, 15, v18
	s_delay_alu instid0(VALU_DEP_3) | instskip(SKIP_1) | instid1(VALU_DEP_2)
	v_add3_u32 v25, v52, v68, v25
	v_bfe_u32 v68, v45, 8, 2
	v_add3_u32 v25, v25, v74, v69
	v_and_b32_e32 v69, 3, v45
	s_delay_alu instid0(VALU_DEP_3) | instskip(SKIP_1) | instid1(VALU_DEP_4)
	v_mul_i32_i24_e32 v80, v68, v102
	v_bfe_u32 v74, v48, 16, 2
	v_add3_u32 v25, v25, v70, v38
	s_delay_alu instid0(VALU_DEP_4) | instskip(SKIP_1) | instid1(VALU_DEP_4)
	v_mul_i32_i24_e32 v52, v69, v101
	v_bfe_u32 v70, v45, 16, 2
	v_mul_i32_i24_e32 v84, v74, v110
	s_delay_alu instid0(VALU_DEP_4)
	v_add3_u32 v25, v25, v72, v73
	v_bfe_u32 v73, v45, 24, 2
	v_mad_i32_i24 v52, v71, v0, v52
	v_mul_i32_i24_e32 v81, v70, v103
	v_bfe_u32 v72, v48, 8, 2
	v_add3_u32 v25, v25, v40, v75
	v_and_b32_e32 v75, 3, v49
	v_mul_i32_i24_e32 v45, v73, v104
	v_mul_i32_i24_e32 v49, v119, v115
	v_mul_i32_i24_e32 v83, v72, v109
	v_add3_u32 v25, v25, v76, v43
	v_mul_i32_i24_e32 v129, v75, v112
	v_bfe_u32 v76, v48, 24, 2
	s_delay_alu instid0(VALU_DEP_3) | instskip(NEXT) | instid1(VALU_DEP_3)
	v_mul_lo_u32 v18, v25, v66
	v_add3_u32 v52, v52, v129, v80
	v_and_b32_e32 v25, 0xffff, v35
	s_delay_alu instid0(VALU_DEP_4) | instskip(SKIP_1) | instid1(VALU_DEP_4)
	v_mul_i32_i24_e32 v48, v76, v111
	v_mul_i32_i24_e32 v80, v128, v34
	v_add3_u32 v45, v52, v81, v45
	s_delay_alu instid0(VALU_DEP_4)
	v_lshrrev_b32_e32 v35, 4, v25
	v_mul_i32_i24_e32 v52, v127, v196
	v_mul_i32_i24_e32 v81, v105, v28
	v_and_b32_e32 v217, 15, v25
	v_add3_u32 v45, v45, v132, v83
	v_mul_lo_u32 v43, 0x1010101, v35
	v_mul_i32_i24_e32 v83, v192, v106
	s_delay_alu instid0(VALU_DEP_3) | instskip(NEXT) | instid1(VALU_DEP_2)
	v_add3_u32 v45, v45, v84, v48
	v_mad_i32_i24 v83, v35, v1, v83
	s_delay_alu instid0(VALU_DEP_4)
	v_bfe_i32 v38, v43, 8, 8
	v_bfe_i32 v40, v43, 16, 8
	v_lshrrev_b32_e32 v43, 24, v43
	v_add3_u32 v45, v45, v130, v131
	v_add3_u32 v52, v83, v52, v80
	v_add_nc_u32_e32 v83, s21, v136
	s_delay_alu instid0(VALU_DEP_4) | instskip(NEXT) | instid1(VALU_DEP_4)
	v_mul_i32_i24_e32 v48, v2, v43
	v_add3_u32 v45, v45, v49, v133
	v_mul_i32_i24_e32 v49, v19, v40
	s_delay_alu instid0(VALU_DEP_3) | instskip(NEXT) | instid1(VALU_DEP_3)
	v_add3_u32 v48, v52, v81, v48
	v_add3_u32 v45, v45, v134, v51
	v_mul_i32_i24_e32 v51, v46, v38
	s_delay_alu instid0(VALU_DEP_1) | instskip(NEXT) | instid1(VALU_DEP_3)
	v_add3_u32 v51, v48, v49, v51
	v_mad_u64_u32 v[48:49], null, v45, v217, v[18:19]
	v_lshrrev_b32_e32 v18, 16, v183
	s_delay_alu instid0(VALU_DEP_3) | instskip(NEXT) | instid1(VALU_DEP_2)
	v_cvt_f32_i32_e32 v25, v51
	v_cvt_f32_f16_e64 v218, v18
	s_delay_alu instid0(VALU_DEP_4) | instskip(NEXT) | instid1(VALU_DEP_2)
	v_cvt_f32_i32_e32 v18, v48
	v_mul_f32_e32 v25, v218, v25
	s_delay_alu instid0(VALU_DEP_1) | instskip(NEXT) | instid1(VALU_DEP_1)
	v_fma_mix_f32 v18, v183, v18, -v25 op_sel_hi:[1,0,0]
	v_fmac_f32_e32 v194, v3, v18
	v_add_nc_u32_e32 v18, s20, v135
	ds_load_2addr_b32 v[48:49], v18 offset1:1
	s_waitcnt lgkmcnt(0)
	v_ashrrev_i32_e32 v25, s18, v48
	v_ashrrev_i32_e32 v45, s18, v49
	ds_load_2addr_b32 v[48:49], v18 offset0:2 offset1:3
	v_and_b32_e32 v224, 3, v25
	v_bfe_u32 v67, v25, 8, 2
	v_and_b32_e32 v226, 3, v45
	v_bfe_u32 v225, v25, 16, 2
	v_bfe_u32 v228, v25, 24, 2
	;; [unrolled: 1-line block ×3, first 2 shown]
	v_mul_i32_i24_e32 v129, v67, v86
	v_bfe_u32 v229, v45, 16, 2
	v_mul_i32_i24_e32 v130, v225, v87
	v_mul_i32_i24_e32 v25, v228, v88
	;; [unrolled: 1-line block ×3, first 2 shown]
	v_bfe_u32 v222, v45, 24, 2
	v_mul_i32_i24_e32 v132, v229, v91
	s_delay_alu instid0(VALU_DEP_2)
	v_mul_i32_i24_e32 v45, v222, v92
	s_waitcnt lgkmcnt(0)
	v_ashrrev_i32_e32 v51, s18, v48
	v_ashrrev_i32_e32 v52, s18, v49
	ds_load_2addr_b32 v[48:49], v18 offset0:4 offset1:5
	v_and_b32_e32 v230, 3, v51
	v_and_b32_e32 v234, 3, v52
	v_bfe_u32 v231, v51, 8, 2
	v_bfe_u32 v79, v51, 16, 2
	;; [unrolled: 1-line block ×3, first 2 shown]
	v_mul_i32_i24_e32 v133, v230, v93
	v_mul_i32_i24_e32 v136, v234, v97
	v_mul_i32_i24_e32 v134, v231, v94
	v_mul_i32_i24_e32 v135, v79, v95
	v_bfe_u32 v235, v52, 8, 2
	v_mul_i32_i24_e32 v51, v233, v96
	v_bfe_u32 v236, v52, 16, 2
	v_bfe_u32 v237, v52, 24, 2
	s_delay_alu instid0(VALU_DEP_4) | instskip(NEXT) | instid1(VALU_DEP_3)
	v_mul_i32_i24_e32 v137, v235, v98
	v_mul_i32_i24_e32 v138, v236, v99
	s_waitcnt lgkmcnt(0)
	v_ashrrev_i32_e32 v80, s18, v48
	v_ashrrev_i32_e32 v81, s18, v49
	ds_load_2addr_b32 v[48:49], v18 offset0:6 offset1:7
	v_mul_i32_i24_e32 v52, v237, v100
	v_and_b32_e32 v241, 3, v80
	v_bfe_u32 v240, v80, 8, 2
	v_and_b32_e32 v243, 3, v81
	v_bfe_u32 v242, v80, 16, 2
	v_bfe_u32 v245, v80, 24, 2
	;; [unrolled: 1-line block ×5, first 2 shown]
	s_delay_alu instid0(VALU_DEP_4) | instskip(NEXT) | instid1(VALU_DEP_2)
	v_mul_i32_i24_e32 v80, v245, v104
	v_mul_i32_i24_e32 v81, v248, v111
	s_waitcnt lgkmcnt(0)
	v_ashrrev_i32_e32 v48, s18, v48
	v_ashrrev_i32_e32 v49, s18, v49
	s_delay_alu instid0(VALU_DEP_2) | instskip(NEXT) | instid1(VALU_DEP_2)
	v_and_b32_e32 v247, 3, v48
	v_and_b32_e32 v251, 3, v49
	v_bfe_u32 v249, v48, 8, 2
	v_bfe_u32 v250, v48, 16, 2
	;; [unrolled: 1-line block ×6, first 2 shown]
	s_delay_alu instid0(VALU_DEP_4) | instskip(NEXT) | instid1(VALU_DEP_2)
	v_mul_i32_i24_e32 v48, v252, v115
	v_mul_i32_i24_e32 v49, v255, v123
	s_waitcnt vmcnt(0)
	v_add3_u32 v18, v5, s19, v126
	ds_load_b32 v139, v83
	ds_load_u16 v18, v18 offset:26112
	scratch_load_b32 v5, off, off offset:104 ; 4-byte Folded Reload
	s_waitcnt lgkmcnt(0)
	v_bfe_u32 v155, v18, 4, 4
	v_lshrrev_b16 v83, 8, v18
	v_and_b32_e32 v239, 15, v18
	s_delay_alu instid0(VALU_DEP_3) | instskip(NEXT) | instid1(VALU_DEP_1)
	v_mul_lo_u32 v84, 0x1010101, v155
	v_bfe_i32 v215, v84, 8, 8
	v_bfe_i32 v32, v84, 16, 8
	v_lshrrev_b32_e32 v159, 24, v84
	v_mul_i32_i24_e32 v84, v224, v85
	s_delay_alu instid0(VALU_DEP_1) | instskip(NEXT) | instid1(VALU_DEP_1)
	v_mad_i32_i24 v84, v226, v89, v84
	v_add3_u32 v84, v84, v133, v129
	v_mul_i32_i24_e32 v129, v247, v112
	v_mul_i32_i24_e32 v133, v253, v117
	s_delay_alu instid0(VALU_DEP_3) | instskip(SKIP_2) | instid1(VALU_DEP_3)
	v_add3_u32 v25, v84, v130, v25
	v_mul_i32_i24_e32 v84, v246, v110
	v_mul_i32_i24_e32 v130, v249, v113
	v_add3_u32 v25, v25, v136, v131
	v_mul_i32_i24_e32 v131, v250, v114
	s_delay_alu instid0(VALU_DEP_2) | instskip(SKIP_1) | instid1(VALU_DEP_2)
	v_add3_u32 v25, v25, v132, v45
	v_mul_i32_i24_e32 v132, v251, v116
	v_add3_u32 v25, v25, v134, v135
	v_mul_i32_i24_e32 v134, v254, v118
	s_delay_alu instid0(VALU_DEP_2) | instskip(SKIP_1) | instid1(VALU_DEP_2)
	v_add3_u32 v25, v25, v51, v137
	v_mul_i32_i24_e32 v51, v240, v102
	v_add3_u32 v25, v25, v138, v52
	v_mul_i32_i24_e32 v52, v242, v103
	s_delay_alu instid0(VALU_DEP_2) | instskip(SKIP_2) | instid1(VALU_DEP_2)
	v_mul_lo_u32 v18, v25, v239
	v_and_b32_e32 v25, 0xffff, v83
	v_mul_i32_i24_e32 v83, v244, v109
	v_lshrrev_b32_e32 v219, 4, v25
	v_and_b32_e32 v14, 15, v25
	s_delay_alu instid0(VALU_DEP_2) | instskip(NEXT) | instid1(VALU_DEP_1)
	v_mul_lo_u32 v45, 0x1010101, v219
	v_bfe_i32 v220, v45, 8, 8
	v_bfe_i32 v221, v45, 16, 8
	v_lshrrev_b32_e32 v223, 24, v45
	v_mul_i32_i24_e32 v45, v241, v101
	s_delay_alu instid0(VALU_DEP_1) | instskip(NEXT) | instid1(VALU_DEP_1)
	v_mad_i32_i24 v45, v243, v0, v45
	v_add3_u32 v45, v45, v129, v51
	v_mul_i32_i24_e32 v51, v46, v220
	s_delay_alu instid0(VALU_DEP_2) | instskip(SKIP_2) | instid1(VALU_DEP_3)
	v_add3_u32 v45, v45, v52, v80
	v_mul_i32_i24_e32 v52, v127, v159
	v_mul_i32_i24_e32 v80, v128, v32
	v_add3_u32 v45, v45, v132, v83
	v_mul_i32_i24_e32 v83, v155, v106
	s_delay_alu instid0(VALU_DEP_2) | instskip(NEXT) | instid1(VALU_DEP_2)
	v_add3_u32 v45, v45, v84, v81
	v_mad_i32_i24 v83, v219, v1, v83
	v_mul_i32_i24_e32 v81, v105, v215
	s_delay_alu instid0(VALU_DEP_3) | instskip(NEXT) | instid1(VALU_DEP_3)
	v_add3_u32 v45, v45, v130, v131
	v_add3_u32 v52, v83, v52, v80
	s_delay_alu instid0(VALU_DEP_2) | instskip(SKIP_1) | instid1(VALU_DEP_2)
	v_add3_u32 v45, v45, v48, v133
	v_mul_i32_i24_e32 v48, v2, v223
	v_add3_u32 v45, v45, v134, v49
	v_mul_i32_i24_e32 v49, v19, v221
	s_delay_alu instid0(VALU_DEP_3) | instskip(NEXT) | instid1(VALU_DEP_1)
	v_add3_u32 v48, v52, v81, v48
	v_add3_u32 v51, v48, v49, v51
	s_delay_alu instid0(VALU_DEP_4) | instskip(SKIP_1) | instid1(VALU_DEP_3)
	v_mad_u64_u32 v[48:49], null, v45, v14, v[18:19]
	v_lshrrev_b32_e32 v18, 16, v139
	v_cvt_f32_i32_e32 v25, v51
	s_delay_alu instid0(VALU_DEP_2) | instskip(NEXT) | instid1(VALU_DEP_4)
	v_cvt_f32_f16_e64 v180, v18
	v_cvt_f32_i32_e32 v18, v48
	s_delay_alu instid0(VALU_DEP_2) | instskip(NEXT) | instid1(VALU_DEP_1)
	v_mul_f32_e32 v25, v180, v25
	v_fma_mix_f32 v18, v139, v18, -v25 op_sel_hi:[1,0,0]
	s_delay_alu instid0(VALU_DEP_1)
	v_dual_fmac_f32 v238, v3, v18 :: v_dual_add_nc_u32 v25, s21, v141
	v_add_nc_u32_e32 v18, s20, v140
	ds_load_2addr_b32 v[48:49], v18 offset1:1
	s_waitcnt lgkmcnt(0)
	v_ashrrev_i32_e32 v45, s18, v48
	v_ashrrev_i32_e32 v52, s18, v49
	ds_load_2addr_b32 v[48:49], v18 offset0:2 offset1:3
	v_bfe_u32 v17, v45, 8, 2
	v_bfe_u32 v51, v52, 16, 2
	;; [unrolled: 1-line block ×3, first 2 shown]
	s_delay_alu instid0(VALU_DEP_3) | instskip(NEXT) | instid1(VALU_DEP_3)
	v_mul_i32_i24_e32 v137, v17, v86
	v_mul_i32_i24_e32 v142, v51, v91
	s_delay_alu instid0(VALU_DEP_3)
	v_mul_i32_i24_e32 v143, v20, v92
	s_waitcnt lgkmcnt(0)
	v_ashrrev_i32_e32 v80, s18, v48
	v_ashrrev_i32_e32 v81, s18, v49
	ds_load_2addr_b32 v[48:49], v18 offset0:4 offset1:5
	v_bfe_u32 v188, v80, 8, 2
	v_and_b32_e32 v190, 3, v81
	v_bfe_u32 v189, v80, 16, 2
	v_bfe_u32 v193, v80, 24, 2
	;; [unrolled: 1-line block ×3, first 2 shown]
	v_mul_i32_i24_e32 v145, v188, v94
	v_mul_i32_i24_e32 v147, v190, v97
	;; [unrolled: 1-line block ×3, first 2 shown]
	v_bfe_u32 v195, v81, 16, 2
	v_mul_i32_i24_e32 v148, v21, v98
	v_bfe_u32 v22, v81, 24, 2
	s_delay_alu instid0(VALU_DEP_3) | instskip(NEXT) | instid1(VALU_DEP_2)
	v_mul_i32_i24_e32 v149, v195, v99
	v_mul_i32_i24_e32 v81, v22, v100
	s_waitcnt lgkmcnt(0)
	v_ashrrev_i32_e32 v83, s18, v48
	v_ashrrev_i32_e32 v84, s18, v49
	ds_load_2addr_b32 v[48:49], v18 offset0:6 offset1:7
	v_and_b32_e32 v24, 3, v83
	v_bfe_u32 v199, v83, 8, 2
	v_and_b32_e32 v201, 3, v84
	v_bfe_u32 v200, v83, 16, 2
	v_bfe_u32 v203, v83, 24, 2
	;; [unrolled: 1-line block ×5, first 2 shown]
	s_delay_alu instid0(VALU_DEP_4) | instskip(NEXT) | instid1(VALU_DEP_2)
	v_mul_i32_i24_e32 v83, v203, v104
	v_mul_i32_i24_e32 v84, v206, v111
	s_waitcnt lgkmcnt(0)
	v_ashrrev_i32_e32 v129, s18, v48
	v_ashrrev_i32_e32 v130, s18, v49
	v_bfe_u32 v49, v45, 24, 2
	v_bfe_u32 v48, v52, 8, 2
	s_delay_alu instid0(VALU_DEP_4) | instskip(NEXT) | instid1(VALU_DEP_4)
	v_and_b32_e32 v205, 3, v129
	v_and_b32_e32 v209, 3, v130
	s_delay_alu instid0(VALU_DEP_4) | instskip(NEXT) | instid1(VALU_DEP_4)
	v_mul_i32_i24_e32 v140, v49, v88
	v_mul_i32_i24_e32 v141, v48, v90
	v_bfe_u32 v207, v129, 8, 2
	v_bfe_u32 v208, v129, 16, 2
	;; [unrolled: 1-line block ×6, first 2 shown]
	s_delay_alu instid0(VALU_DEP_4) | instskip(NEXT) | instid1(VALU_DEP_2)
	v_mul_i32_i24_e32 v129, v210, v115
	v_mul_i32_i24_e32 v130, v26, v123
	s_waitcnt vmcnt(0)
	v_add3_u32 v18, v5, s19, v126
	ds_load_b32 v131, v25
	ds_load_u16 v134, v18 offset:27136
	scratch_load_b32 v5, off, off offset:100 ; 4-byte Folded Reload
	v_bfe_u32 v25, v45, 16, 2
	s_delay_alu instid0(VALU_DEP_1) | instskip(SKIP_4) | instid1(VALU_DEP_3)
	v_mul_i32_i24_e32 v138, v25, v87
	s_waitcnt lgkmcnt(0)
	v_bfe_u32 v132, v134, 4, 4
	v_lshrrev_b16 v135, 8, v134
	v_and_b32_e32 v198, 15, v134
	v_mul_lo_u32 v18, 0x1010101, v132
	s_delay_alu instid0(VALU_DEP_1)
	v_bfe_i32 v11, v18, 8, 8
	v_bfe_i32 v178, v18, 16, 8
	v_lshrrev_b32_e32 v6, 24, v18
	v_and_b32_e32 v18, 3, v45
	v_and_b32_e32 v45, 3, v52
	;; [unrolled: 1-line block ×3, first 2 shown]
	v_mul_i32_i24_e32 v80, v193, v96
	s_delay_alu instid0(VALU_DEP_4) | instskip(NEXT) | instid1(VALU_DEP_3)
	v_mul_i32_i24_e32 v136, v18, v85
	v_mul_i32_i24_e32 v144, v52, v93
	s_delay_alu instid0(VALU_DEP_2) | instskip(NEXT) | instid1(VALU_DEP_1)
	v_mad_i32_i24 v136, v45, v89, v136
	v_add3_u32 v136, v136, v144, v137
	v_mul_i32_i24_e32 v137, v202, v109
	v_mul_i32_i24_e32 v144, v211, v117
	s_delay_alu instid0(VALU_DEP_3) | instskip(SKIP_2) | instid1(VALU_DEP_3)
	v_add3_u32 v136, v136, v138, v140
	v_mul_i32_i24_e32 v140, v205, v112
	v_mul_i32_i24_e32 v138, v204, v110
	v_add3_u32 v136, v136, v147, v141
	v_mul_i32_i24_e32 v141, v207, v113
	s_delay_alu instid0(VALU_DEP_2) | instskip(SKIP_2) | instid1(VALU_DEP_3)
	v_add3_u32 v136, v136, v142, v143
	v_mul_i32_i24_e32 v143, v209, v116
	v_mul_i32_i24_e32 v142, v208, v114
	v_add3_u32 v136, v136, v145, v146
	v_mul_i32_i24_e32 v145, v212, v118
	s_delay_alu instid0(VALU_DEP_2) | instskip(SKIP_1) | instid1(VALU_DEP_2)
	v_add3_u32 v80, v136, v80, v148
	v_mul_i32_i24_e32 v136, v200, v103
	v_add3_u32 v80, v80, v149, v81
	v_and_b32_e32 v81, 0xffff, v135
	v_mul_i32_i24_e32 v135, v199, v102
	s_delay_alu instid0(VALU_DEP_3) | instskip(NEXT) | instid1(VALU_DEP_3)
	v_mul_lo_u32 v80, v80, v198
	v_lshrrev_b32_e32 v182, 4, v81
	s_delay_alu instid0(VALU_DEP_1) | instskip(NEXT) | instid1(VALU_DEP_1)
	v_mul_lo_u32 v134, 0x1010101, v182
	v_bfe_i32 v184, v134, 8, 8
	v_bfe_i32 v185, v134, 16, 8
	v_lshrrev_b32_e32 v186, 24, v134
	v_mul_i32_i24_e32 v134, v24, v101
	s_delay_alu instid0(VALU_DEP_1) | instskip(NEXT) | instid1(VALU_DEP_1)
	v_mad_i32_i24 v134, v201, v0, v134
	v_add3_u32 v134, v134, v140, v135
	v_mul_i32_i24_e32 v135, v128, v178
	s_delay_alu instid0(VALU_DEP_2) | instskip(SKIP_2) | instid1(VALU_DEP_3)
	v_add3_u32 v83, v134, v136, v83
	v_mul_i32_i24_e32 v134, v127, v6
	v_mul_i32_i24_e32 v136, v105, v11
	v_add3_u32 v83, v83, v143, v137
	v_mul_i32_i24_e32 v137, v132, v106
	s_delay_alu instid0(VALU_DEP_2) | instskip(NEXT) | instid1(VALU_DEP_2)
	v_add3_u32 v83, v83, v138, v84
	v_mad_i32_i24 v137, v182, v1, v137
	v_mul_i32_i24_e32 v84, v19, v185
	s_delay_alu instid0(VALU_DEP_3) | instskip(NEXT) | instid1(VALU_DEP_3)
	v_add3_u32 v83, v83, v141, v142
	v_add3_u32 v134, v137, v134, v135
	s_delay_alu instid0(VALU_DEP_2) | instskip(NEXT) | instid1(VALU_DEP_1)
	v_add3_u32 v83, v83, v129, v144
	v_add3_u32 v129, v83, v145, v130
	v_mul_i32_i24_e32 v83, v2, v186
	v_mul_i32_i24_e32 v130, v46, v184
	s_delay_alu instid0(VALU_DEP_2) | instskip(SKIP_1) | instid1(VALU_DEP_2)
	v_add3_u32 v83, v134, v136, v83
	v_and_b32_e32 v136, 15, v81
	v_add3_u32 v130, v83, v84, v130
	s_delay_alu instid0(VALU_DEP_2) | instskip(SKIP_1) | instid1(VALU_DEP_3)
	v_mad_u64_u32 v[83:84], null, v129, v136, v[80:81]
	v_lshrrev_b32_e32 v80, 16, v131
	v_cvt_f32_i32_e32 v81, v130
	s_delay_alu instid0(VALU_DEP_2) | instskip(NEXT) | instid1(VALU_DEP_4)
	v_cvt_f32_f16_e32 v7, v80
	v_cvt_f32_i32_e32 v80, v83
	v_add_nc_u32_e32 v83, s20, v150
	s_delay_alu instid0(VALU_DEP_3) | instskip(NEXT) | instid1(VALU_DEP_1)
	v_mul_f32_e32 v81, v7, v81
	v_fma_mix_f32 v80, v131, v80, -v81 op_sel_hi:[1,0,0]
	s_delay_alu instid0(VALU_DEP_1)
	v_fmac_f32_e32 v232, v3, v80
	ds_load_2addr_b32 v[80:81], v83 offset1:1
	s_waitcnt lgkmcnt(0)
	v_ashrrev_i32_e32 v84, s18, v80
	v_ashrrev_i32_e32 v138, s18, v81
	ds_load_2addr_b32 v[80:81], v83 offset0:2 offset1:3
	v_and_b32_e32 v144, 3, v84
	v_bfe_u32 v148, v84, 24, 2
	v_and_b32_e32 v146, 3, v138
	v_bfe_u32 v147, v138, 8, 2
	v_bfe_u32 v149, v138, 16, 2
	v_mul_i32_i24_e32 v85, v144, v85
	v_bfe_u32 v151, v138, 24, 2
	v_bfe_u32 v145, v84, 16, 2
	s_delay_alu instid0(VALU_DEP_3) | instskip(NEXT) | instid1(VALU_DEP_2)
	v_mad_i32_i24 v85, v146, v89, v85
	v_mul_i32_i24_e32 v87, v145, v87
	s_waitcnt lgkmcnt(0)
	v_ashrrev_i32_e32 v140, s18, v80
	v_ashrrev_i32_e32 v141, s18, v81
	ds_load_2addr_b32 v[80:81], v83 offset0:4 offset1:5
	v_and_b32_e32 v142, 3, v140
	v_bfe_u32 v137, v140, 8, 2
	v_bfe_u32 v135, v140, 16, 2
	v_bfe_u32 v154, v140, 24, 2
	v_bfe_u32 v156, v141, 8, 2
	v_bfe_u32 v134, v141, 16, 2
	v_bfe_u32 v133, v141, 24, 2
	s_waitcnt lgkmcnt(0)
	v_ashrrev_i32_e32 v165, s18, v80
	v_ashrrev_i32_e32 v169, s18, v81
	ds_load_2addr_b32 v[80:81], v83 offset0:6 offset1:7
	v_and_b32_e32 v162, 3, v165
	v_bfe_u32 v8, v165, 8, 2
	v_bfe_u32 v163, v165, 16, 2
	;; [unrolled: 1-line block ×3, first 2 shown]
	v_and_b32_e32 v165, 3, v169
	v_bfe_u32 v164, v169, 8, 2
	v_bfe_u32 v167, v169, 16, 2
	;; [unrolled: 1-line block ×3, first 2 shown]
	s_delay_alu instid0(VALU_DEP_3) | instskip(SKIP_4) | instid1(VALU_DEP_2)
	v_mul_i32_i24_e32 v89, v164, v109
	s_waitcnt lgkmcnt(0)
	v_ashrrev_i32_e32 v83, s18, v80
	v_ashrrev_i32_e32 v81, s18, v81
	s_add_i32 s18, s18, 2
	v_and_b32_e32 v169, 3, v83
	s_delay_alu instid0(VALU_DEP_2)
	v_and_b32_e32 v172, 3, v81
	v_bfe_u32 v170, v83, 8, 2
	v_bfe_u32 v171, v83, 16, 2
	;; [unrolled: 1-line block ×6, first 2 shown]
	s_delay_alu instid0(VALU_DEP_4) | instskip(NEXT) | instid1(VALU_DEP_2)
	v_mul_i32_i24_e32 v83, v173, v115
	v_mul_i32_i24_e32 v81, v176, v123
	s_waitcnt vmcnt(0)
	v_add3_u32 v80, v5, s19, v126
	v_add_nc_u32_e32 v126, s21, v153
	ds_load_b32 v126, v126
	ds_load_u16 v80, v80 offset:28160
	v_and_b32_e32 v153, 3, v141
	s_add_i32 s19, s13, s18
	s_delay_alu instid0(SALU_CYCLE_1) | instskip(SKIP_4) | instid1(VALU_DEP_3)
	s_cmp_lt_u32 s19, s15
	s_waitcnt lgkmcnt(0)
	v_bfe_u32 v130, v80, 4, 4
	v_lshrrev_b16 v143, 8, v80
	v_and_b32_e32 v160, 15, v80
	v_mul_lo_u32 v129, 0x1010101, v130
	s_delay_alu instid0(VALU_DEP_1)
	v_bfe_i32 v9, v129, 8, 8
	v_bfe_i32 v10, v129, 16, 8
	v_lshrrev_b32_e32 v161, 24, v129
	v_bfe_u32 v129, v84, 8, 2
	v_mul_i32_i24_e32 v84, v148, v88
	v_mul_i32_i24_e32 v88, v147, v90
	;; [unrolled: 1-line block ×10, first 2 shown]
	v_add3_u32 v85, v85, v92, v86
	v_mul_i32_i24_e32 v97, v156, v98
	v_mul_i32_i24_e32 v98, v134, v99
	;; [unrolled: 1-line block ×4, first 2 shown]
	v_add3_u32 v84, v85, v87, v84
	v_mul_i32_i24_e32 v92, v169, v112
	v_mul_i32_i24_e32 v87, v163, v103
	s_delay_alu instid0(VALU_DEP_3) | instskip(SKIP_2) | instid1(VALU_DEP_3)
	v_add3_u32 v84, v84, v96, v88
	v_mul_i32_i24_e32 v88, v166, v104
	v_mul_i32_i24_e32 v96, v174, v117
	v_add3_u32 v84, v84, v90, v91
	v_mul_i32_i24_e32 v90, v167, v110
	v_mul_i32_i24_e32 v91, v168, v111
	s_delay_alu instid0(VALU_DEP_3) | instskip(SKIP_2) | instid1(VALU_DEP_3)
	v_add3_u32 v84, v84, v93, v94
	v_mul_i32_i24_e32 v93, v170, v113
	v_mul_i32_i24_e32 v94, v171, v114
	v_add3_u32 v84, v84, v95, v97
	v_mul_i32_i24_e32 v95, v172, v116
	v_mul_i32_i24_e32 v97, v175, v118
	s_delay_alu instid0(VALU_DEP_3) | instskip(NEXT) | instid1(VALU_DEP_1)
	v_add3_u32 v84, v84, v98, v99
	v_mul_lo_u32 v80, v84, v160
	v_and_b32_e32 v84, 0xffff, v143
	s_delay_alu instid0(VALU_DEP_1) | instskip(SKIP_1) | instid1(VALU_DEP_2)
	v_lshrrev_b32_e32 v138, 4, v84
	v_and_b32_e32 v158, 15, v84
	v_mul_lo_u32 v85, 0x1010101, v138
	s_delay_alu instid0(VALU_DEP_1) | instskip(SKIP_3) | instid1(VALU_DEP_1)
	v_bfe_i32 v140, v85, 8, 8
	v_bfe_i32 v141, v85, 16, 8
	v_lshrrev_b32_e32 v143, 24, v85
	v_mul_i32_i24_e32 v85, v162, v101
	v_mad_i32_i24 v0, v165, v0, v85
	v_mul_i32_i24_e32 v85, v105, v9
	s_delay_alu instid0(VALU_DEP_2) | instskip(SKIP_1) | instid1(VALU_DEP_2)
	v_add3_u32 v0, v0, v92, v86
	v_mul_i32_i24_e32 v86, v130, v106
	v_add3_u32 v0, v0, v87, v88
	s_delay_alu instid0(VALU_DEP_2) | instskip(NEXT) | instid1(VALU_DEP_2)
	v_mad_i32_i24 v1, v138, v1, v86
	v_add3_u32 v0, v0, v95, v89
	s_delay_alu instid0(VALU_DEP_1) | instskip(NEXT) | instid1(VALU_DEP_1)
	v_add3_u32 v0, v0, v90, v91
	v_add3_u32 v0, v0, v93, v94
	s_delay_alu instid0(VALU_DEP_1) | instskip(SKIP_1) | instid1(VALU_DEP_2)
	v_add3_u32 v0, v0, v83, v96
	v_mul_i32_i24_e32 v83, v128, v10
	v_add3_u32 v81, v0, v97, v81
	v_mul_i32_i24_e32 v0, v2, v143
	v_mul_i32_i24_e32 v2, v19, v141
	;; [unrolled: 1-line block ×4, first 2 shown]
	s_delay_alu instid0(VALU_DEP_1) | instskip(NEXT) | instid1(VALU_DEP_1)
	v_add3_u32 v1, v1, v46, v83
	v_add3_u32 v0, v1, v85, v0
	s_delay_alu instid0(VALU_DEP_1) | instskip(SKIP_2) | instid1(VALU_DEP_1)
	v_add3_u32 v2, v0, v2, v19
	v_mad_u64_u32 v[0:1], null, v81, v158, v[80:81]
	v_lshrrev_b32_e32 v1, 16, v126
	v_cvt_f32_f16_e64 v157, v1
	s_delay_alu instid0(VALU_DEP_4) | instskip(NEXT) | instid1(VALU_DEP_4)
	v_cvt_f32_i32_e32 v1, v2
	v_cvt_f32_i32_e32 v0, v0
	s_delay_alu instid0(VALU_DEP_2) | instskip(NEXT) | instid1(VALU_DEP_1)
	v_mul_f32_e32 v1, v157, v1
	v_fma_mix_f32 v0, v126, v0, -v1 op_sel_hi:[1,0,0]
	s_delay_alu instid0(VALU_DEP_1)
	v_fmac_f32_e32 v54, v3, v0
	ds_load_b128 v[0:3], v124 offset:1024
	s_waitcnt lgkmcnt(0)
	v_bfe_i32 v19, v0, 0, 8
	v_bfe_i32 v46, v0, 8, 8
	v_bfe_i32 v80, v0, 16, 8
	v_ashrrev_i32_e32 v81, 24, v0
	v_bfe_i32 v83, v1, 0, 8
	v_bfe_i32 v84, v1, 8, 8
	v_bfe_i32 v85, v1, 16, 8
	v_ashrrev_i32_e32 v86, 24, v1
	v_bfe_i32 v87, v2, 0, 8
	v_bfe_i32 v88, v2, 8, 8
	v_bfe_i32 v89, v2, 16, 8
	v_ashrrev_i32_e32 v90, 24, v2
	v_bfe_i32 v91, v3, 0, 8
	v_bfe_i32 v92, v3, 8, 8
	v_bfe_i32 v93, v3, 16, 8
	v_ashrrev_i32_e32 v94, 24, v3
	ds_load_b128 v[0:3], v124 offset:1040
	v_mul_i32_i24_e32 v107, v85, v56
	v_mul_i32_i24_e32 v108, v86, v58
	s_waitcnt lgkmcnt(0)
	v_ashrrev_i32_e32 v98, 24, v0
	v_ashrrev_i32_e32 v102, 24, v1
	v_bfe_i32 v95, v0, 0, 8
	v_bfe_i32 v96, v0, 8, 8
	;; [unrolled: 1-line block ×4, first 2 shown]
	v_ashrrev_i32_e32 v106, 24, v2
	v_bfe_i32 v109, v3, 0, 8
	v_bfe_i32 v110, v3, 8, 8
	;; [unrolled: 1-line block ×3, first 2 shown]
	v_ashrrev_i32_e32 v3, 24, v3
	v_add_nc_u32_e32 v0, v102, v98
	v_bfe_i32 v100, v1, 8, 8
	v_bfe_i32 v105, v2, 16, 8
	;; [unrolled: 1-line block ×4, first 2 shown]
	v_add3_u32 v112, v0, v106, v3
	v_add_nc_u32_e32 v0, v101, v97
	v_bfe_i32 v103, v2, 0, 8
	v_mul_i32_i24_e32 v1, v80, v47
	v_mul_i32_i24_e32 v2, v81, v55
	;; [unrolled: 1-line block ×3, first 2 shown]
	v_add3_u32 v113, v0, v105, v111
	v_add_nc_u32_e32 v0, v100, v96
	s_delay_alu instid0(VALU_DEP_1) | instskip(SKIP_1) | instid1(VALU_DEP_1)
	v_add3_u32 v114, v0, v104, v110
	v_add_nc_u32_e32 v0, v99, v95
	v_add3_u32 v115, v0, v103, v109
	v_add_nc_u32_e32 v0, v86, v81
	s_delay_alu instid0(VALU_DEP_1) | instskip(SKIP_1) | instid1(VALU_DEP_1)
	v_add3_u32 v116, v0, v90, v94
	v_add_nc_u32_e32 v0, v85, v80
	v_add3_u32 v117, v0, v89, v93
	v_add_nc_u32_e32 v0, v84, v46
	s_delay_alu instid0(VALU_DEP_2) | instskip(NEXT) | instid1(VALU_DEP_2)
	v_mul_i32_i24_e32 v150, v117, v34
	v_add3_u32 v118, v0, v88, v92
	v_add_nc_u32_e32 v0, v83, v19
	s_delay_alu instid0(VALU_DEP_2) | instskip(NEXT) | instid1(VALU_DEP_2)
	v_mul_i32_i24_e32 v152, v118, v28
	v_add3_u32 v123, v0, v87, v91
	v_mul_i32_i24_e32 v0, v19, v44
	s_delay_alu instid0(VALU_DEP_2) | instskip(NEXT) | instid1(VALU_DEP_2)
	v_mul_i32_i24_e32 v127, v123, v192
	v_mad_i32_i24 v0, v46, v42, v0
	s_delay_alu instid0(VALU_DEP_2) | instskip(NEXT) | instid1(VALU_DEP_2)
	v_mad_i32_i24 v127, v116, v196, v127
	v_add3_u32 v0, v0, v1, v2
	v_mul_i32_i24_e32 v1, v83, v50
	v_mul_i32_i24_e32 v2, v84, v53
	s_delay_alu instid0(VALU_DEP_4) | instskip(SKIP_2) | instid1(VALU_DEP_4)
	v_add3_u32 v127, v127, v150, v152
	v_mul_i32_i24_e32 v152, v123, v155
	v_mul_i32_i24_e32 v150, v118, v215
	v_add3_u32 v0, v0, v1, v2
	v_mul_i32_i24_e32 v1, v87, v57
	v_mul_i32_i24_e32 v2, v88, v59
	v_mad_i32_i24 v152, v116, v159, v152
	s_delay_alu instid0(VALU_DEP_4) | instskip(SKIP_2) | instid1(VALU_DEP_3)
	v_add3_u32 v0, v0, v107, v108
	v_mul_i32_i24_e32 v107, v89, v60
	v_mul_i32_i24_e32 v108, v90, v62
	v_add3_u32 v0, v0, v1, v2
	v_mul_i32_i24_e32 v1, v91, v61
	v_mul_i32_i24_e32 v2, v92, v63
	s_delay_alu instid0(VALU_DEP_3) | instskip(SKIP_2) | instid1(VALU_DEP_3)
	v_add3_u32 v0, v0, v107, v108
	v_mul_i32_i24_e32 v107, v93, v64
	v_mul_i32_i24_e32 v108, v94, v65
	v_add3_u32 v0, v0, v1, v2
	v_mul_i32_i24_e32 v1, v95, v69
	v_mul_i32_i24_e32 v2, v97, v70
	s_delay_alu instid0(VALU_DEP_3) | instskip(SKIP_1) | instid1(VALU_DEP_4)
	v_add3_u32 v0, v0, v107, v108
	v_mul_i32_i24_e32 v107, v98, v73
	v_mad_i32_i24 v1, v96, v68, v1
	v_mul_i32_i24_e32 v108, v101, v74
	s_delay_alu instid0(VALU_DEP_4) | instskip(NEXT) | instid1(VALU_DEP_3)
	v_mul_lo_u32 v0, v0, v66
	v_add3_u32 v1, v1, v2, v107
	v_mul_i32_i24_e32 v2, v99, v71
	v_mul_i32_i24_e32 v107, v100, v72
	s_delay_alu instid0(VALU_DEP_1) | instskip(SKIP_2) | instid1(VALU_DEP_3)
	v_add3_u32 v1, v1, v2, v107
	v_mul_i32_i24_e32 v2, v103, v75
	v_mul_i32_i24_e32 v107, v105, v78
	v_add3_u32 v1, v1, v108, v5
	v_mul_i32_i24_e32 v5, v104, v77
	v_mul_i32_i24_e32 v108, v106, v119
	s_delay_alu instid0(VALU_DEP_2) | instskip(SKIP_2) | instid1(VALU_DEP_3)
	v_add3_u32 v1, v1, v2, v5
	v_mul_i32_i24_e32 v2, v109, v82
	v_mul_i32_i24_e32 v5, v110, v120
	v_add3_u32 v1, v1, v107, v108
	v_mul_i32_i24_e32 v107, v111, v121
	v_mul_i32_i24_e32 v108, v3, v122
	s_delay_alu instid0(VALU_DEP_3) | instskip(SKIP_1) | instid1(VALU_DEP_2)
	v_add3_u32 v1, v1, v2, v5
	v_mul_i32_i24_e32 v2, v113, v40
	v_add3_u32 v5, v1, v107, v108
	v_mul_i32_i24_e32 v1, v112, v43
	v_mul_i32_i24_e32 v108, v115, v35
	;; [unrolled: 1-line block ×3, first 2 shown]
	s_delay_alu instid0(VALU_DEP_2) | instskip(SKIP_2) | instid1(VALU_DEP_3)
	v_add3_u32 v1, v127, v108, v1
	v_mul_i32_i24_e32 v108, v102, v248
	v_mul_i32_i24_e32 v127, v117, v32
	v_add3_u32 v107, v1, v2, v107
	v_mad_u64_u32 v[1:2], null, v5, v217, v[0:1]
	v_mul_i32_i24_e32 v2, v81, v228
	v_mul_i32_i24_e32 v5, v85, v229
	v_add3_u32 v127, v152, v127, v150
	v_mul_i32_i24_e32 v152, v123, v132
	v_mul_i32_i24_e32 v150, v118, v11
	v_cvt_f32_i32_e32 v0, v1
	v_cvt_f32_i32_e32 v1, v107
	v_mul_i32_i24_e32 v107, v86, v222
	v_mad_i32_i24 v152, v116, v6, v152
	s_delay_alu instid0(VALU_DEP_3) | instskip(NEXT) | instid1(VALU_DEP_1)
	v_mul_f32_e32 v1, v218, v1
	v_fma_mix_f32 v0, v183, v0, -v1 op_sel_hi:[1,0,0]
	v_mul_i32_i24_e32 v1, v80, v225
	s_delay_alu instid0(VALU_DEP_2) | instskip(SKIP_1) | instid1(VALU_DEP_1)
	v_fmac_f32_e32 v41, v4, v0
	v_mul_i32_i24_e32 v0, v19, v224
	v_mad_i32_i24 v0, v46, v67, v0
	s_delay_alu instid0(VALU_DEP_1) | instskip(SKIP_2) | instid1(VALU_DEP_1)
	v_add3_u32 v0, v0, v1, v2
	v_mul_i32_i24_e32 v1, v83, v226
	v_mul_i32_i24_e32 v2, v84, v227
	v_add3_u32 v0, v0, v1, v2
	v_mul_i32_i24_e32 v1, v87, v230
	v_mul_i32_i24_e32 v2, v88, v231
	s_delay_alu instid0(VALU_DEP_3) | instskip(SKIP_2) | instid1(VALU_DEP_3)
	v_add3_u32 v0, v0, v5, v107
	v_mul_i32_i24_e32 v5, v89, v79
	v_mul_i32_i24_e32 v107, v90, v233
	v_add3_u32 v0, v0, v1, v2
	v_mul_i32_i24_e32 v1, v91, v234
	v_mul_i32_i24_e32 v2, v92, v235
	s_delay_alu instid0(VALU_DEP_3) | instskip(SKIP_2) | instid1(VALU_DEP_3)
	v_add3_u32 v0, v0, v5, v107
	v_mul_i32_i24_e32 v5, v93, v236
	v_mul_i32_i24_e32 v107, v94, v237
	v_add3_u32 v0, v0, v1, v2
	v_mul_i32_i24_e32 v1, v95, v241
	v_mul_i32_i24_e32 v2, v97, v242
	s_delay_alu instid0(VALU_DEP_3) | instskip(SKIP_1) | instid1(VALU_DEP_4)
	v_add3_u32 v0, v0, v5, v107
	v_mul_i32_i24_e32 v5, v98, v245
	v_mad_i32_i24 v1, v96, v240, v1
	v_mul_i32_i24_e32 v107, v101, v246
	s_delay_alu instid0(VALU_DEP_4) | instskip(NEXT) | instid1(VALU_DEP_3)
	v_mul_lo_u32 v0, v0, v239
	v_add3_u32 v1, v1, v2, v5
	v_mul_i32_i24_e32 v2, v99, v243
	v_mul_i32_i24_e32 v5, v100, v244
	s_delay_alu instid0(VALU_DEP_1) | instskip(SKIP_2) | instid1(VALU_DEP_3)
	v_add3_u32 v1, v1, v2, v5
	v_mul_i32_i24_e32 v2, v103, v247
	v_mul_i32_i24_e32 v5, v104, v249
	v_add3_u32 v1, v1, v107, v108
	v_mul_i32_i24_e32 v107, v105, v250
	v_mul_i32_i24_e32 v108, v106, v252
	s_delay_alu instid0(VALU_DEP_3) | instskip(SKIP_2) | instid1(VALU_DEP_3)
	v_add3_u32 v1, v1, v2, v5
	v_mul_i32_i24_e32 v2, v109, v251
	v_mul_i32_i24_e32 v5, v110, v253
	v_add3_u32 v1, v1, v107, v108
	v_mul_i32_i24_e32 v107, v111, v254
	v_mul_i32_i24_e32 v108, v3, v255
	s_delay_alu instid0(VALU_DEP_3) | instskip(SKIP_1) | instid1(VALU_DEP_2)
	v_add3_u32 v1, v1, v2, v5
	v_mul_i32_i24_e32 v2, v113, v221
	v_add3_u32 v5, v1, v107, v108
	v_mul_i32_i24_e32 v1, v112, v223
	v_mul_i32_i24_e32 v108, v115, v219
	;; [unrolled: 1-line block ×3, first 2 shown]
	s_delay_alu instid0(VALU_DEP_2) | instskip(SKIP_2) | instid1(VALU_DEP_3)
	v_add3_u32 v1, v127, v108, v1
	v_mul_i32_i24_e32 v108, v102, v206
	v_mul_i32_i24_e32 v127, v117, v178
	v_add3_u32 v107, v1, v2, v107
	v_mad_u64_u32 v[1:2], null, v5, v14, v[0:1]
	v_mul_i32_i24_e32 v2, v81, v49
	v_mul_i32_i24_e32 v5, v85, v51
	v_add3_u32 v127, v152, v127, v150
	s_delay_alu instid0(VALU_DEP_4) | instskip(SKIP_2) | instid1(VALU_DEP_2)
	v_cvt_f32_i32_e32 v0, v1
	v_cvt_f32_i32_e32 v1, v107
	v_mul_i32_i24_e32 v107, v86, v20
	v_mul_f32_e32 v1, v180, v1
	s_delay_alu instid0(VALU_DEP_1) | instskip(SKIP_1) | instid1(VALU_DEP_2)
	v_fma_mix_f32 v0, v139, v0, -v1 op_sel_hi:[1,0,0]
	v_mul_i32_i24_e32 v1, v80, v25
	v_fmac_f32_e32 v39, v4, v0
	v_mul_i32_i24_e32 v0, v19, v18
	s_delay_alu instid0(VALU_DEP_1) | instskip(NEXT) | instid1(VALU_DEP_1)
	v_mad_i32_i24 v0, v46, v17, v0
	v_add3_u32 v0, v0, v1, v2
	v_mul_i32_i24_e32 v1, v83, v45
	v_mul_i32_i24_e32 v2, v84, v48
	s_delay_alu instid0(VALU_DEP_1) | instskip(SKIP_2) | instid1(VALU_DEP_3)
	v_add3_u32 v0, v0, v1, v2
	v_mul_i32_i24_e32 v1, v87, v52
	v_mul_i32_i24_e32 v2, v88, v188
	v_add3_u32 v0, v0, v5, v107
	v_mul_i32_i24_e32 v5, v89, v189
	v_mul_i32_i24_e32 v107, v90, v193
	s_delay_alu instid0(VALU_DEP_3) | instskip(SKIP_2) | instid1(VALU_DEP_3)
	v_add3_u32 v0, v0, v1, v2
	v_mul_i32_i24_e32 v1, v91, v190
	v_mul_i32_i24_e32 v2, v92, v21
	v_add3_u32 v0, v0, v5, v107
	v_mul_i32_i24_e32 v5, v93, v195
	v_mul_i32_i24_e32 v107, v94, v22
	s_delay_alu instid0(VALU_DEP_3) | instskip(SKIP_2) | instid1(VALU_DEP_3)
	v_add3_u32 v0, v0, v1, v2
	v_mul_i32_i24_e32 v1, v95, v24
	v_mul_i32_i24_e32 v2, v97, v200
	v_add3_u32 v0, v0, v5, v107
	v_mul_i32_i24_e32 v5, v98, v203
	s_delay_alu instid0(VALU_DEP_4) | instskip(SKIP_1) | instid1(VALU_DEP_4)
	v_mad_i32_i24 v1, v96, v199, v1
	v_mul_i32_i24_e32 v107, v101, v204
	v_mul_lo_u32 v0, v0, v198
	s_delay_alu instid0(VALU_DEP_3) | instskip(SKIP_2) | instid1(VALU_DEP_1)
	v_add3_u32 v1, v1, v2, v5
	v_mul_i32_i24_e32 v2, v99, v201
	v_mul_i32_i24_e32 v5, v100, v202
	v_add3_u32 v1, v1, v2, v5
	v_mul_i32_i24_e32 v2, v103, v205
	v_mul_i32_i24_e32 v5, v104, v207
	s_delay_alu instid0(VALU_DEP_3) | instskip(SKIP_2) | instid1(VALU_DEP_3)
	v_add3_u32 v1, v1, v107, v108
	v_mul_i32_i24_e32 v107, v105, v208
	v_mul_i32_i24_e32 v108, v106, v210
	v_add3_u32 v1, v1, v2, v5
	v_mul_i32_i24_e32 v2, v109, v209
	v_mul_i32_i24_e32 v5, v110, v211
	s_delay_alu instid0(VALU_DEP_3) | instskip(SKIP_3) | instid1(VALU_DEP_4)
	v_add3_u32 v1, v1, v107, v108
	v_mul_i32_i24_e32 v107, v111, v212
	v_mul_i32_i24_e32 v108, v3, v26
	;; [unrolled: 1-line block ×3, first 2 shown]
	v_add3_u32 v1, v1, v2, v5
	v_mul_i32_i24_e32 v2, v113, v185
	s_delay_alu instid0(VALU_DEP_2) | instskip(SKIP_3) | instid1(VALU_DEP_2)
	v_add3_u32 v5, v1, v107, v108
	v_mul_i32_i24_e32 v1, v112, v186
	v_mul_i32_i24_e32 v108, v115, v182
	;; [unrolled: 1-line block ×3, first 2 shown]
	v_add3_u32 v1, v127, v108, v1
	s_delay_alu instid0(VALU_DEP_1) | instskip(SKIP_4) | instid1(VALU_DEP_4)
	v_add3_u32 v107, v1, v2, v107
	v_mad_u64_u32 v[1:2], null, v5, v136, v[0:1]
	v_mul_i32_i24_e32 v2, v81, v148
	v_mul_i32_i24_e32 v5, v85, v149
	;; [unrolled: 1-line block ×3, first 2 shown]
	v_cvt_f32_i32_e32 v0, v1
	v_cvt_f32_i32_e32 v1, v107
	s_delay_alu instid0(VALU_DEP_3) | instskip(NEXT) | instid1(VALU_DEP_2)
	v_mad_i32_i24 v81, v116, v161, v81
	v_mul_f32_e32 v1, v7, v1
	s_delay_alu instid0(VALU_DEP_1) | instskip(SKIP_2) | instid1(VALU_DEP_3)
	v_fma_mix_f32 v0, v131, v0, -v1 op_sel_hi:[1,0,0]
	v_mul_i32_i24_e32 v1, v80, v145
	v_mul_i32_i24_e32 v80, v118, v9
	v_fmac_f32_e32 v37, v4, v0
	v_mul_i32_i24_e32 v0, v19, v144
	v_mul_i32_i24_e32 v19, v86, v151
	s_delay_alu instid0(VALU_DEP_2) | instskip(SKIP_1) | instid1(VALU_DEP_2)
	v_mad_i32_i24 v0, v46, v129, v0
	v_mul_i32_i24_e32 v46, v102, v168
	v_add3_u32 v0, v0, v1, v2
	v_mul_i32_i24_e32 v1, v83, v146
	v_mul_i32_i24_e32 v2, v84, v147
	s_delay_alu instid0(VALU_DEP_1) | instskip(SKIP_2) | instid1(VALU_DEP_3)
	v_add3_u32 v0, v0, v1, v2
	v_mul_i32_i24_e32 v1, v87, v142
	v_mul_i32_i24_e32 v2, v88, v137
	v_add3_u32 v0, v0, v5, v19
	v_mul_i32_i24_e32 v5, v89, v135
	v_mul_i32_i24_e32 v19, v90, v154
	s_delay_alu instid0(VALU_DEP_3) | instskip(SKIP_2) | instid1(VALU_DEP_3)
	v_add3_u32 v0, v0, v1, v2
	v_mul_i32_i24_e32 v1, v91, v153
	v_mul_i32_i24_e32 v2, v92, v156
	v_add3_u32 v0, v0, v5, v19
	v_mul_i32_i24_e32 v5, v93, v134
	v_mul_i32_i24_e32 v19, v94, v133
	s_delay_alu instid0(VALU_DEP_3) | instskip(SKIP_2) | instid1(VALU_DEP_3)
	v_add3_u32 v0, v0, v1, v2
	v_mul_i32_i24_e32 v1, v95, v162
	v_mul_i32_i24_e32 v2, v97, v163
	v_add3_u32 v0, v0, v5, v19
	v_mul_i32_i24_e32 v5, v98, v166
	s_delay_alu instid0(VALU_DEP_4) | instskip(SKIP_1) | instid1(VALU_DEP_4)
	v_mad_i32_i24 v1, v96, v8, v1
	v_mul_i32_i24_e32 v19, v101, v167
	v_mul_lo_u32 v0, v0, v160
	s_delay_alu instid0(VALU_DEP_3) | instskip(SKIP_2) | instid1(VALU_DEP_1)
	v_add3_u32 v1, v1, v2, v5
	v_mul_i32_i24_e32 v2, v99, v165
	v_mul_i32_i24_e32 v5, v100, v164
	v_add3_u32 v1, v1, v2, v5
	v_mul_i32_i24_e32 v2, v103, v169
	v_mul_i32_i24_e32 v5, v104, v170
	s_delay_alu instid0(VALU_DEP_3) | instskip(SKIP_2) | instid1(VALU_DEP_3)
	v_add3_u32 v1, v1, v19, v46
	v_mul_i32_i24_e32 v19, v105, v171
	v_mul_i32_i24_e32 v46, v106, v173
	v_add3_u32 v1, v1, v2, v5
	v_mul_i32_i24_e32 v2, v109, v172
	v_mul_i32_i24_e32 v5, v110, v174
	s_delay_alu instid0(VALU_DEP_3) | instskip(SKIP_2) | instid1(VALU_DEP_3)
	v_add3_u32 v1, v1, v19, v46
	v_mul_i32_i24_e32 v19, v111, v175
	v_mul_i32_i24_e32 v46, v117, v10
	v_add3_u32 v1, v1, v2, v5
	v_mul_i32_i24_e32 v2, v113, v141
	s_delay_alu instid0(VALU_DEP_3) | instskip(SKIP_1) | instid1(VALU_DEP_4)
	v_add3_u32 v46, v81, v46, v80
	v_mul_i32_i24_e32 v5, v114, v140
	v_add3_u32 v3, v1, v19, v3
	v_mul_i32_i24_e32 v1, v112, v143
	v_mul_i32_i24_e32 v19, v115, v138
	s_delay_alu instid0(VALU_DEP_1) | instskip(NEXT) | instid1(VALU_DEP_1)
	v_add3_u32 v1, v46, v19, v1
	v_add3_u32 v5, v1, v2, v5
	v_mad_u64_u32 v[1:2], null, v3, v158, v[0:1]
	s_delay_alu instid0(VALU_DEP_1) | instskip(NEXT) | instid1(VALU_DEP_3)
	v_cvt_f32_i32_e32 v0, v1
	v_cvt_f32_i32_e32 v1, v5
	s_delay_alu instid0(VALU_DEP_1) | instskip(NEXT) | instid1(VALU_DEP_1)
	v_mul_f32_e32 v1, v157, v1
	v_fma_mix_f32 v0, v126, v0, -v1 op_sel_hi:[1,0,0]
	s_delay_alu instid0(VALU_DEP_1)
	v_fmac_f32_e32 v36, v4, v0
	ds_load_2addr_b32 v[3:4], v125 offset0:64 offset1:96
	ds_load_b128 v[83:86], v124 offset:2048
	s_waitcnt lgkmcnt(0)
	v_bfe_i32 v5, v83, 0, 8
	v_bfe_i32 v19, v83, 8, 8
	v_bfe_i32 v46, v83, 16, 8
	v_ashrrev_i32_e32 v80, 24, v83
	v_bfe_i32 v81, v84, 0, 8
	v_bfe_i32 v87, v84, 8, 8
	v_bfe_i32 v88, v84, 16, 8
	v_ashrrev_i32_e32 v89, 24, v84
	;; [unrolled: 4-line block ×4, first 2 shown]
	ds_load_b128 v[83:86], v124 offset:2064
	v_mul_i32_i24_e32 v1, v46, v47
	v_mul_i32_i24_e32 v2, v80, v55
	;; [unrolled: 1-line block ×4, first 2 shown]
	s_waitcnt lgkmcnt(0)
	v_bfe_i32 v98, v83, 0, 8
	v_bfe_i32 v99, v83, 8, 8
	v_bfe_i32 v100, v83, 16, 8
	v_ashrrev_i32_e32 v83, 24, v83
	v_bfe_i32 v101, v84, 0, 8
	v_bfe_i32 v102, v84, 8, 8
	v_bfe_i32 v103, v84, 16, 8
	v_ashrrev_i32_e32 v84, 24, v84
	;; [unrolled: 4-line block ×4, first 2 shown]
	v_add_nc_u32_e32 v0, v84, v83
	v_mul_i32_i24_e32 v127, v84, v76
	s_delay_alu instid0(VALU_DEP_2) | instskip(SKIP_1) | instid1(VALU_DEP_1)
	v_add3_u32 v110, v0, v85, v86
	v_add_nc_u32_e32 v0, v103, v100
	v_add3_u32 v111, v0, v106, v109
	v_add_nc_u32_e32 v0, v102, v99
	s_delay_alu instid0(VALU_DEP_1) | instskip(SKIP_1) | instid1(VALU_DEP_1)
	v_add3_u32 v112, v0, v105, v108
	v_add_nc_u32_e32 v0, v101, v98
	v_add3_u32 v113, v0, v104, v107
	v_add_nc_u32_e32 v0, v89, v80
	s_delay_alu instid0(VALU_DEP_1) | instskip(SKIP_1) | instid1(VALU_DEP_1)
	v_add3_u32 v114, v0, v93, v97
	v_add_nc_u32_e32 v0, v88, v46
	v_add3_u32 v115, v0, v92, v96
	v_add_nc_u32_e32 v0, v87, v19
	s_delay_alu instid0(VALU_DEP_2) | instskip(NEXT) | instid1(VALU_DEP_2)
	v_mul_i32_i24_e32 v150, v115, v34
	v_add3_u32 v116, v0, v91, v95
	v_add_nc_u32_e32 v0, v81, v5
	s_delay_alu instid0(VALU_DEP_2) | instskip(NEXT) | instid1(VALU_DEP_2)
	v_mul_i32_i24_e32 v152, v116, v28
	v_add3_u32 v117, v0, v90, v94
	v_mul_i32_i24_e32 v0, v5, v44
	s_delay_alu instid0(VALU_DEP_2) | instskip(NEXT) | instid1(VALU_DEP_2)
	v_mul_i32_i24_e32 v128, v117, v192
	v_mad_i32_i24 v0, v19, v42, v0
	s_delay_alu instid0(VALU_DEP_2) | instskip(NEXT) | instid1(VALU_DEP_2)
	v_mad_i32_i24 v128, v114, v196, v128
	v_add3_u32 v0, v0, v1, v2
	v_mul_i32_i24_e32 v1, v81, v50
	v_mul_i32_i24_e32 v2, v87, v53
	s_delay_alu instid0(VALU_DEP_4) | instskip(SKIP_2) | instid1(VALU_DEP_4)
	v_add3_u32 v128, v128, v150, v152
	v_mul_i32_i24_e32 v152, v117, v155
	v_mul_i32_i24_e32 v150, v116, v215
	v_add3_u32 v0, v0, v1, v2
	v_mul_i32_i24_e32 v1, v90, v57
	v_mul_i32_i24_e32 v2, v91, v59
	v_mad_i32_i24 v152, v114, v159, v152
	s_delay_alu instid0(VALU_DEP_4) | instskip(SKIP_2) | instid1(VALU_DEP_3)
	v_add3_u32 v0, v0, v118, v123
	v_mul_i32_i24_e32 v118, v92, v60
	v_mul_i32_i24_e32 v123, v93, v62
	v_add3_u32 v0, v0, v1, v2
	v_mul_i32_i24_e32 v1, v94, v61
	v_mul_i32_i24_e32 v2, v95, v63
	s_delay_alu instid0(VALU_DEP_3) | instskip(SKIP_2) | instid1(VALU_DEP_3)
	v_add3_u32 v0, v0, v118, v123
	v_mul_i32_i24_e32 v118, v96, v64
	v_mul_i32_i24_e32 v123, v97, v65
	v_add3_u32 v0, v0, v1, v2
	v_mul_i32_i24_e32 v1, v98, v69
	v_mul_i32_i24_e32 v2, v100, v70
	s_delay_alu instid0(VALU_DEP_3) | instskip(SKIP_1) | instid1(VALU_DEP_4)
	v_add3_u32 v0, v0, v118, v123
	v_mul_i32_i24_e32 v118, v83, v73
	v_mad_i32_i24 v1, v99, v68, v1
	v_mul_i32_i24_e32 v123, v103, v74
	s_delay_alu instid0(VALU_DEP_4) | instskip(NEXT) | instid1(VALU_DEP_3)
	v_mul_lo_u32 v0, v0, v66
	v_add3_u32 v1, v1, v2, v118
	v_mul_i32_i24_e32 v2, v101, v71
	v_mul_i32_i24_e32 v118, v102, v72
	s_delay_alu instid0(VALU_DEP_1) | instskip(SKIP_2) | instid1(VALU_DEP_3)
	v_add3_u32 v1, v1, v2, v118
	v_mul_i32_i24_e32 v2, v104, v75
	v_mul_i32_i24_e32 v118, v105, v77
	v_add3_u32 v1, v1, v123, v127
	v_mul_i32_i24_e32 v123, v106, v78
	v_mul_i32_i24_e32 v127, v85, v119
	s_delay_alu instid0(VALU_DEP_3) | instskip(SKIP_2) | instid1(VALU_DEP_3)
	v_add3_u32 v1, v1, v2, v118
	v_mul_i32_i24_e32 v2, v107, v82
	v_mul_i32_i24_e32 v118, v108, v120
	v_add3_u32 v1, v1, v123, v127
	v_mul_i32_i24_e32 v123, v109, v121
	v_mul_i32_i24_e32 v127, v86, v122
	s_delay_alu instid0(VALU_DEP_3) | instskip(SKIP_1) | instid1(VALU_DEP_2)
	v_add3_u32 v1, v1, v2, v118
	v_mul_i32_i24_e32 v2, v111, v40
	v_add3_u32 v118, v1, v123, v127
	v_mul_i32_i24_e32 v1, v110, v43
	v_mul_i32_i24_e32 v127, v113, v35
	;; [unrolled: 1-line block ×3, first 2 shown]
	s_delay_alu instid0(VALU_DEP_2) | instskip(SKIP_2) | instid1(VALU_DEP_3)
	v_add3_u32 v1, v128, v127, v1
	v_mul_i32_i24_e32 v127, v84, v248
	v_mul_i32_i24_e32 v128, v115, v32
	v_add3_u32 v123, v1, v2, v123
	v_mad_u64_u32 v[1:2], null, v118, v217, v[0:1]
	v_mul_i32_i24_e32 v2, v80, v228
	v_mul_i32_i24_e32 v118, v88, v229
	v_add3_u32 v128, v152, v128, v150
	v_mul_i32_i24_e32 v152, v117, v132
	v_mul_i32_i24_e32 v150, v116, v11
	v_cvt_f32_i32_e32 v0, v1
	v_cvt_f32_i32_e32 v1, v123
	v_mul_i32_i24_e32 v123, v89, v222
	v_mad_i32_i24 v152, v114, v6, v152
	s_delay_alu instid0(VALU_DEP_3) | instskip(NEXT) | instid1(VALU_DEP_1)
	v_mul_f32_e32 v1, v218, v1
	v_fma_mix_f32 v0, v183, v0, -v1 op_sel_hi:[1,0,0]
	v_mul_i32_i24_e32 v1, v46, v225
	s_delay_alu instid0(VALU_DEP_2) | instskip(SKIP_1) | instid1(VALU_DEP_1)
	v_fmac_f32_e32 v33, v3, v0
	v_mul_i32_i24_e32 v0, v5, v224
	v_mad_i32_i24 v0, v19, v67, v0
	s_delay_alu instid0(VALU_DEP_1) | instskip(SKIP_2) | instid1(VALU_DEP_1)
	v_add3_u32 v0, v0, v1, v2
	v_mul_i32_i24_e32 v1, v81, v226
	v_mul_i32_i24_e32 v2, v87, v227
	v_add3_u32 v0, v0, v1, v2
	v_mul_i32_i24_e32 v1, v90, v230
	v_mul_i32_i24_e32 v2, v91, v231
	s_delay_alu instid0(VALU_DEP_3) | instskip(SKIP_2) | instid1(VALU_DEP_3)
	v_add3_u32 v0, v0, v118, v123
	v_mul_i32_i24_e32 v118, v92, v79
	v_mul_i32_i24_e32 v123, v93, v233
	v_add3_u32 v0, v0, v1, v2
	v_mul_i32_i24_e32 v1, v94, v234
	v_mul_i32_i24_e32 v2, v95, v235
	s_delay_alu instid0(VALU_DEP_3) | instskip(SKIP_2) | instid1(VALU_DEP_3)
	v_add3_u32 v0, v0, v118, v123
	v_mul_i32_i24_e32 v118, v96, v236
	v_mul_i32_i24_e32 v123, v97, v237
	v_add3_u32 v0, v0, v1, v2
	v_mul_i32_i24_e32 v1, v98, v241
	v_mul_i32_i24_e32 v2, v100, v242
	s_delay_alu instid0(VALU_DEP_3) | instskip(SKIP_1) | instid1(VALU_DEP_4)
	v_add3_u32 v0, v0, v118, v123
	v_mul_i32_i24_e32 v118, v83, v245
	v_mad_i32_i24 v1, v99, v240, v1
	v_mul_i32_i24_e32 v123, v103, v246
	s_delay_alu instid0(VALU_DEP_4) | instskip(NEXT) | instid1(VALU_DEP_3)
	v_mul_lo_u32 v0, v0, v239
	v_add3_u32 v1, v1, v2, v118
	v_mul_i32_i24_e32 v2, v101, v243
	v_mul_i32_i24_e32 v118, v102, v244
	s_delay_alu instid0(VALU_DEP_1) | instskip(SKIP_2) | instid1(VALU_DEP_3)
	v_add3_u32 v1, v1, v2, v118
	v_mul_i32_i24_e32 v2, v104, v247
	v_mul_i32_i24_e32 v118, v105, v249
	v_add3_u32 v1, v1, v123, v127
	v_mul_i32_i24_e32 v123, v106, v250
	v_mul_i32_i24_e32 v127, v85, v252
	s_delay_alu instid0(VALU_DEP_3) | instskip(SKIP_2) | instid1(VALU_DEP_3)
	v_add3_u32 v1, v1, v2, v118
	v_mul_i32_i24_e32 v2, v107, v251
	v_mul_i32_i24_e32 v118, v108, v253
	v_add3_u32 v1, v1, v123, v127
	v_mul_i32_i24_e32 v123, v109, v254
	v_mul_i32_i24_e32 v127, v86, v255
	s_delay_alu instid0(VALU_DEP_3) | instskip(SKIP_1) | instid1(VALU_DEP_2)
	v_add3_u32 v1, v1, v2, v118
	v_mul_i32_i24_e32 v2, v111, v221
	v_add3_u32 v118, v1, v123, v127
	v_mul_i32_i24_e32 v1, v110, v223
	v_mul_i32_i24_e32 v127, v113, v219
	;; [unrolled: 1-line block ×3, first 2 shown]
	s_delay_alu instid0(VALU_DEP_2) | instskip(SKIP_2) | instid1(VALU_DEP_3)
	v_add3_u32 v1, v128, v127, v1
	v_mul_i32_i24_e32 v127, v84, v206
	v_mul_i32_i24_e32 v128, v115, v178
	v_add3_u32 v123, v1, v2, v123
	v_mad_u64_u32 v[1:2], null, v118, v14, v[0:1]
	v_mul_i32_i24_e32 v2, v80, v49
	v_mul_i32_i24_e32 v118, v88, v51
	v_add3_u32 v128, v152, v128, v150
	s_delay_alu instid0(VALU_DEP_4) | instskip(SKIP_2) | instid1(VALU_DEP_2)
	v_cvt_f32_i32_e32 v0, v1
	v_cvt_f32_i32_e32 v1, v123
	v_mul_i32_i24_e32 v123, v89, v20
	v_mul_f32_e32 v1, v180, v1
	s_delay_alu instid0(VALU_DEP_1) | instskip(SKIP_1) | instid1(VALU_DEP_2)
	v_fma_mix_f32 v0, v139, v0, -v1 op_sel_hi:[1,0,0]
	v_mul_i32_i24_e32 v1, v46, v25
	v_fmac_f32_e32 v216, v3, v0
	v_mul_i32_i24_e32 v0, v5, v18
	s_delay_alu instid0(VALU_DEP_1) | instskip(NEXT) | instid1(VALU_DEP_1)
	v_mad_i32_i24 v0, v19, v17, v0
	v_add3_u32 v0, v0, v1, v2
	v_mul_i32_i24_e32 v1, v81, v45
	v_mul_i32_i24_e32 v2, v87, v48
	s_delay_alu instid0(VALU_DEP_1) | instskip(SKIP_2) | instid1(VALU_DEP_3)
	v_add3_u32 v0, v0, v1, v2
	v_mul_i32_i24_e32 v1, v90, v52
	v_mul_i32_i24_e32 v2, v91, v188
	v_add3_u32 v0, v0, v118, v123
	v_mul_i32_i24_e32 v118, v92, v189
	v_mul_i32_i24_e32 v123, v93, v193
	s_delay_alu instid0(VALU_DEP_3) | instskip(SKIP_2) | instid1(VALU_DEP_3)
	v_add3_u32 v0, v0, v1, v2
	v_mul_i32_i24_e32 v1, v94, v190
	v_mul_i32_i24_e32 v2, v95, v21
	v_add3_u32 v0, v0, v118, v123
	v_mul_i32_i24_e32 v118, v96, v195
	v_mul_i32_i24_e32 v123, v97, v22
	s_delay_alu instid0(VALU_DEP_3) | instskip(SKIP_2) | instid1(VALU_DEP_3)
	v_add3_u32 v0, v0, v1, v2
	v_mul_i32_i24_e32 v1, v98, v24
	v_mul_i32_i24_e32 v2, v100, v200
	v_add3_u32 v0, v0, v118, v123
	v_mul_i32_i24_e32 v118, v83, v203
	s_delay_alu instid0(VALU_DEP_4) | instskip(SKIP_1) | instid1(VALU_DEP_4)
	v_mad_i32_i24 v1, v99, v199, v1
	v_mul_i32_i24_e32 v123, v103, v204
	v_mul_lo_u32 v0, v0, v198
	s_delay_alu instid0(VALU_DEP_3) | instskip(SKIP_2) | instid1(VALU_DEP_1)
	v_add3_u32 v1, v1, v2, v118
	v_mul_i32_i24_e32 v2, v101, v201
	v_mul_i32_i24_e32 v118, v102, v202
	v_add3_u32 v1, v1, v2, v118
	v_mul_i32_i24_e32 v2, v104, v205
	v_mul_i32_i24_e32 v118, v105, v207
	s_delay_alu instid0(VALU_DEP_3) | instskip(SKIP_2) | instid1(VALU_DEP_3)
	v_add3_u32 v1, v1, v123, v127
	v_mul_i32_i24_e32 v123, v106, v208
	v_mul_i32_i24_e32 v127, v85, v210
	v_add3_u32 v1, v1, v2, v118
	v_mul_i32_i24_e32 v2, v107, v209
	v_mul_i32_i24_e32 v118, v108, v211
	s_delay_alu instid0(VALU_DEP_3) | instskip(SKIP_2) | instid1(VALU_DEP_3)
	v_add3_u32 v1, v1, v123, v127
	v_mul_i32_i24_e32 v123, v109, v212
	v_mul_i32_i24_e32 v127, v86, v26
	v_add3_u32 v1, v1, v2, v118
	v_mul_i32_i24_e32 v2, v111, v185
	s_delay_alu instid0(VALU_DEP_2) | instskip(SKIP_3) | instid1(VALU_DEP_2)
	v_add3_u32 v118, v1, v123, v127
	v_mul_i32_i24_e32 v1, v110, v186
	v_mul_i32_i24_e32 v127, v113, v182
	v_mul_i32_i24_e32 v123, v112, v184
	v_add3_u32 v1, v128, v127, v1
	s_delay_alu instid0(VALU_DEP_1) | instskip(SKIP_3) | instid1(VALU_DEP_3)
	v_add3_u32 v123, v1, v2, v123
	v_mad_u64_u32 v[1:2], null, v118, v136, v[0:1]
	v_mul_i32_i24_e32 v2, v80, v148
	v_mul_i32_i24_e32 v80, v115, v10
	v_cvt_f32_i32_e32 v0, v1
	v_cvt_f32_i32_e32 v1, v123
	s_delay_alu instid0(VALU_DEP_1) | instskip(NEXT) | instid1(VALU_DEP_1)
	v_mul_f32_e32 v1, v7, v1
	v_fma_mix_f32 v0, v131, v0, -v1 op_sel_hi:[1,0,0]
	v_mul_i32_i24_e32 v1, v46, v145
	v_mul_i32_i24_e32 v46, v84, v168
	s_delay_alu instid0(VALU_DEP_3) | instskip(SKIP_2) | instid1(VALU_DEP_2)
	v_fmac_f32_e32 v31, v3, v0
	v_mul_i32_i24_e32 v0, v5, v144
	v_mul_i32_i24_e32 v5, v88, v149
	v_mad_i32_i24 v0, v19, v129, v0
	v_mul_i32_i24_e32 v19, v89, v151
	s_delay_alu instid0(VALU_DEP_2) | instskip(SKIP_3) | instid1(VALU_DEP_2)
	v_add3_u32 v0, v0, v1, v2
	v_mul_i32_i24_e32 v1, v81, v146
	v_mul_i32_i24_e32 v2, v87, v147
	;; [unrolled: 1-line block ×3, first 2 shown]
	v_add3_u32 v0, v0, v1, v2
	v_mul_i32_i24_e32 v1, v90, v142
	v_mul_i32_i24_e32 v2, v91, v137
	s_delay_alu instid0(VALU_DEP_3) | instskip(SKIP_2) | instid1(VALU_DEP_3)
	v_add3_u32 v0, v0, v5, v19
	v_mul_i32_i24_e32 v5, v92, v135
	v_mul_i32_i24_e32 v19, v93, v154
	v_add3_u32 v0, v0, v1, v2
	v_mul_i32_i24_e32 v1, v94, v153
	v_mul_i32_i24_e32 v2, v95, v156
	s_delay_alu instid0(VALU_DEP_3) | instskip(SKIP_2) | instid1(VALU_DEP_3)
	v_add3_u32 v0, v0, v5, v19
	v_mul_i32_i24_e32 v5, v96, v134
	v_mul_i32_i24_e32 v19, v97, v133
	v_add3_u32 v0, v0, v1, v2
	v_mul_i32_i24_e32 v1, v98, v162
	v_mul_i32_i24_e32 v2, v100, v163
	s_delay_alu instid0(VALU_DEP_3) | instskip(SKIP_1) | instid1(VALU_DEP_4)
	v_add3_u32 v0, v0, v5, v19
	v_mul_i32_i24_e32 v5, v83, v166
	v_mad_i32_i24 v1, v99, v8, v1
	v_mul_i32_i24_e32 v19, v103, v167
	v_mul_i32_i24_e32 v83, v117, v130
	v_mul_lo_u32 v0, v0, v160
	s_delay_alu instid0(VALU_DEP_4) | instskip(SKIP_3) | instid1(VALU_DEP_2)
	v_add3_u32 v1, v1, v2, v5
	v_mul_i32_i24_e32 v2, v101, v165
	v_mul_i32_i24_e32 v5, v102, v164
	v_mad_i32_i24 v83, v114, v161, v83
	v_add3_u32 v1, v1, v2, v5
	v_mul_i32_i24_e32 v2, v104, v169
	v_mul_i32_i24_e32 v5, v105, v170
	s_delay_alu instid0(VALU_DEP_4) | instskip(NEXT) | instid1(VALU_DEP_4)
	v_add3_u32 v80, v83, v80, v81
	v_add3_u32 v1, v1, v19, v46
	v_mul_i32_i24_e32 v19, v106, v171
	v_mul_i32_i24_e32 v46, v85, v173
	s_delay_alu instid0(VALU_DEP_3) | instskip(SKIP_2) | instid1(VALU_DEP_3)
	v_add3_u32 v1, v1, v2, v5
	v_mul_i32_i24_e32 v2, v107, v172
	v_mul_i32_i24_e32 v5, v108, v174
	v_add3_u32 v1, v1, v19, v46
	v_mul_i32_i24_e32 v19, v109, v175
	v_mul_i32_i24_e32 v46, v86, v176
	s_delay_alu instid0(VALU_DEP_3) | instskip(SKIP_1) | instid1(VALU_DEP_2)
	v_add3_u32 v1, v1, v2, v5
	v_mul_i32_i24_e32 v2, v111, v141
	v_add3_u32 v5, v1, v19, v46
	v_mul_i32_i24_e32 v1, v110, v143
	v_mul_i32_i24_e32 v46, v113, v138
	;; [unrolled: 1-line block ×3, first 2 shown]
	s_delay_alu instid0(VALU_DEP_2) | instskip(NEXT) | instid1(VALU_DEP_1)
	v_add3_u32 v1, v80, v46, v1
	v_add3_u32 v19, v1, v2, v19
	v_mad_u64_u32 v[1:2], null, v5, v158, v[0:1]
	s_delay_alu instid0(VALU_DEP_1) | instskip(NEXT) | instid1(VALU_DEP_3)
	v_cvt_f32_i32_e32 v0, v1
	v_cvt_f32_i32_e32 v1, v19
	s_delay_alu instid0(VALU_DEP_1) | instskip(NEXT) | instid1(VALU_DEP_1)
	v_mul_f32_e32 v1, v157, v1
	v_fma_mix_f32 v0, v126, v0, -v1 op_sel_hi:[1,0,0]
	s_delay_alu instid0(VALU_DEP_1)
	v_fmac_f32_e32 v30, v3, v0
	ds_load_b128 v[0:3], v124 offset:3072
	s_waitcnt lgkmcnt(0)
	v_bfe_i32 v5, v0, 0, 8
	v_bfe_i32 v19, v0, 8, 8
	v_bfe_i32 v46, v0, 16, 8
	v_ashrrev_i32_e32 v80, 24, v0
	v_bfe_i32 v81, v1, 0, 8
	v_bfe_i32 v83, v1, 8, 8
	v_bfe_i32 v84, v1, 16, 8
	v_ashrrev_i32_e32 v85, 24, v1
	;; [unrolled: 4-line block ×4, first 2 shown]
	ds_load_b128 v[0:3], v124 offset:3088
	v_mul_i32_i24_e32 v117, v84, v56
	v_mul_i32_i24_e32 v118, v85, v58
	s_waitcnt lgkmcnt(0)
	v_ashrrev_i32_e32 v97, 24, v0
	v_ashrrev_i32_e32 v101, 24, v1
	v_bfe_i32 v94, v0, 0, 8
	v_bfe_i32 v95, v0, 8, 8
	;; [unrolled: 1-line block ×4, first 2 shown]
	v_ashrrev_i32_e32 v105, 24, v2
	v_bfe_i32 v106, v3, 0, 8
	v_bfe_i32 v107, v3, 8, 8
	;; [unrolled: 1-line block ×3, first 2 shown]
	v_ashrrev_i32_e32 v3, 24, v3
	v_add_nc_u32_e32 v0, v101, v97
	v_bfe_i32 v99, v1, 8, 8
	v_bfe_i32 v104, v2, 16, 8
	;; [unrolled: 1-line block ×4, first 2 shown]
	v_add3_u32 v109, v0, v105, v3
	v_add_nc_u32_e32 v0, v100, v96
	v_bfe_i32 v102, v2, 0, 8
	v_mul_i32_i24_e32 v1, v46, v47
	v_mul_i32_i24_e32 v2, v80, v55
	;; [unrolled: 1-line block ×3, first 2 shown]
	v_add3_u32 v110, v0, v104, v108
	v_add_nc_u32_e32 v0, v99, v95
	s_delay_alu instid0(VALU_DEP_1) | instskip(SKIP_1) | instid1(VALU_DEP_1)
	v_add3_u32 v111, v0, v103, v107
	v_add_nc_u32_e32 v0, v98, v94
	v_add3_u32 v112, v0, v102, v106
	v_add_nc_u32_e32 v0, v85, v80
	s_delay_alu instid0(VALU_DEP_1) | instskip(SKIP_1) | instid1(VALU_DEP_1)
	v_add3_u32 v113, v0, v89, v93
	v_add_nc_u32_e32 v0, v84, v46
	v_add3_u32 v114, v0, v88, v92
	v_add_nc_u32_e32 v0, v83, v19
	s_delay_alu instid0(VALU_DEP_2) | instskip(NEXT) | instid1(VALU_DEP_2)
	v_mul_i32_i24_e32 v127, v114, v34
	v_add3_u32 v115, v0, v87, v91
	v_add_nc_u32_e32 v0, v81, v5
	s_delay_alu instid0(VALU_DEP_2) | instskip(NEXT) | instid1(VALU_DEP_2)
	v_mul_i32_i24_e32 v128, v115, v28
	v_add3_u32 v116, v0, v86, v90
	v_mul_i32_i24_e32 v0, v5, v44
	s_delay_alu instid0(VALU_DEP_2) | instskip(NEXT) | instid1(VALU_DEP_2)
	v_mul_i32_i24_e32 v150, v116, v192
	v_mad_i32_i24 v0, v19, v42, v0
	s_delay_alu instid0(VALU_DEP_2) | instskip(NEXT) | instid1(VALU_DEP_2)
	v_mad_i32_i24 v150, v113, v196, v150
	v_add3_u32 v0, v0, v1, v2
	v_mul_i32_i24_e32 v1, v81, v50
	v_mul_i32_i24_e32 v2, v83, v53
	s_delay_alu instid0(VALU_DEP_4) | instskip(SKIP_2) | instid1(VALU_DEP_4)
	v_add3_u32 v127, v150, v127, v128
	v_mul_i32_i24_e32 v150, v116, v155
	v_mul_i32_i24_e32 v128, v115, v215
	v_add3_u32 v0, v0, v1, v2
	v_mul_i32_i24_e32 v1, v86, v57
	v_mul_i32_i24_e32 v2, v87, v59
	v_mad_i32_i24 v150, v113, v159, v150
	s_delay_alu instid0(VALU_DEP_4) | instskip(SKIP_2) | instid1(VALU_DEP_3)
	v_add3_u32 v0, v0, v117, v118
	v_mul_i32_i24_e32 v117, v88, v60
	v_mul_i32_i24_e32 v118, v89, v62
	v_add3_u32 v0, v0, v1, v2
	v_mul_i32_i24_e32 v1, v90, v61
	v_mul_i32_i24_e32 v2, v91, v63
	s_delay_alu instid0(VALU_DEP_3) | instskip(SKIP_2) | instid1(VALU_DEP_3)
	v_add3_u32 v0, v0, v117, v118
	v_mul_i32_i24_e32 v117, v92, v64
	v_mul_i32_i24_e32 v118, v93, v65
	v_add3_u32 v0, v0, v1, v2
	v_mul_i32_i24_e32 v1, v94, v69
	v_mul_i32_i24_e32 v2, v96, v70
	s_delay_alu instid0(VALU_DEP_3) | instskip(SKIP_1) | instid1(VALU_DEP_4)
	v_add3_u32 v0, v0, v117, v118
	v_mul_i32_i24_e32 v117, v97, v73
	v_mad_i32_i24 v1, v95, v68, v1
	v_mul_i32_i24_e32 v118, v100, v74
	s_delay_alu instid0(VALU_DEP_4) | instskip(NEXT) | instid1(VALU_DEP_3)
	v_mul_lo_u32 v0, v0, v66
	v_add3_u32 v1, v1, v2, v117
	v_mul_i32_i24_e32 v2, v98, v71
	v_mul_i32_i24_e32 v117, v99, v72
	s_delay_alu instid0(VALU_DEP_1) | instskip(SKIP_2) | instid1(VALU_DEP_3)
	v_add3_u32 v1, v1, v2, v117
	v_mul_i32_i24_e32 v2, v102, v75
	v_mul_i32_i24_e32 v117, v103, v77
	v_add3_u32 v1, v1, v118, v123
	v_mul_i32_i24_e32 v118, v104, v78
	v_mul_i32_i24_e32 v123, v105, v119
	s_delay_alu instid0(VALU_DEP_3) | instskip(SKIP_2) | instid1(VALU_DEP_3)
	v_add3_u32 v1, v1, v2, v117
	v_mul_i32_i24_e32 v2, v106, v82
	v_mul_i32_i24_e32 v117, v107, v120
	v_add3_u32 v1, v1, v118, v123
	v_mul_i32_i24_e32 v118, v108, v121
	v_mul_i32_i24_e32 v123, v3, v122
	s_delay_alu instid0(VALU_DEP_3) | instskip(SKIP_1) | instid1(VALU_DEP_2)
	v_add3_u32 v1, v1, v2, v117
	v_mul_i32_i24_e32 v2, v110, v40
	v_add3_u32 v117, v1, v118, v123
	v_mul_i32_i24_e32 v1, v109, v43
	v_mul_i32_i24_e32 v123, v112, v35
	v_mul_i32_i24_e32 v118, v111, v38
	s_delay_alu instid0(VALU_DEP_2) | instskip(SKIP_2) | instid1(VALU_DEP_3)
	v_add3_u32 v1, v127, v123, v1
	v_mul_i32_i24_e32 v123, v101, v248
	v_mul_i32_i24_e32 v127, v114, v32
	v_add3_u32 v118, v1, v2, v118
	v_mad_u64_u32 v[1:2], null, v117, v217, v[0:1]
	v_mul_i32_i24_e32 v2, v80, v228
	v_mul_i32_i24_e32 v117, v84, v229
	v_add3_u32 v127, v150, v127, v128
	v_mul_i32_i24_e32 v150, v116, v132
	v_mul_i32_i24_e32 v128, v115, v11
	v_cvt_f32_i32_e32 v0, v1
	v_cvt_f32_i32_e32 v1, v118
	v_mul_i32_i24_e32 v118, v85, v222
	v_mad_i32_i24 v150, v113, v6, v150
	s_delay_alu instid0(VALU_DEP_3) | instskip(NEXT) | instid1(VALU_DEP_1)
	v_mul_f32_e32 v1, v218, v1
	v_fma_mix_f32 v0, v183, v0, -v1 op_sel_hi:[1,0,0]
	v_mul_i32_i24_e32 v1, v46, v225
	s_delay_alu instid0(VALU_DEP_2) | instskip(SKIP_1) | instid1(VALU_DEP_1)
	v_fmac_f32_e32 v29, v4, v0
	v_mul_i32_i24_e32 v0, v5, v224
	v_mad_i32_i24 v0, v19, v67, v0
	s_delay_alu instid0(VALU_DEP_1) | instskip(SKIP_2) | instid1(VALU_DEP_1)
	v_add3_u32 v0, v0, v1, v2
	v_mul_i32_i24_e32 v1, v81, v226
	v_mul_i32_i24_e32 v2, v83, v227
	v_add3_u32 v0, v0, v1, v2
	v_mul_i32_i24_e32 v1, v86, v230
	v_mul_i32_i24_e32 v2, v87, v231
	s_delay_alu instid0(VALU_DEP_3) | instskip(SKIP_2) | instid1(VALU_DEP_3)
	v_add3_u32 v0, v0, v117, v118
	v_mul_i32_i24_e32 v117, v88, v79
	v_mul_i32_i24_e32 v118, v89, v233
	v_add3_u32 v0, v0, v1, v2
	v_mul_i32_i24_e32 v1, v90, v234
	v_mul_i32_i24_e32 v2, v91, v235
	s_delay_alu instid0(VALU_DEP_3) | instskip(SKIP_2) | instid1(VALU_DEP_3)
	v_add3_u32 v0, v0, v117, v118
	v_mul_i32_i24_e32 v117, v92, v236
	v_mul_i32_i24_e32 v118, v93, v237
	v_add3_u32 v0, v0, v1, v2
	v_mul_i32_i24_e32 v1, v94, v241
	v_mul_i32_i24_e32 v2, v96, v242
	s_delay_alu instid0(VALU_DEP_3) | instskip(SKIP_1) | instid1(VALU_DEP_4)
	v_add3_u32 v0, v0, v117, v118
	v_mul_i32_i24_e32 v117, v97, v245
	v_mad_i32_i24 v1, v95, v240, v1
	v_mul_i32_i24_e32 v118, v100, v246
	s_delay_alu instid0(VALU_DEP_4) | instskip(NEXT) | instid1(VALU_DEP_3)
	v_mul_lo_u32 v0, v0, v239
	v_add3_u32 v1, v1, v2, v117
	v_mul_i32_i24_e32 v2, v98, v243
	v_mul_i32_i24_e32 v117, v99, v244
	s_delay_alu instid0(VALU_DEP_1) | instskip(SKIP_2) | instid1(VALU_DEP_3)
	v_add3_u32 v1, v1, v2, v117
	v_mul_i32_i24_e32 v2, v102, v247
	v_mul_i32_i24_e32 v117, v103, v249
	v_add3_u32 v1, v1, v118, v123
	v_mul_i32_i24_e32 v118, v104, v250
	v_mul_i32_i24_e32 v123, v105, v252
	s_delay_alu instid0(VALU_DEP_3) | instskip(SKIP_2) | instid1(VALU_DEP_3)
	v_add3_u32 v1, v1, v2, v117
	v_mul_i32_i24_e32 v2, v106, v251
	v_mul_i32_i24_e32 v117, v107, v253
	v_add3_u32 v1, v1, v118, v123
	v_mul_i32_i24_e32 v118, v108, v254
	v_mul_i32_i24_e32 v123, v3, v255
	s_delay_alu instid0(VALU_DEP_3) | instskip(SKIP_1) | instid1(VALU_DEP_2)
	v_add3_u32 v1, v1, v2, v117
	v_mul_i32_i24_e32 v2, v110, v221
	v_add3_u32 v117, v1, v118, v123
	v_mul_i32_i24_e32 v1, v109, v223
	v_mul_i32_i24_e32 v123, v112, v219
	v_mul_i32_i24_e32 v118, v111, v220
	s_delay_alu instid0(VALU_DEP_2) | instskip(SKIP_2) | instid1(VALU_DEP_3)
	v_add3_u32 v1, v127, v123, v1
	v_mul_i32_i24_e32 v123, v101, v206
	v_mul_i32_i24_e32 v127, v114, v178
	v_add3_u32 v118, v1, v2, v118
	v_mad_u64_u32 v[1:2], null, v117, v14, v[0:1]
	v_mul_i32_i24_e32 v2, v80, v49
	v_mul_i32_i24_e32 v117, v84, v51
	v_add3_u32 v127, v150, v127, v128
	s_delay_alu instid0(VALU_DEP_4) | instskip(SKIP_2) | instid1(VALU_DEP_2)
	v_cvt_f32_i32_e32 v0, v1
	v_cvt_f32_i32_e32 v1, v118
	v_mul_i32_i24_e32 v118, v85, v20
	v_mul_f32_e32 v1, v180, v1
	s_delay_alu instid0(VALU_DEP_1) | instskip(SKIP_1) | instid1(VALU_DEP_2)
	v_fma_mix_f32 v0, v139, v0, -v1 op_sel_hi:[1,0,0]
	v_mul_i32_i24_e32 v1, v46, v25
	v_fmac_f32_e32 v27, v4, v0
	v_mul_i32_i24_e32 v0, v5, v18
	s_delay_alu instid0(VALU_DEP_1) | instskip(NEXT) | instid1(VALU_DEP_1)
	v_mad_i32_i24 v0, v19, v17, v0
	v_add3_u32 v0, v0, v1, v2
	v_mul_i32_i24_e32 v1, v81, v45
	v_mul_i32_i24_e32 v2, v83, v48
	s_delay_alu instid0(VALU_DEP_1) | instskip(SKIP_2) | instid1(VALU_DEP_3)
	v_add3_u32 v0, v0, v1, v2
	v_mul_i32_i24_e32 v1, v86, v52
	v_mul_i32_i24_e32 v2, v87, v188
	v_add3_u32 v0, v0, v117, v118
	v_mul_i32_i24_e32 v117, v88, v189
	v_mul_i32_i24_e32 v118, v89, v193
	s_delay_alu instid0(VALU_DEP_3) | instskip(SKIP_2) | instid1(VALU_DEP_3)
	v_add3_u32 v0, v0, v1, v2
	v_mul_i32_i24_e32 v1, v90, v190
	v_mul_i32_i24_e32 v2, v91, v21
	v_add3_u32 v0, v0, v117, v118
	v_mul_i32_i24_e32 v117, v92, v195
	v_mul_i32_i24_e32 v118, v93, v22
	s_delay_alu instid0(VALU_DEP_3) | instskip(SKIP_2) | instid1(VALU_DEP_3)
	v_add3_u32 v0, v0, v1, v2
	v_mul_i32_i24_e32 v1, v94, v24
	v_mul_i32_i24_e32 v2, v96, v200
	v_add3_u32 v0, v0, v117, v118
	v_mul_i32_i24_e32 v117, v97, v203
	s_delay_alu instid0(VALU_DEP_4) | instskip(SKIP_1) | instid1(VALU_DEP_4)
	v_mad_i32_i24 v1, v95, v199, v1
	v_mul_i32_i24_e32 v118, v100, v204
	v_mul_lo_u32 v0, v0, v198
	s_delay_alu instid0(VALU_DEP_3) | instskip(SKIP_2) | instid1(VALU_DEP_1)
	v_add3_u32 v1, v1, v2, v117
	v_mul_i32_i24_e32 v2, v98, v201
	v_mul_i32_i24_e32 v117, v99, v202
	v_add3_u32 v1, v1, v2, v117
	v_mul_i32_i24_e32 v2, v102, v205
	v_mul_i32_i24_e32 v117, v103, v207
	s_delay_alu instid0(VALU_DEP_3) | instskip(SKIP_2) | instid1(VALU_DEP_3)
	v_add3_u32 v1, v1, v118, v123
	v_mul_i32_i24_e32 v118, v104, v208
	v_mul_i32_i24_e32 v123, v105, v210
	v_add3_u32 v1, v1, v2, v117
	v_mul_i32_i24_e32 v2, v106, v209
	v_mul_i32_i24_e32 v117, v107, v211
	s_delay_alu instid0(VALU_DEP_3) | instskip(SKIP_3) | instid1(VALU_DEP_4)
	v_add3_u32 v1, v1, v118, v123
	v_mul_i32_i24_e32 v118, v108, v212
	v_mul_i32_i24_e32 v123, v3, v26
	;; [unrolled: 1-line block ×3, first 2 shown]
	v_add3_u32 v1, v1, v2, v117
	v_mul_i32_i24_e32 v2, v110, v185
	s_delay_alu instid0(VALU_DEP_2) | instskip(SKIP_3) | instid1(VALU_DEP_2)
	v_add3_u32 v117, v1, v118, v123
	v_mul_i32_i24_e32 v1, v109, v186
	v_mul_i32_i24_e32 v123, v112, v182
	;; [unrolled: 1-line block ×3, first 2 shown]
	v_add3_u32 v1, v127, v123, v1
	s_delay_alu instid0(VALU_DEP_1) | instskip(SKIP_3) | instid1(VALU_DEP_3)
	v_add3_u32 v118, v1, v2, v118
	v_mad_u64_u32 v[1:2], null, v117, v136, v[0:1]
	v_mul_i32_i24_e32 v2, v80, v148
	v_mul_i32_i24_e32 v80, v115, v9
	v_cvt_f32_i32_e32 v0, v1
	v_cvt_f32_i32_e32 v1, v118
	s_delay_alu instid0(VALU_DEP_1) | instskip(NEXT) | instid1(VALU_DEP_1)
	v_mul_f32_e32 v1, v7, v1
	v_fma_mix_f32 v0, v131, v0, -v1 op_sel_hi:[1,0,0]
	v_mul_i32_i24_e32 v1, v46, v145
	v_mul_i32_i24_e32 v46, v101, v168
	s_delay_alu instid0(VALU_DEP_3) | instskip(SKIP_2) | instid1(VALU_DEP_2)
	v_fmac_f32_e32 v214, v4, v0
	v_mul_i32_i24_e32 v0, v5, v144
	v_mul_i32_i24_e32 v5, v84, v149
	v_mad_i32_i24 v0, v19, v129, v0
	v_mul_i32_i24_e32 v19, v85, v151
	s_delay_alu instid0(VALU_DEP_2) | instskip(SKIP_3) | instid1(VALU_DEP_2)
	v_add3_u32 v0, v0, v1, v2
	v_mul_i32_i24_e32 v1, v81, v146
	v_mul_i32_i24_e32 v2, v83, v147
	;; [unrolled: 1-line block ×3, first 2 shown]
	v_add3_u32 v0, v0, v1, v2
	v_mul_i32_i24_e32 v1, v86, v142
	v_mul_i32_i24_e32 v2, v87, v137
	s_delay_alu instid0(VALU_DEP_4) | instskip(NEXT) | instid1(VALU_DEP_4)
	v_mad_i32_i24 v81, v113, v161, v81
	v_add3_u32 v0, v0, v5, v19
	v_mul_i32_i24_e32 v5, v88, v135
	v_mul_i32_i24_e32 v19, v89, v154
	s_delay_alu instid0(VALU_DEP_3) | instskip(SKIP_2) | instid1(VALU_DEP_3)
	v_add3_u32 v0, v0, v1, v2
	v_mul_i32_i24_e32 v1, v90, v153
	v_mul_i32_i24_e32 v2, v91, v156
	v_add3_u32 v0, v0, v5, v19
	v_mul_i32_i24_e32 v5, v92, v134
	v_mul_i32_i24_e32 v19, v93, v133
	s_delay_alu instid0(VALU_DEP_3) | instskip(SKIP_2) | instid1(VALU_DEP_3)
	v_add3_u32 v0, v0, v1, v2
	v_mul_i32_i24_e32 v1, v94, v162
	v_mul_i32_i24_e32 v2, v96, v163
	v_add3_u32 v0, v0, v5, v19
	v_mul_i32_i24_e32 v5, v97, v166
	s_delay_alu instid0(VALU_DEP_4) | instskip(SKIP_1) | instid1(VALU_DEP_4)
	v_mad_i32_i24 v1, v95, v8, v1
	v_mul_i32_i24_e32 v19, v100, v167
	v_mul_lo_u32 v0, v0, v160
	s_delay_alu instid0(VALU_DEP_3) | instskip(SKIP_2) | instid1(VALU_DEP_1)
	v_add3_u32 v1, v1, v2, v5
	v_mul_i32_i24_e32 v2, v98, v165
	v_mul_i32_i24_e32 v5, v99, v164
	v_add3_u32 v1, v1, v2, v5
	v_mul_i32_i24_e32 v2, v102, v169
	v_mul_i32_i24_e32 v5, v103, v170
	s_delay_alu instid0(VALU_DEP_3) | instskip(SKIP_2) | instid1(VALU_DEP_3)
	v_add3_u32 v1, v1, v19, v46
	v_mul_i32_i24_e32 v19, v104, v171
	v_mul_i32_i24_e32 v46, v105, v173
	v_add3_u32 v1, v1, v2, v5
	v_mul_i32_i24_e32 v2, v106, v172
	v_mul_i32_i24_e32 v5, v107, v174
	s_delay_alu instid0(VALU_DEP_3) | instskip(SKIP_2) | instid1(VALU_DEP_3)
	v_add3_u32 v1, v1, v19, v46
	v_mul_i32_i24_e32 v19, v108, v175
	v_mul_i32_i24_e32 v46, v114, v10
	v_add3_u32 v1, v1, v2, v5
	v_mul_i32_i24_e32 v2, v110, v141
	s_delay_alu instid0(VALU_DEP_3) | instskip(SKIP_1) | instid1(VALU_DEP_4)
	v_add3_u32 v46, v81, v46, v80
	v_mul_i32_i24_e32 v5, v111, v140
	v_add3_u32 v3, v1, v19, v3
	v_mul_i32_i24_e32 v1, v109, v143
	v_mul_i32_i24_e32 v19, v112, v138
	s_delay_alu instid0(VALU_DEP_1) | instskip(NEXT) | instid1(VALU_DEP_1)
	v_add3_u32 v1, v46, v19, v1
	v_add3_u32 v5, v1, v2, v5
	v_mad_u64_u32 v[1:2], null, v3, v158, v[0:1]
	s_delay_alu instid0(VALU_DEP_1) | instskip(NEXT) | instid1(VALU_DEP_3)
	v_cvt_f32_i32_e32 v0, v1
	v_cvt_f32_i32_e32 v1, v5
	s_delay_alu instid0(VALU_DEP_1) | instskip(NEXT) | instid1(VALU_DEP_1)
	v_mul_f32_e32 v1, v157, v1
	v_fma_mix_f32 v0, v126, v0, -v1 op_sel_hi:[1,0,0]
	s_delay_alu instid0(VALU_DEP_1)
	v_fmac_f32_e32 v213, v4, v0
	ds_load_2addr_b32 v[3:4], v125 offset0:128 offset1:160
	ds_load_b128 v[83:86], v124 offset:4096
	s_waitcnt lgkmcnt(0)
	v_bfe_i32 v5, v83, 0, 8
	v_bfe_i32 v19, v83, 8, 8
	v_bfe_i32 v46, v83, 16, 8
	v_ashrrev_i32_e32 v80, 24, v83
	v_bfe_i32 v81, v84, 0, 8
	v_bfe_i32 v87, v84, 8, 8
	v_bfe_i32 v88, v84, 16, 8
	v_ashrrev_i32_e32 v89, 24, v84
	;; [unrolled: 4-line block ×4, first 2 shown]
	ds_load_b128 v[83:86], v124 offset:4112
	v_mul_i32_i24_e32 v1, v46, v47
	v_mul_i32_i24_e32 v2, v80, v55
	;; [unrolled: 1-line block ×4, first 2 shown]
	s_waitcnt lgkmcnt(0)
	v_bfe_i32 v98, v83, 0, 8
	v_bfe_i32 v99, v83, 8, 8
	v_bfe_i32 v100, v83, 16, 8
	v_ashrrev_i32_e32 v83, 24, v83
	v_bfe_i32 v101, v84, 0, 8
	v_bfe_i32 v102, v84, 8, 8
	v_bfe_i32 v103, v84, 16, 8
	v_ashrrev_i32_e32 v84, 24, v84
	;; [unrolled: 4-line block ×4, first 2 shown]
	v_add_nc_u32_e32 v0, v84, v83
	v_mul_i32_i24_e32 v127, v84, v76
	s_delay_alu instid0(VALU_DEP_2) | instskip(SKIP_1) | instid1(VALU_DEP_1)
	v_add3_u32 v110, v0, v85, v86
	v_add_nc_u32_e32 v0, v103, v100
	v_add3_u32 v111, v0, v106, v109
	v_add_nc_u32_e32 v0, v102, v99
	s_delay_alu instid0(VALU_DEP_1) | instskip(SKIP_1) | instid1(VALU_DEP_1)
	v_add3_u32 v112, v0, v105, v108
	v_add_nc_u32_e32 v0, v101, v98
	v_add3_u32 v113, v0, v104, v107
	v_add_nc_u32_e32 v0, v89, v80
	s_delay_alu instid0(VALU_DEP_1) | instskip(SKIP_1) | instid1(VALU_DEP_1)
	v_add3_u32 v114, v0, v93, v97
	v_add_nc_u32_e32 v0, v88, v46
	v_add3_u32 v115, v0, v92, v96
	v_add_nc_u32_e32 v0, v87, v19
	s_delay_alu instid0(VALU_DEP_2) | instskip(NEXT) | instid1(VALU_DEP_2)
	v_mul_i32_i24_e32 v128, v115, v34
	v_add3_u32 v116, v0, v91, v95
	v_add_nc_u32_e32 v0, v81, v5
	s_delay_alu instid0(VALU_DEP_2) | instskip(NEXT) | instid1(VALU_DEP_2)
	v_mul_i32_i24_e32 v150, v116, v28
	v_add3_u32 v117, v0, v90, v94
	v_mul_i32_i24_e32 v0, v5, v44
	s_delay_alu instid0(VALU_DEP_2) | instskip(NEXT) | instid1(VALU_DEP_2)
	v_mul_i32_i24_e32 v152, v117, v192
	v_mad_i32_i24 v0, v19, v42, v0
	s_delay_alu instid0(VALU_DEP_2) | instskip(NEXT) | instid1(VALU_DEP_2)
	v_mad_i32_i24 v152, v114, v196, v152
	v_add3_u32 v0, v0, v1, v2
	v_mul_i32_i24_e32 v1, v81, v50
	v_mul_i32_i24_e32 v2, v87, v53
	s_delay_alu instid0(VALU_DEP_4) | instskip(SKIP_2) | instid1(VALU_DEP_4)
	v_add3_u32 v128, v152, v128, v150
	v_mul_i32_i24_e32 v152, v117, v155
	v_mul_i32_i24_e32 v150, v116, v215
	v_add3_u32 v0, v0, v1, v2
	v_mul_i32_i24_e32 v1, v90, v57
	v_mul_i32_i24_e32 v2, v91, v59
	v_mad_i32_i24 v152, v114, v159, v152
	s_delay_alu instid0(VALU_DEP_4) | instskip(SKIP_2) | instid1(VALU_DEP_3)
	v_add3_u32 v0, v0, v118, v123
	v_mul_i32_i24_e32 v118, v92, v60
	v_mul_i32_i24_e32 v123, v93, v62
	v_add3_u32 v0, v0, v1, v2
	v_mul_i32_i24_e32 v1, v94, v61
	v_mul_i32_i24_e32 v2, v95, v63
	s_delay_alu instid0(VALU_DEP_3) | instskip(SKIP_2) | instid1(VALU_DEP_3)
	v_add3_u32 v0, v0, v118, v123
	v_mul_i32_i24_e32 v118, v96, v64
	v_mul_i32_i24_e32 v123, v97, v65
	v_add3_u32 v0, v0, v1, v2
	v_mul_i32_i24_e32 v1, v98, v69
	v_mul_i32_i24_e32 v2, v100, v70
	s_delay_alu instid0(VALU_DEP_3) | instskip(SKIP_1) | instid1(VALU_DEP_4)
	v_add3_u32 v0, v0, v118, v123
	v_mul_i32_i24_e32 v118, v83, v73
	v_mad_i32_i24 v1, v99, v68, v1
	v_mul_i32_i24_e32 v123, v103, v74
	s_delay_alu instid0(VALU_DEP_4) | instskip(NEXT) | instid1(VALU_DEP_3)
	v_mul_lo_u32 v0, v0, v66
	v_add3_u32 v1, v1, v2, v118
	v_mul_i32_i24_e32 v2, v101, v71
	v_mul_i32_i24_e32 v118, v102, v72
	s_delay_alu instid0(VALU_DEP_1) | instskip(SKIP_2) | instid1(VALU_DEP_3)
	v_add3_u32 v1, v1, v2, v118
	v_mul_i32_i24_e32 v2, v104, v75
	v_mul_i32_i24_e32 v118, v105, v77
	v_add3_u32 v1, v1, v123, v127
	v_mul_i32_i24_e32 v123, v106, v78
	v_mul_i32_i24_e32 v127, v85, v119
	s_delay_alu instid0(VALU_DEP_3) | instskip(SKIP_2) | instid1(VALU_DEP_3)
	v_add3_u32 v1, v1, v2, v118
	v_mul_i32_i24_e32 v2, v107, v82
	v_mul_i32_i24_e32 v118, v108, v120
	v_add3_u32 v1, v1, v123, v127
	v_mul_i32_i24_e32 v123, v109, v121
	v_mul_i32_i24_e32 v127, v86, v122
	s_delay_alu instid0(VALU_DEP_3) | instskip(SKIP_1) | instid1(VALU_DEP_2)
	v_add3_u32 v1, v1, v2, v118
	v_mul_i32_i24_e32 v2, v111, v40
	v_add3_u32 v118, v1, v123, v127
	v_mul_i32_i24_e32 v1, v110, v43
	v_mul_i32_i24_e32 v127, v113, v35
	;; [unrolled: 1-line block ×3, first 2 shown]
	s_delay_alu instid0(VALU_DEP_2) | instskip(SKIP_2) | instid1(VALU_DEP_3)
	v_add3_u32 v1, v128, v127, v1
	v_mul_i32_i24_e32 v127, v84, v248
	v_mul_i32_i24_e32 v128, v115, v32
	v_add3_u32 v123, v1, v2, v123
	v_mad_u64_u32 v[1:2], null, v118, v217, v[0:1]
	v_mul_i32_i24_e32 v2, v80, v228
	v_mul_i32_i24_e32 v118, v88, v229
	v_add3_u32 v128, v152, v128, v150
	v_mul_i32_i24_e32 v152, v117, v132
	v_mul_i32_i24_e32 v150, v116, v11
	v_cvt_f32_i32_e32 v0, v1
	v_cvt_f32_i32_e32 v1, v123
	v_mul_i32_i24_e32 v123, v89, v222
	v_mad_i32_i24 v152, v114, v6, v152
	s_delay_alu instid0(VALU_DEP_3) | instskip(NEXT) | instid1(VALU_DEP_1)
	v_mul_f32_e32 v1, v218, v1
	v_fma_mix_f32 v0, v183, v0, -v1 op_sel_hi:[1,0,0]
	v_mul_i32_i24_e32 v1, v46, v225
	s_delay_alu instid0(VALU_DEP_2) | instskip(SKIP_1) | instid1(VALU_DEP_1)
	v_fmac_f32_e32 v23, v3, v0
	v_mul_i32_i24_e32 v0, v5, v224
	v_mad_i32_i24 v0, v19, v67, v0
	s_delay_alu instid0(VALU_DEP_1) | instskip(SKIP_2) | instid1(VALU_DEP_1)
	v_add3_u32 v0, v0, v1, v2
	v_mul_i32_i24_e32 v1, v81, v226
	v_mul_i32_i24_e32 v2, v87, v227
	v_add3_u32 v0, v0, v1, v2
	v_mul_i32_i24_e32 v1, v90, v230
	v_mul_i32_i24_e32 v2, v91, v231
	s_delay_alu instid0(VALU_DEP_3) | instskip(SKIP_2) | instid1(VALU_DEP_3)
	v_add3_u32 v0, v0, v118, v123
	v_mul_i32_i24_e32 v118, v92, v79
	v_mul_i32_i24_e32 v123, v93, v233
	v_add3_u32 v0, v0, v1, v2
	v_mul_i32_i24_e32 v1, v94, v234
	v_mul_i32_i24_e32 v2, v95, v235
	s_delay_alu instid0(VALU_DEP_3) | instskip(SKIP_2) | instid1(VALU_DEP_3)
	v_add3_u32 v0, v0, v118, v123
	v_mul_i32_i24_e32 v118, v96, v236
	v_mul_i32_i24_e32 v123, v97, v237
	v_add3_u32 v0, v0, v1, v2
	v_mul_i32_i24_e32 v1, v98, v241
	v_mul_i32_i24_e32 v2, v100, v242
	s_delay_alu instid0(VALU_DEP_3) | instskip(SKIP_1) | instid1(VALU_DEP_4)
	v_add3_u32 v0, v0, v118, v123
	v_mul_i32_i24_e32 v118, v83, v245
	v_mad_i32_i24 v1, v99, v240, v1
	v_mul_i32_i24_e32 v123, v103, v246
	s_delay_alu instid0(VALU_DEP_4) | instskip(NEXT) | instid1(VALU_DEP_3)
	v_mul_lo_u32 v0, v0, v239
	v_add3_u32 v1, v1, v2, v118
	v_mul_i32_i24_e32 v2, v101, v243
	v_mul_i32_i24_e32 v118, v102, v244
	s_delay_alu instid0(VALU_DEP_1) | instskip(SKIP_2) | instid1(VALU_DEP_3)
	v_add3_u32 v1, v1, v2, v118
	v_mul_i32_i24_e32 v2, v104, v247
	v_mul_i32_i24_e32 v118, v105, v249
	v_add3_u32 v1, v1, v123, v127
	v_mul_i32_i24_e32 v123, v106, v250
	v_mul_i32_i24_e32 v127, v85, v252
	s_delay_alu instid0(VALU_DEP_3) | instskip(SKIP_2) | instid1(VALU_DEP_3)
	v_add3_u32 v1, v1, v2, v118
	v_mul_i32_i24_e32 v2, v107, v251
	v_mul_i32_i24_e32 v118, v108, v253
	v_add3_u32 v1, v1, v123, v127
	v_mul_i32_i24_e32 v123, v109, v254
	v_mul_i32_i24_e32 v127, v86, v255
	s_delay_alu instid0(VALU_DEP_3) | instskip(SKIP_1) | instid1(VALU_DEP_2)
	v_add3_u32 v1, v1, v2, v118
	v_mul_i32_i24_e32 v2, v111, v221
	v_add3_u32 v118, v1, v123, v127
	v_mul_i32_i24_e32 v1, v110, v223
	v_mul_i32_i24_e32 v127, v113, v219
	;; [unrolled: 1-line block ×3, first 2 shown]
	s_delay_alu instid0(VALU_DEP_2) | instskip(SKIP_2) | instid1(VALU_DEP_3)
	v_add3_u32 v1, v128, v127, v1
	v_mul_i32_i24_e32 v127, v84, v206
	v_mul_i32_i24_e32 v128, v115, v178
	v_add3_u32 v123, v1, v2, v123
	v_mad_u64_u32 v[1:2], null, v118, v14, v[0:1]
	v_mul_i32_i24_e32 v2, v80, v49
	v_mul_i32_i24_e32 v118, v88, v51
	v_add3_u32 v128, v152, v128, v150
	s_delay_alu instid0(VALU_DEP_4) | instskip(SKIP_2) | instid1(VALU_DEP_2)
	v_cvt_f32_i32_e32 v0, v1
	v_cvt_f32_i32_e32 v1, v123
	v_mul_i32_i24_e32 v123, v89, v20
	v_mul_f32_e32 v1, v180, v1
	s_delay_alu instid0(VALU_DEP_1) | instskip(SKIP_1) | instid1(VALU_DEP_2)
	v_fma_mix_f32 v0, v139, v0, -v1 op_sel_hi:[1,0,0]
	v_mul_i32_i24_e32 v1, v46, v25
	v_fmac_f32_e32 v197, v3, v0
	v_mul_i32_i24_e32 v0, v5, v18
	s_delay_alu instid0(VALU_DEP_1) | instskip(NEXT) | instid1(VALU_DEP_1)
	v_mad_i32_i24 v0, v19, v17, v0
	v_add3_u32 v0, v0, v1, v2
	v_mul_i32_i24_e32 v1, v81, v45
	v_mul_i32_i24_e32 v2, v87, v48
	s_delay_alu instid0(VALU_DEP_1) | instskip(SKIP_2) | instid1(VALU_DEP_3)
	v_add3_u32 v0, v0, v1, v2
	v_mul_i32_i24_e32 v1, v90, v52
	v_mul_i32_i24_e32 v2, v91, v188
	v_add3_u32 v0, v0, v118, v123
	v_mul_i32_i24_e32 v118, v92, v189
	v_mul_i32_i24_e32 v123, v93, v193
	s_delay_alu instid0(VALU_DEP_3) | instskip(SKIP_2) | instid1(VALU_DEP_3)
	v_add3_u32 v0, v0, v1, v2
	v_mul_i32_i24_e32 v1, v94, v190
	v_mul_i32_i24_e32 v2, v95, v21
	v_add3_u32 v0, v0, v118, v123
	v_mul_i32_i24_e32 v118, v96, v195
	v_mul_i32_i24_e32 v123, v97, v22
	s_delay_alu instid0(VALU_DEP_3) | instskip(SKIP_2) | instid1(VALU_DEP_3)
	v_add3_u32 v0, v0, v1, v2
	v_mul_i32_i24_e32 v1, v98, v24
	v_mul_i32_i24_e32 v2, v100, v200
	v_add3_u32 v0, v0, v118, v123
	v_mul_i32_i24_e32 v118, v83, v203
	s_delay_alu instid0(VALU_DEP_4) | instskip(SKIP_1) | instid1(VALU_DEP_4)
	v_mad_i32_i24 v1, v99, v199, v1
	v_mul_i32_i24_e32 v123, v103, v204
	v_mul_lo_u32 v0, v0, v198
	s_delay_alu instid0(VALU_DEP_3) | instskip(SKIP_2) | instid1(VALU_DEP_1)
	v_add3_u32 v1, v1, v2, v118
	v_mul_i32_i24_e32 v2, v101, v201
	v_mul_i32_i24_e32 v118, v102, v202
	v_add3_u32 v1, v1, v2, v118
	v_mul_i32_i24_e32 v2, v104, v205
	v_mul_i32_i24_e32 v118, v105, v207
	s_delay_alu instid0(VALU_DEP_3) | instskip(SKIP_2) | instid1(VALU_DEP_3)
	v_add3_u32 v1, v1, v123, v127
	v_mul_i32_i24_e32 v123, v106, v208
	v_mul_i32_i24_e32 v127, v85, v210
	v_add3_u32 v1, v1, v2, v118
	v_mul_i32_i24_e32 v2, v107, v209
	v_mul_i32_i24_e32 v118, v108, v211
	s_delay_alu instid0(VALU_DEP_3) | instskip(SKIP_2) | instid1(VALU_DEP_3)
	v_add3_u32 v1, v1, v123, v127
	v_mul_i32_i24_e32 v123, v109, v212
	v_mul_i32_i24_e32 v127, v86, v26
	v_add3_u32 v1, v1, v2, v118
	v_mul_i32_i24_e32 v2, v111, v185
	s_delay_alu instid0(VALU_DEP_2) | instskip(SKIP_3) | instid1(VALU_DEP_2)
	v_add3_u32 v118, v1, v123, v127
	v_mul_i32_i24_e32 v1, v110, v186
	v_mul_i32_i24_e32 v127, v113, v182
	;; [unrolled: 1-line block ×3, first 2 shown]
	v_add3_u32 v1, v128, v127, v1
	s_delay_alu instid0(VALU_DEP_1) | instskip(SKIP_3) | instid1(VALU_DEP_3)
	v_add3_u32 v123, v1, v2, v123
	v_mad_u64_u32 v[1:2], null, v118, v136, v[0:1]
	v_mul_i32_i24_e32 v2, v80, v148
	v_mul_i32_i24_e32 v80, v115, v10
	v_cvt_f32_i32_e32 v0, v1
	v_cvt_f32_i32_e32 v1, v123
	s_delay_alu instid0(VALU_DEP_1) | instskip(NEXT) | instid1(VALU_DEP_1)
	v_mul_f32_e32 v1, v7, v1
	v_fma_mix_f32 v0, v131, v0, -v1 op_sel_hi:[1,0,0]
	v_mul_i32_i24_e32 v1, v46, v145
	v_mul_i32_i24_e32 v46, v84, v168
	s_delay_alu instid0(VALU_DEP_3) | instskip(SKIP_2) | instid1(VALU_DEP_2)
	v_fmac_f32_e32 v191, v3, v0
	v_mul_i32_i24_e32 v0, v5, v144
	v_mul_i32_i24_e32 v5, v88, v149
	v_mad_i32_i24 v0, v19, v129, v0
	v_mul_i32_i24_e32 v19, v89, v151
	s_delay_alu instid0(VALU_DEP_2) | instskip(SKIP_3) | instid1(VALU_DEP_2)
	v_add3_u32 v0, v0, v1, v2
	v_mul_i32_i24_e32 v1, v81, v146
	v_mul_i32_i24_e32 v2, v87, v147
	;; [unrolled: 1-line block ×3, first 2 shown]
	v_add3_u32 v0, v0, v1, v2
	v_mul_i32_i24_e32 v1, v90, v142
	v_mul_i32_i24_e32 v2, v91, v137
	s_delay_alu instid0(VALU_DEP_3) | instskip(SKIP_2) | instid1(VALU_DEP_3)
	v_add3_u32 v0, v0, v5, v19
	v_mul_i32_i24_e32 v5, v92, v135
	v_mul_i32_i24_e32 v19, v93, v154
	v_add3_u32 v0, v0, v1, v2
	v_mul_i32_i24_e32 v1, v94, v153
	v_mul_i32_i24_e32 v2, v95, v156
	s_delay_alu instid0(VALU_DEP_3) | instskip(SKIP_2) | instid1(VALU_DEP_3)
	v_add3_u32 v0, v0, v5, v19
	v_mul_i32_i24_e32 v5, v96, v134
	v_mul_i32_i24_e32 v19, v97, v133
	v_add3_u32 v0, v0, v1, v2
	v_mul_i32_i24_e32 v1, v98, v162
	v_mul_i32_i24_e32 v2, v100, v163
	s_delay_alu instid0(VALU_DEP_3) | instskip(SKIP_1) | instid1(VALU_DEP_4)
	v_add3_u32 v0, v0, v5, v19
	v_mul_i32_i24_e32 v5, v83, v166
	v_mad_i32_i24 v1, v99, v8, v1
	v_mul_i32_i24_e32 v19, v103, v167
	v_mul_i32_i24_e32 v83, v117, v130
	v_mul_lo_u32 v0, v0, v160
	s_delay_alu instid0(VALU_DEP_4) | instskip(SKIP_3) | instid1(VALU_DEP_2)
	v_add3_u32 v1, v1, v2, v5
	v_mul_i32_i24_e32 v2, v101, v165
	v_mul_i32_i24_e32 v5, v102, v164
	v_mad_i32_i24 v83, v114, v161, v83
	v_add3_u32 v1, v1, v2, v5
	v_mul_i32_i24_e32 v2, v104, v169
	v_mul_i32_i24_e32 v5, v105, v170
	s_delay_alu instid0(VALU_DEP_4) | instskip(NEXT) | instid1(VALU_DEP_4)
	v_add3_u32 v80, v83, v80, v81
	v_add3_u32 v1, v1, v19, v46
	v_mul_i32_i24_e32 v19, v106, v171
	v_mul_i32_i24_e32 v46, v85, v173
	s_delay_alu instid0(VALU_DEP_3) | instskip(SKIP_2) | instid1(VALU_DEP_3)
	v_add3_u32 v1, v1, v2, v5
	v_mul_i32_i24_e32 v2, v107, v172
	v_mul_i32_i24_e32 v5, v108, v174
	v_add3_u32 v1, v1, v19, v46
	v_mul_i32_i24_e32 v19, v109, v175
	v_mul_i32_i24_e32 v46, v86, v176
	s_delay_alu instid0(VALU_DEP_3) | instskip(SKIP_1) | instid1(VALU_DEP_2)
	v_add3_u32 v1, v1, v2, v5
	v_mul_i32_i24_e32 v2, v111, v141
	v_add3_u32 v5, v1, v19, v46
	v_mul_i32_i24_e32 v1, v110, v143
	v_mul_i32_i24_e32 v46, v113, v138
	;; [unrolled: 1-line block ×3, first 2 shown]
	s_delay_alu instid0(VALU_DEP_2) | instskip(NEXT) | instid1(VALU_DEP_1)
	v_add3_u32 v1, v80, v46, v1
	v_add3_u32 v19, v1, v2, v19
	v_mad_u64_u32 v[1:2], null, v5, v158, v[0:1]
	s_delay_alu instid0(VALU_DEP_1) | instskip(NEXT) | instid1(VALU_DEP_3)
	v_cvt_f32_i32_e32 v0, v1
	v_cvt_f32_i32_e32 v1, v19
	s_delay_alu instid0(VALU_DEP_1) | instskip(NEXT) | instid1(VALU_DEP_1)
	v_mul_f32_e32 v1, v157, v1
	v_fma_mix_f32 v0, v126, v0, -v1 op_sel_hi:[1,0,0]
	s_delay_alu instid0(VALU_DEP_1)
	v_fmac_f32_e32 v187, v3, v0
	ds_load_b128 v[0:3], v124 offset:5120
	s_waitcnt lgkmcnt(0)
	v_bfe_i32 v5, v0, 0, 8
	v_bfe_i32 v19, v0, 8, 8
	v_bfe_i32 v46, v0, 16, 8
	v_ashrrev_i32_e32 v80, 24, v0
	v_bfe_i32 v81, v1, 0, 8
	v_bfe_i32 v83, v1, 8, 8
	v_bfe_i32 v84, v1, 16, 8
	v_ashrrev_i32_e32 v85, 24, v1
	;; [unrolled: 4-line block ×4, first 2 shown]
	ds_load_b128 v[0:3], v124 offset:5136
	v_mul_i32_i24_e32 v117, v84, v56
	v_mul_i32_i24_e32 v118, v85, v58
	s_waitcnt lgkmcnt(0)
	v_ashrrev_i32_e32 v97, 24, v0
	v_ashrrev_i32_e32 v101, 24, v1
	v_bfe_i32 v94, v0, 0, 8
	v_bfe_i32 v95, v0, 8, 8
	;; [unrolled: 1-line block ×4, first 2 shown]
	v_ashrrev_i32_e32 v105, 24, v2
	v_bfe_i32 v106, v3, 0, 8
	v_bfe_i32 v107, v3, 8, 8
	;; [unrolled: 1-line block ×3, first 2 shown]
	v_ashrrev_i32_e32 v3, 24, v3
	v_add_nc_u32_e32 v0, v101, v97
	v_bfe_i32 v99, v1, 8, 8
	v_bfe_i32 v104, v2, 16, 8
	;; [unrolled: 1-line block ×4, first 2 shown]
	v_add3_u32 v109, v0, v105, v3
	v_add_nc_u32_e32 v0, v100, v96
	v_bfe_i32 v102, v2, 0, 8
	v_mul_i32_i24_e32 v1, v46, v47
	v_mul_i32_i24_e32 v2, v80, v55
	;; [unrolled: 1-line block ×3, first 2 shown]
	v_add3_u32 v110, v0, v104, v108
	v_add_nc_u32_e32 v0, v99, v95
	s_delay_alu instid0(VALU_DEP_1) | instskip(SKIP_1) | instid1(VALU_DEP_1)
	v_add3_u32 v111, v0, v103, v107
	v_add_nc_u32_e32 v0, v98, v94
	v_add3_u32 v112, v0, v102, v106
	v_add_nc_u32_e32 v0, v85, v80
	s_delay_alu instid0(VALU_DEP_1) | instskip(SKIP_1) | instid1(VALU_DEP_1)
	v_add3_u32 v113, v0, v89, v93
	v_add_nc_u32_e32 v0, v84, v46
	v_add3_u32 v114, v0, v88, v92
	v_add_nc_u32_e32 v0, v83, v19
	s_delay_alu instid0(VALU_DEP_2) | instskip(NEXT) | instid1(VALU_DEP_2)
	v_mul_i32_i24_e32 v127, v114, v34
	v_add3_u32 v115, v0, v87, v91
	v_add_nc_u32_e32 v0, v81, v5
	s_delay_alu instid0(VALU_DEP_2) | instskip(NEXT) | instid1(VALU_DEP_2)
	v_mul_i32_i24_e32 v128, v115, v28
	v_add3_u32 v116, v0, v86, v90
	v_mul_i32_i24_e32 v0, v5, v44
	s_delay_alu instid0(VALU_DEP_2) | instskip(NEXT) | instid1(VALU_DEP_2)
	v_mul_i32_i24_e32 v150, v116, v192
	v_mad_i32_i24 v0, v19, v42, v0
	s_delay_alu instid0(VALU_DEP_2) | instskip(NEXT) | instid1(VALU_DEP_2)
	v_mad_i32_i24 v150, v113, v196, v150
	v_add3_u32 v0, v0, v1, v2
	v_mul_i32_i24_e32 v1, v81, v50
	v_mul_i32_i24_e32 v2, v83, v53
	s_delay_alu instid0(VALU_DEP_4) | instskip(SKIP_2) | instid1(VALU_DEP_4)
	v_add3_u32 v127, v150, v127, v128
	v_mul_i32_i24_e32 v150, v116, v155
	v_mul_i32_i24_e32 v128, v115, v215
	v_add3_u32 v0, v0, v1, v2
	v_mul_i32_i24_e32 v1, v86, v57
	v_mul_i32_i24_e32 v2, v87, v59
	v_mad_i32_i24 v150, v113, v159, v150
	s_delay_alu instid0(VALU_DEP_4) | instskip(SKIP_2) | instid1(VALU_DEP_3)
	v_add3_u32 v0, v0, v117, v118
	v_mul_i32_i24_e32 v117, v88, v60
	v_mul_i32_i24_e32 v118, v89, v62
	v_add3_u32 v0, v0, v1, v2
	v_mul_i32_i24_e32 v1, v90, v61
	v_mul_i32_i24_e32 v2, v91, v63
	s_delay_alu instid0(VALU_DEP_3) | instskip(SKIP_2) | instid1(VALU_DEP_3)
	v_add3_u32 v0, v0, v117, v118
	v_mul_i32_i24_e32 v117, v92, v64
	v_mul_i32_i24_e32 v118, v93, v65
	v_add3_u32 v0, v0, v1, v2
	v_mul_i32_i24_e32 v1, v94, v69
	v_mul_i32_i24_e32 v2, v96, v70
	s_delay_alu instid0(VALU_DEP_3) | instskip(SKIP_1) | instid1(VALU_DEP_4)
	v_add3_u32 v0, v0, v117, v118
	v_mul_i32_i24_e32 v117, v97, v73
	v_mad_i32_i24 v1, v95, v68, v1
	v_mul_i32_i24_e32 v118, v100, v74
	s_delay_alu instid0(VALU_DEP_4) | instskip(NEXT) | instid1(VALU_DEP_3)
	v_mul_lo_u32 v0, v0, v66
	v_add3_u32 v1, v1, v2, v117
	v_mul_i32_i24_e32 v2, v98, v71
	v_mul_i32_i24_e32 v117, v99, v72
	s_delay_alu instid0(VALU_DEP_1) | instskip(SKIP_2) | instid1(VALU_DEP_3)
	v_add3_u32 v1, v1, v2, v117
	v_mul_i32_i24_e32 v2, v102, v75
	v_mul_i32_i24_e32 v117, v103, v77
	v_add3_u32 v1, v1, v118, v123
	v_mul_i32_i24_e32 v118, v104, v78
	v_mul_i32_i24_e32 v123, v105, v119
	s_delay_alu instid0(VALU_DEP_3) | instskip(SKIP_2) | instid1(VALU_DEP_3)
	v_add3_u32 v1, v1, v2, v117
	v_mul_i32_i24_e32 v2, v106, v82
	v_mul_i32_i24_e32 v117, v107, v120
	v_add3_u32 v1, v1, v118, v123
	v_mul_i32_i24_e32 v118, v108, v121
	v_mul_i32_i24_e32 v123, v3, v122
	s_delay_alu instid0(VALU_DEP_3) | instskip(SKIP_1) | instid1(VALU_DEP_2)
	v_add3_u32 v1, v1, v2, v117
	v_mul_i32_i24_e32 v2, v110, v40
	v_add3_u32 v117, v1, v118, v123
	v_mul_i32_i24_e32 v1, v109, v43
	v_mul_i32_i24_e32 v123, v112, v35
	;; [unrolled: 1-line block ×3, first 2 shown]
	s_delay_alu instid0(VALU_DEP_2) | instskip(SKIP_2) | instid1(VALU_DEP_3)
	v_add3_u32 v1, v127, v123, v1
	v_mul_i32_i24_e32 v123, v101, v248
	v_mul_i32_i24_e32 v127, v114, v32
	v_add3_u32 v118, v1, v2, v118
	v_mad_u64_u32 v[1:2], null, v117, v217, v[0:1]
	v_mul_i32_i24_e32 v2, v80, v228
	v_mul_i32_i24_e32 v117, v84, v229
	v_add3_u32 v127, v150, v127, v128
	v_mul_i32_i24_e32 v150, v116, v132
	v_mul_i32_i24_e32 v128, v115, v11
	v_cvt_f32_i32_e32 v0, v1
	v_cvt_f32_i32_e32 v1, v118
	v_mul_i32_i24_e32 v118, v85, v222
	v_mad_i32_i24 v150, v113, v6, v150
	s_delay_alu instid0(VALU_DEP_3) | instskip(NEXT) | instid1(VALU_DEP_1)
	v_mul_f32_e32 v1, v218, v1
	v_fma_mix_f32 v0, v183, v0, -v1 op_sel_hi:[1,0,0]
	v_mul_i32_i24_e32 v1, v46, v225
	s_delay_alu instid0(VALU_DEP_2) | instskip(SKIP_1) | instid1(VALU_DEP_1)
	v_fmac_f32_e32 v16, v4, v0
	v_mul_i32_i24_e32 v0, v5, v224
	v_mad_i32_i24 v0, v19, v67, v0
	s_delay_alu instid0(VALU_DEP_1) | instskip(SKIP_2) | instid1(VALU_DEP_1)
	v_add3_u32 v0, v0, v1, v2
	v_mul_i32_i24_e32 v1, v81, v226
	v_mul_i32_i24_e32 v2, v83, v227
	v_add3_u32 v0, v0, v1, v2
	v_mul_i32_i24_e32 v1, v86, v230
	v_mul_i32_i24_e32 v2, v87, v231
	s_delay_alu instid0(VALU_DEP_3) | instskip(SKIP_2) | instid1(VALU_DEP_3)
	v_add3_u32 v0, v0, v117, v118
	v_mul_i32_i24_e32 v117, v88, v79
	v_mul_i32_i24_e32 v118, v89, v233
	v_add3_u32 v0, v0, v1, v2
	v_mul_i32_i24_e32 v1, v90, v234
	v_mul_i32_i24_e32 v2, v91, v235
	s_delay_alu instid0(VALU_DEP_3) | instskip(SKIP_2) | instid1(VALU_DEP_3)
	v_add3_u32 v0, v0, v117, v118
	v_mul_i32_i24_e32 v117, v92, v236
	v_mul_i32_i24_e32 v118, v93, v237
	v_add3_u32 v0, v0, v1, v2
	v_mul_i32_i24_e32 v1, v94, v241
	v_mul_i32_i24_e32 v2, v96, v242
	s_delay_alu instid0(VALU_DEP_3) | instskip(SKIP_1) | instid1(VALU_DEP_4)
	v_add3_u32 v0, v0, v117, v118
	v_mul_i32_i24_e32 v117, v97, v245
	v_mad_i32_i24 v1, v95, v240, v1
	v_mul_i32_i24_e32 v118, v100, v246
	s_delay_alu instid0(VALU_DEP_4) | instskip(NEXT) | instid1(VALU_DEP_3)
	v_mul_lo_u32 v0, v0, v239
	v_add3_u32 v1, v1, v2, v117
	v_mul_i32_i24_e32 v2, v98, v243
	v_mul_i32_i24_e32 v117, v99, v244
	s_delay_alu instid0(VALU_DEP_1) | instskip(SKIP_2) | instid1(VALU_DEP_3)
	v_add3_u32 v1, v1, v2, v117
	v_mul_i32_i24_e32 v2, v102, v247
	v_mul_i32_i24_e32 v117, v103, v249
	v_add3_u32 v1, v1, v118, v123
	v_mul_i32_i24_e32 v118, v104, v250
	v_mul_i32_i24_e32 v123, v105, v252
	s_delay_alu instid0(VALU_DEP_3) | instskip(SKIP_2) | instid1(VALU_DEP_3)
	v_add3_u32 v1, v1, v2, v117
	v_mul_i32_i24_e32 v2, v106, v251
	v_mul_i32_i24_e32 v117, v107, v253
	v_add3_u32 v1, v1, v118, v123
	v_mul_i32_i24_e32 v118, v108, v254
	v_mul_i32_i24_e32 v123, v3, v255
	s_delay_alu instid0(VALU_DEP_3) | instskip(SKIP_1) | instid1(VALU_DEP_2)
	v_add3_u32 v1, v1, v2, v117
	v_mul_i32_i24_e32 v2, v110, v221
	v_add3_u32 v117, v1, v118, v123
	v_mul_i32_i24_e32 v1, v109, v223
	v_mul_i32_i24_e32 v123, v112, v219
	;; [unrolled: 1-line block ×3, first 2 shown]
	s_delay_alu instid0(VALU_DEP_2) | instskip(SKIP_2) | instid1(VALU_DEP_3)
	v_add3_u32 v1, v127, v123, v1
	v_mul_i32_i24_e32 v123, v101, v206
	v_mul_i32_i24_e32 v127, v114, v178
	v_add3_u32 v118, v1, v2, v118
	v_mad_u64_u32 v[1:2], null, v117, v14, v[0:1]
	v_mul_i32_i24_e32 v2, v80, v49
	v_mul_i32_i24_e32 v117, v84, v51
	v_add3_u32 v127, v150, v127, v128
	s_delay_alu instid0(VALU_DEP_4) | instskip(SKIP_2) | instid1(VALU_DEP_2)
	v_cvt_f32_i32_e32 v0, v1
	v_cvt_f32_i32_e32 v1, v118
	v_mul_i32_i24_e32 v118, v85, v20
	v_mul_f32_e32 v1, v180, v1
	s_delay_alu instid0(VALU_DEP_1) | instskip(SKIP_1) | instid1(VALU_DEP_2)
	v_fma_mix_f32 v0, v139, v0, -v1 op_sel_hi:[1,0,0]
	v_mul_i32_i24_e32 v1, v46, v25
	v_fmac_f32_e32 v15, v4, v0
	v_mul_i32_i24_e32 v0, v5, v18
	s_delay_alu instid0(VALU_DEP_1) | instskip(NEXT) | instid1(VALU_DEP_1)
	v_mad_i32_i24 v0, v19, v17, v0
	v_add3_u32 v0, v0, v1, v2
	v_mul_i32_i24_e32 v1, v81, v45
	v_mul_i32_i24_e32 v2, v83, v48
	s_delay_alu instid0(VALU_DEP_1) | instskip(SKIP_2) | instid1(VALU_DEP_3)
	v_add3_u32 v0, v0, v1, v2
	v_mul_i32_i24_e32 v1, v86, v52
	v_mul_i32_i24_e32 v2, v87, v188
	v_add3_u32 v0, v0, v117, v118
	v_mul_i32_i24_e32 v117, v88, v189
	v_mul_i32_i24_e32 v118, v89, v193
	s_delay_alu instid0(VALU_DEP_3) | instskip(SKIP_2) | instid1(VALU_DEP_3)
	v_add3_u32 v0, v0, v1, v2
	v_mul_i32_i24_e32 v1, v90, v190
	v_mul_i32_i24_e32 v2, v91, v21
	v_add3_u32 v0, v0, v117, v118
	v_mul_i32_i24_e32 v117, v92, v195
	v_mul_i32_i24_e32 v118, v93, v22
	s_delay_alu instid0(VALU_DEP_3) | instskip(SKIP_2) | instid1(VALU_DEP_3)
	v_add3_u32 v0, v0, v1, v2
	v_mul_i32_i24_e32 v1, v94, v24
	v_mul_i32_i24_e32 v2, v96, v200
	v_add3_u32 v0, v0, v117, v118
	v_mul_i32_i24_e32 v117, v97, v203
	s_delay_alu instid0(VALU_DEP_4) | instskip(SKIP_1) | instid1(VALU_DEP_4)
	v_mad_i32_i24 v1, v95, v199, v1
	v_mul_i32_i24_e32 v118, v100, v204
	v_mul_lo_u32 v0, v0, v198
	s_delay_alu instid0(VALU_DEP_3) | instskip(SKIP_2) | instid1(VALU_DEP_1)
	v_add3_u32 v1, v1, v2, v117
	v_mul_i32_i24_e32 v2, v98, v201
	v_mul_i32_i24_e32 v117, v99, v202
	v_add3_u32 v1, v1, v2, v117
	v_mul_i32_i24_e32 v2, v102, v205
	v_mul_i32_i24_e32 v117, v103, v207
	s_delay_alu instid0(VALU_DEP_3) | instskip(SKIP_2) | instid1(VALU_DEP_3)
	v_add3_u32 v1, v1, v118, v123
	v_mul_i32_i24_e32 v118, v104, v208
	v_mul_i32_i24_e32 v123, v105, v210
	v_add3_u32 v1, v1, v2, v117
	v_mul_i32_i24_e32 v2, v106, v209
	v_mul_i32_i24_e32 v117, v107, v211
	s_delay_alu instid0(VALU_DEP_3) | instskip(SKIP_3) | instid1(VALU_DEP_4)
	v_add3_u32 v1, v1, v118, v123
	v_mul_i32_i24_e32 v118, v108, v212
	v_mul_i32_i24_e32 v123, v3, v26
	;; [unrolled: 1-line block ×3, first 2 shown]
	v_add3_u32 v1, v1, v2, v117
	v_mul_i32_i24_e32 v2, v110, v185
	s_delay_alu instid0(VALU_DEP_2) | instskip(SKIP_3) | instid1(VALU_DEP_2)
	v_add3_u32 v117, v1, v118, v123
	v_mul_i32_i24_e32 v1, v109, v186
	v_mul_i32_i24_e32 v123, v112, v182
	;; [unrolled: 1-line block ×3, first 2 shown]
	v_add3_u32 v1, v127, v123, v1
	s_delay_alu instid0(VALU_DEP_1) | instskip(SKIP_3) | instid1(VALU_DEP_3)
	v_add3_u32 v118, v1, v2, v118
	v_mad_u64_u32 v[1:2], null, v117, v136, v[0:1]
	v_mul_i32_i24_e32 v2, v80, v148
	v_mul_i32_i24_e32 v80, v115, v9
	v_cvt_f32_i32_e32 v0, v1
	v_cvt_f32_i32_e32 v1, v118
	s_delay_alu instid0(VALU_DEP_1) | instskip(NEXT) | instid1(VALU_DEP_1)
	v_mul_f32_e32 v1, v7, v1
	v_fma_mix_f32 v0, v131, v0, -v1 op_sel_hi:[1,0,0]
	v_mul_i32_i24_e32 v1, v46, v145
	v_mul_i32_i24_e32 v46, v101, v168
	s_delay_alu instid0(VALU_DEP_3) | instskip(SKIP_2) | instid1(VALU_DEP_2)
	v_fmac_f32_e32 v181, v4, v0
	v_mul_i32_i24_e32 v0, v5, v144
	v_mul_i32_i24_e32 v5, v84, v149
	v_mad_i32_i24 v0, v19, v129, v0
	v_mul_i32_i24_e32 v19, v85, v151
	s_delay_alu instid0(VALU_DEP_2) | instskip(SKIP_3) | instid1(VALU_DEP_2)
	v_add3_u32 v0, v0, v1, v2
	v_mul_i32_i24_e32 v1, v81, v146
	v_mul_i32_i24_e32 v2, v83, v147
	v_mul_i32_i24_e32 v81, v116, v130
	v_add3_u32 v0, v0, v1, v2
	v_mul_i32_i24_e32 v1, v86, v142
	v_mul_i32_i24_e32 v2, v87, v137
	s_delay_alu instid0(VALU_DEP_4) | instskip(NEXT) | instid1(VALU_DEP_4)
	v_mad_i32_i24 v81, v113, v161, v81
	v_add3_u32 v0, v0, v5, v19
	v_mul_i32_i24_e32 v5, v88, v135
	v_mul_i32_i24_e32 v19, v89, v154
	s_delay_alu instid0(VALU_DEP_3) | instskip(SKIP_2) | instid1(VALU_DEP_3)
	v_add3_u32 v0, v0, v1, v2
	v_mul_i32_i24_e32 v1, v90, v153
	v_mul_i32_i24_e32 v2, v91, v156
	v_add3_u32 v0, v0, v5, v19
	v_mul_i32_i24_e32 v5, v92, v134
	v_mul_i32_i24_e32 v19, v93, v133
	s_delay_alu instid0(VALU_DEP_3) | instskip(SKIP_2) | instid1(VALU_DEP_3)
	v_add3_u32 v0, v0, v1, v2
	v_mul_i32_i24_e32 v1, v94, v162
	v_mul_i32_i24_e32 v2, v96, v163
	v_add3_u32 v0, v0, v5, v19
	v_mul_i32_i24_e32 v5, v97, v166
	s_delay_alu instid0(VALU_DEP_4) | instskip(SKIP_1) | instid1(VALU_DEP_4)
	v_mad_i32_i24 v1, v95, v8, v1
	v_mul_i32_i24_e32 v19, v100, v167
	v_mul_lo_u32 v0, v0, v160
	s_delay_alu instid0(VALU_DEP_3) | instskip(SKIP_2) | instid1(VALU_DEP_1)
	v_add3_u32 v1, v1, v2, v5
	v_mul_i32_i24_e32 v2, v98, v165
	v_mul_i32_i24_e32 v5, v99, v164
	v_add3_u32 v1, v1, v2, v5
	v_mul_i32_i24_e32 v2, v102, v169
	v_mul_i32_i24_e32 v5, v103, v170
	s_delay_alu instid0(VALU_DEP_3) | instskip(SKIP_2) | instid1(VALU_DEP_3)
	v_add3_u32 v1, v1, v19, v46
	v_mul_i32_i24_e32 v19, v104, v171
	v_mul_i32_i24_e32 v46, v105, v173
	v_add3_u32 v1, v1, v2, v5
	v_mul_i32_i24_e32 v2, v106, v172
	v_mul_i32_i24_e32 v5, v107, v174
	s_delay_alu instid0(VALU_DEP_3) | instskip(SKIP_2) | instid1(VALU_DEP_3)
	v_add3_u32 v1, v1, v19, v46
	v_mul_i32_i24_e32 v19, v108, v175
	v_mul_i32_i24_e32 v46, v114, v10
	v_add3_u32 v1, v1, v2, v5
	v_mul_i32_i24_e32 v2, v110, v141
	s_delay_alu instid0(VALU_DEP_3) | instskip(SKIP_1) | instid1(VALU_DEP_4)
	v_add3_u32 v46, v81, v46, v80
	v_mul_i32_i24_e32 v5, v111, v140
	v_add3_u32 v3, v1, v19, v3
	v_mul_i32_i24_e32 v1, v109, v143
	v_mul_i32_i24_e32 v19, v112, v138
	s_delay_alu instid0(VALU_DEP_1) | instskip(NEXT) | instid1(VALU_DEP_1)
	v_add3_u32 v1, v46, v19, v1
	v_add3_u32 v5, v1, v2, v5
	v_mad_u64_u32 v[1:2], null, v3, v158, v[0:1]
	s_delay_alu instid0(VALU_DEP_1) | instskip(NEXT) | instid1(VALU_DEP_3)
	v_cvt_f32_i32_e32 v0, v1
	v_cvt_f32_i32_e32 v1, v5
	s_delay_alu instid0(VALU_DEP_1) | instskip(NEXT) | instid1(VALU_DEP_1)
	v_mul_f32_e32 v1, v157, v1
	v_fma_mix_f32 v0, v126, v0, -v1 op_sel_hi:[1,0,0]
	s_delay_alu instid0(VALU_DEP_1)
	v_fmac_f32_e32 v13, v4, v0
	ds_load_2addr_b32 v[3:4], v125 offset0:192 offset1:224
	ds_load_b128 v[83:86], v124 offset:6144
	v_add_nc_u32_e32 v125, 4, v125
	s_waitcnt lgkmcnt(0)
	v_bfe_i32 v5, v83, 0, 8
	v_bfe_i32 v19, v83, 8, 8
	v_bfe_i32 v46, v83, 16, 8
	v_ashrrev_i32_e32 v80, 24, v83
	v_bfe_i32 v81, v84, 0, 8
	v_bfe_i32 v87, v84, 8, 8
	v_bfe_i32 v88, v84, 16, 8
	v_ashrrev_i32_e32 v89, 24, v84
	;; [unrolled: 4-line block ×4, first 2 shown]
	ds_load_b128 v[83:86], v124 offset:6160
	v_mul_i32_i24_e32 v1, v46, v47
	v_mul_i32_i24_e32 v2, v80, v55
	;; [unrolled: 1-line block ×4, first 2 shown]
	s_waitcnt lgkmcnt(0)
	v_bfe_i32 v98, v83, 0, 8
	v_bfe_i32 v99, v83, 8, 8
	v_bfe_i32 v100, v83, 16, 8
	v_ashrrev_i32_e32 v83, 24, v83
	v_bfe_i32 v101, v84, 0, 8
	v_bfe_i32 v102, v84, 8, 8
	v_bfe_i32 v103, v84, 16, 8
	v_ashrrev_i32_e32 v84, 24, v84
	;; [unrolled: 4-line block ×4, first 2 shown]
	v_add_nc_u32_e32 v0, v84, v83
	v_mul_i32_i24_e32 v127, v84, v76
	s_delay_alu instid0(VALU_DEP_2) | instskip(SKIP_1) | instid1(VALU_DEP_1)
	v_add3_u32 v110, v0, v85, v86
	v_add_nc_u32_e32 v0, v103, v100
	v_add3_u32 v111, v0, v106, v109
	v_add_nc_u32_e32 v0, v102, v99
	s_delay_alu instid0(VALU_DEP_1) | instskip(SKIP_1) | instid1(VALU_DEP_1)
	v_add3_u32 v112, v0, v105, v108
	v_add_nc_u32_e32 v0, v101, v98
	v_add3_u32 v113, v0, v104, v107
	v_add_nc_u32_e32 v0, v89, v80
	s_delay_alu instid0(VALU_DEP_1) | instskip(SKIP_1) | instid1(VALU_DEP_1)
	v_add3_u32 v114, v0, v93, v97
	v_add_nc_u32_e32 v0, v88, v46
	v_add3_u32 v115, v0, v92, v96
	v_add_nc_u32_e32 v0, v87, v19
	s_delay_alu instid0(VALU_DEP_2) | instskip(NEXT) | instid1(VALU_DEP_2)
	v_mul_i32_i24_e32 v128, v115, v34
	v_add3_u32 v116, v0, v91, v95
	v_add_nc_u32_e32 v0, v81, v5
	s_delay_alu instid0(VALU_DEP_2) | instskip(NEXT) | instid1(VALU_DEP_2)
	v_mul_i32_i24_e32 v150, v116, v28
	v_add3_u32 v117, v0, v90, v94
	v_mul_i32_i24_e32 v0, v5, v44
	s_delay_alu instid0(VALU_DEP_2) | instskip(NEXT) | instid1(VALU_DEP_2)
	v_mul_i32_i24_e32 v152, v117, v192
	v_mad_i32_i24 v0, v19, v42, v0
	s_delay_alu instid0(VALU_DEP_2) | instskip(NEXT) | instid1(VALU_DEP_2)
	v_mad_i32_i24 v152, v114, v196, v152
	v_add3_u32 v0, v0, v1, v2
	v_mul_i32_i24_e32 v1, v81, v50
	v_mul_i32_i24_e32 v2, v87, v53
	s_delay_alu instid0(VALU_DEP_4) | instskip(SKIP_2) | instid1(VALU_DEP_4)
	v_add3_u32 v128, v152, v128, v150
	v_mul_i32_i24_e32 v152, v117, v155
	v_mul_i32_i24_e32 v150, v116, v215
	v_add3_u32 v0, v0, v1, v2
	v_mul_i32_i24_e32 v1, v90, v57
	v_mul_i32_i24_e32 v2, v91, v59
	v_mad_i32_i24 v152, v114, v159, v152
	s_delay_alu instid0(VALU_DEP_4) | instskip(SKIP_2) | instid1(VALU_DEP_3)
	v_add3_u32 v0, v0, v118, v123
	v_mul_i32_i24_e32 v118, v92, v60
	v_mul_i32_i24_e32 v123, v93, v62
	v_add3_u32 v0, v0, v1, v2
	v_mul_i32_i24_e32 v1, v94, v61
	v_mul_i32_i24_e32 v2, v95, v63
	s_delay_alu instid0(VALU_DEP_3) | instskip(SKIP_2) | instid1(VALU_DEP_3)
	v_add3_u32 v0, v0, v118, v123
	v_mul_i32_i24_e32 v118, v96, v64
	v_mul_i32_i24_e32 v123, v97, v65
	v_add3_u32 v0, v0, v1, v2
	v_mul_i32_i24_e32 v1, v98, v69
	v_mul_i32_i24_e32 v2, v100, v70
	s_delay_alu instid0(VALU_DEP_3) | instskip(SKIP_1) | instid1(VALU_DEP_4)
	v_add3_u32 v0, v0, v118, v123
	v_mul_i32_i24_e32 v118, v83, v73
	v_mad_i32_i24 v1, v99, v68, v1
	v_mul_i32_i24_e32 v123, v103, v74
	s_delay_alu instid0(VALU_DEP_4) | instskip(NEXT) | instid1(VALU_DEP_3)
	v_mul_lo_u32 v0, v0, v66
	v_add3_u32 v1, v1, v2, v118
	v_mul_i32_i24_e32 v2, v101, v71
	v_mul_i32_i24_e32 v118, v102, v72
	s_delay_alu instid0(VALU_DEP_1) | instskip(SKIP_2) | instid1(VALU_DEP_3)
	v_add3_u32 v1, v1, v2, v118
	v_mul_i32_i24_e32 v2, v104, v75
	v_mul_i32_i24_e32 v118, v105, v77
	v_add3_u32 v1, v1, v123, v127
	v_mul_i32_i24_e32 v123, v106, v78
	v_mul_i32_i24_e32 v127, v85, v119
	s_delay_alu instid0(VALU_DEP_3) | instskip(SKIP_2) | instid1(VALU_DEP_3)
	v_add3_u32 v1, v1, v2, v118
	v_mul_i32_i24_e32 v2, v107, v82
	v_mul_i32_i24_e32 v118, v108, v120
	v_add3_u32 v1, v1, v123, v127
	v_mul_i32_i24_e32 v123, v109, v121
	v_mul_i32_i24_e32 v127, v86, v122
	s_delay_alu instid0(VALU_DEP_3) | instskip(SKIP_1) | instid1(VALU_DEP_2)
	v_add3_u32 v1, v1, v2, v118
	v_mul_i32_i24_e32 v2, v111, v40
	v_add3_u32 v118, v1, v123, v127
	v_mul_i32_i24_e32 v1, v110, v43
	v_mul_i32_i24_e32 v127, v113, v35
	;; [unrolled: 1-line block ×3, first 2 shown]
	s_delay_alu instid0(VALU_DEP_2) | instskip(SKIP_2) | instid1(VALU_DEP_3)
	v_add3_u32 v1, v128, v127, v1
	v_mul_i32_i24_e32 v127, v84, v248
	v_mul_i32_i24_e32 v128, v115, v32
	v_add3_u32 v123, v1, v2, v123
	v_mad_u64_u32 v[1:2], null, v118, v217, v[0:1]
	v_mul_i32_i24_e32 v2, v80, v228
	v_mul_i32_i24_e32 v118, v88, v229
	v_add3_u32 v128, v152, v128, v150
	v_mul_i32_i24_e32 v152, v117, v132
	v_mul_i32_i24_e32 v150, v116, v11
	v_cvt_f32_i32_e32 v0, v1
	v_cvt_f32_i32_e32 v1, v123
	v_mul_i32_i24_e32 v123, v89, v222
	v_mad_i32_i24 v152, v114, v6, v152
	s_delay_alu instid0(VALU_DEP_3) | instskip(NEXT) | instid1(VALU_DEP_1)
	v_mul_f32_e32 v1, v218, v1
	v_fma_mix_f32 v0, v183, v0, -v1 op_sel_hi:[1,0,0]
	v_mul_i32_i24_e32 v1, v46, v225
	s_delay_alu instid0(VALU_DEP_2) | instskip(SKIP_1) | instid1(VALU_DEP_1)
	v_fmac_f32_e32 v12, v3, v0
	v_mul_i32_i24_e32 v0, v5, v224
	v_mad_i32_i24 v0, v19, v67, v0
	s_delay_alu instid0(VALU_DEP_1) | instskip(SKIP_2) | instid1(VALU_DEP_1)
	v_add3_u32 v0, v0, v1, v2
	v_mul_i32_i24_e32 v1, v81, v226
	v_mul_i32_i24_e32 v2, v87, v227
	v_add3_u32 v0, v0, v1, v2
	v_mul_i32_i24_e32 v1, v90, v230
	v_mul_i32_i24_e32 v2, v91, v231
	s_delay_alu instid0(VALU_DEP_3) | instskip(SKIP_2) | instid1(VALU_DEP_3)
	v_add3_u32 v0, v0, v118, v123
	v_mul_i32_i24_e32 v118, v92, v79
	v_mul_i32_i24_e32 v123, v93, v233
	v_add3_u32 v0, v0, v1, v2
	v_mul_i32_i24_e32 v1, v94, v234
	v_mul_i32_i24_e32 v2, v95, v235
	s_delay_alu instid0(VALU_DEP_3) | instskip(SKIP_2) | instid1(VALU_DEP_3)
	v_add3_u32 v0, v0, v118, v123
	v_mul_i32_i24_e32 v118, v96, v236
	v_mul_i32_i24_e32 v123, v97, v237
	v_add3_u32 v0, v0, v1, v2
	v_mul_i32_i24_e32 v1, v98, v241
	v_mul_i32_i24_e32 v2, v100, v242
	s_delay_alu instid0(VALU_DEP_3) | instskip(SKIP_1) | instid1(VALU_DEP_4)
	v_add3_u32 v0, v0, v118, v123
	v_mul_i32_i24_e32 v118, v83, v245
	v_mad_i32_i24 v1, v99, v240, v1
	v_mul_i32_i24_e32 v123, v103, v246
	s_delay_alu instid0(VALU_DEP_4) | instskip(NEXT) | instid1(VALU_DEP_3)
	v_mul_lo_u32 v0, v0, v239
	v_add3_u32 v1, v1, v2, v118
	v_mul_i32_i24_e32 v2, v101, v243
	v_mul_i32_i24_e32 v118, v102, v244
	s_delay_alu instid0(VALU_DEP_1) | instskip(SKIP_2) | instid1(VALU_DEP_3)
	v_add3_u32 v1, v1, v2, v118
	v_mul_i32_i24_e32 v2, v104, v247
	v_mul_i32_i24_e32 v118, v105, v249
	v_add3_u32 v1, v1, v123, v127
	v_mul_i32_i24_e32 v123, v106, v250
	v_mul_i32_i24_e32 v127, v85, v252
	s_delay_alu instid0(VALU_DEP_3) | instskip(SKIP_2) | instid1(VALU_DEP_3)
	v_add3_u32 v1, v1, v2, v118
	v_mul_i32_i24_e32 v2, v107, v251
	v_mul_i32_i24_e32 v118, v108, v253
	v_add3_u32 v1, v1, v123, v127
	v_mul_i32_i24_e32 v123, v109, v254
	v_mul_i32_i24_e32 v127, v86, v255
	s_delay_alu instid0(VALU_DEP_3) | instskip(SKIP_1) | instid1(VALU_DEP_2)
	v_add3_u32 v1, v1, v2, v118
	v_mul_i32_i24_e32 v2, v111, v221
	v_add3_u32 v118, v1, v123, v127
	v_mul_i32_i24_e32 v1, v110, v223
	v_mul_i32_i24_e32 v127, v113, v219
	;; [unrolled: 1-line block ×3, first 2 shown]
	s_delay_alu instid0(VALU_DEP_2) | instskip(SKIP_2) | instid1(VALU_DEP_3)
	v_add3_u32 v1, v128, v127, v1
	v_mul_i32_i24_e32 v127, v84, v206
	v_mul_i32_i24_e32 v128, v115, v178
	v_add3_u32 v123, v1, v2, v123
	v_mad_u64_u32 v[1:2], null, v118, v14, v[0:1]
	v_mul_i32_i24_e32 v2, v80, v49
	v_mul_i32_i24_e32 v118, v88, v51
	v_add3_u32 v128, v152, v128, v150
	scratch_load_b32 v150, off, off offset:76 ; 4-byte Folded Reload
	v_cvt_f32_i32_e32 v0, v1
	v_cvt_f32_i32_e32 v1, v123
	v_mul_i32_i24_e32 v123, v89, v20
	s_delay_alu instid0(VALU_DEP_2) | instskip(NEXT) | instid1(VALU_DEP_1)
	v_mul_f32_e32 v1, v180, v1
	v_fma_mix_f32 v0, v139, v0, -v1 op_sel_hi:[1,0,0]
	v_mul_i32_i24_e32 v1, v46, v25
	s_delay_alu instid0(VALU_DEP_2) | instskip(SKIP_1) | instid1(VALU_DEP_1)
	v_fmac_f32_e32 v179, v3, v0
	v_mul_i32_i24_e32 v0, v5, v18
	v_mad_i32_i24 v0, v19, v17, v0
	s_delay_alu instid0(VALU_DEP_1) | instskip(SKIP_2) | instid1(VALU_DEP_1)
	v_add3_u32 v0, v0, v1, v2
	v_mul_i32_i24_e32 v1, v81, v45
	v_mul_i32_i24_e32 v2, v87, v48
	v_add3_u32 v0, v0, v1, v2
	v_mul_i32_i24_e32 v1, v90, v52
	v_mul_i32_i24_e32 v2, v91, v188
	s_delay_alu instid0(VALU_DEP_3) | instskip(SKIP_2) | instid1(VALU_DEP_3)
	v_add3_u32 v0, v0, v118, v123
	v_mul_i32_i24_e32 v118, v92, v189
	v_mul_i32_i24_e32 v123, v93, v193
	v_add3_u32 v0, v0, v1, v2
	v_mul_i32_i24_e32 v1, v94, v190
	v_mul_i32_i24_e32 v2, v95, v21
	s_delay_alu instid0(VALU_DEP_3) | instskip(SKIP_2) | instid1(VALU_DEP_3)
	v_add3_u32 v0, v0, v118, v123
	v_mul_i32_i24_e32 v118, v96, v195
	v_mul_i32_i24_e32 v123, v97, v22
	v_add3_u32 v0, v0, v1, v2
	v_mul_i32_i24_e32 v1, v98, v24
	v_mul_i32_i24_e32 v2, v100, v200
	s_delay_alu instid0(VALU_DEP_3) | instskip(SKIP_1) | instid1(VALU_DEP_4)
	v_add3_u32 v0, v0, v118, v123
	v_mul_i32_i24_e32 v118, v83, v203
	v_mad_i32_i24 v1, v99, v199, v1
	v_mul_i32_i24_e32 v123, v103, v204
	s_delay_alu instid0(VALU_DEP_4) | instskip(NEXT) | instid1(VALU_DEP_3)
	v_mul_lo_u32 v0, v0, v198
	v_add3_u32 v1, v1, v2, v118
	v_mul_i32_i24_e32 v2, v101, v201
	v_mul_i32_i24_e32 v118, v102, v202
	s_delay_alu instid0(VALU_DEP_1) | instskip(SKIP_2) | instid1(VALU_DEP_3)
	v_add3_u32 v1, v1, v2, v118
	v_mul_i32_i24_e32 v2, v104, v205
	v_mul_i32_i24_e32 v118, v105, v207
	v_add3_u32 v1, v1, v123, v127
	v_mul_i32_i24_e32 v123, v106, v208
	v_mul_i32_i24_e32 v127, v85, v210
	s_delay_alu instid0(VALU_DEP_3) | instskip(SKIP_2) | instid1(VALU_DEP_3)
	v_add3_u32 v1, v1, v2, v118
	v_mul_i32_i24_e32 v2, v107, v209
	v_mul_i32_i24_e32 v118, v108, v211
	v_add3_u32 v1, v1, v123, v127
	v_mul_i32_i24_e32 v123, v109, v212
	v_mul_i32_i24_e32 v127, v86, v26
	s_delay_alu instid0(VALU_DEP_3) | instskip(SKIP_1) | instid1(VALU_DEP_2)
	v_add3_u32 v1, v1, v2, v118
	v_mul_i32_i24_e32 v2, v111, v185
	v_add3_u32 v118, v1, v123, v127
	v_mul_i32_i24_e32 v1, v110, v186
	v_mul_i32_i24_e32 v127, v113, v182
	;; [unrolled: 1-line block ×3, first 2 shown]
	s_delay_alu instid0(VALU_DEP_2)
	v_add3_u32 v1, v128, v127, v1
	scratch_load_b32 v127, off, off offset:16 ; 4-byte Folded Reload
	v_add3_u32 v123, v1, v2, v123
	v_mad_u64_u32 v[1:2], null, v118, v136, v[0:1]
	v_mul_i32_i24_e32 v2, v80, v148
	v_mul_i32_i24_e32 v80, v115, v10
	s_delay_alu instid0(VALU_DEP_3) | instskip(SKIP_1) | instid1(VALU_DEP_1)
	v_cvt_f32_i32_e32 v0, v1
	v_cvt_f32_i32_e32 v1, v123
	v_mul_f32_e32 v1, v7, v1
	s_delay_alu instid0(VALU_DEP_1) | instskip(SKIP_3) | instid1(VALU_DEP_3)
	v_fma_mix_f32 v0, v131, v0, -v1 op_sel_hi:[1,0,0]
	v_mul_i32_i24_e32 v1, v46, v145
	v_mul_i32_i24_e32 v46, v84, v168
	s_waitcnt vmcnt(0)
	v_fmac_f32_e32 v127, v3, v0
	v_mul_i32_i24_e32 v0, v5, v144
	v_mul_i32_i24_e32 v5, v88, v149
	s_delay_alu instid0(VALU_DEP_2) | instskip(SKIP_1) | instid1(VALU_DEP_2)
	v_mad_i32_i24 v0, v19, v129, v0
	v_mul_i32_i24_e32 v19, v89, v151
	v_add3_u32 v0, v0, v1, v2
	v_mul_i32_i24_e32 v1, v81, v146
	v_mul_i32_i24_e32 v2, v87, v147
	;; [unrolled: 1-line block ×3, first 2 shown]
	s_delay_alu instid0(VALU_DEP_2) | instskip(SKIP_2) | instid1(VALU_DEP_3)
	v_add3_u32 v0, v0, v1, v2
	v_mul_i32_i24_e32 v1, v90, v142
	v_mul_i32_i24_e32 v2, v91, v137
	v_add3_u32 v0, v0, v5, v19
	v_mul_i32_i24_e32 v5, v92, v135
	v_mul_i32_i24_e32 v19, v93, v154
	s_delay_alu instid0(VALU_DEP_3) | instskip(SKIP_2) | instid1(VALU_DEP_3)
	v_add3_u32 v0, v0, v1, v2
	v_mul_i32_i24_e32 v1, v94, v153
	v_mul_i32_i24_e32 v2, v95, v156
	v_add3_u32 v0, v0, v5, v19
	v_mul_i32_i24_e32 v5, v96, v134
	v_mul_i32_i24_e32 v19, v97, v133
	s_delay_alu instid0(VALU_DEP_3) | instskip(SKIP_2) | instid1(VALU_DEP_3)
	v_add3_u32 v0, v0, v1, v2
	v_mul_i32_i24_e32 v1, v98, v162
	v_mul_i32_i24_e32 v2, v100, v163
	v_add3_u32 v0, v0, v5, v19
	v_mul_i32_i24_e32 v5, v83, v166
	s_delay_alu instid0(VALU_DEP_4) | instskip(SKIP_3) | instid1(VALU_DEP_4)
	v_mad_i32_i24 v1, v99, v8, v1
	v_mul_i32_i24_e32 v19, v103, v167
	v_mul_i32_i24_e32 v83, v117, v130
	v_mul_lo_u32 v0, v0, v160
	v_add3_u32 v1, v1, v2, v5
	v_mul_i32_i24_e32 v2, v101, v165
	v_mul_i32_i24_e32 v5, v102, v164
	v_mad_i32_i24 v83, v114, v161, v83
	ds_load_b128 v[98:101], v124 offset:7184
	v_add3_u32 v1, v1, v2, v5
	v_mul_i32_i24_e32 v5, v105, v170
	scratch_load_b32 v105, off, off offset:12 ; 4-byte Folded Reload
	v_mul_i32_i24_e32 v2, v104, v169
	v_add3_u32 v80, v83, v80, v81
	v_add3_u32 v1, v1, v19, v46
	v_mul_i32_i24_e32 v19, v106, v171
	v_mul_i32_i24_e32 v46, v85, v173
	s_delay_alu instid0(VALU_DEP_3) | instskip(SKIP_2) | instid1(VALU_DEP_3)
	v_add3_u32 v1, v1, v2, v5
	v_mul_i32_i24_e32 v2, v107, v172
	v_mul_i32_i24_e32 v5, v108, v174
	v_add3_u32 v1, v1, v19, v46
	v_mul_i32_i24_e32 v19, v109, v175
	v_mul_i32_i24_e32 v46, v86, v176
	s_waitcnt lgkmcnt(0)
	v_ashrrev_i32_e32 v116, 24, v98
	v_ashrrev_i32_e32 v114, 24, v100
	v_add3_u32 v1, v1, v2, v5
	v_mul_i32_i24_e32 v2, v111, v141
	v_ashrrev_i32_e32 v111, 24, v99
	v_ashrrev_i32_e32 v117, 24, v101
	v_bfe_i32 v123, v98, 8, 8
	v_add3_u32 v5, v1, v19, v46
	v_mul_i32_i24_e32 v1, v110, v143
	v_mul_i32_i24_e32 v46, v113, v138
	;; [unrolled: 1-line block ×3, first 2 shown]
	v_bfe_i32 v113, v98, 16, 8
	v_bfe_i32 v110, v99, 16, 8
	;; [unrolled: 1-line block ×3, first 2 shown]
	v_add3_u32 v1, v80, v46, v1
	v_bfe_i32 v109, v100, 16, 8
	v_bfe_i32 v98, v101, 16, 8
	;; [unrolled: 1-line block ×4, first 2 shown]
	v_add3_u32 v19, v1, v2, v19
	v_mad_u64_u32 v[1:2], null, v5, v158, v[0:1]
	s_delay_alu instid0(VALU_DEP_1) | instskip(NEXT) | instid1(VALU_DEP_3)
	v_cvt_f32_i32_e32 v0, v1
	v_cvt_f32_i32_e32 v1, v19
	v_bfe_i32 v19, v100, 0, 8
	s_delay_alu instid0(VALU_DEP_2) | instskip(NEXT) | instid1(VALU_DEP_1)
	v_mul_f32_e32 v1, v157, v1
	v_fma_mix_f32 v0, v126, v0, -v1 op_sel_hi:[1,0,0]
	s_waitcnt vmcnt(0)
	s_delay_alu instid0(VALU_DEP_1)
	v_fmac_f32_e32 v105, v3, v0
	ds_load_b128 v[0:3], v124 offset:7168
	v_add_nc_u32_e32 v124, 32, v124
	s_waitcnt lgkmcnt(0)
	v_bfe_i32 v84, v2, 0, 8
	v_bfe_i32 v85, v2, 8, 8
	;; [unrolled: 1-line block ×3, first 2 shown]
	v_ashrrev_i32_e32 v87, 24, v2
	v_bfe_i32 v2, v3, 0, 8
	v_bfe_i32 v46, v3, 8, 8
	;; [unrolled: 1-line block ×3, first 2 shown]
	v_ashrrev_i32_e32 v83, 24, v3
	v_add_nc_u32_e32 v3, v111, v116
	v_bfe_i32 v89, v1, 0, 8
	v_bfe_i32 v90, v1, 8, 8
	;; [unrolled: 1-line block ×3, first 2 shown]
	v_ashrrev_i32_e32 v92, 24, v1
	v_bfe_i32 v1, v99, 8, 8
	v_add3_u32 v115, v3, v114, v117
	v_add_nc_u32_e32 v3, v110, v113
	v_bfe_i32 v93, v0, 0, 8
	v_bfe_i32 v88, v0, 8, 8
	;; [unrolled: 1-line block ×3, first 2 shown]
	v_ashrrev_i32_e32 v95, 24, v0
	v_bfe_i32 v0, v99, 0, 8
	v_bfe_i32 v99, v100, 8, 8
	v_add3_u32 v118, v3, v109, v98
	v_add_nc_u32_e32 v3, v1, v123
	v_mul_i32_i24_e32 v5, v94, v47
	v_mul_i32_i24_e32 v47, v92, v58
	;; [unrolled: 1-line block ×4, first 2 shown]
	v_add3_u32 v100, v3, v99, v97
	v_add_nc_u32_e32 v3, v0, v112
	s_delay_alu instid0(VALU_DEP_2) | instskip(NEXT) | instid1(VALU_DEP_2)
	v_mul_i32_i24_e32 v38, v100, v38
	v_add3_u32 v101, v3, v19, v96
	v_add_nc_u32_e32 v3, v92, v95
	s_delay_alu instid0(VALU_DEP_2) | instskip(NEXT) | instid1(VALU_DEP_2)
	v_mul_i32_i24_e32 v35, v101, v35
	v_add3_u32 v80, v3, v87, v83
	v_add_nc_u32_e32 v3, v91, v94
	s_delay_alu instid0(VALU_DEP_1) | instskip(SKIP_1) | instid1(VALU_DEP_2)
	v_add3_u32 v102, v3, v86, v81
	v_add_nc_u32_e32 v3, v90, v88
	v_mul_i32_i24_e32 v34, v102, v34
	s_delay_alu instid0(VALU_DEP_2) | instskip(SKIP_1) | instid1(VALU_DEP_2)
	v_add3_u32 v103, v3, v85, v46
	v_add_nc_u32_e32 v3, v89, v93
	v_mul_i32_i24_e32 v28, v103, v28
	s_delay_alu instid0(VALU_DEP_2) | instskip(SKIP_2) | instid1(VALU_DEP_2)
	v_add3_u32 v104, v3, v84, v2
	v_mul_i32_i24_e32 v3, v93, v44
	v_mul_i32_i24_e32 v44, v95, v55
	v_mad_i32_i24 v3, v88, v42, v3
	v_mul_i32_i24_e32 v42, v90, v53
	s_delay_alu instid0(VALU_DEP_2) | instskip(SKIP_3) | instid1(VALU_DEP_3)
	v_add3_u32 v3, v3, v5, v44
	v_mul_i32_i24_e32 v5, v89, v50
	v_mul_i32_i24_e32 v44, v91, v56
	;; [unrolled: 1-line block ×3, first 2 shown]
	v_add3_u32 v3, v3, v5, v42
	v_mul_i32_i24_e32 v5, v84, v57
	v_mul_i32_i24_e32 v42, v85, v59
	s_delay_alu instid0(VALU_DEP_3) | instskip(SKIP_2) | instid1(VALU_DEP_3)
	v_add3_u32 v3, v3, v44, v47
	v_mul_i32_i24_e32 v44, v86, v60
	v_mul_i32_i24_e32 v47, v87, v62
	v_add3_u32 v3, v3, v5, v42
	v_mul_i32_i24_e32 v5, v2, v61
	v_mul_i32_i24_e32 v42, v46, v63
	s_delay_alu instid0(VALU_DEP_3) | instskip(SKIP_2) | instid1(VALU_DEP_3)
	v_add3_u32 v3, v3, v44, v47
	v_mul_i32_i24_e32 v44, v81, v64
	v_mul_i32_i24_e32 v47, v83, v65
	v_add3_u32 v3, v3, v5, v42
	v_mul_i32_i24_e32 v5, v112, v69
	v_mul_i32_i24_e32 v42, v113, v70
	scratch_load_b32 v69, off, off offset:56 ; 4-byte Folded Reload
	v_add3_u32 v3, v3, v44, v47
	v_mul_i32_i24_e32 v44, v116, v73
	v_mad_i32_i24 v5, v123, v68, v5
	scratch_load_b32 v68, off, off offset:52 ; 4-byte Folded Reload
	v_mul_i32_i24_e32 v47, v110, v74
	v_mul_lo_u32 v3, v3, v66
	scratch_load_b32 v66, off, off offset:48 ; 4-byte Folded Reload
	v_add3_u32 v5, v5, v42, v44
	v_mul_i32_i24_e32 v42, v0, v71
	v_mul_i32_i24_e32 v44, v1, v72
	s_delay_alu instid0(VALU_DEP_1) | instskip(SKIP_2) | instid1(VALU_DEP_3)
	v_add3_u32 v5, v5, v42, v44
	v_mul_i32_i24_e32 v42, v19, v75
	v_mul_i32_i24_e32 v44, v99, v77
	v_add3_u32 v5, v5, v47, v50
	v_mul_i32_i24_e32 v47, v109, v78
	scratch_load_b32 v78, off, off offset:4 ; 4-byte Folded Reload
	v_mul_i32_i24_e32 v50, v114, v119
	v_add3_u32 v5, v5, v42, v44
	v_mul_i32_i24_e32 v42, v96, v82
	scratch_load_b32 v82, off, off offset:8 ; 4-byte Folded Reload
	v_mul_i32_i24_e32 v44, v97, v120
	v_add3_u32 v5, v5, v47, v50
	v_mul_i32_i24_e32 v47, v98, v121
	v_mul_i32_i24_e32 v50, v117, v122
	s_delay_alu instid0(VALU_DEP_3) | instskip(NEXT) | instid1(VALU_DEP_1)
	v_add3_u32 v5, v5, v42, v44
	v_add3_u32 v42, v5, v47, v50
	v_mul_i32_i24_e32 v5, v104, v192
	s_delay_alu instid0(VALU_DEP_1) | instskip(NEXT) | instid1(VALU_DEP_1)
	v_mad_i32_i24 v5, v80, v196, v5
	v_add3_u32 v5, v5, v34, v28
	v_mul_i32_i24_e32 v28, v95, v228
	s_delay_alu instid0(VALU_DEP_2) | instskip(SKIP_3) | instid1(VALU_DEP_4)
	v_add3_u32 v5, v5, v35, v43
	v_mad_u64_u32 v[34:35], null, v42, v217, v[3:4]
	v_mul_i32_i24_e32 v35, v92, v222
	v_mul_i32_i24_e32 v43, v104, v155
	v_add3_u32 v5, v5, v40, v38
	v_mul_i32_i24_e32 v38, v111, v248
	v_mul_i32_i24_e32 v40, v102, v32
	;; [unrolled: 1-line block ×3, first 2 shown]
	v_cvt_f32_i32_e32 v3, v34
	v_cvt_f32_i32_e32 v5, v5
	v_mul_i32_i24_e32 v34, v91, v229
	v_mad_i32_i24 v43, v80, v159, v43
	s_delay_alu instid0(VALU_DEP_3) | instskip(NEXT) | instid1(VALU_DEP_2)
	v_mul_f32_e32 v5, v218, v5
	v_add3_u32 v40, v43, v40, v42
	s_delay_alu instid0(VALU_DEP_2) | instskip(SKIP_2) | instid1(VALU_DEP_2)
	v_fma_mix_f32 v3, v183, v3, -v5 op_sel_hi:[1,0,0]
	v_mul_i32_i24_e32 v5, v94, v225
	s_waitcnt vmcnt(0)
	v_fmac_f32_e32 v82, v4, v3
	v_mul_i32_i24_e32 v3, v93, v224
	s_delay_alu instid0(VALU_DEP_1) | instskip(NEXT) | instid1(VALU_DEP_1)
	v_mad_i32_i24 v3, v88, v67, v3
	v_add3_u32 v3, v3, v5, v28
	v_mul_i32_i24_e32 v5, v89, v226
	v_mul_i32_i24_e32 v28, v90, v227
	s_delay_alu instid0(VALU_DEP_1) | instskip(SKIP_2) | instid1(VALU_DEP_3)
	v_add3_u32 v3, v3, v5, v28
	v_mul_i32_i24_e32 v5, v84, v230
	v_mul_i32_i24_e32 v28, v85, v231
	v_add3_u32 v3, v3, v34, v35
	v_mul_i32_i24_e32 v34, v86, v79
	v_mul_i32_i24_e32 v35, v87, v233
	s_delay_alu instid0(VALU_DEP_3) | instskip(SKIP_2) | instid1(VALU_DEP_3)
	v_add3_u32 v3, v3, v5, v28
	v_mul_i32_i24_e32 v5, v2, v234
	v_mul_i32_i24_e32 v28, v46, v235
	v_add3_u32 v3, v3, v34, v35
	v_mul_i32_i24_e32 v34, v81, v236
	v_mul_i32_i24_e32 v35, v83, v237
	s_delay_alu instid0(VALU_DEP_3) | instskip(SKIP_2) | instid1(VALU_DEP_3)
	v_add3_u32 v3, v3, v5, v28
	v_mul_i32_i24_e32 v5, v112, v241
	v_mul_i32_i24_e32 v28, v113, v242
	v_add3_u32 v3, v3, v34, v35
	v_mul_i32_i24_e32 v34, v116, v245
	s_delay_alu instid0(VALU_DEP_4) | instskip(SKIP_1) | instid1(VALU_DEP_4)
	v_mad_i32_i24 v5, v123, v240, v5
	v_mul_i32_i24_e32 v35, v110, v246
	v_mul_lo_u32 v3, v3, v239
	s_delay_alu instid0(VALU_DEP_3) | instskip(SKIP_2) | instid1(VALU_DEP_1)
	v_add3_u32 v5, v5, v28, v34
	v_mul_i32_i24_e32 v28, v0, v243
	v_mul_i32_i24_e32 v34, v1, v244
	v_add3_u32 v5, v5, v28, v34
	v_mul_i32_i24_e32 v28, v19, v247
	v_mul_i32_i24_e32 v34, v99, v249
	s_delay_alu instid0(VALU_DEP_3) | instskip(SKIP_2) | instid1(VALU_DEP_3)
	v_add3_u32 v5, v5, v35, v38
	v_mul_i32_i24_e32 v35, v109, v250
	v_mul_i32_i24_e32 v38, v114, v252
	v_add3_u32 v5, v5, v28, v34
	v_mul_i32_i24_e32 v28, v96, v251
	v_mul_i32_i24_e32 v34, v97, v253
	s_delay_alu instid0(VALU_DEP_3) | instskip(SKIP_2) | instid1(VALU_DEP_3)
	v_add3_u32 v5, v5, v35, v38
	v_mul_i32_i24_e32 v35, v98, v254
	v_mul_i32_i24_e32 v38, v117, v255
	v_add3_u32 v5, v5, v28, v34
	v_mul_i32_i24_e32 v28, v115, v223
	v_mul_i32_i24_e32 v34, v118, v221
	s_delay_alu instid0(VALU_DEP_3) | instskip(SKIP_2) | instid1(VALU_DEP_2)
	v_add3_u32 v5, v5, v35, v38
	v_mul_i32_i24_e32 v38, v101, v219
	v_mul_i32_i24_e32 v35, v100, v220
	v_add3_u32 v28, v40, v38, v28
	v_mul_i32_i24_e32 v40, v104, v132
	v_mul_i32_i24_e32 v38, v103, v11
	s_delay_alu instid0(VALU_DEP_3) | instskip(NEXT) | instid1(VALU_DEP_3)
	v_add3_u32 v28, v28, v34, v35
	v_mad_i32_i24 v40, v80, v6, v40
	scratch_load_b32 v6, off, off           ; 4-byte Folded Reload
	v_mad_u64_u32 v[34:35], null, v5, v14, v[3:4]
	v_cvt_f32_i32_e32 v5, v28
	v_mul_i32_i24_e32 v28, v92, v20
	v_mul_i32_i24_e32 v35, v102, v178
	s_delay_alu instid0(VALU_DEP_3) | instskip(SKIP_2) | instid1(VALU_DEP_4)
	v_mul_f32_e32 v5, v180, v5
	v_cvt_f32_i32_e32 v3, v34
	v_mul_i32_i24_e32 v34, v111, v206
	v_add3_u32 v35, v40, v35, v38
	s_delay_alu instid0(VALU_DEP_3) | instskip(SKIP_2) | instid1(VALU_DEP_3)
	v_fma_mix_f32 v3, v139, v3, -v5 op_sel_hi:[1,0,0]
	v_mul_i32_i24_e32 v5, v94, v25
	v_mul_i32_i24_e32 v25, v91, v51
	v_fmac_f32_e32 v78, v4, v3
	v_mul_i32_i24_e32 v3, v93, v18
	v_mul_i32_i24_e32 v18, v95, v49
	s_delay_alu instid0(VALU_DEP_2) | instskip(NEXT) | instid1(VALU_DEP_1)
	v_mad_i32_i24 v3, v88, v17, v3
	v_add3_u32 v3, v3, v5, v18
	v_mul_i32_i24_e32 v5, v89, v45
	v_mul_i32_i24_e32 v18, v90, v48
	s_delay_alu instid0(VALU_DEP_1) | instskip(SKIP_2) | instid1(VALU_DEP_3)
	v_add3_u32 v3, v3, v5, v18
	v_mul_i32_i24_e32 v5, v84, v52
	v_mul_i32_i24_e32 v18, v85, v188
	v_add3_u32 v3, v3, v25, v28
	v_mul_i32_i24_e32 v25, v86, v189
	v_mul_i32_i24_e32 v28, v87, v193
	s_delay_alu instid0(VALU_DEP_3)
	v_add3_u32 v3, v3, v5, v18
	v_mul_i32_i24_e32 v5, v2, v190
	v_mul_i32_i24_e32 v18, v46, v21
	;; [unrolled: 1-line block ×3, first 2 shown]
	scratch_load_b32 v153, off, off offset:80 ; 4-byte Folded Reload
	v_add3_u32 v3, v3, v25, v28
	v_mul_i32_i24_e32 v25, v81, v195
	v_mul_i32_i24_e32 v28, v83, v22
	s_delay_alu instid0(VALU_DEP_3) | instskip(SKIP_2) | instid1(VALU_DEP_3)
	v_add3_u32 v3, v3, v5, v18
	v_mul_i32_i24_e32 v5, v112, v24
	v_mul_i32_i24_e32 v18, v113, v200
	v_add3_u32 v3, v3, v25, v28
	v_mul_i32_i24_e32 v25, v116, v203
	s_delay_alu instid0(VALU_DEP_4) | instskip(SKIP_1) | instid1(VALU_DEP_4)
	v_mad_i32_i24 v5, v123, v199, v5
	v_mul_i32_i24_e32 v28, v110, v204
	v_mul_lo_u32 v3, v3, v198
	s_delay_alu instid0(VALU_DEP_3) | instskip(SKIP_4) | instid1(VALU_DEP_3)
	v_add3_u32 v5, v5, v18, v25
	v_mul_i32_i24_e32 v18, v0, v201
	v_mul_i32_i24_e32 v25, v1, v202
	;; [unrolled: 1-line block ×4, first 2 shown]
	v_add3_u32 v5, v5, v18, v25
	v_mul_i32_i24_e32 v18, v19, v205
	v_mul_i32_i24_e32 v25, v99, v207
	s_delay_alu instid0(VALU_DEP_3) | instskip(SKIP_2) | instid1(VALU_DEP_3)
	v_add3_u32 v5, v5, v28, v34
	v_mul_i32_i24_e32 v28, v109, v208
	v_mul_i32_i24_e32 v34, v114, v210
	v_add3_u32 v5, v5, v18, v25
	v_mul_i32_i24_e32 v18, v96, v209
	v_mul_i32_i24_e32 v25, v97, v211
	s_delay_alu instid0(VALU_DEP_3) | instskip(SKIP_2) | instid1(VALU_DEP_3)
	v_add3_u32 v5, v5, v28, v34
	v_mul_i32_i24_e32 v28, v98, v212
	v_mul_i32_i24_e32 v34, v117, v26
	v_add3_u32 v5, v5, v18, v25
	v_mul_i32_i24_e32 v18, v115, v186
	v_mul_i32_i24_e32 v25, v118, v185
	s_delay_alu instid0(VALU_DEP_3) | instskip(SKIP_2) | instid1(VALU_DEP_2)
	v_add3_u32 v5, v5, v28, v34
	v_mul_i32_i24_e32 v34, v101, v182
	v_mul_i32_i24_e32 v28, v100, v184
	v_add3_u32 v18, v35, v34, v18
	s_delay_alu instid0(VALU_DEP_4)
	v_mad_u64_u32 v[34:35], null, v5, v136, v[3:4]
	scratch_load_b32 v136, off, off offset:64 ; 4-byte Folded Reload
	v_add3_u32 v18, v18, v25, v28
	v_mul_i32_i24_e32 v25, v91, v149
	v_mul_i32_i24_e32 v28, v92, v151
	v_cvt_f32_i32_e32 v3, v34
	s_delay_alu instid0(VALU_DEP_4) | instskip(SKIP_1) | instid1(VALU_DEP_2)
	v_cvt_f32_i32_e32 v5, v18
	v_mul_i32_i24_e32 v18, v95, v148
	v_mul_f32_e32 v5, v7, v5
	s_delay_alu instid0(VALU_DEP_1) | instskip(SKIP_2) | instid1(VALU_DEP_2)
	v_fma_mix_f32 v3, v131, v3, -v5 op_sel_hi:[1,0,0]
	v_mul_i32_i24_e32 v5, v94, v145
	s_waitcnt vmcnt(2)
	v_fmac_f32_e32 v6, v4, v3
	v_mul_i32_i24_e32 v3, v93, v144
	s_delay_alu instid0(VALU_DEP_1) | instskip(NEXT) | instid1(VALU_DEP_1)
	v_mad_i32_i24 v3, v88, v129, v3
	v_add3_u32 v3, v3, v5, v18
	v_mul_i32_i24_e32 v5, v89, v146
	v_mul_i32_i24_e32 v18, v90, v147
	s_delay_alu instid0(VALU_DEP_1) | instskip(SKIP_2) | instid1(VALU_DEP_3)
	v_add3_u32 v3, v3, v5, v18
	v_mul_i32_i24_e32 v5, v84, v142
	v_mul_i32_i24_e32 v18, v85, v137
	v_add3_u32 v3, v3, v25, v28
	v_mul_i32_i24_e32 v25, v86, v135
	v_mul_i32_i24_e32 v28, v87, v154
	s_delay_alu instid0(VALU_DEP_3) | instskip(SKIP_2) | instid1(VALU_DEP_3)
	v_add3_u32 v3, v3, v5, v18
	v_mul_i32_i24_e32 v5, v46, v156
	v_mul_i32_i24_e32 v18, v81, v134
	v_add3_u32 v3, v3, v25, v28
	v_mul_i32_i24_e32 v25, v83, v133
	v_mul_i32_i24_e32 v28, v103, v9
	s_delay_alu instid0(VALU_DEP_3) | instskip(SKIP_1) | instid1(VALU_DEP_2)
	v_add3_u32 v2, v3, v2, v5
	v_mul_i32_i24_e32 v5, v113, v163
	v_add3_u32 v2, v2, v18, v25
	v_mul_i32_i24_e32 v18, v116, v166
	v_mul_i32_i24_e32 v25, v102, v10
	s_delay_alu instid0(VALU_DEP_3) | instskip(SKIP_1) | instid1(VALU_DEP_1)
	v_mul_lo_u32 v3, v2, v160
	v_mul_i32_i24_e32 v2, v112, v162
	v_mad_i32_i24 v2, v123, v8, v2
	s_delay_alu instid0(VALU_DEP_1) | instskip(SKIP_2) | instid1(VALU_DEP_3)
	v_add3_u32 v2, v2, v5, v18
	v_mul_i32_i24_e32 v5, v110, v167
	v_mul_i32_i24_e32 v18, v111, v168
	v_add3_u32 v0, v2, v0, v1
	v_mul_i32_i24_e32 v1, v19, v169
	v_mul_i32_i24_e32 v2, v99, v170
	;; [unrolled: 1-line block ×3, first 2 shown]
	s_delay_alu instid0(VALU_DEP_4) | instskip(SKIP_2) | instid1(VALU_DEP_3)
	v_add3_u32 v0, v0, v5, v18
	v_mul_i32_i24_e32 v5, v109, v171
	v_mul_i32_i24_e32 v18, v114, v173
	v_add3_u32 v0, v0, v1, v2
	v_mul_i32_i24_e32 v1, v96, v172
	v_mul_i32_i24_e32 v2, v97, v174
	s_delay_alu instid0(VALU_DEP_3) | instskip(SKIP_2) | instid1(VALU_DEP_3)
	v_add3_u32 v0, v0, v5, v18
	v_mul_i32_i24_e32 v5, v98, v175
	v_mul_i32_i24_e32 v18, v117, v176
	v_add3_u32 v0, v0, v1, v2
	v_mul_i32_i24_e32 v1, v118, v141
	scratch_load_b32 v141, off, off offset:72 ; 4-byte Folded Reload
	v_mul_i32_i24_e32 v2, v100, v140
	s_clause 0x1
	scratch_load_b32 v140, off, off offset:68
	scratch_load_b32 v135, off, off offset:60
	v_add3_u32 v0, v0, v5, v18
	v_mul_i32_i24_e32 v5, v104, v130
	v_mul_i32_i24_e32 v18, v115, v143
	s_delay_alu instid0(VALU_DEP_2) | instskip(NEXT) | instid1(VALU_DEP_1)
	v_mad_i32_i24 v5, v80, v161, v5
	v_add3_u32 v25, v5, v25, v28
	s_delay_alu instid0(VALU_DEP_1) | instskip(SKIP_1) | instid1(VALU_DEP_2)
	v_add3_u32 v5, v25, v19, v18
	v_mad_u64_u32 v[18:19], null, v0, v158, v[3:4]
	v_add3_u32 v1, v5, v1, v2
	s_delay_alu instid0(VALU_DEP_2) | instskip(NEXT) | instid1(VALU_DEP_2)
	v_cvt_f32_i32_e32 v0, v18
	v_cvt_f32_i32_e32 v1, v1
	s_delay_alu instid0(VALU_DEP_1) | instskip(NEXT) | instid1(VALU_DEP_1)
	v_mul_f32_e32 v1, v157, v1
	v_fma_mix_f32 v0, v126, v0, -v1 op_sel_hi:[1,0,0]
	s_delay_alu instid0(VALU_DEP_1)
	v_fmac_f32_e32 v177, v4, v0
	s_cbranch_scc1 .LBB147_10
; %bb.11:                               ;   in Loop: Header=BB147_8 Depth=2
	scratch_load_b32 v0, off, off offset:136 ; 4-byte Folded Reload
	s_waitcnt vmcnt(0)
	s_waitcnt_vscnt null, 0x0
	s_barrier
	buffer_gl0_inv
	v_dual_mov_b32 v76, v127 :: v_dual_mov_b32 v209, v12
	v_dual_mov_b32 v206, v13 :: v_dual_mov_b32 v223, v216
	;; [unrolled: 1-line block ×4, first 2 shown]
	v_mov_b32_e32 v224, v33
	v_mov_b32_e32 v228, v39
	;; [unrolled: 1-line block ×5, first 2 shown]
	s_add_i32 s14, s14, 2
	scratch_load_b64 v[52:53], off, off offset:140 ; 8-byte Folded Reload
	s_lshl_b32 s17, s14, 3
	v_mov_b32_e32 v107, v105
	v_dual_mov_b32 v119, v179 :: v_dual_mov_b32 v22, v6
	v_mov_b32_e32 v203, v181
	v_mov_b32_e32 v255, v213
	;; [unrolled: 1-line block ×4, first 2 shown]
	v_lshl_add_u32 v0, s16, 5, v0
	s_delay_alu instid0(VALU_DEP_1) | instskip(NEXT) | instid1(VALU_DEP_1)
	v_lshrrev_b32_e32 v0, 3, v0
	v_add_nc_u32_e32 v4, s12, v0
	scratch_load_b32 v0, off, off offset:132 ; 4-byte Folded Reload
	s_waitcnt vmcnt(0)
	v_lshl_add_u32 v5, s16, 2, v0
	scratch_load_b32 v0, off, off offset:152 ; 4-byte Folded Reload
	s_mov_b32 s16, 0
	v_mad_u64_u32 v[44:45], null, v5, 36, s[2:3]
	scratch_load_b32 v5, off, off offset:208 ; 4-byte Folded Reload
	s_waitcnt vmcnt(1)
	v_add_nc_u32_e32 v2, v4, v0
	scratch_load_b32 v0, off, off offset:160 ; 4-byte Folded Reload
	s_waitcnt vmcnt(0)
	v_add_nc_u32_e32 v18, v4, v0
	scratch_load_b32 v0, off, off offset:168 ; 4-byte Folded Reload
	s_waitcnt vmcnt(0)
	v_add_nc_u32_e32 v25, v4, v0
	scratch_load_b32 v0, off, off offset:176 ; 4-byte Folded Reload
	s_waitcnt vmcnt(0)
	v_add_nc_u32_e32 v28, v4, v0
	scratch_load_b32 v0, off, off offset:184 ; 4-byte Folded Reload
	v_mad_i64_i32 v[34:35], null, v28, 36, v[52:53]
	scratch_load_b32 v28, off, off offset:200 ; 4-byte Folded Reload
	s_waitcnt vmcnt(1)
	v_add_nc_u32_e32 v38, v4, v0
	v_mad_i64_i32 v[0:1], null, v2, 36, v[52:53]
	v_mad_i64_i32 v[2:3], null, v18, 36, v[52:53]
	;; [unrolled: 1-line block ×3, first 2 shown]
	scratch_load_b32 v25, off, off offset:192 ; 4-byte Folded Reload
	s_waitcnt vmcnt(1)
	v_add_nc_u32_e32 v28, v4, v28
	v_mad_i64_i32 v[42:43], null, v38, 36, v[52:53]
	s_delay_alu instid0(VALU_DEP_2) | instskip(SKIP_3) | instid1(VALU_DEP_2)
	v_mad_i64_i32 v[48:49], null, v28, 36, v[52:53]
	s_waitcnt vmcnt(0)
	v_add_nc_u32_e32 v25, v4, v25
	v_add_nc_u32_e32 v4, v4, v5
	v_mad_i64_i32 v[46:47], null, v25, 36, v[52:53]
	s_delay_alu instid0(VALU_DEP_2)
	v_mad_i64_i32 v[50:51], null, v4, 36, v[52:53]
	s_clause 0x8
	global_load_b32 v4, v[44:45], off
	global_load_b32 v2, v[2:3], off offset:4
	global_load_b32 v3, v[18:19], off offset:4
	;; [unrolled: 1-line block ×8, first 2 shown]
	s_clause 0x1
	scratch_load_b32 v124, off, off offset:220
	scratch_load_b32 v125, off, off offset:216
	v_mov_b32_e32 v44, v78
	v_mov_b32_e32 v43, v82
	s_waitcnt vmcnt(10)
	v_cvt_f32_f16_e32 v1, v4
	scratch_load_b32 v4, off, off offset:164 ; 4-byte Folded Reload
	s_waitcnt vmcnt(0)
	ds_store_b32 v4, v2
	scratch_load_b32 v2, off, off offset:172 ; 4-byte Folded Reload
	s_waitcnt vmcnt(0)
	ds_store_b32 v2, v3
	scratch_load_b32 v2, off, off offset:180 ; 4-byte Folded Reload
	s_waitcnt vmcnt(0)
	ds_store_b32 v2, v5
	scratch_load_b32 v2, off, off offset:188 ; 4-byte Folded Reload
	s_waitcnt vmcnt(0)
	ds_store_b32 v2, v18
	scratch_load_b32 v2, off, off offset:196 ; 4-byte Folded Reload
	s_waitcnt vmcnt(0)
	ds_store_b32 v2, v19
	scratch_load_b32 v2, off, off offset:204 ; 4-byte Folded Reload
	s_waitcnt vmcnt(0)
	ds_store_b32 v2, v25
	scratch_load_b32 v2, off, off offset:212 ; 4-byte Folded Reload
	s_waitcnt vmcnt(0)
	ds_store_b32 v2, v28
	scratch_load_b32 v2, off, off offset:156 ; 4-byte Folded Reload
	s_waitcnt vmcnt(0)
	ds_store_b32 v2, v0
	scratch_load_b32 v0, off, off offset:148 ; 4-byte Folded Reload
	s_waitcnt vmcnt(0)
	ds_store_b32 v0, v1
	s_waitcnt lgkmcnt(0)
	s_barrier
	buffer_gl0_inv
	s_clause 0x6
	scratch_store_b32 off, v15, off offset:36
	scratch_store_b32 off, v16, off offset:40
	;; [unrolled: 1-line block ×7, first 2 shown]
.LBB147_12:                             ;   Parent Loop BB147_6 Depth=1
                                        ;     Parent Loop BB147_8 Depth=2
                                        ; =>    This Inner Loop Header: Depth=3
	s_clause 0x6
	scratch_store_b32 off, v119, off offset:96
	scratch_store_b32 off, v76, off offset:16
	scratch_store_b32 off, v22, off
	scratch_store_b32 off, v44, off offset:4
	scratch_store_b32 off, v107, off offset:12
	;; [unrolled: 1-line block ×4, first 2 shown]
	ds_load_2addr_b32 v[3:4], v125 offset1:32
	ds_load_b128 v[42:45], v124
	ds_load_b128 v[46:49], v124 offset:16
	s_add_i32 s18, s13, s16
	v_add_nc_u32_e32 v105, s16, v68
	s_add_i32 s20, s18, 8
	s_and_b32 s18, s15, -16
	s_and_b32 s19, s20, 0x3ffffff8
	s_lshr_b32 s20, s20, 2
	s_lshl_b32 s19, s19, 2
	s_and_b32 s20, s20, 0x3ffffffc
	s_add_i32 s15, s15, 2
	v_mov_b32_e32 v33, v187
	v_mov_b32_e32 v245, v209
	;; [unrolled: 1-line block ×3, first 2 shown]
	s_waitcnt lgkmcnt(1)
	v_ashrrev_i32_e32 v87, 24, v42
	v_ashrrev_i32_e32 v91, 24, v43
	v_bfe_i32 v86, v42, 16, 8
	v_bfe_i32 v90, v43, 16, 8
	v_ashrrev_i32_e32 v95, 24, v44
	v_ashrrev_i32_e32 v99, 24, v45
	v_add_nc_u32_e32 v18, v91, v87
	v_bfe_i32 v85, v42, 8, 8
	v_bfe_i32 v89, v43, 8, 8
	;; [unrolled: 1-line block ×4, first 2 shown]
	v_add3_u32 v80, v18, v95, v99
	v_add_nc_u32_e32 v18, v90, v86
	v_bfe_i32 v5, v42, 0, 8
	v_bfe_i32 v88, v43, 0, 8
	v_bfe_i32 v93, v44, 8, 8
	v_bfe_i32 v97, v45, 8, 8
	v_add3_u32 v117, v18, v94, v98
	v_add_nc_u32_e32 v18, v89, v85
	v_bfe_i32 v92, v44, 0, 8
	v_bfe_i32 v96, v45, 0, 8
	s_waitcnt lgkmcnt(0)
	v_bfe_i32 v109, v48, 0, 8
	v_bfe_i32 v110, v48, 8, 8
	v_add3_u32 v118, v18, v93, v97
	v_add_nc_u32_e32 v18, v88, v5
	v_bfe_i32 v111, v48, 16, 8
	v_ashrrev_i32_e32 v112, 24, v48
	v_bfe_i32 v0, v47, 0, 8
	v_bfe_i32 v104, v47, 8, 8
	v_add3_u32 v123, v18, v92, v96
	v_add_nc_u32_e32 v18, s19, v66
	v_bfe_i32 v107, v47, 16, 8
	v_ashrrev_i32_e32 v108, 24, v47
	v_bfe_i32 v113, v49, 0, 8
	v_bfe_i32 v114, v49, 8, 8
	ds_load_2addr_b32 v[34:35], v18 offset1:1
	v_bfe_i32 v115, v49, 16, 8
	v_ashrrev_i32_e32 v116, 24, v49
	v_bfe_i32 v100, v46, 0, 8
	v_bfe_i32 v101, v46, 8, 8
	;; [unrolled: 1-line block ×3, first 2 shown]
	v_ashrrev_i32_e32 v103, 24, v46
	s_delay_alu instid0(VALU_DEP_1) | instskip(NEXT) | instid1(VALU_DEP_1)
	v_add_nc_u32_e32 v1, v108, v103
	v_add3_u32 v2, v1, v112, v116
	s_delay_alu instid0(VALU_DEP_4)
	v_add_nc_u32_e32 v1, v107, v102
	s_waitcnt lgkmcnt(0)
	v_ashrrev_i32_e32 v25, s16, v34
	v_ashrrev_i32_e32 v28, s16, v35
	ds_load_2addr_b32 v[34:35], v18 offset0:2 offset1:3
	v_and_b32_e32 v63, 3, v25
	v_bfe_u32 v72, v25, 8, 2
	v_and_b32_e32 v73, 3, v28
	v_bfe_u32 v65, v25, 16, 2
	v_bfe_u32 v60, v25, 24, 2
	;; [unrolled: 1-line block ×3, first 2 shown]
	v_mul_i32_i24_e32 v43, v72, v85
	v_bfe_u32 v75, v28, 16, 2
	v_mul_i32_i24_e32 v47, v65, v86
	v_mul_i32_i24_e32 v25, v60, v87
	;; [unrolled: 1-line block ×3, first 2 shown]
	s_delay_alu instid0(VALU_DEP_4)
	v_mul_i32_i24_e32 v50, v75, v90
	s_waitcnt lgkmcnt(0)
	v_ashrrev_i32_e32 v38, s16, v34
	v_ashrrev_i32_e32 v40, s16, v35
	ds_load_2addr_b32 v[34:35], v18 offset0:4 offset1:5
	v_and_b32_e32 v74, 3, v38
	v_and_b32_e32 v119, 3, v40
	v_bfe_u32 v76, v38, 8, 2
	v_bfe_u32 v77, v38, 16, 2
	;; [unrolled: 1-line block ×3, first 2 shown]
	v_mul_i32_i24_e32 v51, v74, v92
	v_mul_i32_i24_e32 v57, v119, v96
	v_mul_i32_i24_e32 v52, v76, v93
	v_mul_i32_i24_e32 v56, v77, v94
	v_bfe_u32 v120, v40, 8, 2
	v_mul_i32_i24_e32 v38, v121, v95
	v_bfe_u32 v61, v40, 16, 2
	v_bfe_u32 v64, v40, 24, 2
	s_delay_alu instid0(VALU_DEP_4) | instskip(NEXT) | instid1(VALU_DEP_3)
	v_mul_i32_i24_e32 v58, v120, v97
	v_mul_i32_i24_e32 v59, v61, v98
	s_waitcnt lgkmcnt(0)
	v_ashrrev_i32_e32 v42, s16, v34
	v_ashrrev_i32_e32 v44, s16, v35
	ds_load_2addr_b32 v[34:35], v18 offset0:6 offset1:7
	scratch_load_b32 v18, off, off offset:128 ; 4-byte Folded Reload
	v_mul_i32_i24_e32 v40, v64, v99
	v_and_b32_e32 v252, 3, v42
	v_bfe_u32 v240, v42, 8, 2
	v_bfe_u32 v253, v44, 8, 2
	s_delay_alu instid0(VALU_DEP_1)
	v_mul_i32_i24_e32 v83, v253, v104
	s_waitcnt lgkmcnt(0)
	v_ashrrev_i32_e32 v45, s16, v34
	v_add_nc_u32_e32 v34, s20, v69
	v_ashrrev_i32_e32 v48, s16, v35
	v_bfe_u32 v69, v28, 24, 2
	s_delay_alu instid0(VALU_DEP_2) | instskip(NEXT) | instid1(VALU_DEP_2)
	v_bfe_u32 v66, v48, 8, 2
	v_mul_i32_i24_e32 v28, v69, v91
	v_bfe_u32 v68, v48, 16, 2
	s_delay_alu instid0(VALU_DEP_3) | instskip(NEXT) | instid1(VALU_DEP_2)
	v_mul_i32_i24_e32 v130, v66, v114
	v_mul_i32_i24_e32 v131, v68, v115
	s_waitcnt vmcnt(0)
	v_add3_u32 v18, v18, s18, v105
	ds_load_b32 v182, v34
	ds_load_u16 v18, v18
	s_waitcnt lgkmcnt(0)
	v_bfe_u32 v195, v18, 4, 4
	v_lshrrev_b16 v34, 8, v18
	v_and_b32_e32 v70, 15, v18
	s_delay_alu instid0(VALU_DEP_3) | instskip(NEXT) | instid1(VALU_DEP_1)
	v_mul_lo_u32 v35, 0x1010101, v195
	v_bfe_i32 v122, v35, 8, 8
	v_bfe_i32 v53, v35, 16, 8
	v_lshrrev_b32_e32 v36, 24, v35
	v_mul_i32_i24_e32 v35, v63, v5
	s_delay_alu instid0(VALU_DEP_1) | instskip(NEXT) | instid1(VALU_DEP_1)
	v_mad_i32_i24 v35, v73, v88, v35
	v_add3_u32 v35, v35, v51, v43
	v_mul_i32_i24_e32 v51, v240, v101
	v_bfe_u32 v43, v48, 24, 2
	s_delay_alu instid0(VALU_DEP_3)
	v_add3_u32 v25, v35, v47, v25
	v_bfe_u32 v35, v42, 16, 2
	v_bfe_u32 v42, v42, 24, 2
	v_and_b32_e32 v47, 3, v48
	v_mul_i32_i24_e32 v48, v43, v116
	v_add3_u32 v25, v25, v57, v49
	v_mul_i32_i24_e32 v49, v252, v100
	v_mul_i32_i24_e32 v81, v42, v103
	;; [unrolled: 1-line block ×3, first 2 shown]
	s_delay_alu instid0(VALU_DEP_4) | instskip(SKIP_1) | instid1(VALU_DEP_2)
	v_add3_u32 v25, v25, v50, v28
	v_bfe_u32 v50, v45, 8, 2
	v_add3_u32 v25, v25, v52, v56
	v_mul_i32_i24_e32 v52, v35, v102
	v_bfe_u32 v56, v45, 16, 2
	s_delay_alu instid0(VALU_DEP_4) | instskip(NEXT) | instid1(VALU_DEP_4)
	v_mul_i32_i24_e32 v127, v50, v110
	v_add3_u32 v25, v25, v38, v58
	v_and_b32_e32 v58, 3, v45
	v_bfe_u32 v38, v44, 16, 2
	v_mul_i32_i24_e32 v128, v56, v111
	s_delay_alu instid0(VALU_DEP_4)
	v_add3_u32 v25, v25, v59, v40
	v_and_b32_e32 v59, 3, v44
	v_mul_i32_i24_e32 v126, v58, v109
	v_bfe_u32 v40, v44, 24, 2
	v_mul_i32_i24_e32 v84, v38, v107
	v_mul_lo_u32 v18, v25, v70
	v_mad_i32_i24 v49, v59, v0, v49
	v_and_b32_e32 v25, 0xffff, v34
	v_mul_i32_i24_e32 v106, v40, v108
	v_mov_b32_e32 v34, v206
	v_add3_u32 v19, v1, v111, v115
	v_add3_u32 v49, v49, v126, v51
	v_add_nc_u32_e32 v1, v104, v101
	v_lshrrev_b32_e32 v57, 4, v25
	v_bfe_u32 v44, v45, 24, 2
	v_and_b32_e32 v37, 15, v25
	v_add3_u32 v49, v49, v52, v81
	v_add3_u32 v46, v1, v110, v114
	v_add_nc_u32_e32 v1, v0, v100
	v_mul_lo_u32 v28, 0x1010101, v57
	v_mul_i32_i24_e32 v45, v44, v112
	v_add3_u32 v49, v49, v129, v83
	v_mul_i32_i24_e32 v52, v80, v36
	v_add3_u32 v1, v1, v109, v113
	v_mul_i32_i24_e32 v81, v117, v53
	v_mul_i32_i24_e32 v83, v118, v122
	v_add3_u32 v49, v49, v84, v106
	v_mul_i32_i24_e32 v84, v195, v123
	v_lshrrev_b32_e32 v221, 24, v28
	v_bfe_i32 v219, v28, 8, 8
	v_bfe_i32 v220, v28, 16, 8
	v_add3_u32 v49, v49, v127, v128
	v_mad_i32_i24 v84, v57, v1, v84
	s_delay_alu instid0(VALU_DEP_4) | instskip(NEXT) | instid1(VALU_DEP_3)
	v_mul_i32_i24_e32 v51, v46, v219
	v_add3_u32 v45, v49, v45, v130
	s_delay_alu instid0(VALU_DEP_3) | instskip(SKIP_1) | instid1(VALU_DEP_3)
	v_add3_u32 v52, v84, v52, v81
	v_mul_i32_i24_e32 v49, v19, v220
	v_add3_u32 v45, v45, v131, v48
	v_mul_i32_i24_e32 v48, v2, v221
	s_delay_alu instid0(VALU_DEP_1) | instskip(NEXT) | instid1(VALU_DEP_1)
	v_add3_u32 v48, v52, v83, v48
	v_add3_u32 v51, v48, v49, v51
	s_delay_alu instid0(VALU_DEP_4) | instskip(SKIP_1) | instid1(VALU_DEP_3)
	v_mad_u64_u32 v[48:49], null, v45, v37, v[18:19]
	v_lshrrev_b32_e32 v18, 16, v182
	v_cvt_f32_i32_e32 v25, v51
	s_delay_alu instid0(VALU_DEP_2) | instskip(NEXT) | instid1(VALU_DEP_4)
	v_cvt_f32_f16_e32 v39, v18
	v_cvt_f32_i32_e32 v18, v48
	s_delay_alu instid0(VALU_DEP_2) | instskip(NEXT) | instid1(VALU_DEP_1)
	v_mul_f32_e32 v25, v39, v25
	v_fma_mix_f32 v18, v182, v18, -v25 op_sel_hi:[1,0,0]
	s_delay_alu instid0(VALU_DEP_1) | instskip(NEXT) | instid1(VALU_DEP_1)
	v_fmac_f32_e32 v194, v3, v18
	v_dual_mov_b32 v211, v194 :: v_dual_add_nc_u32 v18, s19, v135
	ds_load_2addr_b32 v[48:49], v18 offset1:1
	s_waitcnt lgkmcnt(0)
	v_ashrrev_i32_e32 v25, s16, v48
	v_ashrrev_i32_e32 v45, s16, v49
	ds_load_2addr_b32 v[48:49], v18 offset0:2 offset1:3
	v_and_b32_e32 v222, 3, v25
	v_bfe_u32 v54, v25, 8, 2
	v_and_b32_e32 v232, 3, v45
	v_bfe_u32 v231, v25, 16, 2
	v_bfe_u32 v233, v25, 24, 2
	v_bfe_u32 v79, v45, 8, 2
	v_mul_i32_i24_e32 v126, v54, v85
	v_bfe_u32 v235, v45, 16, 2
	v_mul_i32_i24_e32 v127, v231, v86
	v_mul_i32_i24_e32 v25, v233, v87
	v_mul_i32_i24_e32 v128, v79, v89
	v_bfe_u32 v237, v45, 24, 2
	v_mul_i32_i24_e32 v129, v235, v90
	s_delay_alu instid0(VALU_DEP_2)
	v_mul_i32_i24_e32 v45, v237, v91
	s_waitcnt lgkmcnt(0)
	v_ashrrev_i32_e32 v51, s16, v48
	v_ashrrev_i32_e32 v52, s16, v49
	ds_load_2addr_b32 v[48:49], v18 offset0:4 offset1:5
	v_and_b32_e32 v236, 3, v51
	v_and_b32_e32 v147, 3, v52
	v_bfe_u32 v238, v51, 8, 2
	v_bfe_u32 v28, v51, 16, 2
	;; [unrolled: 1-line block ×3, first 2 shown]
	v_mul_i32_i24_e32 v130, v236, v92
	v_mul_i32_i24_e32 v133, v147, v96
	;; [unrolled: 1-line block ×4, first 2 shown]
	v_bfe_u32 v149, v52, 8, 2
	v_mul_i32_i24_e32 v51, v148, v95
	v_bfe_u32 v155, v52, 16, 2
	v_bfe_u32 v157, v52, 24, 2
	s_delay_alu instid0(VALU_DEP_4) | instskip(NEXT) | instid1(VALU_DEP_3)
	v_mul_i32_i24_e32 v134, v149, v97
	v_mul_i32_i24_e32 v135, v155, v98
	s_waitcnt lgkmcnt(0)
	v_ashrrev_i32_e32 v83, s16, v48
	v_ashrrev_i32_e32 v84, s16, v49
	ds_load_2addr_b32 v[48:49], v18 offset0:6 offset1:7
	scratch_load_b32 v18, off, off offset:124 ; 4-byte Folded Reload
	v_mul_i32_i24_e32 v52, v157, v99
	v_and_b32_e32 v165, 3, v83
	v_bfe_u32 v161, v83, 8, 2
	v_and_b32_e32 v62, 3, v84
	v_bfe_u32 v169, v83, 16, 2
	v_bfe_u32 v193, v83, 24, 2
	;; [unrolled: 1-line block ×5, first 2 shown]
	s_delay_alu instid0(VALU_DEP_4) | instskip(NEXT) | instid1(VALU_DEP_2)
	v_mul_i32_i24_e32 v83, v193, v103
	v_mul_i32_i24_e32 v84, v217, v108
	s_waitcnt lgkmcnt(0)
	v_ashrrev_i32_e32 v106, s16, v49
	v_add_nc_u32_e32 v49, s20, v136
	v_ashrrev_i32_e32 v48, s16, v48
	s_delay_alu instid0(VALU_DEP_1)
	v_and_b32_e32 v199, 3, v48
	v_bfe_u32 v215, v48, 8, 2
	v_bfe_u32 v218, v48, 16, 2
	;; [unrolled: 1-line block ×3, first 2 shown]
	s_waitcnt vmcnt(0)
	v_add3_u32 v18, v18, s18, v105
	ds_load_b32 v138, v49
	ds_load_u16 v18, v18
	s_waitcnt lgkmcnt(0)
	v_bfe_u32 v151, v18, 4, 4
	v_lshrrev_b16 v49, 8, v18
	v_and_b32_e32 v158, 15, v18
	s_delay_alu instid0(VALU_DEP_3) | instskip(NEXT) | instid1(VALU_DEP_1)
	v_mul_lo_u32 v81, 0x1010101, v151
	v_bfe_i32 v41, v81, 8, 8
	v_bfe_i32 v67, v81, 16, 8
	v_lshrrev_b32_e32 v181, 24, v81
	v_mul_i32_i24_e32 v81, v222, v5
	s_delay_alu instid0(VALU_DEP_1) | instskip(NEXT) | instid1(VALU_DEP_1)
	v_mad_i32_i24 v81, v232, v88, v81
	v_add3_u32 v81, v81, v130, v126
	v_mul_i32_i24_e32 v130, v185, v104
	v_and_b32_e32 v126, 0xffff, v49
	v_bfe_u32 v49, v106, 8, 2
	s_delay_alu instid0(VALU_DEP_4) | instskip(SKIP_1) | instid1(VALU_DEP_4)
	v_add3_u32 v25, v81, v127, v25
	v_mul_i32_i24_e32 v127, v165, v100
	v_lshrrev_b32_e32 v226, 4, v126
	s_delay_alu instid0(VALU_DEP_4)
	v_mul_i32_i24_e32 v137, v49, v114
	v_and_b32_e32 v15, 15, v126
	v_add3_u32 v25, v25, v133, v128
	v_mul_i32_i24_e32 v128, v161, v101
	v_mad_i32_i24 v127, v62, v0, v127
	v_mul_i32_i24_e32 v133, v215, v110
	v_mul_lo_u32 v18, 0x1010101, v226
	v_add3_u32 v25, v25, v129, v45
	v_mul_i32_i24_e32 v129, v169, v102
	v_and_b32_e32 v45, 3, v106
	s_delay_alu instid0(VALU_DEP_3) | instskip(SKIP_1) | instid1(VALU_DEP_3)
	v_add3_u32 v25, v25, v131, v132
	v_mul_i32_i24_e32 v132, v199, v109
	v_mul_i32_i24_e32 v136, v45, v113
	;; [unrolled: 1-line block ×3, first 2 shown]
	v_lshrrev_b32_e32 v55, 24, v18
	v_add3_u32 v25, v25, v51, v134
	v_add3_u32 v127, v127, v132, v128
	v_mul_i32_i24_e32 v134, v218, v111
	v_bfe_u32 v51, v106, 16, 2
	v_mul_i32_i24_e32 v128, v80, v181
	v_add3_u32 v25, v25, v135, v52
	v_add3_u32 v83, v127, v129, v83
	v_mul_i32_i24_e32 v135, v48, v112
	v_bfe_u32 v52, v106, 24, 2
	v_mul_i32_i24_e32 v139, v51, v115
	v_mul_i32_i24_e32 v129, v117, v67
	v_add3_u32 v83, v83, v136, v130
	v_bfe_i32 v184, v18, 8, 8
	v_mul_i32_i24_e32 v106, v52, v116
	v_bfe_i32 v192, v18, 16, 8
	v_mul_i32_i24_e32 v130, v118, v41
	v_add3_u32 v83, v83, v131, v84
	v_mul_i32_i24_e32 v131, v151, v123
	v_mul_lo_u32 v81, v25, v158
	v_mul_i32_i24_e32 v84, v19, v192
	v_mul_i32_i24_e32 v127, v46, v184
	v_add3_u32 v83, v83, v133, v134
	v_mad_i32_i24 v131, v226, v1, v131
	s_delay_alu instid0(VALU_DEP_2) | instskip(NEXT) | instid1(VALU_DEP_2)
	v_add3_u32 v83, v83, v135, v137
	v_add3_u32 v128, v131, v128, v129
	v_add_nc_u32_e32 v131, s20, v141
	s_delay_alu instid0(VALU_DEP_3) | instskip(SKIP_1) | instid1(VALU_DEP_1)
	v_add3_u32 v106, v83, v139, v106
	v_mul_i32_i24_e32 v83, v2, v55
	v_add3_u32 v83, v128, v130, v83
	s_delay_alu instid0(VALU_DEP_1) | instskip(NEXT) | instid1(VALU_DEP_4)
	v_add3_u32 v127, v83, v84, v127
	v_mad_u64_u32 v[83:84], null, v106, v15, v[81:82]
	v_lshrrev_b32_e32 v81, 16, v138
	s_delay_alu instid0(VALU_DEP_1) | instskip(NEXT) | instid1(VALU_DEP_3)
	v_cvt_f32_f16_e64 v186, v81
	v_cvt_f32_i32_e32 v81, v83
	v_cvt_f32_i32_e32 v83, v127
	s_delay_alu instid0(VALU_DEP_1) | instskip(NEXT) | instid1(VALU_DEP_1)
	v_mul_f32_e32 v83, v186, v83
	v_fma_mix_f32 v81, v138, v81, -v83 op_sel_hi:[1,0,0]
	s_delay_alu instid0(VALU_DEP_1)
	v_dual_fmac_f32 v20, v3, v81 :: v_dual_add_nc_u32 v81, s19, v140
	scratch_store_b32 off, v20, off offset:92 ; 4-byte Folded Spill
	ds_load_2addr_b32 v[83:84], v81 offset1:1
	s_waitcnt lgkmcnt(0)
	v_ashrrev_i32_e32 v106, s16, v83
	v_ashrrev_i32_e32 v126, s16, v84
	ds_load_2addr_b32 v[83:84], v81 offset0:2 offset1:3
	v_and_b32_e32 v188, 3, v106
	v_bfe_u32 v250, v106, 8, 2
	v_and_b32_e32 v9, 3, v126
	v_bfe_u32 v189, v106, 16, 2
	v_bfe_u32 v191, v106, 24, 2
	v_mul_i32_i24_e32 v135, v188, v5
	v_mul_i32_i24_e32 v136, v250, v85
	v_bfe_u32 v10, v126, 8, 2
	v_mul_i32_i24_e32 v137, v189, v86
	v_mul_i32_i24_e32 v106, v191, v87
	v_mad_i32_i24 v135, v9, v88, v135
	v_bfe_u32 v11, v126, 16, 2
	v_mul_i32_i24_e32 v139, v10, v89
	v_bfe_u32 v196, v126, 24, 2
	v_mov_b32_e32 v249, v10
	s_delay_alu instid0(VALU_DEP_4)
	v_mul_i32_i24_e32 v140, v11, v90
	s_waitcnt lgkmcnt(0)
	v_ashrrev_i32_e32 v127, s16, v83
	v_ashrrev_i32_e32 v128, s16, v84
	ds_load_2addr_b32 v[83:84], v81 offset0:4 offset1:5
	v_mul_i32_i24_e32 v126, v196, v91
	v_and_b32_e32 v12, 3, v127
	v_and_b32_e32 v16, 3, v128
	v_bfe_u32 v13, v127, 8, 2
	v_bfe_u32 v14, v127, 16, 2
	;; [unrolled: 1-line block ×3, first 2 shown]
	v_mul_i32_i24_e32 v141, v12, v92
	v_mul_i32_i24_e32 v144, v16, v96
	v_mul_i32_i24_e32 v142, v13, v93
	v_mul_i32_i24_e32 v143, v14, v94
	v_bfe_u32 v17, v128, 8, 2
	v_add3_u32 v135, v135, v141, v136
	v_mul_i32_i24_e32 v127, v200, v95
	v_bfe_u32 v78, v128, 16, 2
	v_bfe_u32 v20, v128, 24, 2
	v_mul_i32_i24_e32 v145, v17, v97
	v_add3_u32 v106, v135, v137, v106
	v_mov_b32_e32 v244, v14
	s_waitcnt lgkmcnt(0)
	v_ashrrev_i32_e32 v129, s16, v83
	v_ashrrev_i32_e32 v130, s16, v84
	ds_load_2addr_b32 v[83:84], v81 offset0:6 offset1:7
	scratch_load_b32 v81, off, off offset:120 ; 4-byte Folded Reload
	v_add3_u32 v106, v106, v144, v139
	v_mul_i32_i24_e32 v146, v78, v98
	v_mul_i32_i24_e32 v128, v20, v99
	v_and_b32_e32 v210, 3, v129
	v_bfe_u32 v24, v129, 8, 2
	v_add3_u32 v106, v106, v140, v126
	v_and_b32_e32 v248, 3, v130
	v_bfe_u32 v213, v129, 16, 2
	v_bfe_u32 v27, v129, 24, 2
	;; [unrolled: 1-line block ×3, first 2 shown]
	v_add3_u32 v106, v106, v142, v143
	v_bfe_u32 v26, v130, 16, 2
	v_bfe_u32 v29, v130, 24, 2
	v_mul_i32_i24_e32 v129, v27, v103
	v_mov_b32_e32 v246, v17
	v_add3_u32 v106, v106, v127, v145
	v_mul_i32_i24_e32 v127, v24, v101
	v_mul_i32_i24_e32 v135, v26, v107
	s_waitcnt lgkmcnt(0)
	v_ashrrev_i32_e32 v83, s16, v83
	v_ashrrev_i32_e32 v84, s16, v84
	v_add3_u32 v106, v106, v146, v128
	v_mul_i32_i24_e32 v128, v213, v102
	v_mul_i32_i24_e32 v130, v29, v108
	v_and_b32_e32 v214, 3, v83
	v_and_b32_e32 v32, 3, v84
	v_bfe_u32 v30, v83, 8, 2
	v_bfe_u32 v31, v83, 16, 2
	;; [unrolled: 1-line block ×3, first 2 shown]
	v_mul_i32_i24_e32 v136, v214, v109
	v_mul_i32_i24_e32 v140, v32, v113
	;; [unrolled: 1-line block ×4, first 2 shown]
	v_bfe_u32 v146, v84, 8, 2
	v_mul_i32_i24_e32 v83, v145, v112
	v_bfe_u32 v144, v84, 16, 2
	v_bfe_u32 v143, v84, 24, 2
	v_mov_b32_e32 v241, v13
	v_mul_i32_i24_e32 v141, v146, v114
	s_delay_alu instid0(VALU_DEP_4) | instskip(NEXT) | instid1(VALU_DEP_4)
	v_mul_i32_i24_e32 v142, v144, v115
	v_mul_i32_i24_e32 v84, v143, v116
	s_waitcnt vmcnt(0)
	v_add3_u32 v81, v81, s18, v105
	ds_load_b32 v131, v131
	ds_load_u16 v81, v81
	s_waitcnt lgkmcnt(0)
	v_lshrrev_b16 v134, 8, v81
	v_and_b32_e32 v208, 15, v81
	v_bfe_u32 v132, v81, 4, 4
	s_delay_alu instid0(VALU_DEP_2) | instskip(NEXT) | instid1(VALU_DEP_4)
	v_mul_lo_u32 v81, v106, v208
	v_and_b32_e32 v106, 0xffff, v134
	v_mul_i32_i24_e32 v134, v212, v104
	s_delay_alu instid0(VALU_DEP_4) | instskip(NEXT) | instid1(VALU_DEP_3)
	v_mul_lo_u32 v133, 0x1010101, v132
	v_lshrrev_b32_e32 v183, 4, v106
	v_and_b32_e32 v234, 15, v106
	s_delay_alu instid0(VALU_DEP_2) | instskip(NEXT) | instid1(VALU_DEP_4)
	v_mul_lo_u32 v126, 0x1010101, v183
	v_bfe_i32 v205, v133, 8, 8
	v_bfe_i32 v7, v133, 16, 8
	v_lshrrev_b32_e32 v133, 24, v133
	s_delay_alu instid0(VALU_DEP_2) | instskip(SKIP_4) | instid1(VALU_DEP_1)
	v_mov_b32_e32 v25, v7
	v_bfe_i32 v21, v126, 8, 8
	v_bfe_i32 v22, v126, 16, 8
	v_lshrrev_b32_e32 v23, 24, v126
	v_mul_i32_i24_e32 v126, v210, v100
	v_mad_i32_i24 v126, v248, v0, v126
	s_delay_alu instid0(VALU_DEP_1) | instskip(SKIP_1) | instid1(VALU_DEP_2)
	v_add3_u32 v126, v126, v136, v127
	v_mul_i32_i24_e32 v127, v46, v21
	v_add3_u32 v126, v126, v128, v129
	v_mul_i32_i24_e32 v128, v80, v133
	v_mul_i32_i24_e32 v129, v117, v7
	s_delay_alu instid0(VALU_DEP_3) | instskip(SKIP_1) | instid1(VALU_DEP_2)
	v_add3_u32 v126, v126, v140, v134
	v_mul_i32_i24_e32 v134, v132, v123
	v_add3_u32 v126, v126, v135, v130
	s_delay_alu instid0(VALU_DEP_2) | instskip(SKIP_1) | instid1(VALU_DEP_3)
	v_mad_i32_i24 v134, v183, v1, v134
	v_mul_i32_i24_e32 v130, v118, v205
	v_add3_u32 v126, v126, v137, v139
	s_delay_alu instid0(VALU_DEP_3) | instskip(NEXT) | instid1(VALU_DEP_2)
	v_add3_u32 v128, v134, v128, v129
	v_add3_u32 v83, v126, v83, v141
	s_delay_alu instid0(VALU_DEP_1) | instskip(SKIP_2) | instid1(VALU_DEP_2)
	v_add3_u32 v126, v83, v142, v84
	v_mul_i32_i24_e32 v83, v2, v23
	v_mul_i32_i24_e32 v84, v19, v22
	v_add3_u32 v83, v128, v130, v83
	s_delay_alu instid0(VALU_DEP_1) | instskip(SKIP_2) | instid1(VALU_DEP_1)
	v_add3_u32 v127, v83, v84, v127
	v_mad_u64_u32 v[83:84], null, v126, v234, v[81:82]
	v_lshrrev_b32_e32 v81, 16, v131
	v_cvt_f32_f16_e64 v162, v81
	s_delay_alu instid0(VALU_DEP_3) | instskip(SKIP_1) | instid1(VALU_DEP_1)
	v_cvt_f32_i32_e32 v81, v83
	v_cvt_f32_i32_e32 v83, v127
	v_mul_f32_e32 v83, v162, v83
	s_delay_alu instid0(VALU_DEP_1) | instskip(NEXT) | instid1(VALU_DEP_1)
	v_fma_mix_f32 v81, v131, v81, -v83 op_sel_hi:[1,0,0]
	v_dual_fmac_f32 v152, v3, v81 :: v_dual_add_nc_u32 v81, s19, v150
	scratch_store_b32 off, v152, off offset:88 ; 4-byte Folded Spill
	ds_load_2addr_b32 v[83:84], v81 offset1:1
	s_waitcnt lgkmcnt(0)
	v_ashrrev_i32_e32 v106, s16, v83
	v_ashrrev_i32_e32 v127, s16, v84
	ds_load_2addr_b32 v[83:84], v81 offset0:2 offset1:3
	v_bfe_u32 v163, v106, 8, 2
	v_bfe_u32 v164, v106, 16, 2
	;; [unrolled: 1-line block ×3, first 2 shown]
	v_and_b32_e32 v166, 3, v127
	v_bfe_u32 v129, v127, 16, 2
	v_bfe_u32 v170, v127, 24, 2
	v_mul_i32_i24_e32 v85, v163, v85
	v_mul_i32_i24_e32 v86, v164, v86
	;; [unrolled: 1-line block ×5, first 2 shown]
	s_waitcnt lgkmcnt(0)
	v_ashrrev_i32_e32 v128, s16, v83
	v_ashrrev_i32_e32 v139, s16, v84
	ds_load_2addr_b32 v[83:84], v81 offset0:4 offset1:5
	v_bfe_u32 v135, v128, 8, 2
	v_and_b32_e32 v171, 3, v139
	v_bfe_u32 v137, v128, 16, 2
	v_bfe_u32 v172, v128, 24, 2
	;; [unrolled: 1-line block ×3, first 2 shown]
	v_mul_i32_i24_e32 v93, v135, v93
	v_mul_i32_i24_e32 v96, v171, v96
	;; [unrolled: 1-line block ×5, first 2 shown]
	v_bfe_u32 v175, v139, 16, 2
	v_bfe_u32 v176, v139, 24, 2
	s_delay_alu instid0(VALU_DEP_2) | instskip(NEXT) | instid1(VALU_DEP_2)
	v_mul_i32_i24_e32 v98, v175, v98
	v_mul_i32_i24_e32 v99, v176, v99
	s_waitcnt lgkmcnt(0)
	v_ashrrev_i32_e32 v150, s16, v83
	v_ashrrev_i32_e32 v152, s16, v84
	ds_load_2addr_b32 v[83:84], v81 offset0:6 offset1:7
	scratch_load_b32 v81, off, off offset:116 ; 4-byte Folded Reload
	v_bfe_u32 v190, v150, 16, 2
	v_and_b32_e32 v6, 3, v150
	v_and_b32_e32 v180, 3, v152
	v_bfe_u32 v179, v150, 24, 2
	v_bfe_u32 v202, v152, 8, 2
	;; [unrolled: 1-line block ×3, first 2 shown]
	v_mov_b32_e32 v187, v6
	v_bfe_u32 v197, v152, 24, 2
	s_delay_alu instid0(VALU_DEP_2) | instskip(SKIP_4) | instid1(VALU_DEP_2)
	v_mov_b32_e32 v8, v187
	s_waitcnt lgkmcnt(0)
	v_ashrrev_i32_e32 v83, s16, v83
	v_ashrrev_i32_e32 v84, s16, v84
	s_add_i32 s16, s16, 2
	v_bfe_u32 v142, v83, 24, 2
	s_delay_alu instid0(VALU_DEP_2)
	v_bfe_u32 v204, v84, 8, 2
	s_waitcnt vmcnt(0)
	v_add3_u32 v81, v81, s18, v105
	v_add_nc_u32_e32 v105, s20, v153
	ds_load_b32 v126, v105
	ds_load_u16 v81, v81
	s_add_i32 s18, s13, s16
	s_delay_alu instid0(SALU_CYCLE_1) | instskip(NEXT) | instid1(SALU_CYCLE_1)
	s_add_i32 s18, s18, 8
	s_cmp_lt_u32 s18, s17
	s_waitcnt lgkmcnt(0)
	v_bfe_u32 v130, v81, 4, 4
	v_lshrrev_b16 v140, 8, v81
	v_and_b32_e32 v177, 15, v81
	s_delay_alu instid0(VALU_DEP_3) | instskip(NEXT) | instid1(VALU_DEP_1)
	v_mul_lo_u32 v105, 0x1010101, v130
	v_bfe_i32 v167, v105, 8, 8
	v_bfe_i32 v174, v105, 16, 8
	v_lshrrev_b32_e32 v160, 24, v105
	v_and_b32_e32 v105, 3, v106
	v_bfe_u32 v106, v127, 8, 2
	v_and_b32_e32 v127, 3, v128
	s_delay_alu instid0(VALU_DEP_3) | instskip(NEXT) | instid1(VALU_DEP_3)
	v_mul_i32_i24_e32 v141, v105, v5
	v_mul_i32_i24_e32 v89, v106, v89
	s_delay_alu instid0(VALU_DEP_3) | instskip(NEXT) | instid1(VALU_DEP_3)
	v_mul_i32_i24_e32 v92, v127, v92
	v_mad_i32_i24 v88, v166, v88, v141
	v_bfe_u32 v141, v84, 16, 2
	s_delay_alu instid0(VALU_DEP_2) | instskip(SKIP_2) | instid1(VALU_DEP_3)
	v_add3_u32 v85, v88, v92, v85
	v_mul_i32_i24_e32 v88, v190, v102
	v_mul_i32_i24_e32 v92, v197, v108
	v_add3_u32 v85, v85, v86, v87
	s_delay_alu instid0(VALU_DEP_1) | instskip(SKIP_1) | instid1(VALU_DEP_2)
	v_add3_u32 v85, v85, v96, v89
	v_mul_i32_i24_e32 v89, v179, v103
	v_add3_u32 v85, v85, v90, v91
	v_mul_i32_i24_e32 v90, v202, v104
	v_mul_i32_i24_e32 v91, v178, v107
	s_delay_alu instid0(VALU_DEP_3) | instskip(NEXT) | instid1(VALU_DEP_1)
	v_add3_u32 v85, v85, v93, v94
	v_add3_u32 v85, v85, v95, v97
	v_mul_i32_i24_e32 v97, v204, v114
	s_delay_alu instid0(VALU_DEP_2) | instskip(SKIP_1) | instid1(VALU_DEP_2)
	v_add3_u32 v85, v85, v98, v99
	v_mul_i32_i24_e32 v98, v141, v115
	v_mul_lo_u32 v81, v85, v177
	v_and_b32_e32 v85, 0xffff, v140
	v_bfe_u32 v140, v84, 24, 2
	s_delay_alu instid0(VALU_DEP_2) | instskip(SKIP_1) | instid1(VALU_DEP_2)
	v_lshrrev_b32_e32 v139, 4, v85
	v_and_b32_e32 v159, 15, v85
	v_mul_lo_u32 v86, 0x1010101, v139
	s_delay_alu instid0(VALU_DEP_1)
	v_bfe_i32 v5, v86, 8, 8
	v_bfe_i32 v207, v86, 16, 8
	v_lshrrev_b32_e32 v216, 24, v86
	v_mul_i32_i24_e32 v86, v6, v100
	v_bfe_u32 v6, v150, 8, 2
	v_and_b32_e32 v201, 3, v84
	v_mul_i32_i24_e32 v84, v140, v116
	s_delay_alu instid0(VALU_DEP_4) | instskip(NEXT) | instid1(VALU_DEP_4)
	v_mad_i32_i24 v0, v180, v0, v86
	v_mul_i32_i24_e32 v87, v6, v101
	v_mov_b32_e32 v206, v6
	v_and_b32_e32 v6, 3, v83
	v_mul_i32_i24_e32 v96, v201, v113
	v_mul_i32_i24_e32 v86, v130, v123
	s_delay_alu instid0(VALU_DEP_3) | instskip(SKIP_2) | instid1(VALU_DEP_4)
	v_mul_i32_i24_e32 v93, v6, v109
	v_mov_b32_e32 v194, v6
	v_bfe_u32 v6, v83, 8, 2
	v_mad_i32_i24 v1, v139, v1, v86
	s_delay_alu instid0(VALU_DEP_4) | instskip(NEXT) | instid1(VALU_DEP_3)
	v_add3_u32 v0, v0, v93, v87
	v_mul_i32_i24_e32 v94, v6, v110
	v_mov_b32_e32 v209, v6
	v_bfe_u32 v6, v83, 16, 2
	s_delay_alu instid0(VALU_DEP_4) | instskip(SKIP_1) | instid1(VALU_DEP_3)
	v_add3_u32 v0, v0, v88, v89
	v_mul_i32_i24_e32 v83, v142, v112
	v_mul_i32_i24_e32 v95, v6, v111
	s_delay_alu instid0(VALU_DEP_3) | instskip(SKIP_1) | instid1(VALU_DEP_2)
	v_add3_u32 v0, v0, v96, v90
	v_dual_mov_b32 v203, v6 :: v_dual_mov_b32 v6, v5
	v_add3_u32 v0, v0, v91, v92
	s_delay_alu instid0(VALU_DEP_2) | instskip(NEXT) | instid1(VALU_DEP_2)
	v_mov_b32_e32 v18, v203
	v_add3_u32 v0, v0, v94, v95
	s_delay_alu instid0(VALU_DEP_1) | instskip(NEXT) | instid1(VALU_DEP_1)
	v_add3_u32 v0, v0, v83, v97
	v_add3_u32 v83, v0, v98, v84
	v_mul_i32_i24_e32 v0, v2, v216
	v_mul_i32_i24_e32 v2, v19, v207
	;; [unrolled: 1-line block ×6, first 2 shown]
	s_delay_alu instid0(VALU_DEP_2) | instskip(NEXT) | instid1(VALU_DEP_1)
	v_add3_u32 v1, v1, v46, v80
	v_add3_u32 v0, v1, v84, v0
	s_delay_alu instid0(VALU_DEP_1) | instskip(SKIP_3) | instid1(VALU_DEP_2)
	v_add3_u32 v2, v0, v2, v19
	v_mad_u64_u32 v[0:1], null, v83, v159, v[81:82]
	v_lshrrev_b32_e32 v1, 16, v126
	v_mov_b32_e32 v82, v16
	v_cvt_f32_f16_e32 v5, v1
	v_cvt_f32_i32_e32 v1, v2
	v_cvt_f32_i32_e32 v0, v0
	s_delay_alu instid0(VALU_DEP_2) | instskip(NEXT) | instid1(VALU_DEP_1)
	v_mul_f32_e32 v1, v5, v1
	v_fma_mix_f32 v0, v126, v0, -v1 op_sel_hi:[1,0,0]
	s_delay_alu instid0(VALU_DEP_1)
	v_fmac_f32_e32 v156, v3, v0
	ds_load_b128 v[0:3], v124 offset:1024
	v_mov_b32_e32 v136, v156
	s_waitcnt lgkmcnt(0)
	v_bfe_i32 v19, v0, 0, 8
	v_bfe_i32 v46, v0, 8, 8
	v_bfe_i32 v80, v0, 16, 8
	v_ashrrev_i32_e32 v81, 24, v0
	v_bfe_i32 v83, v1, 0, 8
	v_bfe_i32 v84, v1, 8, 8
	v_bfe_i32 v85, v1, 16, 8
	v_ashrrev_i32_e32 v86, 24, v1
	;; [unrolled: 4-line block ×4, first 2 shown]
	ds_load_b128 v[0:3], v124 offset:1040
	v_mul_i32_i24_e32 v150, v85, v75
	v_mul_i32_i24_e32 v152, v86, v69
	s_waitcnt lgkmcnt(0)
	v_ashrrev_i32_e32 v98, 24, v0
	v_ashrrev_i32_e32 v102, 24, v1
	v_bfe_i32 v95, v0, 0, 8
	v_bfe_i32 v96, v0, 8, 8
	;; [unrolled: 1-line block ×4, first 2 shown]
	v_ashrrev_i32_e32 v108, 24, v2
	v_bfe_i32 v109, v3, 0, 8
	v_bfe_i32 v110, v3, 8, 8
	;; [unrolled: 1-line block ×3, first 2 shown]
	v_ashrrev_i32_e32 v3, 24, v3
	v_add_nc_u32_e32 v0, v102, v98
	v_bfe_i32 v100, v1, 8, 8
	v_bfe_i32 v107, v2, 16, 8
	;; [unrolled: 1-line block ×4, first 2 shown]
	v_add3_u32 v112, v0, v108, v3
	v_add_nc_u32_e32 v0, v101, v97
	v_bfe_i32 v103, v2, 0, 8
	v_mul_i32_i24_e32 v1, v80, v65
	v_mul_i32_i24_e32 v2, v81, v60
	;; [unrolled: 1-line block ×3, first 2 shown]
	v_add3_u32 v113, v0, v107, v111
	v_add_nc_u32_e32 v0, v100, v96
	s_delay_alu instid0(VALU_DEP_1) | instskip(SKIP_1) | instid1(VALU_DEP_1)
	v_add3_u32 v114, v0, v104, v110
	v_add_nc_u32_e32 v0, v99, v95
	v_add3_u32 v115, v0, v103, v109
	v_add_nc_u32_e32 v0, v86, v81
	s_delay_alu instid0(VALU_DEP_1) | instskip(SKIP_1) | instid1(VALU_DEP_1)
	v_add3_u32 v116, v0, v90, v94
	v_add_nc_u32_e32 v0, v85, v80
	v_add3_u32 v117, v0, v89, v93
	v_add_nc_u32_e32 v0, v84, v46
	s_delay_alu instid0(VALU_DEP_2) | instskip(NEXT) | instid1(VALU_DEP_2)
	v_mul_i32_i24_e32 v154, v117, v53
	v_add3_u32 v118, v0, v88, v92
	v_add_nc_u32_e32 v0, v83, v19
	s_delay_alu instid0(VALU_DEP_2) | instskip(NEXT) | instid1(VALU_DEP_2)
	v_mul_i32_i24_e32 v156, v118, v122
	v_add3_u32 v123, v0, v87, v91
	v_mul_i32_i24_e32 v0, v19, v63
	s_delay_alu instid0(VALU_DEP_2) | instskip(NEXT) | instid1(VALU_DEP_2)
	v_mul_i32_i24_e32 v128, v123, v195
	v_mad_i32_i24 v0, v46, v72, v0
	s_delay_alu instid0(VALU_DEP_2) | instskip(NEXT) | instid1(VALU_DEP_2)
	v_mad_i32_i24 v128, v116, v36, v128
	v_add3_u32 v0, v0, v1, v2
	v_mul_i32_i24_e32 v1, v83, v73
	v_mul_i32_i24_e32 v2, v84, v71
	s_delay_alu instid0(VALU_DEP_4) | instskip(SKIP_2) | instid1(VALU_DEP_4)
	v_add3_u32 v128, v128, v154, v156
	v_mul_i32_i24_e32 v156, v123, v151
	v_mul_i32_i24_e32 v154, v118, v41
	v_add3_u32 v0, v0, v1, v2
	v_mul_i32_i24_e32 v1, v87, v74
	v_mul_i32_i24_e32 v2, v88, v76
	v_mad_i32_i24 v156, v116, v181, v156
	s_delay_alu instid0(VALU_DEP_4) | instskip(SKIP_2) | instid1(VALU_DEP_3)
	v_add3_u32 v0, v0, v150, v152
	v_mul_i32_i24_e32 v150, v89, v77
	v_mul_i32_i24_e32 v152, v90, v121
	v_add3_u32 v0, v0, v1, v2
	v_mul_i32_i24_e32 v1, v91, v119
	v_mul_i32_i24_e32 v2, v92, v120
	s_delay_alu instid0(VALU_DEP_3) | instskip(SKIP_2) | instid1(VALU_DEP_3)
	v_add3_u32 v0, v0, v150, v152
	v_mul_i32_i24_e32 v150, v93, v61
	v_mul_i32_i24_e32 v152, v94, v64
	v_add3_u32 v0, v0, v1, v2
	v_mul_i32_i24_e32 v1, v95, v252
	v_mul_i32_i24_e32 v2, v97, v35
	s_delay_alu instid0(VALU_DEP_3) | instskip(SKIP_1) | instid1(VALU_DEP_4)
	v_add3_u32 v0, v0, v150, v152
	v_mul_i32_i24_e32 v150, v98, v42
	v_mad_i32_i24 v1, v96, v240, v1
	v_mul_i32_i24_e32 v152, v101, v38
	s_delay_alu instid0(VALU_DEP_4) | instskip(NEXT) | instid1(VALU_DEP_3)
	v_mul_lo_u32 v0, v0, v70
	v_add3_u32 v1, v1, v2, v150
	v_mul_i32_i24_e32 v2, v99, v59
	v_mul_i32_i24_e32 v150, v100, v253
	s_delay_alu instid0(VALU_DEP_1) | instskip(SKIP_2) | instid1(VALU_DEP_3)
	v_add3_u32 v1, v1, v2, v150
	v_mul_i32_i24_e32 v2, v103, v58
	v_mul_i32_i24_e32 v150, v104, v50
	v_add3_u32 v1, v1, v152, v153
	v_mul_i32_i24_e32 v152, v107, v56
	v_mul_i32_i24_e32 v153, v108, v44
	s_delay_alu instid0(VALU_DEP_3) | instskip(SKIP_2) | instid1(VALU_DEP_3)
	v_add3_u32 v1, v1, v2, v150
	v_mul_i32_i24_e32 v2, v109, v47
	v_mul_i32_i24_e32 v150, v110, v66
	v_add3_u32 v1, v1, v152, v153
	v_mul_i32_i24_e32 v152, v111, v68
	v_mul_i32_i24_e32 v153, v3, v43
	s_delay_alu instid0(VALU_DEP_3) | instskip(SKIP_1) | instid1(VALU_DEP_2)
	v_add3_u32 v1, v1, v2, v150
	v_mul_i32_i24_e32 v2, v113, v220
	v_add3_u32 v150, v1, v152, v153
	v_mul_i32_i24_e32 v1, v112, v221
	v_mul_i32_i24_e32 v153, v115, v57
	;; [unrolled: 1-line block ×3, first 2 shown]
	s_delay_alu instid0(VALU_DEP_2) | instskip(SKIP_1) | instid1(VALU_DEP_2)
	v_add3_u32 v1, v128, v153, v1
	v_mul_i32_i24_e32 v153, v117, v67
	v_add3_u32 v128, v1, v2, v152
	v_mad_u64_u32 v[1:2], null, v150, v37, v[0:1]
	v_mul_i32_i24_e32 v2, v81, v233
	v_mul_i32_i24_e32 v150, v86, v237
	;; [unrolled: 1-line block ×3, first 2 shown]
	v_add3_u32 v153, v156, v153, v154
	v_mul_i32_i24_e32 v156, v123, v132
	v_mul_i32_i24_e32 v154, v118, v205
	v_cvt_f32_i32_e32 v0, v1
	v_cvt_f32_i32_e32 v1, v128
	v_mul_i32_i24_e32 v128, v85, v235
	v_mad_i32_i24 v156, v116, v133, v156
	s_delay_alu instid0(VALU_DEP_3) | instskip(NEXT) | instid1(VALU_DEP_1)
	v_mul_f32_e32 v1, v39, v1
	v_fma_mix_f32 v0, v182, v0, -v1 op_sel_hi:[1,0,0]
	v_mul_i32_i24_e32 v1, v80, v231
	s_delay_alu instid0(VALU_DEP_2) | instskip(SKIP_1) | instid1(VALU_DEP_2)
	v_fmac_f32_e32 v229, v4, v0
	v_mul_i32_i24_e32 v0, v19, v222
	v_mov_b32_e32 v230, v229
	s_delay_alu instid0(VALU_DEP_2) | instskip(NEXT) | instid1(VALU_DEP_1)
	v_mad_i32_i24 v0, v46, v54, v0
	v_add3_u32 v0, v0, v1, v2
	v_mul_i32_i24_e32 v1, v83, v232
	v_mul_i32_i24_e32 v2, v84, v79
	s_delay_alu instid0(VALU_DEP_1) | instskip(SKIP_2) | instid1(VALU_DEP_3)
	v_add3_u32 v0, v0, v1, v2
	v_mul_i32_i24_e32 v1, v87, v236
	v_mul_i32_i24_e32 v2, v88, v238
	v_add3_u32 v0, v0, v128, v150
	v_mul_i32_i24_e32 v128, v89, v28
	v_mul_i32_i24_e32 v150, v90, v148
	s_delay_alu instid0(VALU_DEP_3) | instskip(SKIP_2) | instid1(VALU_DEP_3)
	v_add3_u32 v0, v0, v1, v2
	v_mul_i32_i24_e32 v1, v91, v147
	v_mul_i32_i24_e32 v2, v92, v149
	v_add3_u32 v0, v0, v128, v150
	v_mul_i32_i24_e32 v128, v93, v155
	v_mul_i32_i24_e32 v150, v94, v157
	s_delay_alu instid0(VALU_DEP_3) | instskip(SKIP_2) | instid1(VALU_DEP_3)
	v_add3_u32 v0, v0, v1, v2
	v_mul_i32_i24_e32 v1, v95, v165
	v_mul_i32_i24_e32 v2, v97, v169
	v_add3_u32 v0, v0, v128, v150
	v_mul_i32_i24_e32 v128, v98, v193
	s_delay_alu instid0(VALU_DEP_4) | instskip(SKIP_1) | instid1(VALU_DEP_4)
	v_mad_i32_i24 v1, v96, v161, v1
	v_mul_i32_i24_e32 v150, v101, v198
	v_mul_lo_u32 v0, v0, v158
	s_delay_alu instid0(VALU_DEP_3) | instskip(SKIP_2) | instid1(VALU_DEP_1)
	v_add3_u32 v1, v1, v2, v128
	v_mul_i32_i24_e32 v2, v99, v62
	v_mul_i32_i24_e32 v128, v100, v185
	v_add3_u32 v1, v1, v2, v128
	v_mul_i32_i24_e32 v2, v103, v199
	v_mul_i32_i24_e32 v128, v104, v215
	s_delay_alu instid0(VALU_DEP_3) | instskip(SKIP_2) | instid1(VALU_DEP_3)
	v_add3_u32 v1, v1, v150, v152
	v_mul_i32_i24_e32 v150, v107, v218
	v_mul_i32_i24_e32 v152, v108, v48
	v_add3_u32 v1, v1, v2, v128
	v_mul_i32_i24_e32 v2, v109, v45
	v_mul_i32_i24_e32 v128, v110, v49
	s_delay_alu instid0(VALU_DEP_3) | instskip(SKIP_2) | instid1(VALU_DEP_3)
	v_add3_u32 v1, v1, v150, v152
	v_mul_i32_i24_e32 v150, v111, v51
	v_mul_i32_i24_e32 v152, v3, v52
	v_add3_u32 v1, v1, v2, v128
	v_mul_i32_i24_e32 v2, v113, v192
	s_delay_alu instid0(VALU_DEP_2) | instskip(SKIP_3) | instid1(VALU_DEP_2)
	v_add3_u32 v128, v1, v150, v152
	v_mul_i32_i24_e32 v1, v112, v55
	v_mul_i32_i24_e32 v152, v115, v226
	;; [unrolled: 1-line block ×3, first 2 shown]
	v_add3_u32 v1, v153, v152, v1
	v_mul_i32_i24_e32 v152, v102, v29
	v_mul_i32_i24_e32 v153, v117, v7
	s_delay_alu instid0(VALU_DEP_3) | instskip(SKIP_4) | instid1(VALU_DEP_4)
	v_add3_u32 v150, v1, v2, v150
	v_mad_u64_u32 v[1:2], null, v128, v15, v[0:1]
	v_mul_i32_i24_e32 v2, v81, v191
	v_mul_i32_i24_e32 v128, v85, v11
	v_add3_u32 v153, v156, v153, v154
	v_cvt_f32_i32_e32 v0, v1
	v_cvt_f32_i32_e32 v1, v150
	v_mul_i32_i24_e32 v150, v86, v196
	s_delay_alu instid0(VALU_DEP_2) | instskip(NEXT) | instid1(VALU_DEP_1)
	v_mul_f32_e32 v1, v186, v1
	v_fma_mix_f32 v0, v138, v0, -v1 op_sel_hi:[1,0,0]
	v_mul_i32_i24_e32 v1, v80, v189
	s_delay_alu instid0(VALU_DEP_2) | instskip(SKIP_1) | instid1(VALU_DEP_2)
	v_fmac_f32_e32 v228, v4, v0
	v_mul_i32_i24_e32 v0, v19, v188
	v_mov_b32_e32 v229, v228
	s_delay_alu instid0(VALU_DEP_2) | instskip(NEXT) | instid1(VALU_DEP_1)
	v_mad_i32_i24 v0, v46, v250, v0
	v_add3_u32 v0, v0, v1, v2
	v_mul_i32_i24_e32 v1, v83, v9
	v_mul_i32_i24_e32 v2, v84, v10
	s_delay_alu instid0(VALU_DEP_1) | instskip(SKIP_2) | instid1(VALU_DEP_3)
	v_add3_u32 v0, v0, v1, v2
	v_mul_i32_i24_e32 v1, v87, v12
	v_mul_i32_i24_e32 v2, v88, v13
	v_add3_u32 v0, v0, v128, v150
	v_mul_i32_i24_e32 v128, v89, v14
	v_mul_i32_i24_e32 v150, v90, v200
	s_delay_alu instid0(VALU_DEP_3) | instskip(SKIP_2) | instid1(VALU_DEP_3)
	v_add3_u32 v0, v0, v1, v2
	v_mul_i32_i24_e32 v1, v91, v16
	v_mul_i32_i24_e32 v2, v92, v17
	v_add3_u32 v0, v0, v128, v150
	v_mul_i32_i24_e32 v128, v93, v78
	v_mul_i32_i24_e32 v150, v94, v20
	s_delay_alu instid0(VALU_DEP_3) | instskip(SKIP_2) | instid1(VALU_DEP_3)
	v_add3_u32 v0, v0, v1, v2
	v_mul_i32_i24_e32 v1, v95, v210
	v_mul_i32_i24_e32 v2, v97, v213
	v_add3_u32 v0, v0, v128, v150
	v_mul_i32_i24_e32 v128, v98, v27
	s_delay_alu instid0(VALU_DEP_4) | instskip(SKIP_1) | instid1(VALU_DEP_4)
	v_mad_i32_i24 v1, v96, v24, v1
	v_mul_i32_i24_e32 v150, v101, v26
	v_mul_lo_u32 v0, v0, v208
	s_delay_alu instid0(VALU_DEP_3) | instskip(SKIP_2) | instid1(VALU_DEP_1)
	v_add3_u32 v1, v1, v2, v128
	v_mul_i32_i24_e32 v2, v99, v248
	v_mul_i32_i24_e32 v128, v100, v212
	v_add3_u32 v1, v1, v2, v128
	v_mul_i32_i24_e32 v2, v103, v214
	v_mul_i32_i24_e32 v128, v104, v30
	s_delay_alu instid0(VALU_DEP_3) | instskip(SKIP_2) | instid1(VALU_DEP_3)
	v_add3_u32 v1, v1, v150, v152
	v_mul_i32_i24_e32 v150, v107, v31
	v_mul_i32_i24_e32 v152, v108, v145
	v_add3_u32 v1, v1, v2, v128
	v_mul_i32_i24_e32 v2, v109, v32
	v_mul_i32_i24_e32 v128, v110, v146
	s_delay_alu instid0(VALU_DEP_3) | instskip(SKIP_3) | instid1(VALU_DEP_4)
	v_add3_u32 v1, v1, v150, v152
	v_mul_i32_i24_e32 v150, v111, v144
	v_mul_i32_i24_e32 v152, v3, v143
	;; [unrolled: 1-line block ×3, first 2 shown]
	v_add3_u32 v1, v1, v2, v128
	v_mul_i32_i24_e32 v2, v113, v22
	s_delay_alu instid0(VALU_DEP_2) | instskip(SKIP_3) | instid1(VALU_DEP_2)
	v_add3_u32 v128, v1, v150, v152
	v_mul_i32_i24_e32 v1, v112, v23
	v_mul_i32_i24_e32 v152, v115, v183
	;; [unrolled: 1-line block ×3, first 2 shown]
	v_add3_u32 v1, v153, v152, v1
	s_delay_alu instid0(VALU_DEP_1) | instskip(SKIP_3) | instid1(VALU_DEP_3)
	v_add3_u32 v150, v1, v2, v150
	v_mad_u64_u32 v[1:2], null, v128, v234, v[0:1]
	v_mul_i32_i24_e32 v2, v81, v168
	v_mul_i32_i24_e32 v81, v118, v167
	v_cvt_f32_i32_e32 v0, v1
	v_cvt_f32_i32_e32 v1, v150
	s_delay_alu instid0(VALU_DEP_1) | instskip(NEXT) | instid1(VALU_DEP_1)
	v_mul_f32_e32 v1, v162, v1
	v_fma_mix_f32 v0, v131, v0, -v1 op_sel_hi:[1,0,0]
	v_mul_i32_i24_e32 v1, v80, v164
	v_mul_i32_i24_e32 v80, v102, v197
	s_delay_alu instid0(VALU_DEP_3) | instskip(SKIP_2) | instid1(VALU_DEP_3)
	v_fmac_f32_e32 v227, v4, v0
	v_mul_i32_i24_e32 v0, v19, v105
	v_mul_i32_i24_e32 v19, v85, v129
	v_mov_b32_e32 v228, v227
	s_delay_alu instid0(VALU_DEP_3) | instskip(SKIP_1) | instid1(VALU_DEP_2)
	v_mad_i32_i24 v0, v46, v163, v0
	v_mul_i32_i24_e32 v46, v86, v170
	v_add3_u32 v0, v0, v1, v2
	v_mul_i32_i24_e32 v1, v83, v166
	v_mul_i32_i24_e32 v2, v84, v106
	;; [unrolled: 1-line block ×3, first 2 shown]
	s_delay_alu instid0(VALU_DEP_2) | instskip(SKIP_2) | instid1(VALU_DEP_4)
	v_add3_u32 v0, v0, v1, v2
	v_mul_i32_i24_e32 v1, v87, v127
	v_mul_i32_i24_e32 v2, v88, v135
	v_mad_i32_i24 v83, v116, v160, v83
	s_delay_alu instid0(VALU_DEP_4) | instskip(SKIP_2) | instid1(VALU_DEP_3)
	v_add3_u32 v0, v0, v19, v46
	v_mul_i32_i24_e32 v19, v89, v137
	v_mul_i32_i24_e32 v46, v90, v172
	v_add3_u32 v0, v0, v1, v2
	v_mul_i32_i24_e32 v1, v91, v171
	v_mul_i32_i24_e32 v2, v92, v173
	s_delay_alu instid0(VALU_DEP_3) | instskip(SKIP_2) | instid1(VALU_DEP_3)
	v_add3_u32 v0, v0, v19, v46
	v_mul_i32_i24_e32 v19, v93, v175
	v_mul_i32_i24_e32 v46, v94, v176
	v_add3_u32 v0, v0, v1, v2
	v_mul_i32_i24_e32 v1, v95, v187
	v_mul_i32_i24_e32 v2, v97, v190
	s_delay_alu instid0(VALU_DEP_3) | instskip(SKIP_1) | instid1(VALU_DEP_4)
	v_add3_u32 v0, v0, v19, v46
	v_mul_i32_i24_e32 v19, v98, v179
	v_mad_i32_i24 v1, v96, v206, v1
	v_mul_i32_i24_e32 v46, v101, v178
	s_delay_alu instid0(VALU_DEP_4) | instskip(NEXT) | instid1(VALU_DEP_3)
	v_mul_lo_u32 v0, v0, v177
	v_add3_u32 v1, v1, v2, v19
	v_mul_i32_i24_e32 v2, v99, v180
	v_mul_i32_i24_e32 v19, v100, v202
	s_delay_alu instid0(VALU_DEP_1) | instskip(SKIP_2) | instid1(VALU_DEP_3)
	v_add3_u32 v1, v1, v2, v19
	v_mul_i32_i24_e32 v2, v103, v194
	v_mul_i32_i24_e32 v19, v104, v209
	v_add3_u32 v1, v1, v46, v80
	v_mul_i32_i24_e32 v46, v107, v203
	v_mul_i32_i24_e32 v80, v108, v142
	s_delay_alu instid0(VALU_DEP_3) | instskip(SKIP_2) | instid1(VALU_DEP_3)
	v_add3_u32 v1, v1, v2, v19
	v_mul_i32_i24_e32 v2, v109, v201
	v_mul_i32_i24_e32 v19, v110, v204
	v_add3_u32 v1, v1, v46, v80
	v_mul_i32_i24_e32 v46, v111, v141
	v_mul_i32_i24_e32 v80, v117, v174
	s_delay_alu instid0(VALU_DEP_3) | instskip(SKIP_1) | instid1(VALU_DEP_3)
	v_add3_u32 v1, v1, v2, v19
	v_mul_i32_i24_e32 v2, v113, v207
	v_add3_u32 v80, v83, v80, v81
	v_mul_i32_i24_e32 v19, v114, v6
	s_delay_alu instid0(VALU_DEP_4) | instskip(SKIP_2) | instid1(VALU_DEP_1)
	v_add3_u32 v3, v1, v46, v3
	v_mul_i32_i24_e32 v1, v112, v216
	v_mul_i32_i24_e32 v46, v115, v139
	v_add3_u32 v1, v80, v46, v1
	s_delay_alu instid0(VALU_DEP_1) | instskip(SKIP_1) | instid1(VALU_DEP_1)
	v_add3_u32 v19, v1, v2, v19
	v_mad_u64_u32 v[1:2], null, v3, v159, v[0:1]
	v_cvt_f32_i32_e32 v0, v1
	s_delay_alu instid0(VALU_DEP_3) | instskip(NEXT) | instid1(VALU_DEP_1)
	v_cvt_f32_i32_e32 v1, v19
	v_mul_f32_e32 v1, v5, v1
	s_delay_alu instid0(VALU_DEP_1) | instskip(NEXT) | instid1(VALU_DEP_1)
	v_fma_mix_f32 v0, v126, v0, -v1 op_sel_hi:[1,0,0]
	v_fmac_f32_e32 v225, v4, v0
	ds_load_2addr_b32 v[3:4], v125 offset0:64 offset1:96
	ds_load_b128 v[83:86], v124 offset:2048
	v_mov_b32_e32 v227, v225
	s_waitcnt lgkmcnt(0)
	v_bfe_i32 v19, v83, 0, 8
	v_bfe_i32 v46, v83, 8, 8
	v_bfe_i32 v80, v83, 16, 8
	v_ashrrev_i32_e32 v81, 24, v83
	v_bfe_i32 v87, v84, 0, 8
	v_bfe_i32 v88, v84, 8, 8
	v_bfe_i32 v89, v84, 16, 8
	v_ashrrev_i32_e32 v90, 24, v84
	v_bfe_i32 v91, v85, 0, 8
	v_bfe_i32 v92, v85, 8, 8
	v_bfe_i32 v93, v85, 16, 8
	v_ashrrev_i32_e32 v94, 24, v85
	v_bfe_i32 v95, v86, 0, 8
	v_bfe_i32 v96, v86, 8, 8
	v_bfe_i32 v97, v86, 16, 8
	v_ashrrev_i32_e32 v98, 24, v86
	ds_load_b128 v[83:86], v124 offset:2064
	v_mul_i32_i24_e32 v1, v80, v65
	v_mul_i32_i24_e32 v2, v81, v60
	;; [unrolled: 1-line block ×4, first 2 shown]
	s_waitcnt lgkmcnt(0)
	v_bfe_i32 v99, v83, 0, 8
	v_bfe_i32 v100, v83, 8, 8
	v_bfe_i32 v101, v83, 16, 8
	v_ashrrev_i32_e32 v83, 24, v83
	v_bfe_i32 v102, v84, 0, 8
	v_bfe_i32 v103, v84, 8, 8
	v_bfe_i32 v104, v84, 16, 8
	v_ashrrev_i32_e32 v84, 24, v84
	;; [unrolled: 4-line block ×4, first 2 shown]
	v_add_nc_u32_e32 v0, v84, v83
	v_mul_i32_i24_e32 v153, v84, v40
	s_delay_alu instid0(VALU_DEP_2) | instskip(SKIP_1) | instid1(VALU_DEP_1)
	v_add3_u32 v113, v0, v85, v86
	v_add_nc_u32_e32 v0, v104, v101
	v_add3_u32 v114, v0, v109, v112
	v_add_nc_u32_e32 v0, v103, v100
	s_delay_alu instid0(VALU_DEP_1) | instskip(SKIP_1) | instid1(VALU_DEP_1)
	v_add3_u32 v115, v0, v108, v111
	v_add_nc_u32_e32 v0, v102, v99
	v_add3_u32 v116, v0, v107, v110
	v_add_nc_u32_e32 v0, v90, v81
	s_delay_alu instid0(VALU_DEP_1) | instskip(SKIP_1) | instid1(VALU_DEP_1)
	v_add3_u32 v117, v0, v94, v98
	v_add_nc_u32_e32 v0, v89, v80
	v_add3_u32 v118, v0, v93, v97
	v_add_nc_u32_e32 v0, v88, v46
	s_delay_alu instid0(VALU_DEP_2) | instskip(NEXT) | instid1(VALU_DEP_2)
	v_mul_i32_i24_e32 v154, v118, v53
	v_add3_u32 v123, v0, v92, v96
	v_add_nc_u32_e32 v0, v87, v19
	s_delay_alu instid0(VALU_DEP_2) | instskip(NEXT) | instid1(VALU_DEP_2)
	v_mul_i32_i24_e32 v156, v123, v122
	v_add3_u32 v128, v0, v91, v95
	v_mul_i32_i24_e32 v0, v19, v63
	s_delay_alu instid0(VALU_DEP_2) | instskip(NEXT) | instid1(VALU_DEP_2)
	v_mul_i32_i24_e32 v134, v128, v195
	v_mad_i32_i24 v0, v46, v72, v0
	s_delay_alu instid0(VALU_DEP_2) | instskip(NEXT) | instid1(VALU_DEP_2)
	v_mad_i32_i24 v134, v117, v36, v134
	v_add3_u32 v0, v0, v1, v2
	v_mul_i32_i24_e32 v1, v87, v73
	v_mul_i32_i24_e32 v2, v88, v71
	s_delay_alu instid0(VALU_DEP_4) | instskip(SKIP_2) | instid1(VALU_DEP_4)
	v_add3_u32 v134, v134, v154, v156
	v_mul_i32_i24_e32 v156, v128, v151
	v_mul_i32_i24_e32 v154, v123, v41
	v_add3_u32 v0, v0, v1, v2
	v_mul_i32_i24_e32 v1, v91, v74
	v_mul_i32_i24_e32 v2, v92, v76
	v_mad_i32_i24 v156, v117, v181, v156
	s_delay_alu instid0(VALU_DEP_4) | instskip(SKIP_2) | instid1(VALU_DEP_3)
	v_add3_u32 v0, v0, v150, v152
	v_mul_i32_i24_e32 v150, v93, v77
	v_mul_i32_i24_e32 v152, v94, v121
	v_add3_u32 v0, v0, v1, v2
	v_mul_i32_i24_e32 v1, v95, v119
	v_mul_i32_i24_e32 v2, v96, v120
	s_delay_alu instid0(VALU_DEP_3) | instskip(SKIP_2) | instid1(VALU_DEP_3)
	v_add3_u32 v0, v0, v150, v152
	v_mul_i32_i24_e32 v150, v97, v61
	v_mul_i32_i24_e32 v152, v98, v64
	v_add3_u32 v0, v0, v1, v2
	v_mul_i32_i24_e32 v1, v99, v252
	v_mul_i32_i24_e32 v2, v101, v35
	s_delay_alu instid0(VALU_DEP_3) | instskip(SKIP_1) | instid1(VALU_DEP_4)
	v_add3_u32 v0, v0, v150, v152
	v_mul_i32_i24_e32 v150, v83, v42
	v_mad_i32_i24 v1, v100, v240, v1
	v_mul_i32_i24_e32 v152, v104, v38
	s_delay_alu instid0(VALU_DEP_4) | instskip(NEXT) | instid1(VALU_DEP_3)
	v_mul_lo_u32 v0, v0, v70
	v_add3_u32 v1, v1, v2, v150
	v_mul_i32_i24_e32 v2, v102, v59
	v_mul_i32_i24_e32 v150, v103, v253
	s_delay_alu instid0(VALU_DEP_1) | instskip(SKIP_2) | instid1(VALU_DEP_3)
	v_add3_u32 v1, v1, v2, v150
	v_mul_i32_i24_e32 v2, v107, v58
	v_mul_i32_i24_e32 v150, v108, v50
	v_add3_u32 v1, v1, v152, v153
	v_mul_i32_i24_e32 v152, v109, v56
	v_mul_i32_i24_e32 v153, v85, v44
	s_delay_alu instid0(VALU_DEP_3) | instskip(SKIP_2) | instid1(VALU_DEP_3)
	v_add3_u32 v1, v1, v2, v150
	v_mul_i32_i24_e32 v2, v110, v47
	v_mul_i32_i24_e32 v150, v111, v66
	v_add3_u32 v1, v1, v152, v153
	v_mul_i32_i24_e32 v152, v112, v68
	v_mul_i32_i24_e32 v153, v86, v43
	s_delay_alu instid0(VALU_DEP_3) | instskip(SKIP_1) | instid1(VALU_DEP_2)
	v_add3_u32 v1, v1, v2, v150
	v_mul_i32_i24_e32 v2, v114, v220
	v_add3_u32 v150, v1, v152, v153
	v_mul_i32_i24_e32 v1, v113, v221
	v_mul_i32_i24_e32 v153, v116, v57
	;; [unrolled: 1-line block ×3, first 2 shown]
	s_delay_alu instid0(VALU_DEP_2) | instskip(SKIP_1) | instid1(VALU_DEP_2)
	v_add3_u32 v1, v134, v153, v1
	v_mul_i32_i24_e32 v153, v118, v67
	v_add3_u32 v134, v1, v2, v152
	v_mad_u64_u32 v[1:2], null, v150, v37, v[0:1]
	v_mul_i32_i24_e32 v2, v81, v233
	v_mul_i32_i24_e32 v150, v90, v237
	;; [unrolled: 1-line block ×3, first 2 shown]
	v_add3_u32 v153, v156, v153, v154
	v_mul_i32_i24_e32 v156, v128, v132
	v_mul_i32_i24_e32 v154, v123, v205
	v_cvt_f32_i32_e32 v0, v1
	v_cvt_f32_i32_e32 v1, v134
	v_mul_i32_i24_e32 v134, v89, v235
	v_mad_i32_i24 v156, v117, v133, v156
	s_delay_alu instid0(VALU_DEP_3) | instskip(SKIP_1) | instid1(VALU_DEP_2)
	v_mul_f32_e32 v1, v39, v1
	v_mov_b32_e32 v239, v12
	v_fma_mix_f32 v0, v182, v0, -v1 op_sel_hi:[1,0,0]
	v_mul_i32_i24_e32 v1, v80, v231
	s_delay_alu instid0(VALU_DEP_2) | instskip(SKIP_1) | instid1(VALU_DEP_2)
	v_fmac_f32_e32 v224, v3, v0
	v_mul_i32_i24_e32 v0, v19, v222
	v_mov_b32_e32 v225, v224
	s_delay_alu instid0(VALU_DEP_2) | instskip(NEXT) | instid1(VALU_DEP_1)
	v_mad_i32_i24 v0, v46, v54, v0
	v_add3_u32 v0, v0, v1, v2
	v_mul_i32_i24_e32 v1, v87, v232
	v_mul_i32_i24_e32 v2, v88, v79
	s_delay_alu instid0(VALU_DEP_1) | instskip(SKIP_2) | instid1(VALU_DEP_3)
	v_add3_u32 v0, v0, v1, v2
	v_mul_i32_i24_e32 v1, v91, v236
	v_mul_i32_i24_e32 v2, v92, v238
	v_add3_u32 v0, v0, v134, v150
	v_mul_i32_i24_e32 v134, v93, v28
	v_mul_i32_i24_e32 v150, v94, v148
	s_delay_alu instid0(VALU_DEP_3) | instskip(SKIP_2) | instid1(VALU_DEP_3)
	v_add3_u32 v0, v0, v1, v2
	v_mul_i32_i24_e32 v1, v95, v147
	v_mul_i32_i24_e32 v2, v96, v149
	v_add3_u32 v0, v0, v134, v150
	v_mul_i32_i24_e32 v134, v97, v155
	v_mul_i32_i24_e32 v150, v98, v157
	s_delay_alu instid0(VALU_DEP_3) | instskip(SKIP_2) | instid1(VALU_DEP_3)
	v_add3_u32 v0, v0, v1, v2
	v_mul_i32_i24_e32 v1, v99, v165
	v_mul_i32_i24_e32 v2, v101, v169
	v_add3_u32 v0, v0, v134, v150
	v_mul_i32_i24_e32 v134, v83, v193
	s_delay_alu instid0(VALU_DEP_4) | instskip(SKIP_1) | instid1(VALU_DEP_4)
	v_mad_i32_i24 v1, v100, v161, v1
	v_mul_i32_i24_e32 v150, v104, v198
	v_mul_lo_u32 v0, v0, v158
	s_delay_alu instid0(VALU_DEP_3) | instskip(SKIP_2) | instid1(VALU_DEP_1)
	v_add3_u32 v1, v1, v2, v134
	v_mul_i32_i24_e32 v2, v102, v62
	v_mul_i32_i24_e32 v134, v103, v185
	v_add3_u32 v1, v1, v2, v134
	v_mul_i32_i24_e32 v2, v107, v199
	v_mul_i32_i24_e32 v134, v108, v215
	s_delay_alu instid0(VALU_DEP_3) | instskip(SKIP_2) | instid1(VALU_DEP_3)
	v_add3_u32 v1, v1, v150, v152
	v_mul_i32_i24_e32 v150, v109, v218
	v_mul_i32_i24_e32 v152, v85, v48
	v_add3_u32 v1, v1, v2, v134
	v_mul_i32_i24_e32 v2, v110, v45
	v_mul_i32_i24_e32 v134, v111, v49
	s_delay_alu instid0(VALU_DEP_3) | instskip(SKIP_2) | instid1(VALU_DEP_3)
	v_add3_u32 v1, v1, v150, v152
	v_mul_i32_i24_e32 v150, v112, v51
	v_mul_i32_i24_e32 v152, v86, v52
	v_add3_u32 v1, v1, v2, v134
	v_mul_i32_i24_e32 v2, v114, v192
	s_delay_alu instid0(VALU_DEP_2) | instskip(SKIP_3) | instid1(VALU_DEP_2)
	v_add3_u32 v134, v1, v150, v152
	v_mul_i32_i24_e32 v1, v113, v55
	v_mul_i32_i24_e32 v152, v116, v226
	;; [unrolled: 1-line block ×3, first 2 shown]
	v_add3_u32 v1, v153, v152, v1
	v_mul_i32_i24_e32 v152, v84, v29
	v_mul_i32_i24_e32 v153, v118, v7
	s_delay_alu instid0(VALU_DEP_3) | instskip(SKIP_4) | instid1(VALU_DEP_4)
	v_add3_u32 v150, v1, v2, v150
	v_mad_u64_u32 v[1:2], null, v134, v15, v[0:1]
	v_mul_i32_i24_e32 v2, v81, v191
	v_mul_i32_i24_e32 v134, v89, v11
	v_add3_u32 v153, v156, v153, v154
	v_cvt_f32_i32_e32 v0, v1
	v_cvt_f32_i32_e32 v1, v150
	v_mul_i32_i24_e32 v150, v90, v196
	s_delay_alu instid0(VALU_DEP_2) | instskip(NEXT) | instid1(VALU_DEP_1)
	v_mul_f32_e32 v1, v186, v1
	v_fma_mix_f32 v0, v138, v0, -v1 op_sel_hi:[1,0,0]
	v_mul_i32_i24_e32 v1, v80, v189
	s_delay_alu instid0(VALU_DEP_2) | instskip(SKIP_1) | instid1(VALU_DEP_2)
	v_fmac_f32_e32 v223, v3, v0
	v_mul_i32_i24_e32 v0, v19, v188
	v_mov_b32_e32 v224, v223
	s_delay_alu instid0(VALU_DEP_2) | instskip(SKIP_1) | instid1(VALU_DEP_2)
	v_mad_i32_i24 v0, v46, v250, v0
	v_mov_b32_e32 v223, v11
	v_add3_u32 v0, v0, v1, v2
	v_mul_i32_i24_e32 v1, v87, v9
	v_mul_i32_i24_e32 v2, v88, v10
	s_delay_alu instid0(VALU_DEP_1) | instskip(SKIP_2) | instid1(VALU_DEP_3)
	v_add3_u32 v0, v0, v1, v2
	v_mul_i32_i24_e32 v1, v91, v12
	v_mul_i32_i24_e32 v2, v92, v13
	v_add3_u32 v0, v0, v134, v150
	v_mul_i32_i24_e32 v134, v93, v14
	v_mul_i32_i24_e32 v150, v94, v200
	s_delay_alu instid0(VALU_DEP_3) | instskip(SKIP_2) | instid1(VALU_DEP_3)
	v_add3_u32 v0, v0, v1, v2
	v_mul_i32_i24_e32 v1, v95, v16
	v_mul_i32_i24_e32 v2, v96, v17
	v_add3_u32 v0, v0, v134, v150
	v_mul_i32_i24_e32 v134, v97, v78
	v_mul_i32_i24_e32 v150, v98, v20
	s_delay_alu instid0(VALU_DEP_3) | instskip(SKIP_2) | instid1(VALU_DEP_3)
	v_add3_u32 v0, v0, v1, v2
	v_mul_i32_i24_e32 v1, v99, v210
	v_mul_i32_i24_e32 v2, v101, v213
	v_add3_u32 v0, v0, v134, v150
	v_mul_i32_i24_e32 v134, v83, v27
	s_delay_alu instid0(VALU_DEP_4) | instskip(SKIP_1) | instid1(VALU_DEP_4)
	v_mad_i32_i24 v1, v100, v24, v1
	v_mul_i32_i24_e32 v150, v104, v26
	v_mul_lo_u32 v0, v0, v208
	s_delay_alu instid0(VALU_DEP_3) | instskip(SKIP_2) | instid1(VALU_DEP_1)
	v_add3_u32 v1, v1, v2, v134
	v_mul_i32_i24_e32 v2, v102, v248
	v_mul_i32_i24_e32 v134, v103, v212
	v_add3_u32 v1, v1, v2, v134
	v_mul_i32_i24_e32 v2, v107, v214
	v_mul_i32_i24_e32 v134, v108, v30
	s_delay_alu instid0(VALU_DEP_3) | instskip(SKIP_2) | instid1(VALU_DEP_3)
	v_add3_u32 v1, v1, v150, v152
	v_mul_i32_i24_e32 v150, v109, v31
	v_mul_i32_i24_e32 v152, v85, v145
	v_add3_u32 v1, v1, v2, v134
	v_mul_i32_i24_e32 v2, v110, v32
	v_mul_i32_i24_e32 v134, v111, v146
	s_delay_alu instid0(VALU_DEP_3) | instskip(SKIP_2) | instid1(VALU_DEP_3)
	v_add3_u32 v1, v1, v150, v152
	v_mul_i32_i24_e32 v150, v112, v144
	v_mul_i32_i24_e32 v152, v86, v143
	v_add3_u32 v1, v1, v2, v134
	v_mul_i32_i24_e32 v2, v114, v22
	s_delay_alu instid0(VALU_DEP_2) | instskip(SKIP_3) | instid1(VALU_DEP_2)
	v_add3_u32 v134, v1, v150, v152
	v_mul_i32_i24_e32 v1, v113, v23
	v_mul_i32_i24_e32 v152, v116, v183
	;; [unrolled: 1-line block ×3, first 2 shown]
	v_add3_u32 v1, v153, v152, v1
	s_delay_alu instid0(VALU_DEP_1) | instskip(SKIP_3) | instid1(VALU_DEP_3)
	v_add3_u32 v150, v1, v2, v150
	v_mad_u64_u32 v[1:2], null, v134, v234, v[0:1]
	v_mul_i32_i24_e32 v2, v81, v168
	v_mul_i32_i24_e32 v81, v118, v174
	v_cvt_f32_i32_e32 v0, v1
	v_cvt_f32_i32_e32 v1, v150
	s_delay_alu instid0(VALU_DEP_1) | instskip(NEXT) | instid1(VALU_DEP_1)
	v_mul_f32_e32 v1, v162, v1
	v_fma_mix_f32 v0, v131, v0, -v1 op_sel_hi:[1,0,0]
	scratch_load_b32 v1, off, off offset:32 ; 4-byte Folded Reload
	s_waitcnt vmcnt(0)
	v_fmac_f32_e32 v1, v3, v0
	v_mul_i32_i24_e32 v0, v19, v105
	v_mul_i32_i24_e32 v19, v89, v129
	scratch_store_b32 off, v1, off offset:32 ; 4-byte Folded Spill
	v_mul_i32_i24_e32 v1, v80, v164
	v_mad_i32_i24 v0, v46, v163, v0
	v_mul_i32_i24_e32 v46, v90, v170
	v_mul_i32_i24_e32 v80, v84, v197
	;; [unrolled: 1-line block ×3, first 2 shown]
	s_delay_alu instid0(VALU_DEP_4) | instskip(SKIP_2) | instid1(VALU_DEP_4)
	v_add3_u32 v0, v0, v1, v2
	v_mul_i32_i24_e32 v1, v87, v166
	v_mul_i32_i24_e32 v2, v88, v106
	v_mad_i32_i24 v84, v117, v160, v84
	s_delay_alu instid0(VALU_DEP_2) | instskip(SKIP_2) | instid1(VALU_DEP_3)
	v_add3_u32 v0, v0, v1, v2
	v_mul_i32_i24_e32 v1, v91, v127
	v_mul_i32_i24_e32 v2, v92, v135
	v_add3_u32 v0, v0, v19, v46
	v_mul_i32_i24_e32 v19, v93, v137
	v_mul_i32_i24_e32 v46, v94, v172
	s_delay_alu instid0(VALU_DEP_3) | instskip(SKIP_2) | instid1(VALU_DEP_3)
	v_add3_u32 v0, v0, v1, v2
	v_mul_i32_i24_e32 v1, v95, v171
	v_mul_i32_i24_e32 v2, v96, v173
	v_add3_u32 v0, v0, v19, v46
	v_mul_i32_i24_e32 v19, v97, v175
	v_mul_i32_i24_e32 v46, v98, v176
	s_delay_alu instid0(VALU_DEP_3) | instskip(SKIP_2) | instid1(VALU_DEP_3)
	v_add3_u32 v0, v0, v1, v2
	v_mul_i32_i24_e32 v1, v99, v187
	v_mul_i32_i24_e32 v2, v101, v190
	v_add3_u32 v0, v0, v19, v46
	v_mul_i32_i24_e32 v19, v83, v179
	s_delay_alu instid0(VALU_DEP_4) | instskip(SKIP_3) | instid1(VALU_DEP_4)
	v_mad_i32_i24 v1, v100, v206, v1
	v_mul_i32_i24_e32 v46, v104, v178
	v_mul_i32_i24_e32 v83, v123, v167
	v_mul_lo_u32 v0, v0, v177
	v_add3_u32 v1, v1, v2, v19
	v_mul_i32_i24_e32 v2, v102, v180
	v_mul_i32_i24_e32 v19, v103, v202
	v_add3_u32 v81, v84, v81, v83
	s_delay_alu instid0(VALU_DEP_2) | instskip(SKIP_2) | instid1(VALU_DEP_3)
	v_add3_u32 v1, v1, v2, v19
	v_mul_i32_i24_e32 v2, v107, v194
	v_mul_i32_i24_e32 v19, v108, v209
	v_add3_u32 v1, v1, v46, v80
	v_mul_i32_i24_e32 v46, v109, v203
	v_mul_i32_i24_e32 v80, v85, v142
	s_delay_alu instid0(VALU_DEP_3) | instskip(SKIP_2) | instid1(VALU_DEP_3)
	v_add3_u32 v1, v1, v2, v19
	v_mul_i32_i24_e32 v2, v110, v201
	v_mul_i32_i24_e32 v19, v111, v204
	v_add3_u32 v1, v1, v46, v80
	v_mul_i32_i24_e32 v46, v112, v141
	v_mul_i32_i24_e32 v80, v86, v140
	s_delay_alu instid0(VALU_DEP_3) | instskip(SKIP_1) | instid1(VALU_DEP_2)
	v_add3_u32 v1, v1, v2, v19
	v_mul_i32_i24_e32 v2, v114, v207
	v_add3_u32 v19, v1, v46, v80
	v_mul_i32_i24_e32 v1, v113, v216
	v_mul_i32_i24_e32 v80, v116, v139
	;; [unrolled: 1-line block ×3, first 2 shown]
	s_delay_alu instid0(VALU_DEP_2) | instskip(NEXT) | instid1(VALU_DEP_1)
	v_add3_u32 v1, v81, v80, v1
	v_add3_u32 v46, v1, v2, v46
	v_mad_u64_u32 v[1:2], null, v19, v159, v[0:1]
	s_delay_alu instid0(VALU_DEP_1) | instskip(NEXT) | instid1(VALU_DEP_3)
	v_cvt_f32_i32_e32 v0, v1
	v_cvt_f32_i32_e32 v1, v46
	s_delay_alu instid0(VALU_DEP_1) | instskip(NEXT) | instid1(VALU_DEP_1)
	v_mul_f32_e32 v1, v5, v1
	v_fma_mix_f32 v0, v126, v0, -v1 op_sel_hi:[1,0,0]
	scratch_load_b32 v1, off, off offset:28 ; 4-byte Folded Reload
	s_waitcnt vmcnt(0)
	v_fmac_f32_e32 v1, v3, v0
	scratch_store_b32 off, v1, off offset:28 ; 4-byte Folded Spill
	ds_load_b128 v[0:3], v124 offset:3072
	s_waitcnt lgkmcnt(0)
	v_bfe_i32 v19, v0, 0, 8
	v_bfe_i32 v46, v0, 8, 8
	v_bfe_i32 v80, v0, 16, 8
	v_ashrrev_i32_e32 v81, 24, v0
	v_bfe_i32 v83, v1, 0, 8
	v_bfe_i32 v84, v1, 8, 8
	v_bfe_i32 v85, v1, 16, 8
	v_ashrrev_i32_e32 v86, 24, v1
	;; [unrolled: 4-line block ×4, first 2 shown]
	ds_load_b128 v[0:3], v124 offset:3088
	v_mul_i32_i24_e32 v128, v85, v75
	v_mul_i32_i24_e32 v134, v86, v69
	s_waitcnt lgkmcnt(0)
	v_ashrrev_i32_e32 v98, 24, v0
	v_ashrrev_i32_e32 v102, 24, v1
	v_bfe_i32 v95, v0, 0, 8
	v_bfe_i32 v96, v0, 8, 8
	;; [unrolled: 1-line block ×4, first 2 shown]
	v_ashrrev_i32_e32 v108, 24, v2
	v_bfe_i32 v109, v3, 0, 8
	v_bfe_i32 v110, v3, 8, 8
	;; [unrolled: 1-line block ×3, first 2 shown]
	v_ashrrev_i32_e32 v3, 24, v3
	v_add_nc_u32_e32 v0, v102, v98
	v_bfe_i32 v100, v1, 8, 8
	v_bfe_i32 v107, v2, 16, 8
	;; [unrolled: 1-line block ×4, first 2 shown]
	v_add3_u32 v112, v0, v108, v3
	v_add_nc_u32_e32 v0, v101, v97
	v_bfe_i32 v103, v2, 0, 8
	v_mul_i32_i24_e32 v1, v80, v65
	v_mul_i32_i24_e32 v2, v81, v60
	;; [unrolled: 1-line block ×3, first 2 shown]
	v_add3_u32 v113, v0, v107, v111
	v_add_nc_u32_e32 v0, v100, v96
	s_delay_alu instid0(VALU_DEP_1) | instskip(SKIP_1) | instid1(VALU_DEP_1)
	v_add3_u32 v114, v0, v104, v110
	v_add_nc_u32_e32 v0, v99, v95
	v_add3_u32 v115, v0, v103, v109
	v_add_nc_u32_e32 v0, v86, v81
	s_delay_alu instid0(VALU_DEP_1) | instskip(SKIP_1) | instid1(VALU_DEP_1)
	v_add3_u32 v116, v0, v90, v94
	v_add_nc_u32_e32 v0, v85, v80
	v_add3_u32 v117, v0, v89, v93
	v_add_nc_u32_e32 v0, v84, v46
	s_delay_alu instid0(VALU_DEP_2) | instskip(NEXT) | instid1(VALU_DEP_2)
	v_mul_i32_i24_e32 v152, v117, v53
	v_add3_u32 v118, v0, v88, v92
	v_add_nc_u32_e32 v0, v83, v19
	s_delay_alu instid0(VALU_DEP_2) | instskip(NEXT) | instid1(VALU_DEP_2)
	v_mul_i32_i24_e32 v153, v118, v122
	v_add3_u32 v123, v0, v87, v91
	v_mul_i32_i24_e32 v0, v19, v63
	s_delay_alu instid0(VALU_DEP_2) | instskip(NEXT) | instid1(VALU_DEP_2)
	v_mul_i32_i24_e32 v154, v123, v195
	v_mad_i32_i24 v0, v46, v72, v0
	s_delay_alu instid0(VALU_DEP_2) | instskip(NEXT) | instid1(VALU_DEP_2)
	v_mad_i32_i24 v154, v116, v36, v154
	v_add3_u32 v0, v0, v1, v2
	v_mul_i32_i24_e32 v1, v83, v73
	v_mul_i32_i24_e32 v2, v84, v71
	s_delay_alu instid0(VALU_DEP_4) | instskip(SKIP_2) | instid1(VALU_DEP_4)
	v_add3_u32 v152, v154, v152, v153
	v_mul_i32_i24_e32 v154, v123, v151
	v_mul_i32_i24_e32 v153, v118, v41
	v_add3_u32 v0, v0, v1, v2
	v_mul_i32_i24_e32 v1, v87, v74
	v_mul_i32_i24_e32 v2, v88, v76
	v_mad_i32_i24 v154, v116, v181, v154
	s_delay_alu instid0(VALU_DEP_4) | instskip(SKIP_2) | instid1(VALU_DEP_3)
	v_add3_u32 v0, v0, v128, v134
	v_mul_i32_i24_e32 v128, v89, v77
	v_mul_i32_i24_e32 v134, v90, v121
	v_add3_u32 v0, v0, v1, v2
	v_mul_i32_i24_e32 v1, v91, v119
	v_mul_i32_i24_e32 v2, v92, v120
	s_delay_alu instid0(VALU_DEP_3) | instskip(SKIP_2) | instid1(VALU_DEP_3)
	v_add3_u32 v0, v0, v128, v134
	v_mul_i32_i24_e32 v128, v93, v61
	v_mul_i32_i24_e32 v134, v94, v64
	v_add3_u32 v0, v0, v1, v2
	v_mul_i32_i24_e32 v1, v95, v252
	v_mul_i32_i24_e32 v2, v97, v35
	s_delay_alu instid0(VALU_DEP_3) | instskip(SKIP_1) | instid1(VALU_DEP_4)
	v_add3_u32 v0, v0, v128, v134
	v_mul_i32_i24_e32 v128, v98, v42
	v_mad_i32_i24 v1, v96, v240, v1
	v_mul_i32_i24_e32 v134, v101, v38
	s_delay_alu instid0(VALU_DEP_4) | instskip(NEXT) | instid1(VALU_DEP_3)
	v_mul_lo_u32 v0, v0, v70
	v_add3_u32 v1, v1, v2, v128
	v_mul_i32_i24_e32 v2, v99, v59
	v_mul_i32_i24_e32 v128, v100, v253
	s_delay_alu instid0(VALU_DEP_1) | instskip(SKIP_2) | instid1(VALU_DEP_3)
	v_add3_u32 v1, v1, v2, v128
	v_mul_i32_i24_e32 v2, v103, v58
	v_mul_i32_i24_e32 v128, v104, v50
	v_add3_u32 v1, v1, v134, v150
	v_mul_i32_i24_e32 v134, v107, v56
	v_mul_i32_i24_e32 v150, v108, v44
	s_delay_alu instid0(VALU_DEP_3) | instskip(SKIP_2) | instid1(VALU_DEP_3)
	v_add3_u32 v1, v1, v2, v128
	v_mul_i32_i24_e32 v2, v109, v47
	v_mul_i32_i24_e32 v128, v110, v66
	v_add3_u32 v1, v1, v134, v150
	v_mul_i32_i24_e32 v134, v111, v68
	v_mul_i32_i24_e32 v150, v3, v43
	s_delay_alu instid0(VALU_DEP_3) | instskip(SKIP_1) | instid1(VALU_DEP_2)
	v_add3_u32 v1, v1, v2, v128
	v_mul_i32_i24_e32 v2, v113, v220
	v_add3_u32 v128, v1, v134, v150
	v_mul_i32_i24_e32 v1, v112, v221
	v_mul_i32_i24_e32 v150, v115, v57
	;; [unrolled: 1-line block ×3, first 2 shown]
	s_delay_alu instid0(VALU_DEP_2) | instskip(SKIP_2) | instid1(VALU_DEP_3)
	v_add3_u32 v1, v152, v150, v1
	v_mul_i32_i24_e32 v150, v102, v217
	v_mul_i32_i24_e32 v152, v117, v67
	v_add3_u32 v134, v1, v2, v134
	v_mad_u64_u32 v[1:2], null, v128, v37, v[0:1]
	v_mul_i32_i24_e32 v2, v81, v233
	v_mul_i32_i24_e32 v128, v85, v235
	v_add3_u32 v152, v154, v152, v153
	v_mul_i32_i24_e32 v154, v123, v132
	v_mul_i32_i24_e32 v153, v118, v205
	v_cvt_f32_i32_e32 v0, v1
	v_cvt_f32_i32_e32 v1, v134
	v_mul_i32_i24_e32 v134, v86, v237
	v_mad_i32_i24 v154, v116, v133, v154
	s_delay_alu instid0(VALU_DEP_3) | instskip(NEXT) | instid1(VALU_DEP_1)
	v_mul_f32_e32 v1, v39, v1
	v_fma_mix_f32 v0, v182, v0, -v1 op_sel_hi:[1,0,0]
	scratch_load_b32 v1, off, off offset:24 ; 4-byte Folded Reload
	s_waitcnt vmcnt(0)
	v_fmac_f32_e32 v1, v4, v0
	v_mul_i32_i24_e32 v0, v19, v222
	scratch_store_b32 off, v1, off offset:24 ; 4-byte Folded Spill
	v_mul_i32_i24_e32 v1, v80, v231
	v_mad_i32_i24 v0, v46, v54, v0
	s_delay_alu instid0(VALU_DEP_1) | instskip(SKIP_2) | instid1(VALU_DEP_1)
	v_add3_u32 v0, v0, v1, v2
	v_mul_i32_i24_e32 v1, v83, v232
	v_mul_i32_i24_e32 v2, v84, v79
	v_add3_u32 v0, v0, v1, v2
	v_mul_i32_i24_e32 v1, v87, v236
	v_mul_i32_i24_e32 v2, v88, v238
	s_delay_alu instid0(VALU_DEP_3) | instskip(SKIP_2) | instid1(VALU_DEP_3)
	v_add3_u32 v0, v0, v128, v134
	v_mul_i32_i24_e32 v128, v89, v28
	v_mul_i32_i24_e32 v134, v90, v148
	v_add3_u32 v0, v0, v1, v2
	v_mul_i32_i24_e32 v1, v91, v147
	v_mul_i32_i24_e32 v2, v92, v149
	s_delay_alu instid0(VALU_DEP_3) | instskip(SKIP_2) | instid1(VALU_DEP_3)
	v_add3_u32 v0, v0, v128, v134
	v_mul_i32_i24_e32 v128, v93, v155
	v_mul_i32_i24_e32 v134, v94, v157
	v_add3_u32 v0, v0, v1, v2
	v_mul_i32_i24_e32 v1, v95, v165
	v_mul_i32_i24_e32 v2, v97, v169
	s_delay_alu instid0(VALU_DEP_3) | instskip(SKIP_1) | instid1(VALU_DEP_4)
	v_add3_u32 v0, v0, v128, v134
	v_mul_i32_i24_e32 v128, v98, v193
	v_mad_i32_i24 v1, v96, v161, v1
	v_mul_i32_i24_e32 v134, v101, v198
	s_delay_alu instid0(VALU_DEP_4) | instskip(NEXT) | instid1(VALU_DEP_3)
	v_mul_lo_u32 v0, v0, v158
	v_add3_u32 v1, v1, v2, v128
	v_mul_i32_i24_e32 v2, v99, v62
	v_mul_i32_i24_e32 v128, v100, v185
	s_delay_alu instid0(VALU_DEP_1) | instskip(SKIP_2) | instid1(VALU_DEP_3)
	v_add3_u32 v1, v1, v2, v128
	v_mul_i32_i24_e32 v2, v103, v199
	v_mul_i32_i24_e32 v128, v104, v215
	v_add3_u32 v1, v1, v134, v150
	v_mul_i32_i24_e32 v134, v107, v218
	v_mul_i32_i24_e32 v150, v108, v48
	s_delay_alu instid0(VALU_DEP_3) | instskip(SKIP_2) | instid1(VALU_DEP_3)
	v_add3_u32 v1, v1, v2, v128
	v_mul_i32_i24_e32 v2, v109, v45
	v_mul_i32_i24_e32 v128, v110, v49
	v_add3_u32 v1, v1, v134, v150
	v_mul_i32_i24_e32 v134, v111, v51
	v_mul_i32_i24_e32 v150, v3, v52
	s_delay_alu instid0(VALU_DEP_3) | instskip(SKIP_1) | instid1(VALU_DEP_2)
	v_add3_u32 v1, v1, v2, v128
	v_mul_i32_i24_e32 v2, v113, v192
	v_add3_u32 v128, v1, v134, v150
	v_mul_i32_i24_e32 v1, v112, v55
	v_mul_i32_i24_e32 v150, v115, v226
	;; [unrolled: 1-line block ×3, first 2 shown]
	s_delay_alu instid0(VALU_DEP_2) | instskip(SKIP_2) | instid1(VALU_DEP_3)
	v_add3_u32 v1, v152, v150, v1
	v_mul_i32_i24_e32 v150, v102, v29
	v_mul_i32_i24_e32 v152, v117, v7
	v_add3_u32 v134, v1, v2, v134
	v_mad_u64_u32 v[1:2], null, v128, v15, v[0:1]
	v_mul_i32_i24_e32 v2, v81, v191
	v_mul_i32_i24_e32 v128, v85, v11
	v_add3_u32 v152, v154, v152, v153
	s_delay_alu instid0(VALU_DEP_4) | instskip(SKIP_2) | instid1(VALU_DEP_2)
	v_cvt_f32_i32_e32 v0, v1
	v_cvt_f32_i32_e32 v1, v134
	v_mul_i32_i24_e32 v134, v86, v196
	v_mul_f32_e32 v1, v186, v1
	s_delay_alu instid0(VALU_DEP_1)
	v_fma_mix_f32 v0, v138, v0, -v1 op_sel_hi:[1,0,0]
	scratch_load_b32 v1, off, off offset:20 ; 4-byte Folded Reload
	s_waitcnt vmcnt(0)
	v_fmac_f32_e32 v1, v4, v0
	v_mul_i32_i24_e32 v0, v19, v188
	scratch_store_b32 off, v1, off offset:20 ; 4-byte Folded Spill
	v_mul_i32_i24_e32 v1, v80, v189
	v_mad_i32_i24 v0, v46, v250, v0
	s_delay_alu instid0(VALU_DEP_1) | instskip(SKIP_2) | instid1(VALU_DEP_1)
	v_add3_u32 v0, v0, v1, v2
	v_mul_i32_i24_e32 v1, v83, v9
	v_mul_i32_i24_e32 v2, v84, v10
	v_add3_u32 v0, v0, v1, v2
	v_mul_i32_i24_e32 v1, v87, v12
	v_mul_i32_i24_e32 v2, v88, v13
	s_delay_alu instid0(VALU_DEP_3) | instskip(SKIP_2) | instid1(VALU_DEP_3)
	v_add3_u32 v0, v0, v128, v134
	v_mul_i32_i24_e32 v128, v89, v14
	v_mul_i32_i24_e32 v134, v90, v200
	v_add3_u32 v0, v0, v1, v2
	v_mul_i32_i24_e32 v1, v91, v16
	v_mul_i32_i24_e32 v2, v92, v17
	s_delay_alu instid0(VALU_DEP_3) | instskip(SKIP_2) | instid1(VALU_DEP_3)
	v_add3_u32 v0, v0, v128, v134
	v_mul_i32_i24_e32 v128, v93, v78
	v_mul_i32_i24_e32 v134, v94, v20
	v_add3_u32 v0, v0, v1, v2
	v_mul_i32_i24_e32 v1, v95, v210
	v_mul_i32_i24_e32 v2, v97, v213
	s_delay_alu instid0(VALU_DEP_3) | instskip(SKIP_1) | instid1(VALU_DEP_4)
	v_add3_u32 v0, v0, v128, v134
	v_mul_i32_i24_e32 v128, v98, v27
	v_mad_i32_i24 v1, v96, v24, v1
	v_mul_i32_i24_e32 v134, v101, v26
	s_delay_alu instid0(VALU_DEP_4) | instskip(NEXT) | instid1(VALU_DEP_3)
	v_mul_lo_u32 v0, v0, v208
	v_add3_u32 v1, v1, v2, v128
	v_mul_i32_i24_e32 v2, v99, v248
	v_mul_i32_i24_e32 v128, v100, v212
	s_delay_alu instid0(VALU_DEP_1) | instskip(SKIP_2) | instid1(VALU_DEP_3)
	v_add3_u32 v1, v1, v2, v128
	v_mul_i32_i24_e32 v2, v103, v214
	v_mul_i32_i24_e32 v128, v104, v30
	v_add3_u32 v1, v1, v134, v150
	v_mul_i32_i24_e32 v134, v107, v31
	v_mul_i32_i24_e32 v150, v108, v145
	s_delay_alu instid0(VALU_DEP_3) | instskip(SKIP_2) | instid1(VALU_DEP_3)
	v_add3_u32 v1, v1, v2, v128
	v_mul_i32_i24_e32 v2, v109, v32
	v_mul_i32_i24_e32 v128, v110, v146
	v_add3_u32 v1, v1, v134, v150
	v_mul_i32_i24_e32 v134, v111, v144
	v_mul_i32_i24_e32 v150, v3, v143
	;; [unrolled: 1-line block ×3, first 2 shown]
	s_delay_alu instid0(VALU_DEP_4) | instskip(SKIP_1) | instid1(VALU_DEP_2)
	v_add3_u32 v1, v1, v2, v128
	v_mul_i32_i24_e32 v2, v113, v22
	v_add3_u32 v128, v1, v134, v150
	v_mul_i32_i24_e32 v1, v112, v23
	v_mul_i32_i24_e32 v150, v115, v183
	;; [unrolled: 1-line block ×3, first 2 shown]
	s_delay_alu instid0(VALU_DEP_2) | instskip(NEXT) | instid1(VALU_DEP_1)
	v_add3_u32 v1, v152, v150, v1
	v_add3_u32 v134, v1, v2, v134
	v_mad_u64_u32 v[1:2], null, v128, v234, v[0:1]
	v_mul_i32_i24_e32 v2, v81, v168
	v_mul_i32_i24_e32 v81, v118, v167
	s_delay_alu instid0(VALU_DEP_3) | instskip(SKIP_1) | instid1(VALU_DEP_1)
	v_cvt_f32_i32_e32 v0, v1
	v_cvt_f32_i32_e32 v1, v134
	v_mul_f32_e32 v1, v162, v1
	s_delay_alu instid0(VALU_DEP_1) | instskip(SKIP_2) | instid1(VALU_DEP_3)
	v_fma_mix_f32 v0, v131, v0, -v1 op_sel_hi:[1,0,0]
	v_mul_i32_i24_e32 v1, v80, v164
	v_mul_i32_i24_e32 v80, v102, v197
	v_fmac_f32_e32 v251, v4, v0
	v_mul_i32_i24_e32 v0, v19, v105
	v_mul_i32_i24_e32 v19, v85, v129
	s_delay_alu instid0(VALU_DEP_2) | instskip(SKIP_1) | instid1(VALU_DEP_2)
	v_mad_i32_i24 v0, v46, v163, v0
	v_mul_i32_i24_e32 v46, v86, v170
	v_add3_u32 v0, v0, v1, v2
	v_mul_i32_i24_e32 v1, v83, v166
	v_mul_i32_i24_e32 v2, v84, v106
	;; [unrolled: 1-line block ×3, first 2 shown]
	s_delay_alu instid0(VALU_DEP_2) | instskip(SKIP_2) | instid1(VALU_DEP_4)
	v_add3_u32 v0, v0, v1, v2
	v_mul_i32_i24_e32 v1, v87, v127
	v_mul_i32_i24_e32 v2, v88, v135
	v_mad_i32_i24 v83, v116, v160, v83
	s_delay_alu instid0(VALU_DEP_4) | instskip(SKIP_2) | instid1(VALU_DEP_3)
	v_add3_u32 v0, v0, v19, v46
	v_mul_i32_i24_e32 v19, v89, v137
	v_mul_i32_i24_e32 v46, v90, v172
	v_add3_u32 v0, v0, v1, v2
	v_mul_i32_i24_e32 v1, v91, v171
	v_mul_i32_i24_e32 v2, v92, v173
	s_delay_alu instid0(VALU_DEP_3) | instskip(SKIP_2) | instid1(VALU_DEP_3)
	v_add3_u32 v0, v0, v19, v46
	v_mul_i32_i24_e32 v19, v93, v175
	v_mul_i32_i24_e32 v46, v94, v176
	v_add3_u32 v0, v0, v1, v2
	v_mul_i32_i24_e32 v1, v95, v187
	v_mul_i32_i24_e32 v2, v97, v190
	v_mov_b32_e32 v187, v33
	v_mov_b32_e32 v33, v5
	v_add3_u32 v0, v0, v19, v46
	v_mul_i32_i24_e32 v19, v98, v179
	v_mad_i32_i24 v1, v96, v206, v1
	v_mul_i32_i24_e32 v46, v101, v178
	s_delay_alu instid0(VALU_DEP_4) | instskip(NEXT) | instid1(VALU_DEP_3)
	v_mul_lo_u32 v0, v0, v177
	v_add3_u32 v1, v1, v2, v19
	v_mul_i32_i24_e32 v2, v99, v180
	v_mul_i32_i24_e32 v19, v100, v202
	s_delay_alu instid0(VALU_DEP_1) | instskip(SKIP_2) | instid1(VALU_DEP_3)
	v_add3_u32 v1, v1, v2, v19
	v_mul_i32_i24_e32 v2, v103, v194
	v_mul_i32_i24_e32 v19, v104, v209
	v_add3_u32 v1, v1, v46, v80
	v_mul_i32_i24_e32 v46, v107, v203
	v_mul_i32_i24_e32 v80, v108, v142
	v_mov_b32_e32 v203, v243
	v_mov_b32_e32 v243, v25
	v_add3_u32 v1, v1, v2, v19
	v_mul_i32_i24_e32 v2, v109, v201
	v_mul_i32_i24_e32 v19, v110, v204
	s_delay_alu instid0(VALU_DEP_3) | instskip(SKIP_2) | instid1(VALU_DEP_3)
	v_add3_u32 v1, v1, v46, v80
	v_mul_i32_i24_e32 v46, v111, v141
	v_mul_i32_i24_e32 v80, v117, v174
	v_add3_u32 v1, v1, v2, v19
	v_mul_i32_i24_e32 v2, v113, v207
	s_delay_alu instid0(VALU_DEP_3) | instskip(SKIP_1) | instid1(VALU_DEP_4)
	v_add3_u32 v80, v83, v80, v81
	v_mul_i32_i24_e32 v19, v114, v6
	v_add3_u32 v3, v1, v46, v3
	v_mul_i32_i24_e32 v1, v112, v216
	v_mul_i32_i24_e32 v46, v115, v139
	s_delay_alu instid0(VALU_DEP_1) | instskip(NEXT) | instid1(VALU_DEP_1)
	v_add3_u32 v1, v80, v46, v1
	v_add3_u32 v19, v1, v2, v19
	v_mad_u64_u32 v[1:2], null, v3, v159, v[0:1]
	s_delay_alu instid0(VALU_DEP_1) | instskip(NEXT) | instid1(VALU_DEP_3)
	v_cvt_f32_i32_e32 v0, v1
	v_cvt_f32_i32_e32 v1, v19
	s_delay_alu instid0(VALU_DEP_1) | instskip(NEXT) | instid1(VALU_DEP_1)
	v_mul_f32_e32 v1, v5, v1
	v_fma_mix_f32 v0, v126, v0, -v1 op_sel_hi:[1,0,0]
	s_delay_alu instid0(VALU_DEP_1)
	v_fmac_f32_e32 v255, v4, v0
	ds_load_2addr_b32 v[3:4], v125 offset0:128 offset1:160
	ds_load_b128 v[83:86], v124 offset:4096
	s_waitcnt lgkmcnt(0)
	v_bfe_i32 v19, v83, 0, 8
	v_bfe_i32 v46, v83, 8, 8
	v_bfe_i32 v80, v83, 16, 8
	v_ashrrev_i32_e32 v81, 24, v83
	v_bfe_i32 v87, v84, 0, 8
	v_bfe_i32 v88, v84, 8, 8
	v_bfe_i32 v89, v84, 16, 8
	v_ashrrev_i32_e32 v90, 24, v84
	;; [unrolled: 4-line block ×4, first 2 shown]
	ds_load_b128 v[83:86], v124 offset:4112
	v_mul_i32_i24_e32 v1, v80, v65
	v_mul_i32_i24_e32 v2, v81, v60
	;; [unrolled: 1-line block ×4, first 2 shown]
	s_waitcnt lgkmcnt(0)
	v_bfe_i32 v99, v83, 0, 8
	v_bfe_i32 v100, v83, 8, 8
	v_bfe_i32 v101, v83, 16, 8
	v_ashrrev_i32_e32 v83, 24, v83
	v_bfe_i32 v102, v84, 0, 8
	v_bfe_i32 v103, v84, 8, 8
	v_bfe_i32 v104, v84, 16, 8
	v_ashrrev_i32_e32 v84, 24, v84
	;; [unrolled: 4-line block ×4, first 2 shown]
	v_add_nc_u32_e32 v0, v84, v83
	v_mul_i32_i24_e32 v152, v84, v40
	s_delay_alu instid0(VALU_DEP_2) | instskip(SKIP_1) | instid1(VALU_DEP_1)
	v_add3_u32 v113, v0, v85, v86
	v_add_nc_u32_e32 v0, v104, v101
	v_add3_u32 v114, v0, v109, v112
	v_add_nc_u32_e32 v0, v103, v100
	s_delay_alu instid0(VALU_DEP_1) | instskip(SKIP_1) | instid1(VALU_DEP_1)
	v_add3_u32 v115, v0, v108, v111
	v_add_nc_u32_e32 v0, v102, v99
	v_add3_u32 v116, v0, v107, v110
	v_add_nc_u32_e32 v0, v90, v81
	s_delay_alu instid0(VALU_DEP_1) | instskip(SKIP_1) | instid1(VALU_DEP_1)
	v_add3_u32 v117, v0, v94, v98
	v_add_nc_u32_e32 v0, v89, v80
	v_add3_u32 v118, v0, v93, v97
	v_add_nc_u32_e32 v0, v88, v46
	s_delay_alu instid0(VALU_DEP_2) | instskip(NEXT) | instid1(VALU_DEP_2)
	v_mul_i32_i24_e32 v153, v118, v53
	v_add3_u32 v123, v0, v92, v96
	v_add_nc_u32_e32 v0, v87, v19
	s_delay_alu instid0(VALU_DEP_2) | instskip(NEXT) | instid1(VALU_DEP_2)
	v_mul_i32_i24_e32 v154, v123, v122
	v_add3_u32 v128, v0, v91, v95
	v_mul_i32_i24_e32 v0, v19, v63
	s_delay_alu instid0(VALU_DEP_2) | instskip(NEXT) | instid1(VALU_DEP_2)
	v_mul_i32_i24_e32 v156, v128, v195
	v_mad_i32_i24 v0, v46, v72, v0
	s_delay_alu instid0(VALU_DEP_2) | instskip(NEXT) | instid1(VALU_DEP_2)
	v_mad_i32_i24 v156, v117, v36, v156
	v_add3_u32 v0, v0, v1, v2
	v_mul_i32_i24_e32 v1, v87, v73
	v_mul_i32_i24_e32 v2, v88, v71
	s_delay_alu instid0(VALU_DEP_4) | instskip(SKIP_2) | instid1(VALU_DEP_4)
	v_add3_u32 v153, v156, v153, v154
	v_mul_i32_i24_e32 v156, v128, v151
	v_mul_i32_i24_e32 v154, v123, v41
	v_add3_u32 v0, v0, v1, v2
	v_mul_i32_i24_e32 v1, v91, v74
	v_mul_i32_i24_e32 v2, v92, v76
	v_mad_i32_i24 v156, v117, v181, v156
	s_delay_alu instid0(VALU_DEP_4) | instskip(SKIP_2) | instid1(VALU_DEP_3)
	v_add3_u32 v0, v0, v134, v150
	v_mul_i32_i24_e32 v134, v93, v77
	v_mul_i32_i24_e32 v150, v94, v121
	v_add3_u32 v0, v0, v1, v2
	v_mul_i32_i24_e32 v1, v95, v119
	v_mul_i32_i24_e32 v2, v96, v120
	s_delay_alu instid0(VALU_DEP_3) | instskip(SKIP_2) | instid1(VALU_DEP_3)
	v_add3_u32 v0, v0, v134, v150
	v_mul_i32_i24_e32 v134, v97, v61
	v_mul_i32_i24_e32 v150, v98, v64
	v_add3_u32 v0, v0, v1, v2
	v_mul_i32_i24_e32 v1, v99, v252
	v_mul_i32_i24_e32 v2, v101, v35
	s_delay_alu instid0(VALU_DEP_3) | instskip(SKIP_1) | instid1(VALU_DEP_4)
	v_add3_u32 v0, v0, v134, v150
	v_mul_i32_i24_e32 v134, v83, v42
	v_mad_i32_i24 v1, v100, v240, v1
	v_mul_i32_i24_e32 v150, v104, v38
	s_delay_alu instid0(VALU_DEP_4) | instskip(NEXT) | instid1(VALU_DEP_3)
	v_mul_lo_u32 v0, v0, v70
	v_add3_u32 v1, v1, v2, v134
	v_mul_i32_i24_e32 v2, v102, v59
	v_mul_i32_i24_e32 v134, v103, v253
	s_delay_alu instid0(VALU_DEP_1) | instskip(SKIP_2) | instid1(VALU_DEP_3)
	v_add3_u32 v1, v1, v2, v134
	v_mul_i32_i24_e32 v2, v107, v58
	v_mul_i32_i24_e32 v134, v108, v50
	v_add3_u32 v1, v1, v150, v152
	v_mul_i32_i24_e32 v150, v109, v56
	v_mul_i32_i24_e32 v152, v85, v44
	s_delay_alu instid0(VALU_DEP_3) | instskip(SKIP_2) | instid1(VALU_DEP_3)
	v_add3_u32 v1, v1, v2, v134
	v_mul_i32_i24_e32 v2, v110, v47
	v_mul_i32_i24_e32 v134, v111, v66
	v_add3_u32 v1, v1, v150, v152
	v_mul_i32_i24_e32 v150, v112, v68
	v_mul_i32_i24_e32 v152, v86, v43
	s_delay_alu instid0(VALU_DEP_3) | instskip(SKIP_1) | instid1(VALU_DEP_2)
	v_add3_u32 v1, v1, v2, v134
	v_mul_i32_i24_e32 v2, v114, v220
	v_add3_u32 v134, v1, v150, v152
	v_mul_i32_i24_e32 v1, v113, v221
	v_mul_i32_i24_e32 v152, v116, v57
	;; [unrolled: 1-line block ×3, first 2 shown]
	s_delay_alu instid0(VALU_DEP_2) | instskip(SKIP_2) | instid1(VALU_DEP_3)
	v_add3_u32 v1, v153, v152, v1
	v_mul_i32_i24_e32 v152, v84, v217
	v_mul_i32_i24_e32 v153, v118, v67
	v_add3_u32 v150, v1, v2, v150
	v_mad_u64_u32 v[1:2], null, v134, v37, v[0:1]
	v_mul_i32_i24_e32 v2, v81, v233
	v_mul_i32_i24_e32 v134, v89, v235
	v_add3_u32 v153, v156, v153, v154
	v_mul_i32_i24_e32 v156, v128, v132
	v_mul_i32_i24_e32 v154, v123, v205
	v_cvt_f32_i32_e32 v0, v1
	v_cvt_f32_i32_e32 v1, v150
	v_mul_i32_i24_e32 v150, v90, v237
	v_mad_i32_i24 v156, v117, v133, v156
	s_delay_alu instid0(VALU_DEP_3) | instskip(NEXT) | instid1(VALU_DEP_1)
	v_mul_f32_e32 v1, v39, v1
	v_fma_mix_f32 v0, v182, v0, -v1 op_sel_hi:[1,0,0]
	v_mul_i32_i24_e32 v1, v80, v231
	s_delay_alu instid0(VALU_DEP_2) | instskip(SKIP_1) | instid1(VALU_DEP_1)
	v_fmac_f32_e32 v242, v3, v0
	v_mul_i32_i24_e32 v0, v19, v222
	v_mad_i32_i24 v0, v46, v54, v0
	s_delay_alu instid0(VALU_DEP_1) | instskip(SKIP_2) | instid1(VALU_DEP_1)
	v_add3_u32 v0, v0, v1, v2
	v_mul_i32_i24_e32 v1, v87, v232
	v_mul_i32_i24_e32 v2, v88, v79
	v_add3_u32 v0, v0, v1, v2
	v_mul_i32_i24_e32 v1, v91, v236
	v_mul_i32_i24_e32 v2, v92, v238
	s_delay_alu instid0(VALU_DEP_3) | instskip(SKIP_2) | instid1(VALU_DEP_3)
	v_add3_u32 v0, v0, v134, v150
	v_mul_i32_i24_e32 v134, v93, v28
	v_mul_i32_i24_e32 v150, v94, v148
	v_add3_u32 v0, v0, v1, v2
	v_mul_i32_i24_e32 v1, v95, v147
	v_mul_i32_i24_e32 v2, v96, v149
	s_delay_alu instid0(VALU_DEP_3) | instskip(SKIP_2) | instid1(VALU_DEP_3)
	v_add3_u32 v0, v0, v134, v150
	v_mul_i32_i24_e32 v134, v97, v155
	v_mul_i32_i24_e32 v150, v98, v157
	v_add3_u32 v0, v0, v1, v2
	v_mul_i32_i24_e32 v1, v99, v165
	v_mul_i32_i24_e32 v2, v101, v169
	s_delay_alu instid0(VALU_DEP_3) | instskip(SKIP_1) | instid1(VALU_DEP_4)
	v_add3_u32 v0, v0, v134, v150
	v_mul_i32_i24_e32 v134, v83, v193
	v_mad_i32_i24 v1, v100, v161, v1
	v_mul_i32_i24_e32 v150, v104, v198
	s_delay_alu instid0(VALU_DEP_4) | instskip(NEXT) | instid1(VALU_DEP_3)
	v_mul_lo_u32 v0, v0, v158
	v_add3_u32 v1, v1, v2, v134
	v_mul_i32_i24_e32 v2, v102, v62
	v_mul_i32_i24_e32 v134, v103, v185
	s_delay_alu instid0(VALU_DEP_1) | instskip(SKIP_2) | instid1(VALU_DEP_3)
	v_add3_u32 v1, v1, v2, v134
	v_mul_i32_i24_e32 v2, v107, v199
	v_mul_i32_i24_e32 v134, v108, v215
	v_add3_u32 v1, v1, v150, v152
	v_mul_i32_i24_e32 v150, v109, v218
	v_mul_i32_i24_e32 v152, v85, v48
	s_delay_alu instid0(VALU_DEP_3) | instskip(SKIP_2) | instid1(VALU_DEP_3)
	v_add3_u32 v1, v1, v2, v134
	v_mul_i32_i24_e32 v2, v110, v45
	v_mul_i32_i24_e32 v134, v111, v49
	v_add3_u32 v1, v1, v150, v152
	v_mul_i32_i24_e32 v150, v112, v51
	v_mul_i32_i24_e32 v152, v86, v52
	s_delay_alu instid0(VALU_DEP_3) | instskip(SKIP_1) | instid1(VALU_DEP_2)
	v_add3_u32 v1, v1, v2, v134
	v_mul_i32_i24_e32 v2, v114, v192
	v_add3_u32 v134, v1, v150, v152
	v_mul_i32_i24_e32 v1, v113, v55
	v_mul_i32_i24_e32 v152, v116, v226
	;; [unrolled: 1-line block ×3, first 2 shown]
	s_delay_alu instid0(VALU_DEP_2)
	v_add3_u32 v1, v153, v152, v1
	v_mul_i32_i24_e32 v152, v84, v29
	v_mul_i32_i24_e32 v153, v118, v7
	v_mov_b32_e32 v7, v206
	v_mov_b32_e32 v206, v34
	v_add3_u32 v150, v1, v2, v150
	v_mad_u64_u32 v[1:2], null, v134, v15, v[0:1]
	v_mul_i32_i24_e32 v2, v81, v191
	v_mul_i32_i24_e32 v134, v89, v11
	v_add3_u32 v153, v156, v153, v154
	v_mov_b32_e32 v11, v207
	v_cvt_f32_i32_e32 v0, v1
	v_cvt_f32_i32_e32 v1, v150
	v_mul_i32_i24_e32 v150, v90, v196
	s_delay_alu instid0(VALU_DEP_2) | instskip(NEXT) | instid1(VALU_DEP_1)
	v_mul_f32_e32 v1, v186, v1
	v_fma_mix_f32 v0, v138, v0, -v1 op_sel_hi:[1,0,0]
	v_mul_i32_i24_e32 v1, v80, v189
	s_delay_alu instid0(VALU_DEP_2) | instskip(SKIP_1) | instid1(VALU_DEP_1)
	v_fmac_f32_e32 v254, v3, v0
	v_mul_i32_i24_e32 v0, v19, v188
	v_mad_i32_i24 v0, v46, v250, v0
	s_delay_alu instid0(VALU_DEP_1) | instskip(SKIP_2) | instid1(VALU_DEP_1)
	v_add3_u32 v0, v0, v1, v2
	v_mul_i32_i24_e32 v1, v87, v9
	v_mul_i32_i24_e32 v2, v88, v10
	v_add3_u32 v0, v0, v1, v2
	v_mul_i32_i24_e32 v1, v91, v12
	v_mul_i32_i24_e32 v2, v92, v13
	v_dual_mov_b32 v13, v197 :: v_dual_mov_b32 v12, v194
	s_delay_alu instid0(VALU_DEP_4)
	v_add3_u32 v0, v0, v134, v150
	v_mul_i32_i24_e32 v134, v93, v14
	v_mul_i32_i24_e32 v150, v94, v200
	v_mov_b32_e32 v14, v216
	v_mov_b32_e32 v194, v211
	v_add3_u32 v0, v0, v1, v2
	v_mul_i32_i24_e32 v1, v95, v16
	v_mul_i32_i24_e32 v2, v96, v17
	v_mov_b32_e32 v16, v209
	v_mov_b32_e32 v209, v245
	;; [unrolled: 5-line block ×4, first 2 shown]
	v_add3_u32 v0, v0, v134, v150
	v_mul_i32_i24_e32 v134, v83, v27
	v_mad_i32_i24 v1, v100, v24, v1
	v_mul_i32_i24_e32 v150, v104, v26
	v_mov_b32_e32 v9, v202
	v_mul_lo_u32 v0, v0, v208
	v_mov_b32_e32 v211, v246
	v_add3_u32 v1, v1, v2, v134
	v_mul_i32_i24_e32 v2, v102, v248
	v_mul_i32_i24_e32 v134, v103, v212
	s_delay_alu instid0(VALU_DEP_1) | instskip(SKIP_2) | instid1(VALU_DEP_3)
	v_add3_u32 v1, v1, v2, v134
	v_mul_i32_i24_e32 v2, v107, v214
	v_mul_i32_i24_e32 v134, v108, v30
	v_add3_u32 v1, v1, v150, v152
	v_mul_i32_i24_e32 v150, v109, v31
	v_mul_i32_i24_e32 v152, v85, v145
	s_delay_alu instid0(VALU_DEP_3) | instskip(SKIP_2) | instid1(VALU_DEP_3)
	v_add3_u32 v1, v1, v2, v134
	v_mul_i32_i24_e32 v2, v110, v32
	v_mul_i32_i24_e32 v134, v111, v146
	v_add3_u32 v1, v1, v150, v152
	v_mul_i32_i24_e32 v150, v112, v144
	v_mul_i32_i24_e32 v152, v86, v143
	s_delay_alu instid0(VALU_DEP_3) | instskip(SKIP_1) | instid1(VALU_DEP_2)
	v_add3_u32 v1, v1, v2, v134
	v_mul_i32_i24_e32 v2, v114, v22
	v_add3_u32 v134, v1, v150, v152
	v_mul_i32_i24_e32 v1, v113, v23
	v_mul_i32_i24_e32 v152, v116, v183
	;; [unrolled: 1-line block ×3, first 2 shown]
	s_delay_alu instid0(VALU_DEP_2) | instskip(NEXT) | instid1(VALU_DEP_1)
	v_add3_u32 v1, v153, v152, v1
	v_add3_u32 v150, v1, v2, v150
	v_mad_u64_u32 v[1:2], null, v134, v234, v[0:1]
	v_mul_i32_i24_e32 v2, v81, v168
	v_mul_i32_i24_e32 v81, v118, v174
	s_delay_alu instid0(VALU_DEP_3) | instskip(SKIP_1) | instid1(VALU_DEP_1)
	v_cvt_f32_i32_e32 v0, v1
	v_cvt_f32_i32_e32 v1, v150
	v_mul_f32_e32 v1, v162, v1
	s_delay_alu instid0(VALU_DEP_1)
	v_fma_mix_f32 v0, v131, v0, -v1 op_sel_hi:[1,0,0]
	scratch_load_b32 v1, off, off offset:44 ; 4-byte Folded Reload
	s_waitcnt vmcnt(0)
	v_fmac_f32_e32 v1, v3, v0
	v_mul_i32_i24_e32 v0, v19, v105
	v_mul_i32_i24_e32 v19, v89, v129
	scratch_store_b32 off, v1, off offset:44 ; 4-byte Folded Spill
	v_mul_i32_i24_e32 v1, v80, v164
	v_mad_i32_i24 v0, v46, v163, v0
	v_mul_i32_i24_e32 v46, v90, v170
	v_mul_i32_i24_e32 v80, v84, v13
	;; [unrolled: 1-line block ×3, first 2 shown]
	s_delay_alu instid0(VALU_DEP_4) | instskip(SKIP_2) | instid1(VALU_DEP_4)
	v_add3_u32 v0, v0, v1, v2
	v_mul_i32_i24_e32 v1, v87, v166
	v_mul_i32_i24_e32 v2, v88, v106
	v_mad_i32_i24 v84, v117, v160, v84
	s_delay_alu instid0(VALU_DEP_2) | instskip(SKIP_2) | instid1(VALU_DEP_3)
	v_add3_u32 v0, v0, v1, v2
	v_mul_i32_i24_e32 v1, v91, v127
	v_mul_i32_i24_e32 v2, v92, v135
	v_add3_u32 v0, v0, v19, v46
	v_mul_i32_i24_e32 v19, v93, v137
	v_mul_i32_i24_e32 v46, v94, v172
	s_delay_alu instid0(VALU_DEP_3) | instskip(SKIP_2) | instid1(VALU_DEP_3)
	v_add3_u32 v0, v0, v1, v2
	v_mul_i32_i24_e32 v1, v95, v171
	v_mul_i32_i24_e32 v2, v96, v173
	v_add3_u32 v0, v0, v19, v46
	v_mul_i32_i24_e32 v19, v97, v175
	v_mul_i32_i24_e32 v46, v98, v176
	s_delay_alu instid0(VALU_DEP_3) | instskip(SKIP_2) | instid1(VALU_DEP_3)
	v_add3_u32 v0, v0, v1, v2
	v_mul_i32_i24_e32 v1, v99, v8
	v_mul_i32_i24_e32 v2, v101, v190
	v_add3_u32 v0, v0, v19, v46
	v_mul_i32_i24_e32 v19, v83, v179
	s_delay_alu instid0(VALU_DEP_4) | instskip(SKIP_3) | instid1(VALU_DEP_4)
	v_mad_i32_i24 v1, v100, v7, v1
	v_mul_i32_i24_e32 v46, v104, v178
	v_mul_i32_i24_e32 v83, v123, v167
	v_mul_lo_u32 v0, v0, v177
	v_add3_u32 v1, v1, v2, v19
	v_mul_i32_i24_e32 v2, v102, v180
	v_mul_i32_i24_e32 v19, v103, v202
	v_add3_u32 v81, v84, v81, v83
	s_delay_alu instid0(VALU_DEP_2) | instskip(SKIP_2) | instid1(VALU_DEP_3)
	v_add3_u32 v1, v1, v2, v19
	v_mul_i32_i24_e32 v2, v107, v12
	v_mul_i32_i24_e32 v19, v108, v16
	v_add3_u32 v1, v1, v46, v80
	v_mul_i32_i24_e32 v46, v109, v18
	v_mul_i32_i24_e32 v80, v85, v142
	s_delay_alu instid0(VALU_DEP_3) | instskip(SKIP_2) | instid1(VALU_DEP_3)
	v_add3_u32 v1, v1, v2, v19
	v_mul_i32_i24_e32 v2, v110, v201
	v_mul_i32_i24_e32 v19, v111, v204
	v_add3_u32 v1, v1, v46, v80
	v_mul_i32_i24_e32 v46, v112, v141
	v_mul_i32_i24_e32 v80, v86, v140
	s_delay_alu instid0(VALU_DEP_3) | instskip(SKIP_1) | instid1(VALU_DEP_2)
	v_add3_u32 v1, v1, v2, v19
	v_mul_i32_i24_e32 v2, v114, v207
	v_add3_u32 v19, v1, v46, v80
	v_mul_i32_i24_e32 v1, v113, v216
	v_mul_i32_i24_e32 v80, v116, v139
	;; [unrolled: 1-line block ×3, first 2 shown]
	s_delay_alu instid0(VALU_DEP_2) | instskip(NEXT) | instid1(VALU_DEP_1)
	v_add3_u32 v1, v81, v80, v1
	v_add3_u32 v46, v1, v2, v46
	v_mad_u64_u32 v[1:2], null, v19, v159, v[0:1]
	s_delay_alu instid0(VALU_DEP_1) | instskip(NEXT) | instid1(VALU_DEP_3)
	v_cvt_f32_i32_e32 v0, v1
	v_cvt_f32_i32_e32 v1, v46
	s_delay_alu instid0(VALU_DEP_1) | instskip(NEXT) | instid1(VALU_DEP_1)
	v_mul_f32_e32 v1, v5, v1
	v_fma_mix_f32 v0, v126, v0, -v1 op_sel_hi:[1,0,0]
	s_delay_alu instid0(VALU_DEP_1)
	v_fmac_f32_e32 v187, v3, v0
	ds_load_b128 v[0:3], v124 offset:5120
	s_waitcnt lgkmcnt(0)
	v_bfe_i32 v19, v0, 0, 8
	v_bfe_i32 v46, v0, 8, 8
	v_bfe_i32 v80, v0, 16, 8
	v_ashrrev_i32_e32 v81, 24, v0
	v_bfe_i32 v83, v1, 0, 8
	v_bfe_i32 v84, v1, 8, 8
	v_bfe_i32 v85, v1, 16, 8
	v_ashrrev_i32_e32 v86, 24, v1
	;; [unrolled: 4-line block ×4, first 2 shown]
	ds_load_b128 v[0:3], v124 offset:5136
	v_mul_i32_i24_e32 v128, v85, v75
	v_mul_i32_i24_e32 v134, v86, v69
	s_waitcnt lgkmcnt(0)
	v_ashrrev_i32_e32 v98, 24, v0
	v_ashrrev_i32_e32 v102, 24, v1
	v_bfe_i32 v95, v0, 0, 8
	v_bfe_i32 v96, v0, 8, 8
	;; [unrolled: 1-line block ×4, first 2 shown]
	v_ashrrev_i32_e32 v108, 24, v2
	v_bfe_i32 v109, v3, 0, 8
	v_bfe_i32 v110, v3, 8, 8
	;; [unrolled: 1-line block ×3, first 2 shown]
	v_ashrrev_i32_e32 v3, 24, v3
	v_add_nc_u32_e32 v0, v102, v98
	v_bfe_i32 v100, v1, 8, 8
	v_bfe_i32 v107, v2, 16, 8
	;; [unrolled: 1-line block ×4, first 2 shown]
	v_add3_u32 v112, v0, v108, v3
	v_add_nc_u32_e32 v0, v101, v97
	v_bfe_i32 v103, v2, 0, 8
	v_mul_i32_i24_e32 v1, v80, v65
	v_mul_i32_i24_e32 v2, v81, v60
	;; [unrolled: 1-line block ×3, first 2 shown]
	v_add3_u32 v113, v0, v107, v111
	v_add_nc_u32_e32 v0, v100, v96
	s_delay_alu instid0(VALU_DEP_1) | instskip(SKIP_1) | instid1(VALU_DEP_1)
	v_add3_u32 v114, v0, v104, v110
	v_add_nc_u32_e32 v0, v99, v95
	v_add3_u32 v115, v0, v103, v109
	v_add_nc_u32_e32 v0, v86, v81
	s_delay_alu instid0(VALU_DEP_1) | instskip(SKIP_1) | instid1(VALU_DEP_1)
	v_add3_u32 v116, v0, v90, v94
	v_add_nc_u32_e32 v0, v85, v80
	v_add3_u32 v117, v0, v89, v93
	v_add_nc_u32_e32 v0, v84, v46
	s_delay_alu instid0(VALU_DEP_2) | instskip(NEXT) | instid1(VALU_DEP_2)
	v_mul_i32_i24_e32 v152, v117, v53
	v_add3_u32 v118, v0, v88, v92
	v_add_nc_u32_e32 v0, v83, v19
	s_delay_alu instid0(VALU_DEP_2) | instskip(NEXT) | instid1(VALU_DEP_2)
	v_mul_i32_i24_e32 v153, v118, v122
	v_add3_u32 v123, v0, v87, v91
	v_mul_i32_i24_e32 v0, v19, v63
	s_delay_alu instid0(VALU_DEP_2) | instskip(NEXT) | instid1(VALU_DEP_2)
	v_mul_i32_i24_e32 v154, v123, v195
	v_mad_i32_i24 v0, v46, v72, v0
	s_delay_alu instid0(VALU_DEP_2) | instskip(NEXT) | instid1(VALU_DEP_2)
	v_mad_i32_i24 v154, v116, v36, v154
	v_add3_u32 v0, v0, v1, v2
	v_mul_i32_i24_e32 v1, v83, v73
	v_mul_i32_i24_e32 v2, v84, v71
	s_delay_alu instid0(VALU_DEP_4) | instskip(SKIP_2) | instid1(VALU_DEP_4)
	v_add3_u32 v152, v154, v152, v153
	v_mul_i32_i24_e32 v154, v123, v151
	v_mul_i32_i24_e32 v153, v118, v41
	v_add3_u32 v0, v0, v1, v2
	v_mul_i32_i24_e32 v1, v87, v74
	v_mul_i32_i24_e32 v2, v88, v76
	v_mad_i32_i24 v154, v116, v181, v154
	s_delay_alu instid0(VALU_DEP_4) | instskip(SKIP_2) | instid1(VALU_DEP_3)
	v_add3_u32 v0, v0, v128, v134
	v_mul_i32_i24_e32 v128, v89, v77
	v_mul_i32_i24_e32 v134, v90, v121
	v_add3_u32 v0, v0, v1, v2
	v_mul_i32_i24_e32 v1, v91, v119
	v_mul_i32_i24_e32 v2, v92, v120
	s_delay_alu instid0(VALU_DEP_3) | instskip(SKIP_2) | instid1(VALU_DEP_3)
	v_add3_u32 v0, v0, v128, v134
	v_mul_i32_i24_e32 v128, v93, v61
	v_mul_i32_i24_e32 v134, v94, v64
	v_add3_u32 v0, v0, v1, v2
	v_mul_i32_i24_e32 v1, v95, v252
	v_mul_i32_i24_e32 v2, v97, v35
	s_delay_alu instid0(VALU_DEP_3) | instskip(SKIP_1) | instid1(VALU_DEP_4)
	v_add3_u32 v0, v0, v128, v134
	v_mul_i32_i24_e32 v128, v98, v42
	v_mad_i32_i24 v1, v96, v240, v1
	v_mul_i32_i24_e32 v134, v101, v38
	s_delay_alu instid0(VALU_DEP_4) | instskip(NEXT) | instid1(VALU_DEP_3)
	v_mul_lo_u32 v0, v0, v70
	v_add3_u32 v1, v1, v2, v128
	v_mul_i32_i24_e32 v2, v99, v59
	v_mul_i32_i24_e32 v128, v100, v253
	s_delay_alu instid0(VALU_DEP_1) | instskip(SKIP_2) | instid1(VALU_DEP_3)
	v_add3_u32 v1, v1, v2, v128
	v_mul_i32_i24_e32 v2, v103, v58
	v_mul_i32_i24_e32 v128, v104, v50
	v_add3_u32 v1, v1, v134, v150
	v_mul_i32_i24_e32 v134, v107, v56
	v_mul_i32_i24_e32 v150, v108, v44
	s_delay_alu instid0(VALU_DEP_3) | instskip(SKIP_2) | instid1(VALU_DEP_3)
	v_add3_u32 v1, v1, v2, v128
	v_mul_i32_i24_e32 v2, v109, v47
	v_mul_i32_i24_e32 v128, v110, v66
	v_add3_u32 v1, v1, v134, v150
	v_mul_i32_i24_e32 v134, v111, v68
	v_mul_i32_i24_e32 v150, v3, v43
	s_delay_alu instid0(VALU_DEP_3) | instskip(SKIP_1) | instid1(VALU_DEP_2)
	v_add3_u32 v1, v1, v2, v128
	v_mul_i32_i24_e32 v2, v113, v220
	v_add3_u32 v128, v1, v134, v150
	v_mul_i32_i24_e32 v1, v112, v221
	v_mul_i32_i24_e32 v150, v115, v57
	;; [unrolled: 1-line block ×3, first 2 shown]
	s_delay_alu instid0(VALU_DEP_2) | instskip(SKIP_2) | instid1(VALU_DEP_3)
	v_add3_u32 v1, v152, v150, v1
	v_mul_i32_i24_e32 v150, v102, v217
	v_mul_i32_i24_e32 v152, v117, v67
	v_add3_u32 v134, v1, v2, v134
	v_mad_u64_u32 v[1:2], null, v128, v37, v[0:1]
	v_mul_i32_i24_e32 v2, v81, v233
	v_mul_i32_i24_e32 v128, v85, v235
	v_add3_u32 v152, v154, v152, v153
	v_mul_i32_i24_e32 v154, v123, v132
	v_mul_i32_i24_e32 v153, v118, v205
	v_cvt_f32_i32_e32 v0, v1
	v_cvt_f32_i32_e32 v1, v134
	v_mul_i32_i24_e32 v134, v86, v237
	v_mad_i32_i24 v154, v116, v133, v154
	s_delay_alu instid0(VALU_DEP_3) | instskip(NEXT) | instid1(VALU_DEP_1)
	v_mul_f32_e32 v1, v39, v1
	v_fma_mix_f32 v0, v182, v0, -v1 op_sel_hi:[1,0,0]
	scratch_load_b32 v1, off, off offset:40 ; 4-byte Folded Reload
	s_waitcnt vmcnt(0)
	v_fmac_f32_e32 v1, v4, v0
	v_mul_i32_i24_e32 v0, v19, v222
	scratch_store_b32 off, v1, off offset:40 ; 4-byte Folded Spill
	v_mul_i32_i24_e32 v1, v80, v231
	v_mad_i32_i24 v0, v46, v54, v0
	s_delay_alu instid0(VALU_DEP_1) | instskip(SKIP_2) | instid1(VALU_DEP_1)
	v_add3_u32 v0, v0, v1, v2
	v_mul_i32_i24_e32 v1, v83, v232
	v_mul_i32_i24_e32 v2, v84, v79
	v_add3_u32 v0, v0, v1, v2
	v_mul_i32_i24_e32 v1, v87, v236
	v_mul_i32_i24_e32 v2, v88, v238
	s_delay_alu instid0(VALU_DEP_3)
	v_add3_u32 v0, v0, v128, v134
	v_mul_i32_i24_e32 v128, v89, v28
	v_mul_i32_i24_e32 v134, v90, v148
	v_mov_b32_e32 v28, v250
	v_mov_b32_e32 v250, v18
	v_add3_u32 v0, v0, v1, v2
	v_mul_i32_i24_e32 v1, v91, v147
	v_mul_i32_i24_e32 v2, v92, v149
	s_delay_alu instid0(VALU_DEP_3) | instskip(SKIP_2) | instid1(VALU_DEP_3)
	v_add3_u32 v0, v0, v128, v134
	v_mul_i32_i24_e32 v128, v93, v155
	v_mul_i32_i24_e32 v134, v94, v157
	v_add3_u32 v0, v0, v1, v2
	v_mul_i32_i24_e32 v1, v95, v165
	v_mul_i32_i24_e32 v2, v97, v169
	s_delay_alu instid0(VALU_DEP_3) | instskip(SKIP_1) | instid1(VALU_DEP_4)
	v_add3_u32 v0, v0, v128, v134
	v_mul_i32_i24_e32 v128, v98, v193
	v_mad_i32_i24 v1, v96, v161, v1
	v_mul_i32_i24_e32 v134, v101, v198
	s_delay_alu instid0(VALU_DEP_4) | instskip(NEXT) | instid1(VALU_DEP_3)
	v_mul_lo_u32 v0, v0, v158
	v_add3_u32 v1, v1, v2, v128
	v_mul_i32_i24_e32 v2, v99, v62
	v_mul_i32_i24_e32 v128, v100, v185
	s_delay_alu instid0(VALU_DEP_1) | instskip(SKIP_2) | instid1(VALU_DEP_3)
	v_add3_u32 v1, v1, v2, v128
	v_mul_i32_i24_e32 v2, v103, v199
	v_mul_i32_i24_e32 v128, v104, v215
	v_add3_u32 v1, v1, v134, v150
	v_mul_i32_i24_e32 v134, v107, v218
	v_mul_i32_i24_e32 v150, v108, v48
	s_delay_alu instid0(VALU_DEP_3) | instskip(SKIP_2) | instid1(VALU_DEP_3)
	v_add3_u32 v1, v1, v2, v128
	v_mul_i32_i24_e32 v2, v109, v45
	v_mul_i32_i24_e32 v128, v110, v49
	v_add3_u32 v1, v1, v134, v150
	v_mul_i32_i24_e32 v134, v111, v51
	v_mul_i32_i24_e32 v150, v3, v52
	s_delay_alu instid0(VALU_DEP_3) | instskip(SKIP_1) | instid1(VALU_DEP_2)
	v_add3_u32 v1, v1, v2, v128
	v_mul_i32_i24_e32 v2, v113, v192
	v_add3_u32 v128, v1, v134, v150
	v_mul_i32_i24_e32 v1, v112, v55
	v_mul_i32_i24_e32 v150, v115, v226
	;; [unrolled: 1-line block ×3, first 2 shown]
	s_delay_alu instid0(VALU_DEP_2) | instskip(SKIP_3) | instid1(VALU_DEP_4)
	v_add3_u32 v1, v152, v150, v1
	v_mul_i32_i24_e32 v150, v102, v29
	v_mul_i32_i24_e32 v152, v117, v25
	v_mov_b32_e32 v25, v72
	v_add3_u32 v134, v1, v2, v134
	v_mad_u64_u32 v[1:2], null, v128, v15, v[0:1]
	v_mul_i32_i24_e32 v2, v81, v191
	v_mul_i32_i24_e32 v128, v85, v223
	v_add3_u32 v152, v154, v152, v153
	s_delay_alu instid0(VALU_DEP_4) | instskip(SKIP_2) | instid1(VALU_DEP_2)
	v_cvt_f32_i32_e32 v0, v1
	v_cvt_f32_i32_e32 v1, v134
	v_mul_i32_i24_e32 v134, v86, v196
	v_mul_f32_e32 v1, v186, v1
	s_delay_alu instid0(VALU_DEP_1)
	v_fma_mix_f32 v0, v138, v0, -v1 op_sel_hi:[1,0,0]
	scratch_load_b32 v1, off, off offset:36 ; 4-byte Folded Reload
	s_waitcnt vmcnt(0)
	v_fmac_f32_e32 v1, v4, v0
	v_mul_i32_i24_e32 v0, v19, v188
	scratch_store_b32 off, v1, off offset:36 ; 4-byte Folded Spill
	v_mul_i32_i24_e32 v1, v80, v189
	v_mad_i32_i24 v0, v46, v28, v0
	s_delay_alu instid0(VALU_DEP_1) | instskip(SKIP_3) | instid1(VALU_DEP_2)
	v_add3_u32 v0, v0, v1, v2
	v_mul_i32_i24_e32 v1, v83, v247
	v_mul_i32_i24_e32 v2, v84, v10
	v_mov_b32_e32 v10, v190
	v_add3_u32 v0, v0, v1, v2
	v_mul_i32_i24_e32 v1, v87, v239
	v_mul_i32_i24_e32 v2, v88, v241
	s_delay_alu instid0(VALU_DEP_3) | instskip(SKIP_2) | instid1(VALU_DEP_3)
	v_add3_u32 v0, v0, v128, v134
	v_mul_i32_i24_e32 v128, v89, v244
	v_mul_i32_i24_e32 v134, v90, v200
	v_add3_u32 v0, v0, v1, v2
	v_mul_i32_i24_e32 v1, v91, v82
	v_mul_i32_i24_e32 v2, v92, v246
	s_delay_alu instid0(VALU_DEP_3) | instskip(SKIP_2) | instid1(VALU_DEP_3)
	v_add3_u32 v0, v0, v128, v134
	v_mul_i32_i24_e32 v128, v93, v78
	v_mul_i32_i24_e32 v134, v94, v20
	v_add3_u32 v0, v0, v1, v2
	v_mul_i32_i24_e32 v1, v95, v210
	v_mul_i32_i24_e32 v2, v97, v213
	s_delay_alu instid0(VALU_DEP_3) | instskip(SKIP_1) | instid1(VALU_DEP_4)
	v_add3_u32 v0, v0, v128, v134
	v_mul_i32_i24_e32 v128, v98, v27
	v_mad_i32_i24 v1, v96, v24, v1
	v_mul_i32_i24_e32 v134, v101, v26
	s_delay_alu instid0(VALU_DEP_4) | instskip(NEXT) | instid1(VALU_DEP_3)
	v_mul_lo_u32 v0, v0, v208
	v_add3_u32 v1, v1, v2, v128
	v_mul_i32_i24_e32 v2, v99, v248
	v_mul_i32_i24_e32 v128, v100, v212
	s_delay_alu instid0(VALU_DEP_1) | instskip(SKIP_2) | instid1(VALU_DEP_3)
	v_add3_u32 v1, v1, v2, v128
	v_mul_i32_i24_e32 v2, v103, v214
	v_mul_i32_i24_e32 v128, v104, v30
	v_add3_u32 v1, v1, v134, v150
	v_mul_i32_i24_e32 v134, v107, v31
	v_mul_i32_i24_e32 v150, v108, v145
	s_delay_alu instid0(VALU_DEP_3) | instskip(SKIP_2) | instid1(VALU_DEP_3)
	v_add3_u32 v1, v1, v2, v128
	v_mul_i32_i24_e32 v2, v109, v32
	v_mul_i32_i24_e32 v128, v110, v146
	v_add3_u32 v1, v1, v134, v150
	v_mul_i32_i24_e32 v134, v111, v144
	v_mul_i32_i24_e32 v150, v3, v143
	;; [unrolled: 1-line block ×3, first 2 shown]
	s_delay_alu instid0(VALU_DEP_4) | instskip(SKIP_1) | instid1(VALU_DEP_2)
	v_add3_u32 v1, v1, v2, v128
	v_mul_i32_i24_e32 v2, v113, v22
	v_add3_u32 v128, v1, v134, v150
	v_mul_i32_i24_e32 v1, v112, v23
	v_mul_i32_i24_e32 v150, v115, v183
	;; [unrolled: 1-line block ×3, first 2 shown]
	s_delay_alu instid0(VALU_DEP_2) | instskip(NEXT) | instid1(VALU_DEP_1)
	v_add3_u32 v1, v152, v150, v1
	v_add3_u32 v134, v1, v2, v134
	v_mad_u64_u32 v[1:2], null, v128, v234, v[0:1]
	v_mul_i32_i24_e32 v2, v81, v168
	v_mul_i32_i24_e32 v81, v118, v167
	s_delay_alu instid0(VALU_DEP_3) | instskip(SKIP_1) | instid1(VALU_DEP_1)
	v_cvt_f32_i32_e32 v0, v1
	v_cvt_f32_i32_e32 v1, v134
	v_mul_f32_e32 v1, v162, v1
	s_delay_alu instid0(VALU_DEP_1) | instskip(SKIP_2) | instid1(VALU_DEP_3)
	v_fma_mix_f32 v0, v131, v0, -v1 op_sel_hi:[1,0,0]
	v_mul_i32_i24_e32 v1, v80, v164
	v_mul_i32_i24_e32 v80, v102, v13
	v_fmac_f32_e32 v203, v4, v0
	v_mul_i32_i24_e32 v0, v19, v105
	v_mul_i32_i24_e32 v19, v85, v129
	s_delay_alu instid0(VALU_DEP_2) | instskip(SKIP_1) | instid1(VALU_DEP_2)
	v_mad_i32_i24 v0, v46, v163, v0
	v_mul_i32_i24_e32 v46, v86, v170
	v_add3_u32 v0, v0, v1, v2
	v_mul_i32_i24_e32 v1, v83, v166
	v_mul_i32_i24_e32 v2, v84, v106
	;; [unrolled: 1-line block ×3, first 2 shown]
	s_delay_alu instid0(VALU_DEP_2) | instskip(SKIP_2) | instid1(VALU_DEP_4)
	v_add3_u32 v0, v0, v1, v2
	v_mul_i32_i24_e32 v1, v87, v127
	v_mul_i32_i24_e32 v2, v88, v135
	v_mad_i32_i24 v83, v116, v160, v83
	s_delay_alu instid0(VALU_DEP_4) | instskip(SKIP_2) | instid1(VALU_DEP_3)
	v_add3_u32 v0, v0, v19, v46
	v_mul_i32_i24_e32 v19, v89, v137
	v_mul_i32_i24_e32 v46, v90, v172
	v_add3_u32 v0, v0, v1, v2
	v_mul_i32_i24_e32 v1, v91, v171
	v_mul_i32_i24_e32 v2, v92, v173
	s_delay_alu instid0(VALU_DEP_3) | instskip(SKIP_2) | instid1(VALU_DEP_3)
	v_add3_u32 v0, v0, v19, v46
	v_mul_i32_i24_e32 v19, v93, v175
	v_mul_i32_i24_e32 v46, v94, v176
	v_add3_u32 v0, v0, v1, v2
	v_mul_i32_i24_e32 v1, v95, v8
	v_mul_i32_i24_e32 v2, v97, v190
	s_delay_alu instid0(VALU_DEP_3) | instskip(SKIP_1) | instid1(VALU_DEP_4)
	v_add3_u32 v0, v0, v19, v46
	v_mul_i32_i24_e32 v19, v98, v179
	v_mad_i32_i24 v1, v96, v7, v1
	v_mul_i32_i24_e32 v46, v101, v178
	s_delay_alu instid0(VALU_DEP_4) | instskip(NEXT) | instid1(VALU_DEP_3)
	v_mul_lo_u32 v0, v0, v177
	v_add3_u32 v1, v1, v2, v19
	v_mul_i32_i24_e32 v2, v99, v180
	v_mul_i32_i24_e32 v19, v100, v202
	s_delay_alu instid0(VALU_DEP_1) | instskip(SKIP_2) | instid1(VALU_DEP_3)
	v_add3_u32 v1, v1, v2, v19
	v_mul_i32_i24_e32 v2, v103, v12
	v_mul_i32_i24_e32 v19, v104, v16
	v_add3_u32 v1, v1, v46, v80
	v_mul_i32_i24_e32 v46, v107, v18
	v_mul_i32_i24_e32 v80, v108, v142
	v_mov_b32_e32 v18, v71
	s_delay_alu instid0(VALU_DEP_4) | instskip(SKIP_3) | instid1(VALU_DEP_4)
	v_add3_u32 v1, v1, v2, v19
	v_mul_i32_i24_e32 v2, v109, v201
	v_mul_i32_i24_e32 v19, v110, v204
	v_mov_b32_e32 v201, v239
	v_add3_u32 v1, v1, v46, v80
	v_mul_i32_i24_e32 v46, v111, v141
	v_mul_i32_i24_e32 v80, v117, v174
	s_delay_alu instid0(VALU_DEP_3) | instskip(SKIP_1) | instid1(VALU_DEP_3)
	v_add3_u32 v1, v1, v2, v19
	v_mul_i32_i24_e32 v2, v113, v207
	v_add3_u32 v80, v83, v80, v81
	v_mul_i32_i24_e32 v19, v114, v6
	v_mov_b32_e32 v207, v244
	v_add3_u32 v3, v1, v46, v3
	v_mul_i32_i24_e32 v1, v112, v216
	v_mul_i32_i24_e32 v46, v115, v139
	s_delay_alu instid0(VALU_DEP_1) | instskip(NEXT) | instid1(VALU_DEP_1)
	v_add3_u32 v1, v80, v46, v1
	v_add3_u32 v19, v1, v2, v19
	v_mad_u64_u32 v[1:2], null, v3, v159, v[0:1]
	s_delay_alu instid0(VALU_DEP_1) | instskip(NEXT) | instid1(VALU_DEP_3)
	v_cvt_f32_i32_e32 v0, v1
	v_cvt_f32_i32_e32 v1, v19
	s_delay_alu instid0(VALU_DEP_1) | instskip(SKIP_1) | instid1(VALU_DEP_2)
	v_mul_f32_e32 v1, v5, v1
	v_mov_b32_e32 v5, v28
	v_fma_mix_f32 v0, v126, v0, -v1 op_sel_hi:[1,0,0]
	s_delay_alu instid0(VALU_DEP_1)
	v_fmac_f32_e32 v206, v4, v0
	ds_load_2addr_b32 v[3:4], v125 offset0:192 offset1:224
	ds_load_b128 v[83:86], v124 offset:6144
	v_add_nc_u32_e32 v125, 4, v125
	s_waitcnt lgkmcnt(0)
	v_bfe_i32 v19, v83, 0, 8
	v_bfe_i32 v46, v83, 8, 8
	v_bfe_i32 v80, v83, 16, 8
	v_ashrrev_i32_e32 v81, 24, v83
	v_bfe_i32 v87, v84, 0, 8
	v_bfe_i32 v88, v84, 8, 8
	v_bfe_i32 v89, v84, 16, 8
	v_ashrrev_i32_e32 v90, 24, v84
	;; [unrolled: 4-line block ×4, first 2 shown]
	ds_load_b128 v[83:86], v124 offset:6160
	v_mul_i32_i24_e32 v1, v80, v65
	v_mul_i32_i24_e32 v2, v81, v60
	;; [unrolled: 1-line block ×4, first 2 shown]
	s_waitcnt lgkmcnt(0)
	v_bfe_i32 v99, v83, 0, 8
	v_bfe_i32 v100, v83, 8, 8
	v_bfe_i32 v101, v83, 16, 8
	v_ashrrev_i32_e32 v83, 24, v83
	v_bfe_i32 v102, v84, 0, 8
	v_bfe_i32 v103, v84, 8, 8
	v_bfe_i32 v104, v84, 16, 8
	v_ashrrev_i32_e32 v84, 24, v84
	;; [unrolled: 4-line block ×4, first 2 shown]
	v_add_nc_u32_e32 v0, v84, v83
	v_mul_i32_i24_e32 v152, v84, v40
	s_delay_alu instid0(VALU_DEP_2) | instskip(SKIP_1) | instid1(VALU_DEP_1)
	v_add3_u32 v113, v0, v85, v86
	v_add_nc_u32_e32 v0, v104, v101
	v_add3_u32 v114, v0, v109, v112
	v_add_nc_u32_e32 v0, v103, v100
	s_delay_alu instid0(VALU_DEP_1) | instskip(SKIP_1) | instid1(VALU_DEP_1)
	v_add3_u32 v115, v0, v108, v111
	v_add_nc_u32_e32 v0, v102, v99
	v_add3_u32 v116, v0, v107, v110
	v_add_nc_u32_e32 v0, v90, v81
	s_delay_alu instid0(VALU_DEP_1) | instskip(SKIP_1) | instid1(VALU_DEP_1)
	v_add3_u32 v117, v0, v94, v98
	v_add_nc_u32_e32 v0, v89, v80
	v_add3_u32 v118, v0, v93, v97
	v_add_nc_u32_e32 v0, v88, v46
	s_delay_alu instid0(VALU_DEP_2) | instskip(NEXT) | instid1(VALU_DEP_2)
	v_mul_i32_i24_e32 v153, v118, v53
	v_add3_u32 v123, v0, v92, v96
	v_add_nc_u32_e32 v0, v87, v19
	s_delay_alu instid0(VALU_DEP_2) | instskip(NEXT) | instid1(VALU_DEP_2)
	v_mul_i32_i24_e32 v154, v123, v122
	v_add3_u32 v128, v0, v91, v95
	v_mul_i32_i24_e32 v0, v19, v63
	s_delay_alu instid0(VALU_DEP_2) | instskip(NEXT) | instid1(VALU_DEP_2)
	v_mul_i32_i24_e32 v156, v128, v195
	v_mad_i32_i24 v0, v46, v72, v0
	v_mov_b32_e32 v72, v75
	v_mov_b32_e32 v75, v119
	s_delay_alu instid0(VALU_DEP_4) | instskip(NEXT) | instid1(VALU_DEP_4)
	v_mad_i32_i24 v156, v117, v36, v156
	v_add3_u32 v0, v0, v1, v2
	v_mul_i32_i24_e32 v1, v87, v73
	v_mul_i32_i24_e32 v2, v88, v71
	v_mov_b32_e32 v71, v74
	v_add3_u32 v153, v156, v153, v154
	v_mul_i32_i24_e32 v156, v128, v151
	v_mul_i32_i24_e32 v154, v123, v41
	v_add3_u32 v0, v0, v1, v2
	v_mul_i32_i24_e32 v1, v91, v74
	v_mul_i32_i24_e32 v2, v92, v76
	v_mad_i32_i24 v156, v117, v181, v156
	s_delay_alu instid0(VALU_DEP_4) | instskip(SKIP_2) | instid1(VALU_DEP_3)
	v_add3_u32 v0, v0, v134, v150
	v_mul_i32_i24_e32 v134, v93, v77
	v_mul_i32_i24_e32 v150, v94, v121
	v_add3_u32 v0, v0, v1, v2
	v_mul_i32_i24_e32 v1, v95, v119
	v_mul_i32_i24_e32 v2, v96, v120
	scratch_load_b32 v119, off, off offset:96 ; 4-byte Folded Reload
	v_add3_u32 v0, v0, v134, v150
	v_mul_i32_i24_e32 v134, v97, v61
	v_mul_i32_i24_e32 v150, v98, v64
	s_delay_alu instid0(VALU_DEP_3) | instskip(SKIP_2) | instid1(VALU_DEP_3)
	v_add3_u32 v0, v0, v1, v2
	v_mul_i32_i24_e32 v1, v99, v252
	v_mul_i32_i24_e32 v2, v101, v35
	v_add3_u32 v0, v0, v134, v150
	v_mul_i32_i24_e32 v134, v83, v42
	s_delay_alu instid0(VALU_DEP_4) | instskip(SKIP_1) | instid1(VALU_DEP_4)
	v_mad_i32_i24 v1, v100, v240, v1
	v_mul_i32_i24_e32 v150, v104, v38
	v_mul_lo_u32 v0, v0, v70
	s_delay_alu instid0(VALU_DEP_3) | instskip(SKIP_2) | instid1(VALU_DEP_1)
	v_add3_u32 v1, v1, v2, v134
	v_mul_i32_i24_e32 v2, v102, v59
	v_mul_i32_i24_e32 v134, v103, v253
	v_add3_u32 v1, v1, v2, v134
	v_mul_i32_i24_e32 v2, v107, v58
	v_mul_i32_i24_e32 v134, v108, v50
	s_delay_alu instid0(VALU_DEP_3) | instskip(SKIP_2) | instid1(VALU_DEP_3)
	v_add3_u32 v1, v1, v150, v152
	v_mul_i32_i24_e32 v150, v109, v56
	v_mul_i32_i24_e32 v152, v85, v44
	v_add3_u32 v1, v1, v2, v134
	v_mul_i32_i24_e32 v2, v110, v47
	v_mul_i32_i24_e32 v134, v111, v66
	s_delay_alu instid0(VALU_DEP_3) | instskip(SKIP_2) | instid1(VALU_DEP_3)
	v_add3_u32 v1, v1, v150, v152
	v_mul_i32_i24_e32 v150, v112, v68
	v_mul_i32_i24_e32 v152, v86, v43
	v_add3_u32 v1, v1, v2, v134
	v_mul_i32_i24_e32 v2, v114, v220
	s_delay_alu instid0(VALU_DEP_2) | instskip(SKIP_3) | instid1(VALU_DEP_2)
	v_add3_u32 v134, v1, v150, v152
	v_mul_i32_i24_e32 v1, v113, v221
	v_mul_i32_i24_e32 v152, v116, v57
	;; [unrolled: 1-line block ×3, first 2 shown]
	v_add3_u32 v1, v153, v152, v1
	v_mul_i32_i24_e32 v152, v84, v217
	v_mul_i32_i24_e32 v153, v118, v67
	s_delay_alu instid0(VALU_DEP_3)
	v_add3_u32 v150, v1, v2, v150
	v_mad_u64_u32 v[1:2], null, v134, v37, v[0:1]
	v_mul_i32_i24_e32 v2, v81, v233
	v_mul_i32_i24_e32 v134, v89, v235
	v_add3_u32 v153, v156, v153, v154
	v_mul_i32_i24_e32 v156, v128, v132
	v_mul_i32_i24_e32 v154, v123, v205
	v_cvt_f32_i32_e32 v0, v1
	v_cvt_f32_i32_e32 v1, v150
	v_mul_i32_i24_e32 v150, v90, v237
	v_mad_i32_i24 v156, v117, v133, v156
	s_delay_alu instid0(VALU_DEP_3) | instskip(NEXT) | instid1(VALU_DEP_1)
	v_mul_f32_e32 v1, v39, v1
	v_fma_mix_f32 v0, v182, v0, -v1 op_sel_hi:[1,0,0]
	v_dual_mov_b32 v34, v73 :: v_dual_mov_b32 v73, v76
	scratch_load_b32 v76, off, off offset:16 ; 4-byte Folded Reload
	v_mul_i32_i24_e32 v1, v80, v231
	v_fmac_f32_e32 v209, v3, v0
	v_mul_i32_i24_e32 v0, v19, v222
	s_delay_alu instid0(VALU_DEP_1) | instskip(NEXT) | instid1(VALU_DEP_1)
	v_mad_i32_i24 v0, v46, v54, v0
	v_add3_u32 v0, v0, v1, v2
	v_mul_i32_i24_e32 v1, v87, v232
	v_mul_i32_i24_e32 v2, v88, v79
	s_delay_alu instid0(VALU_DEP_1) | instskip(SKIP_2) | instid1(VALU_DEP_3)
	v_add3_u32 v0, v0, v1, v2
	v_mul_i32_i24_e32 v1, v91, v236
	v_mul_i32_i24_e32 v2, v92, v238
	v_add3_u32 v0, v0, v134, v150
	v_mul_i32_i24_e32 v134, v93, v245
	v_mul_i32_i24_e32 v150, v94, v148
	s_delay_alu instid0(VALU_DEP_3) | instskip(SKIP_2) | instid1(VALU_DEP_3)
	v_add3_u32 v0, v0, v1, v2
	v_mul_i32_i24_e32 v1, v95, v147
	v_mul_i32_i24_e32 v2, v96, v149
	v_add3_u32 v0, v0, v134, v150
	v_mul_i32_i24_e32 v134, v97, v155
	v_mul_i32_i24_e32 v150, v98, v157
	s_delay_alu instid0(VALU_DEP_3) | instskip(SKIP_2) | instid1(VALU_DEP_3)
	v_add3_u32 v0, v0, v1, v2
	v_mul_i32_i24_e32 v1, v99, v165
	v_mul_i32_i24_e32 v2, v101, v169
	v_add3_u32 v0, v0, v134, v150
	v_mul_i32_i24_e32 v134, v83, v193
	s_delay_alu instid0(VALU_DEP_4) | instskip(SKIP_1) | instid1(VALU_DEP_4)
	v_mad_i32_i24 v1, v100, v161, v1
	v_mul_i32_i24_e32 v150, v104, v198
	v_mul_lo_u32 v0, v0, v158
	s_delay_alu instid0(VALU_DEP_3) | instskip(SKIP_2) | instid1(VALU_DEP_1)
	v_add3_u32 v1, v1, v2, v134
	v_mul_i32_i24_e32 v2, v102, v62
	v_mul_i32_i24_e32 v134, v103, v185
	v_add3_u32 v1, v1, v2, v134
	v_mul_i32_i24_e32 v2, v107, v199
	v_mul_i32_i24_e32 v134, v108, v215
	s_delay_alu instid0(VALU_DEP_3) | instskip(SKIP_2) | instid1(VALU_DEP_3)
	v_add3_u32 v1, v1, v150, v152
	v_mul_i32_i24_e32 v150, v109, v218
	v_mul_i32_i24_e32 v152, v85, v48
	v_add3_u32 v1, v1, v2, v134
	v_mul_i32_i24_e32 v2, v110, v45
	v_mul_i32_i24_e32 v134, v111, v49
	s_delay_alu instid0(VALU_DEP_3) | instskip(SKIP_2) | instid1(VALU_DEP_3)
	v_add3_u32 v1, v1, v150, v152
	v_mul_i32_i24_e32 v150, v112, v51
	v_mul_i32_i24_e32 v152, v86, v52
	v_add3_u32 v1, v1, v2, v134
	v_mul_i32_i24_e32 v2, v114, v192
	s_delay_alu instid0(VALU_DEP_2) | instskip(SKIP_3) | instid1(VALU_DEP_2)
	v_add3_u32 v134, v1, v150, v152
	v_mul_i32_i24_e32 v1, v113, v55
	v_mul_i32_i24_e32 v152, v116, v226
	;; [unrolled: 1-line block ×3, first 2 shown]
	v_add3_u32 v1, v153, v152, v1
	v_mul_i32_i24_e32 v152, v84, v29
	v_mul_i32_i24_e32 v153, v118, v243
	s_delay_alu instid0(VALU_DEP_3) | instskip(SKIP_4) | instid1(VALU_DEP_4)
	v_add3_u32 v150, v1, v2, v150
	v_mad_u64_u32 v[1:2], null, v134, v15, v[0:1]
	v_mul_i32_i24_e32 v2, v81, v191
	v_mul_i32_i24_e32 v134, v89, v223
	v_add3_u32 v153, v156, v153, v154
	v_cvt_f32_i32_e32 v0, v1
	v_cvt_f32_i32_e32 v1, v150
	v_mul_i32_i24_e32 v150, v90, v196
	s_delay_alu instid0(VALU_DEP_2) | instskip(NEXT) | instid1(VALU_DEP_1)
	v_mul_f32_e32 v1, v186, v1
	v_fma_mix_f32 v0, v138, v0, -v1 op_sel_hi:[1,0,0]
	v_mov_b32_e32 v74, v77
	v_mul_i32_i24_e32 v1, v80, v189
	v_mov_b32_e32 v77, v120
	s_waitcnt vmcnt(1)
	v_dual_mov_b32 v120, v240 :: v_dual_fmac_f32 v119, v3, v0
	v_mul_i32_i24_e32 v0, v19, v188
	s_delay_alu instid0(VALU_DEP_1) | instskip(NEXT) | instid1(VALU_DEP_1)
	v_mad_i32_i24 v0, v46, v28, v0
	v_add3_u32 v0, v0, v1, v2
	v_mul_i32_i24_e32 v1, v87, v247
	v_mul_i32_i24_e32 v2, v88, v249
	s_delay_alu instid0(VALU_DEP_1) | instskip(SKIP_2) | instid1(VALU_DEP_3)
	v_add3_u32 v0, v0, v1, v2
	v_mul_i32_i24_e32 v1, v91, v239
	v_mul_i32_i24_e32 v2, v92, v241
	v_add3_u32 v0, v0, v134, v150
	v_mul_i32_i24_e32 v134, v93, v244
	v_mul_i32_i24_e32 v150, v94, v200
	s_delay_alu instid0(VALU_DEP_3) | instskip(SKIP_2) | instid1(VALU_DEP_3)
	v_add3_u32 v0, v0, v1, v2
	v_mul_i32_i24_e32 v1, v95, v82
	v_mul_i32_i24_e32 v2, v96, v246
	v_add3_u32 v0, v0, v134, v150
	v_mul_i32_i24_e32 v134, v97, v78
	v_mul_i32_i24_e32 v150, v98, v20
	s_delay_alu instid0(VALU_DEP_3) | instskip(SKIP_2) | instid1(VALU_DEP_3)
	v_add3_u32 v0, v0, v1, v2
	v_mul_i32_i24_e32 v1, v99, v210
	v_mul_i32_i24_e32 v2, v101, v213
	v_add3_u32 v0, v0, v134, v150
	v_mul_i32_i24_e32 v134, v83, v27
	s_delay_alu instid0(VALU_DEP_4) | instskip(SKIP_1) | instid1(VALU_DEP_4)
	v_mad_i32_i24 v1, v100, v24, v1
	v_mul_i32_i24_e32 v150, v104, v26
	v_mul_lo_u32 v0, v0, v208
	s_delay_alu instid0(VALU_DEP_3) | instskip(SKIP_2) | instid1(VALU_DEP_1)
	v_add3_u32 v1, v1, v2, v134
	v_mul_i32_i24_e32 v2, v102, v248
	v_mul_i32_i24_e32 v134, v103, v212
	v_add3_u32 v1, v1, v2, v134
	v_mul_i32_i24_e32 v2, v107, v214
	v_mul_i32_i24_e32 v134, v108, v30
	s_delay_alu instid0(VALU_DEP_3) | instskip(SKIP_2) | instid1(VALU_DEP_3)
	v_add3_u32 v1, v1, v150, v152
	v_mul_i32_i24_e32 v150, v109, v31
	v_mul_i32_i24_e32 v152, v85, v145
	v_add3_u32 v1, v1, v2, v134
	v_mul_i32_i24_e32 v2, v110, v32
	v_mul_i32_i24_e32 v134, v111, v146
	s_delay_alu instid0(VALU_DEP_3) | instskip(SKIP_2) | instid1(VALU_DEP_3)
	v_add3_u32 v1, v1, v150, v152
	v_mul_i32_i24_e32 v150, v112, v144
	v_mul_i32_i24_e32 v152, v86, v143
	v_add3_u32 v1, v1, v2, v134
	v_mul_i32_i24_e32 v2, v114, v22
	s_delay_alu instid0(VALU_DEP_2) | instskip(SKIP_3) | instid1(VALU_DEP_2)
	v_add3_u32 v134, v1, v150, v152
	v_mul_i32_i24_e32 v1, v113, v23
	v_mul_i32_i24_e32 v152, v116, v183
	;; [unrolled: 1-line block ×3, first 2 shown]
	v_add3_u32 v1, v153, v152, v1
	s_clause 0x1
	scratch_load_b32 v152, off, off offset:88
	scratch_load_b32 v153, off, off offset:80
	v_add3_u32 v150, v1, v2, v150
	v_mad_u64_u32 v[1:2], null, v134, v197, v[0:1]
	v_mul_i32_i24_e32 v2, v81, v168
	v_mul_i32_i24_e32 v81, v118, v174
	s_delay_alu instid0(VALU_DEP_3) | instskip(SKIP_4) | instid1(VALU_DEP_1)
	v_cvt_f32_i32_e32 v0, v1
	v_cvt_f32_i32_e32 v1, v150
	v_mov_b32_e32 v216, v247
	scratch_load_b32 v150, off, off offset:76 ; 4-byte Folded Reload
	v_mul_f32_e32 v1, v162, v1
	v_fma_mix_f32 v0, v131, v0, -v1 op_sel_hi:[1,0,0]
	v_mul_i32_i24_e32 v1, v80, v164
	v_mul_i32_i24_e32 v80, v84, v13
	;; [unrolled: 1-line block ×3, first 2 shown]
	s_waitcnt vmcnt(3)
	v_fmac_f32_e32 v76, v3, v0
	v_mul_i32_i24_e32 v0, v19, v105
	v_mul_i32_i24_e32 v19, v89, v129
	v_mad_i32_i24 v84, v117, v160, v84
	s_delay_alu instid0(VALU_DEP_3) | instskip(SKIP_1) | instid1(VALU_DEP_2)
	v_mad_i32_i24 v0, v46, v163, v0
	v_mul_i32_i24_e32 v46, v90, v170
	v_add3_u32 v0, v0, v1, v2
	v_mul_i32_i24_e32 v1, v87, v166
	v_mul_i32_i24_e32 v2, v88, v106
	s_delay_alu instid0(VALU_DEP_1) | instskip(SKIP_2) | instid1(VALU_DEP_3)
	v_add3_u32 v0, v0, v1, v2
	v_mul_i32_i24_e32 v1, v91, v127
	v_mul_i32_i24_e32 v2, v92, v135
	v_add3_u32 v0, v0, v19, v46
	v_mul_i32_i24_e32 v19, v93, v137
	v_mul_i32_i24_e32 v46, v94, v172
	s_delay_alu instid0(VALU_DEP_3) | instskip(SKIP_2) | instid1(VALU_DEP_3)
	v_add3_u32 v0, v0, v1, v2
	v_mul_i32_i24_e32 v1, v95, v171
	v_mul_i32_i24_e32 v2, v96, v173
	v_add3_u32 v0, v0, v19, v46
	v_mul_i32_i24_e32 v19, v97, v175
	v_mul_i32_i24_e32 v46, v98, v176
	s_delay_alu instid0(VALU_DEP_3) | instskip(SKIP_2) | instid1(VALU_DEP_3)
	v_add3_u32 v0, v0, v1, v2
	v_mul_i32_i24_e32 v1, v99, v8
	v_mul_i32_i24_e32 v2, v101, v10
	v_add3_u32 v0, v0, v19, v46
	v_mul_i32_i24_e32 v19, v83, v179
	s_delay_alu instid0(VALU_DEP_4)
	v_mad_i32_i24 v1, v100, v7, v1
	v_mul_i32_i24_e32 v46, v104, v178
	v_mul_i32_i24_e32 v83, v123, v167
	v_mul_lo_u32 v0, v0, v177
	ds_load_b128 v[98:101], v124 offset:7184
	v_add3_u32 v1, v1, v2, v19
	v_mul_i32_i24_e32 v2, v102, v180
	v_mul_i32_i24_e32 v19, v103, v9
	v_add3_u32 v81, v84, v81, v83
	s_delay_alu instid0(VALU_DEP_2)
	v_add3_u32 v1, v1, v2, v19
	v_mul_i32_i24_e32 v2, v107, v12
	scratch_load_b32 v107, off, off offset:12 ; 4-byte Folded Reload
	v_mul_i32_i24_e32 v19, v108, v16
	v_add3_u32 v1, v1, v46, v80
	v_mul_i32_i24_e32 v46, v109, v250
	v_mul_i32_i24_e32 v80, v85, v142
	s_delay_alu instid0(VALU_DEP_3)
	v_add3_u32 v1, v1, v2, v19
	v_mul_i32_i24_e32 v2, v110, v17
	v_mul_i32_i24_e32 v19, v111, v204
	s_waitcnt lgkmcnt(0)
	v_ashrrev_i32_e32 v111, 24, v99
	v_bfe_i32 v110, v99, 16, 8
	v_add3_u32 v1, v1, v46, v80
	v_mul_i32_i24_e32 v46, v112, v141
	v_mul_i32_i24_e32 v80, v86, v140
	v_ashrrev_i32_e32 v117, 24, v101
	v_bfe_i32 v112, v98, 0, 8
	v_add3_u32 v1, v1, v2, v19
	v_mul_i32_i24_e32 v2, v114, v11
	v_bfe_i32 v123, v98, 8, 8
	v_bfe_i32 v114, v100, 16, 8
	;; [unrolled: 1-line block ×3, first 2 shown]
	v_add3_u32 v19, v1, v46, v80
	v_mul_i32_i24_e32 v1, v113, v14
	v_mul_i32_i24_e32 v80, v116, v139
	;; [unrolled: 1-line block ×3, first 2 shown]
	v_ashrrev_i32_e32 v116, 24, v98
	v_bfe_i32 v113, v98, 16, 8
	v_mov_b32_e32 v156, v136
	v_add3_u32 v1, v81, v80, v1
	v_bfe_i32 v98, v101, 16, 8
	v_bfe_i32 v97, v101, 8, 8
	;; [unrolled: 1-line block ×3, first 2 shown]
	v_mul_i32_i24_e32 v35, v113, v35
	v_add3_u32 v46, v1, v2, v46
	v_mad_u64_u32 v[1:2], null, v19, v159, v[0:1]
	v_ashrrev_i32_e32 v19, 24, v100
	v_mul_i32_i24_e32 v42, v116, v42
	v_mul_i32_i24_e32 v38, v110, v38
	;; [unrolled: 1-line block ×3, first 2 shown]
	v_cvt_f32_i32_e32 v0, v1
	v_cvt_f32_i32_e32 v1, v46
	v_dual_mov_b32 v190, v223 :: v_dual_mov_b32 v223, v224
	s_delay_alu instid0(VALU_DEP_2) | instskip(NEXT) | instid1(VALU_DEP_1)
	v_mul_f32_e32 v1, v33, v1
	v_fma_mix_f32 v0, v126, v0, -v1 op_sel_hi:[1,0,0]
	v_dual_mov_b32 v224, v225 :: v_dual_mov_b32 v225, v227
	v_dual_mov_b32 v227, v228 :: v_dual_mov_b32 v228, v229
	v_mov_b32_e32 v229, v230
	s_waitcnt vmcnt(0)
	v_fmac_f32_e32 v107, v3, v0
	ds_load_b128 v[0:3], v124 offset:7168
	v_add_nc_u32_e32 v124, 32, v124
	s_waitcnt lgkmcnt(0)
	v_bfe_i32 v84, v2, 0, 8
	v_bfe_i32 v85, v2, 8, 8
	;; [unrolled: 1-line block ×3, first 2 shown]
	v_ashrrev_i32_e32 v87, 24, v2
	v_bfe_i32 v81, v3, 0, 8
	v_bfe_i32 v46, v3, 8, 8
	;; [unrolled: 1-line block ×3, first 2 shown]
	v_ashrrev_i32_e32 v83, 24, v3
	v_add_nc_u32_e32 v3, v111, v116
	v_bfe_i32 v89, v1, 0, 8
	v_bfe_i32 v90, v1, 8, 8
	;; [unrolled: 1-line block ×3, first 2 shown]
	v_ashrrev_i32_e32 v92, 24, v1
	v_bfe_i32 v1, v99, 8, 8
	v_add3_u32 v115, v3, v19, v117
	v_add_nc_u32_e32 v3, v110, v113
	v_bfe_i32 v93, v0, 0, 8
	v_bfe_i32 v88, v0, 8, 8
	;; [unrolled: 1-line block ×3, first 2 shown]
	v_ashrrev_i32_e32 v95, 24, v0
	v_bfe_i32 v0, v99, 0, 8
	v_add3_u32 v118, v3, v114, v98
	v_add_nc_u32_e32 v3, v1, v123
	v_bfe_i32 v99, v100, 0, 8
	v_mul_i32_i24_e32 v69, v92, v69
	s_delay_alu instid0(VALU_DEP_3) | instskip(SKIP_1) | instid1(VALU_DEP_1)
	v_add3_u32 v100, v3, v109, v97
	v_add_nc_u32_e32 v3, v0, v112
	v_add3_u32 v101, v3, v99, v96
	v_add_nc_u32_e32 v3, v92, v95
	s_delay_alu instid0(VALU_DEP_1) | instskip(SKIP_1) | instid1(VALU_DEP_1)
	v_add3_u32 v80, v3, v87, v83
	v_add_nc_u32_e32 v3, v91, v94
	v_add3_u32 v102, v3, v86, v2
	v_add_nc_u32_e32 v3, v90, v88
	s_delay_alu instid0(VALU_DEP_1) | instskip(SKIP_1) | instid1(VALU_DEP_1)
	v_add3_u32 v103, v3, v85, v46
	v_add_nc_u32_e32 v3, v89, v93
	v_add3_u32 v104, v3, v84, v81
	v_mul_i32_i24_e32 v3, v93, v63
	v_mul_i32_i24_e32 v63, v94, v65
	;; [unrolled: 1-line block ×5, first 2 shown]
	v_mad_i32_i24 v3, v88, v25, v3
	v_mul_i32_i24_e32 v25, v114, v218
	s_delay_alu instid0(VALU_DEP_3) | instskip(NEXT) | instid1(VALU_DEP_3)
	v_mad_i32_i24 v28, v123, v120, v34
	v_add3_u32 v3, v3, v63, v65
	v_mul_i32_i24_e32 v63, v90, v18
	v_mul_i32_i24_e32 v65, v91, v72
	;; [unrolled: 1-line block ×3, first 2 shown]
	v_add3_u32 v28, v28, v35, v42
	v_mul_i32_i24_e32 v35, v1, v253
	v_add3_u32 v3, v3, v60, v63
	v_mul_i32_i24_e32 v60, v84, v71
	v_mul_i32_i24_e32 v63, v85, v73
	;; [unrolled: 1-line block ×3, first 2 shown]
	v_add3_u32 v28, v28, v34, v35
	v_add3_u32 v3, v3, v65, v69
	v_mul_i32_i24_e32 v65, v86, v74
	v_mul_i32_i24_e32 v69, v87, v121
	;; [unrolled: 1-line block ×3, first 2 shown]
	v_add3_u32 v28, v28, v38, v40
	v_add3_u32 v3, v3, v60, v63
	v_mul_i32_i24_e32 v35, v109, v50
	v_mul_i32_i24_e32 v60, v81, v75
	;; [unrolled: 1-line block ×4, first 2 shown]
	v_add3_u32 v3, v3, v65, v69
	v_mul_i32_i24_e32 v40, v19, v44
	v_add3_u32 v28, v28, v34, v35
	v_mul_i32_i24_e32 v44, v104, v195
	v_mul_i32_i24_e32 v65, v2, v61
	;; [unrolled: 1-line block ×3, first 2 shown]
	v_add3_u32 v3, v3, v60, v63
	v_add3_u32 v28, v28, v38, v40
	v_mul_i32_i24_e32 v40, v117, v43
	v_mul_i32_i24_e32 v43, v103, v122
	v_mad_i32_i24 v44, v80, v36, v44
	v_add3_u32 v3, v3, v65, v69
	scratch_load_b32 v69, off, off offset:56 ; 4-byte Folded Reload
	v_mul_i32_i24_e32 v35, v97, v66
	scratch_load_b32 v66, off, off offset:48 ; 4-byte Folded Reload
	v_mul_i32_i24_e32 v38, v98, v68
	scratch_load_b32 v68, off, off offset:52 ; 4-byte Folded Reload
	v_add3_u32 v42, v44, v42, v43
	s_clause 0x1
	scratch_load_b32 v44, off, off offset:4
	scratch_load_b32 v43, off, off offset:8
	v_mul_i32_i24_e32 v34, v96, v47
	v_mul_lo_u32 v3, v3, v70
	v_mul_i32_i24_e32 v18, v109, v215
	scratch_load_b32 v136, off, off offset:64 ; 4-byte Folded Reload
	v_add3_u32 v28, v28, v34, v35
	v_mul_i32_i24_e32 v34, v115, v221
	v_mul_i32_i24_e32 v35, v118, v220
	s_delay_alu instid0(VALU_DEP_3) | instskip(SKIP_2) | instid1(VALU_DEP_2)
	v_add3_u32 v28, v28, v38, v40
	v_mul_i32_i24_e32 v40, v101, v57
	v_mul_i32_i24_e32 v38, v100, v219
	v_add3_u32 v34, v42, v40, v34
	v_mul_i32_i24_e32 v40, v111, v217
	v_mul_i32_i24_e32 v42, v104, v151
	s_delay_alu instid0(VALU_DEP_3) | instskip(SKIP_2) | instid1(VALU_DEP_4)
	v_add3_u32 v38, v34, v35, v38
	v_mad_u64_u32 v[34:35], null, v28, v37, v[3:4]
	v_mul_i32_i24_e32 v35, v91, v235
	v_mad_i32_i24 v42, v80, v181, v42
	s_delay_alu instid0(VALU_DEP_4) | instskip(SKIP_2) | instid1(VALU_DEP_3)
	v_cvt_f32_i32_e32 v28, v38
	v_mul_i32_i24_e32 v38, v92, v237
	v_cvt_f32_i32_e32 v3, v34
	v_mul_f32_e32 v28, v39, v28
	v_mul_i32_i24_e32 v34, v95, v233
	s_delay_alu instid0(VALU_DEP_2) | instskip(SKIP_2) | instid1(VALU_DEP_2)
	v_fma_mix_f32 v3, v182, v3, -v28 op_sel_hi:[1,0,0]
	v_mul_i32_i24_e32 v28, v94, v231
	s_waitcnt vmcnt(1)
	v_fmac_f32_e32 v43, v4, v3
	v_mul_i32_i24_e32 v3, v93, v222
	s_delay_alu instid0(VALU_DEP_1) | instskip(NEXT) | instid1(VALU_DEP_1)
	v_mad_i32_i24 v3, v88, v54, v3
	v_add3_u32 v3, v3, v28, v34
	v_mul_i32_i24_e32 v28, v89, v232
	v_mul_i32_i24_e32 v34, v90, v79
	s_delay_alu instid0(VALU_DEP_1) | instskip(SKIP_2) | instid1(VALU_DEP_3)
	v_add3_u32 v3, v3, v28, v34
	v_mul_i32_i24_e32 v28, v84, v236
	v_mul_i32_i24_e32 v34, v85, v238
	v_add3_u32 v3, v3, v35, v38
	v_mul_i32_i24_e32 v35, v86, v245
	v_mul_i32_i24_e32 v38, v87, v148
	s_delay_alu instid0(VALU_DEP_3) | instskip(SKIP_2) | instid1(VALU_DEP_3)
	v_add3_u32 v3, v3, v28, v34
	v_mul_i32_i24_e32 v28, v81, v147
	v_mul_i32_i24_e32 v34, v46, v149
	v_add3_u32 v3, v3, v35, v38
	v_mul_i32_i24_e32 v35, v2, v155
	v_mul_i32_i24_e32 v38, v83, v157
	s_delay_alu instid0(VALU_DEP_3) | instskip(SKIP_2) | instid1(VALU_DEP_3)
	v_add3_u32 v3, v3, v28, v34
	v_mul_i32_i24_e32 v28, v112, v165
	v_mul_i32_i24_e32 v34, v113, v169
	v_add3_u32 v3, v3, v35, v38
	v_mul_i32_i24_e32 v35, v116, v193
	s_delay_alu instid0(VALU_DEP_4) | instskip(SKIP_1) | instid1(VALU_DEP_4)
	v_mad_i32_i24 v28, v123, v161, v28
	v_mul_i32_i24_e32 v38, v110, v198
	v_mul_lo_u32 v3, v3, v158
	s_delay_alu instid0(VALU_DEP_3) | instskip(SKIP_2) | instid1(VALU_DEP_1)
	v_add3_u32 v28, v28, v34, v35
	v_mul_i32_i24_e32 v34, v0, v62
	v_mul_i32_i24_e32 v35, v1, v185
	v_add3_u32 v28, v28, v34, v35
	v_mul_i32_i24_e32 v34, v99, v199
	v_mul_i32_i24_e32 v35, v19, v48
	s_delay_alu instid0(VALU_DEP_3) | instskip(SKIP_2) | instid1(VALU_DEP_3)
	v_add3_u32 v28, v28, v38, v40
	v_mul_i32_i24_e32 v38, v102, v67
	v_mul_i32_i24_e32 v40, v103, v41
	v_add3_u32 v18, v28, v34, v18
	v_mul_i32_i24_e32 v28, v97, v49
	v_mul_i32_i24_e32 v34, v98, v51
	s_delay_alu instid0(VALU_DEP_4)
	v_add3_u32 v38, v42, v38, v40
	v_mul_i32_i24_e32 v42, v104, v132
	v_add3_u32 v18, v18, v25, v35
	v_mul_i32_i24_e32 v25, v96, v45
	v_mul_i32_i24_e32 v35, v117, v52
	;; [unrolled: 1-line block ×3, first 2 shown]
	v_mad_i32_i24 v42, v80, v133, v42
	s_delay_alu instid0(VALU_DEP_4) | instskip(SKIP_2) | instid1(VALU_DEP_3)
	v_add3_u32 v18, v18, v25, v28
	v_mul_i32_i24_e32 v25, v115, v55
	v_mul_i32_i24_e32 v28, v118, v192
	v_add3_u32 v18, v18, v34, v35
	v_mul_i32_i24_e32 v35, v101, v226
	v_mul_i32_i24_e32 v34, v100, v184
	s_delay_alu instid0(VALU_DEP_2) | instskip(SKIP_1) | instid1(VALU_DEP_2)
	v_add3_u32 v25, v38, v35, v25
	v_mul_i32_i24_e32 v38, v102, v243
	v_add3_u32 v25, v25, v28, v34
	v_mad_u64_u32 v[34:35], null, v18, v15, v[3:4]
	v_mul_i32_i24_e32 v28, v91, v190
	v_mul_i32_i24_e32 v35, v111, v29
	s_delay_alu instid0(VALU_DEP_4) | instskip(SKIP_3) | instid1(VALU_DEP_4)
	v_cvt_f32_i32_e32 v18, v25
	v_mul_i32_i24_e32 v25, v95, v191
	v_add3_u32 v38, v42, v38, v40
	v_cvt_f32_i32_e32 v3, v34
	v_mul_f32_e32 v18, v186, v18
	v_mul_i32_i24_e32 v34, v92, v196
	s_delay_alu instid0(VALU_DEP_2) | instskip(SKIP_1) | instid1(VALU_DEP_2)
	v_fma_mix_f32 v3, v138, v3, -v18 op_sel_hi:[1,0,0]
	v_mul_i32_i24_e32 v18, v94, v189
	v_fmac_f32_e32 v44, v4, v3
	v_mul_i32_i24_e32 v3, v93, v188
	s_delay_alu instid0(VALU_DEP_1) | instskip(SKIP_1) | instid1(VALU_DEP_2)
	v_mad_i32_i24 v3, v88, v5, v3
	v_mul_i32_i24_e32 v5, v87, v172
	v_add3_u32 v3, v3, v18, v25
	v_mul_i32_i24_e32 v18, v89, v216
	v_mul_i32_i24_e32 v25, v90, v249
	s_delay_alu instid0(VALU_DEP_1) | instskip(SKIP_2) | instid1(VALU_DEP_3)
	v_add3_u32 v3, v3, v18, v25
	v_mul_i32_i24_e32 v18, v84, v201
	v_mul_i32_i24_e32 v25, v85, v241
	v_add3_u32 v3, v3, v28, v34
	v_mul_i32_i24_e32 v28, v86, v207
	v_mul_i32_i24_e32 v34, v87, v200
	s_delay_alu instid0(VALU_DEP_3) | instskip(SKIP_2) | instid1(VALU_DEP_3)
	v_add3_u32 v3, v3, v18, v25
	v_mul_i32_i24_e32 v18, v81, v82
	v_mul_i32_i24_e32 v25, v46, v211
	v_add3_u32 v3, v3, v28, v34
	v_mul_i32_i24_e32 v28, v2, v78
	v_mul_i32_i24_e32 v34, v83, v20
	scratch_load_b32 v20, off, off offset:92 ; 4-byte Folded Reload
	v_mul_i32_i24_e32 v2, v2, v175
	v_add3_u32 v3, v3, v18, v25
	v_mul_i32_i24_e32 v18, v112, v210
	v_mul_i32_i24_e32 v25, v113, v213
	s_delay_alu instid0(VALU_DEP_3) | instskip(SKIP_1) | instid1(VALU_DEP_4)
	v_add3_u32 v3, v3, v28, v34
	v_mul_i32_i24_e32 v28, v116, v27
	v_mad_i32_i24 v18, v123, v24, v18
	v_mul_i32_i24_e32 v34, v110, v26
	s_delay_alu instid0(VALU_DEP_4) | instskip(NEXT) | instid1(VALU_DEP_3)
	v_mul_lo_u32 v3, v3, v208
	v_add3_u32 v18, v18, v25, v28
	v_mul_i32_i24_e32 v25, v0, v248
	v_mul_i32_i24_e32 v28, v1, v212
	;; [unrolled: 1-line block ×4, first 2 shown]
	s_delay_alu instid0(VALU_DEP_3) | instskip(SKIP_2) | instid1(VALU_DEP_3)
	v_add3_u32 v18, v18, v25, v28
	v_mul_i32_i24_e32 v25, v99, v214
	v_mul_i32_i24_e32 v28, v109, v30
	v_add3_u32 v18, v18, v34, v35
	v_mul_i32_i24_e32 v34, v114, v31
	v_mul_i32_i24_e32 v35, v19, v145
	s_delay_alu instid0(VALU_DEP_3) | instskip(SKIP_2) | instid1(VALU_DEP_3)
	v_add3_u32 v18, v18, v25, v28
	v_mul_i32_i24_e32 v25, v96, v32
	v_mul_i32_i24_e32 v28, v97, v146
	v_add3_u32 v18, v18, v34, v35
	v_mul_i32_i24_e32 v34, v98, v144
	v_mul_i32_i24_e32 v35, v117, v143
	s_delay_alu instid0(VALU_DEP_3)
	v_add3_u32 v18, v18, v25, v28
	v_mul_i32_i24_e32 v28, v118, v22
	scratch_load_b32 v22, off, off          ; 4-byte Folded Reload
	v_mul_i32_i24_e32 v25, v115, v23
	v_add3_u32 v18, v18, v34, v35
	v_mul_i32_i24_e32 v35, v101, v183
	v_mul_i32_i24_e32 v34, v100, v21
	s_delay_alu instid0(VALU_DEP_2) | instskip(NEXT) | instid1(VALU_DEP_1)
	v_add3_u32 v25, v38, v35, v25
	v_add3_u32 v25, v25, v28, v34
	v_mad_u64_u32 v[34:35], null, v18, v197, v[3:4]
	v_mul_i32_i24_e32 v28, v91, v129
	s_delay_alu instid0(VALU_DEP_3) | instskip(SKIP_1) | instid1(VALU_DEP_4)
	v_cvt_f32_i32_e32 v18, v25
	v_mul_i32_i24_e32 v25, v95, v168
	v_cvt_f32_i32_e32 v3, v34
	s_delay_alu instid0(VALU_DEP_3) | instskip(SKIP_1) | instid1(VALU_DEP_2)
	v_mul_f32_e32 v18, v162, v18
	v_mul_i32_i24_e32 v34, v92, v170
	v_fma_mix_f32 v3, v131, v3, -v18 op_sel_hi:[1,0,0]
	v_mul_i32_i24_e32 v18, v94, v164
	s_waitcnt vmcnt(0)
	s_delay_alu instid0(VALU_DEP_2) | instskip(SKIP_1) | instid1(VALU_DEP_1)
	v_fmac_f32_e32 v22, v4, v3
	v_mul_i32_i24_e32 v3, v93, v105
	v_mad_i32_i24 v3, v88, v163, v3
	s_delay_alu instid0(VALU_DEP_1) | instskip(SKIP_2) | instid1(VALU_DEP_1)
	v_add3_u32 v3, v3, v18, v25
	v_mul_i32_i24_e32 v18, v89, v166
	v_mul_i32_i24_e32 v25, v90, v106
	v_add3_u32 v3, v3, v18, v25
	v_mul_i32_i24_e32 v18, v84, v127
	v_mul_i32_i24_e32 v25, v85, v135
	scratch_load_b32 v135, off, off offset:60 ; 4-byte Folded Reload
	v_add3_u32 v3, v3, v28, v34
	v_mul_i32_i24_e32 v28, v86, v137
	s_delay_alu instid0(VALU_DEP_2) | instskip(SKIP_2) | instid1(VALU_DEP_3)
	v_add3_u32 v3, v3, v18, v25
	v_mul_i32_i24_e32 v18, v46, v173
	v_mul_i32_i24_e32 v25, v83, v176
	v_add3_u32 v3, v3, v28, v5
	v_mul_i32_i24_e32 v5, v81, v171
	v_mul_i32_i24_e32 v28, v103, v167
	s_delay_alu instid0(VALU_DEP_2) | instskip(SKIP_2) | instid1(VALU_DEP_3)
	v_add3_u32 v3, v3, v5, v18
	v_mul_i32_i24_e32 v5, v113, v10
	v_mul_i32_i24_e32 v18, v116, v179
	v_add3_u32 v2, v3, v2, v25
	v_mul_i32_i24_e32 v25, v102, v174
	s_delay_alu instid0(VALU_DEP_2) | instskip(SKIP_3) | instid1(VALU_DEP_1)
	v_mul_lo_u32 v3, v2, v177
	v_mul_i32_i24_e32 v2, v112, v8
	scratch_load_b32 v177, off, off offset:84 ; 4-byte Folded Reload
	v_mad_i32_i24 v2, v123, v7, v2
	v_add3_u32 v2, v2, v5, v18
	v_mul_i32_i24_e32 v5, v110, v178
	v_mul_i32_i24_e32 v18, v111, v13
	s_delay_alu instid0(VALU_DEP_3) | instskip(SKIP_2) | instid1(VALU_DEP_3)
	v_add3_u32 v0, v2, v0, v1
	v_mul_i32_i24_e32 v1, v99, v12
	v_mul_i32_i24_e32 v2, v109, v16
	v_add3_u32 v0, v0, v5, v18
	v_mul_i32_i24_e32 v5, v114, v250
	v_mul_i32_i24_e32 v18, v19, v142
	;; [unrolled: 1-line block ×3, first 2 shown]
	s_delay_alu instid0(VALU_DEP_4) | instskip(SKIP_2) | instid1(VALU_DEP_3)
	v_add3_u32 v0, v0, v1, v2
	v_mul_i32_i24_e32 v1, v96, v17
	v_mul_i32_i24_e32 v2, v97, v204
	v_add3_u32 v0, v0, v5, v18
	v_mul_i32_i24_e32 v5, v98, v141
	scratch_load_b32 v141, off, off offset:72 ; 4-byte Folded Reload
	v_mul_i32_i24_e32 v18, v117, v140
	scratch_load_b32 v140, off, off offset:68 ; 4-byte Folded Reload
	v_add3_u32 v0, v0, v1, v2
	v_mul_i32_i24_e32 v1, v118, v11
	v_mul_i32_i24_e32 v2, v100, v6
	s_delay_alu instid0(VALU_DEP_3) | instskip(SKIP_2) | instid1(VALU_DEP_2)
	v_add3_u32 v0, v0, v5, v18
	v_mul_i32_i24_e32 v5, v104, v130
	v_mul_i32_i24_e32 v18, v115, v14
	v_mad_i32_i24 v5, v80, v160, v5
	s_delay_alu instid0(VALU_DEP_1) | instskip(NEXT) | instid1(VALU_DEP_1)
	v_add3_u32 v25, v5, v25, v28
	v_add3_u32 v5, v25, v19, v18
	v_mad_u64_u32 v[18:19], null, v0, v159, v[3:4]
	s_delay_alu instid0(VALU_DEP_2) | instskip(NEXT) | instid1(VALU_DEP_2)
	v_add3_u32 v1, v5, v1, v2
	v_cvt_f32_i32_e32 v0, v18
	s_delay_alu instid0(VALU_DEP_2) | instskip(NEXT) | instid1(VALU_DEP_1)
	v_cvt_f32_i32_e32 v1, v1
	v_mul_f32_e32 v1, v33, v1
	s_delay_alu instid0(VALU_DEP_1) | instskip(SKIP_1) | instid1(VALU_DEP_1)
	v_fma_mix_f32 v0, v126, v0, -v1 op_sel_hi:[1,0,0]
	s_waitcnt vmcnt(2)
	v_fmac_f32_e32 v177, v4, v0
	s_cbranch_scc1 .LBB147_12
; %bb.13:                               ;   in Loop: Header=BB147_8 Depth=2
	s_waitcnt vmcnt(0)
	s_waitcnt_vscnt null, 0x0
	s_barrier
	buffer_gl0_inv
	s_clause 0xe
	scratch_load_b32 v26, off, off offset:100
	scratch_load_b32 v7, off, off offset:104
	;; [unrolled: 1-line block ×15, first 2 shown]
	s_add_i32 s13, s13, 16
	v_dual_mov_b32 v6, v22 :: v_dual_mov_b32 v105, v107
	v_dual_mov_b32 v78, v44 :: v_dual_mov_b32 v179, v119
	v_dual_mov_b32 v82, v43 :: v_dual_mov_b32 v127, v76
	v_dual_mov_b32 v12, v209 :: v_dual_mov_b32 v13, v206
	v_dual_mov_b32 v181, v203 :: v_dual_mov_b32 v36, v225
	v_dual_mov_b32 v197, v254 :: v_dual_mov_b32 v214, v251
	v_dual_mov_b32 v23, v242 :: v_dual_mov_b32 v216, v223
	v_dual_mov_b32 v213, v255 :: v_dual_mov_b32 v54, v156
	v_mov_b32_e32 v33, v224
	v_dual_mov_b32 v37, v227 :: v_dual_mov_b32 v232, v152
	v_mov_b32_e32 v39, v228
	v_dual_mov_b32 v41, v229 :: v_dual_mov_b32 v238, v20
	s_cmp_eq_u32 s14, 4
	s_cselect_b32 s15, -1, 0
	s_delay_alu instid0(SALU_CYCLE_1)
	s_and_b32 vcc_lo, exec_lo, s15
	s_cbranch_vccz .LBB147_8
	s_branch .LBB147_5
.LBB147_14:
	s_clause 0x2
	scratch_load_b32 v1, off, off offset:420
	scratch_load_b32 v0, off, off offset:136
	;; [unrolled: 1-line block ×3, first 2 shown]
.LBB147_15:
	s_mov_b32 s0, exec_lo
	s_waitcnt vmcnt(0)
	v_cmpx_gt_u32_e64 s4, v2
	s_cbranch_execz .LBB147_66
; %bb.16:
	v_add_nc_u32_e32 v0, s10, v0
	v_mul_lo_u32 v18, v2, s6
	s_delay_alu instid0(VALU_DEP_2)
	v_cmp_gt_u32_e32 vcc_lo, s6, v0
	s_and_saveexec_b32 s1, vcc_lo
	s_cbranch_execz .LBB147_18
; %bb.17:
	s_delay_alu instid0(VALU_DEP_2) | instskip(SKIP_1) | instid1(VALU_DEP_2)
	v_dual_mov_b32 v3, 0 :: v_dual_add_nc_u32 v2, v0, v18
	v_cvt_f16_f32_e64 v4, v194
	v_lshlrev_b64 v[2:3], 1, v[2:3]
	s_waitcnt lgkmcnt(0)
	s_delay_alu instid0(VALU_DEP_1) | instskip(NEXT) | instid1(VALU_DEP_1)
	v_add_co_u32 v2, s0, s8, v2
	v_add_co_ci_u32_e64 v3, s0, s9, v3, s0
	global_store_b16 v[2:3], v4, off
.LBB147_18:
	s_or_b32 exec_lo, exec_lo, s1
	v_add_nc_u32_e32 v2, 32, v0
	s_delay_alu instid0(VALU_DEP_1) | instskip(NEXT) | instid1(VALU_DEP_1)
	v_cmp_gt_u32_e64 s0, s6, v2
	s_and_saveexec_b32 s2, s0
	s_cbranch_execz .LBB147_20
; %bb.19:
	v_dual_mov_b32 v4, 0 :: v_dual_add_nc_u32 v3, v2, v18
	v_cvt_f16_f32_e64 v5, v238
	s_delay_alu instid0(VALU_DEP_2) | instskip(SKIP_1) | instid1(VALU_DEP_1)
	v_lshlrev_b64 v[3:4], 1, v[3:4]
	s_waitcnt lgkmcnt(0)
	v_add_co_u32 v3, s1, s8, v3
	s_delay_alu instid0(VALU_DEP_1)
	v_add_co_ci_u32_e64 v4, s1, s9, v4, s1
	global_store_b16 v[3:4], v5, off
.LBB147_20:
	s_or_b32 exec_lo, exec_lo, s2
	v_add_nc_u32_e32 v3, 64, v0
	s_delay_alu instid0(VALU_DEP_1) | instskip(NEXT) | instid1(VALU_DEP_1)
	v_cmp_gt_u32_e64 s1, s6, v3
	s_and_saveexec_b32 s3, s1
	s_cbranch_execz .LBB147_22
; %bb.21:
	v_dual_mov_b32 v35, 0 :: v_dual_add_nc_u32 v34, v3, v18
	v_cvt_f16_f32_e64 v4, v232
	s_delay_alu instid0(VALU_DEP_2) | instskip(SKIP_1) | instid1(VALU_DEP_1)
	v_lshlrev_b64 v[34:35], 1, v[34:35]
	s_waitcnt lgkmcnt(0)
	v_add_co_u32 v34, s2, s8, v34
	s_delay_alu instid0(VALU_DEP_1)
	v_add_co_ci_u32_e64 v35, s2, s9, v35, s2
	global_store_b16 v[34:35], v4, off
.LBB147_22:
	s_or_b32 exec_lo, exec_lo, s3
	v_add_nc_u32_e32 v4, 0x60, v0
	s_delay_alu instid0(VALU_DEP_1) | instskip(NEXT) | instid1(VALU_DEP_1)
	v_cmp_gt_u32_e64 s2, s6, v4
	s_and_saveexec_b32 s5, s2
	s_cbranch_execz .LBB147_24
; %bb.23:
	v_dual_mov_b32 v19, 0 :: v_dual_add_nc_u32 v18, v4, v18
	v_cvt_f16_f32_e32 v5, v54
	s_delay_alu instid0(VALU_DEP_2) | instskip(SKIP_1) | instid1(VALU_DEP_1)
	v_lshlrev_b64 v[18:19], 1, v[18:19]
	s_waitcnt lgkmcnt(0)
	v_add_co_u32 v18, s3, s8, v18
	s_delay_alu instid0(VALU_DEP_1)
	v_add_co_ci_u32_e64 v19, s3, s9, v19, s3
	global_store_b16 v[18:19], v5, off
.LBB147_24:
	s_or_b32 exec_lo, exec_lo, s5
	v_add3_u32 v18, v1, s7, 8
	s_delay_alu instid0(VALU_DEP_1) | instskip(NEXT) | instid1(VALU_DEP_1)
	v_cmp_gt_u32_e64 s3, s4, v18
	s_and_b32 exec_lo, exec_lo, s3
	s_cbranch_execz .LBB147_66
; %bb.25:
	v_mul_lo_u32 v18, v18, s6
	s_and_saveexec_b32 s5, vcc_lo
	s_cbranch_execnz .LBB147_67
; %bb.26:
	s_or_b32 exec_lo, exec_lo, s5
	s_and_saveexec_b32 s5, s0
	s_cbranch_execnz .LBB147_68
.LBB147_27:
	s_or_b32 exec_lo, exec_lo, s5
	s_and_saveexec_b32 s5, s1
	s_cbranch_execnz .LBB147_69
.LBB147_28:
	s_or_b32 exec_lo, exec_lo, s5
	s_and_saveexec_b32 s5, s2
	s_cbranch_execz .LBB147_30
.LBB147_29:
	v_dual_mov_b32 v19, 0 :: v_dual_add_nc_u32 v18, v18, v4
	v_cvt_f16_f32_e32 v5, v36
	s_delay_alu instid0(VALU_DEP_2) | instskip(SKIP_1) | instid1(VALU_DEP_1)
	v_lshlrev_b64 v[18:19], 1, v[18:19]
	s_waitcnt lgkmcnt(0)
	v_add_co_u32 v18, s3, s8, v18
	s_delay_alu instid0(VALU_DEP_1)
	v_add_co_ci_u32_e64 v19, s3, s9, v19, s3
	global_store_b16 v[18:19], v5, off
.LBB147_30:
	s_or_b32 exec_lo, exec_lo, s5
	v_add3_u32 v18, v1, s7, 16
	s_delay_alu instid0(VALU_DEP_1) | instskip(NEXT) | instid1(VALU_DEP_1)
	v_cmp_gt_u32_e64 s3, s4, v18
	s_and_b32 exec_lo, exec_lo, s3
	s_cbranch_execz .LBB147_66
; %bb.31:
	v_mul_lo_u32 v18, v18, s6
	s_and_saveexec_b32 s5, vcc_lo
	s_cbranch_execnz .LBB147_70
; %bb.32:
	s_or_b32 exec_lo, exec_lo, s5
	s_and_saveexec_b32 s5, s0
	s_cbranch_execnz .LBB147_71
.LBB147_33:
	s_or_b32 exec_lo, exec_lo, s5
	s_and_saveexec_b32 s5, s1
	s_cbranch_execnz .LBB147_72
.LBB147_34:
	s_or_b32 exec_lo, exec_lo, s5
	s_and_saveexec_b32 s5, s2
	s_cbranch_execz .LBB147_36
.LBB147_35:
	v_dual_mov_b32 v19, 0 :: v_dual_add_nc_u32 v18, v18, v4
	v_cvt_f16_f32_e32 v5, v30
	s_delay_alu instid0(VALU_DEP_2) | instskip(SKIP_1) | instid1(VALU_DEP_1)
	v_lshlrev_b64 v[18:19], 1, v[18:19]
	s_waitcnt lgkmcnt(0)
	v_add_co_u32 v18, s3, s8, v18
	s_delay_alu instid0(VALU_DEP_1)
	v_add_co_ci_u32_e64 v19, s3, s9, v19, s3
	global_store_b16 v[18:19], v5, off
.LBB147_36:
	s_or_b32 exec_lo, exec_lo, s5
	v_add3_u32 v18, v1, s7, 24
	s_delay_alu instid0(VALU_DEP_1) | instskip(NEXT) | instid1(VALU_DEP_1)
	v_cmp_gt_u32_e64 s3, s4, v18
	s_and_b32 exec_lo, exec_lo, s3
	s_cbranch_execz .LBB147_66
; %bb.37:
	v_mul_lo_u32 v18, v18, s6
	s_and_saveexec_b32 s5, vcc_lo
	s_cbranch_execnz .LBB147_73
; %bb.38:
	s_or_b32 exec_lo, exec_lo, s5
	s_and_saveexec_b32 s5, s0
	s_cbranch_execnz .LBB147_74
.LBB147_39:
	s_or_b32 exec_lo, exec_lo, s5
	s_and_saveexec_b32 s5, s1
	s_cbranch_execnz .LBB147_75
.LBB147_40:
	s_or_b32 exec_lo, exec_lo, s5
	s_and_saveexec_b32 s5, s2
	s_cbranch_execz .LBB147_42
.LBB147_41:
	v_dual_mov_b32 v19, 0 :: v_dual_add_nc_u32 v18, v18, v4
	v_cvt_f16_f32_e64 v5, v213
	s_delay_alu instid0(VALU_DEP_2) | instskip(SKIP_1) | instid1(VALU_DEP_1)
	v_lshlrev_b64 v[18:19], 1, v[18:19]
	s_waitcnt lgkmcnt(0)
	v_add_co_u32 v18, s3, s8, v18
	s_delay_alu instid0(VALU_DEP_1)
	v_add_co_ci_u32_e64 v19, s3, s9, v19, s3
	global_store_b16 v[18:19], v5, off
.LBB147_42:
	s_or_b32 exec_lo, exec_lo, s5
	v_add3_u32 v18, v1, s7, 32
	s_delay_alu instid0(VALU_DEP_1) | instskip(NEXT) | instid1(VALU_DEP_1)
	v_cmp_gt_u32_e64 s3, s4, v18
	s_and_b32 exec_lo, exec_lo, s3
	s_cbranch_execz .LBB147_66
; %bb.43:
	v_mul_lo_u32 v18, v18, s6
	s_and_saveexec_b32 s5, vcc_lo
	s_cbranch_execnz .LBB147_76
; %bb.44:
	s_or_b32 exec_lo, exec_lo, s5
	s_and_saveexec_b32 s5, s0
	s_cbranch_execnz .LBB147_77
.LBB147_45:
	s_or_b32 exec_lo, exec_lo, s5
	s_and_saveexec_b32 s5, s1
	s_cbranch_execnz .LBB147_78
.LBB147_46:
	s_or_b32 exec_lo, exec_lo, s5
	s_and_saveexec_b32 s5, s2
	s_cbranch_execz .LBB147_48
.LBB147_47:
	v_dual_mov_b32 v19, 0 :: v_dual_add_nc_u32 v18, v18, v4
	v_cvt_f16_f32_e64 v5, v187
	s_delay_alu instid0(VALU_DEP_2) | instskip(SKIP_1) | instid1(VALU_DEP_1)
	v_lshlrev_b64 v[18:19], 1, v[18:19]
	s_waitcnt lgkmcnt(0)
	v_add_co_u32 v18, s3, s8, v18
	s_delay_alu instid0(VALU_DEP_1)
	v_add_co_ci_u32_e64 v19, s3, s9, v19, s3
	global_store_b16 v[18:19], v5, off
.LBB147_48:
	s_or_b32 exec_lo, exec_lo, s5
	v_add3_u32 v17, v1, s7, 40
	s_delay_alu instid0(VALU_DEP_1) | instskip(NEXT) | instid1(VALU_DEP_1)
	v_cmp_gt_u32_e64 s3, s4, v17
	s_and_b32 exec_lo, exec_lo, s3
	s_cbranch_execz .LBB147_66
; %bb.49:
	v_mul_lo_u32 v17, v17, s6
	s_and_saveexec_b32 s5, vcc_lo
	s_cbranch_execnz .LBB147_79
; %bb.50:
	s_or_b32 exec_lo, exec_lo, s5
	s_and_saveexec_b32 s5, s0
	s_cbranch_execnz .LBB147_80
.LBB147_51:
	s_or_b32 exec_lo, exec_lo, s5
	s_and_saveexec_b32 s5, s1
	s_cbranch_execnz .LBB147_81
.LBB147_52:
	s_or_b32 exec_lo, exec_lo, s5
	s_and_saveexec_b32 s5, s2
	s_cbranch_execz .LBB147_54
.LBB147_53:
	v_dual_mov_b32 v15, 0 :: v_dual_add_nc_u32 v14, v17, v4
	v_cvt_f16_f32_e32 v5, v13
	s_delay_alu instid0(VALU_DEP_2) | instskip(SKIP_1) | instid1(VALU_DEP_1)
	v_lshlrev_b64 v[14:15], 1, v[14:15]
	s_waitcnt lgkmcnt(0)
	v_add_co_u32 v14, s3, s8, v14
	s_delay_alu instid0(VALU_DEP_1)
	v_add_co_ci_u32_e64 v15, s3, s9, v15, s3
	global_store_b16 v[14:15], v5, off
.LBB147_54:
	s_or_b32 exec_lo, exec_lo, s5
	v_add3_u32 v13, v1, s7, 48
	s_delay_alu instid0(VALU_DEP_1) | instskip(NEXT) | instid1(VALU_DEP_1)
	v_cmp_gt_u32_e64 s3, s4, v13
	s_and_b32 exec_lo, exec_lo, s3
	s_cbranch_execz .LBB147_66
; %bb.55:
	v_mul_lo_u32 v13, v13, s6
	s_and_saveexec_b32 s5, vcc_lo
	s_cbranch_execnz .LBB147_82
; %bb.56:
	s_or_b32 exec_lo, exec_lo, s5
	s_and_saveexec_b32 s5, s0
	s_cbranch_execnz .LBB147_83
.LBB147_57:
	s_or_b32 exec_lo, exec_lo, s5
	s_and_saveexec_b32 s5, s1
	s_cbranch_execnz .LBB147_84
.LBB147_58:
	s_or_b32 exec_lo, exec_lo, s5
	s_and_saveexec_b32 s5, s2
	s_cbranch_execz .LBB147_60
.LBB147_59:
	v_dual_mov_b32 v11, 0 :: v_dual_add_nc_u32 v10, v13, v4
	v_cvt_f16_f32_e32 v5, v105
	s_delay_alu instid0(VALU_DEP_2) | instskip(SKIP_1) | instid1(VALU_DEP_1)
	v_lshlrev_b64 v[10:11], 1, v[10:11]
	s_waitcnt lgkmcnt(0)
	v_add_co_u32 v10, s3, s8, v10
	s_delay_alu instid0(VALU_DEP_1)
	v_add_co_ci_u32_e64 v11, s3, s9, v11, s3
	global_store_b16 v[10:11], v5, off
.LBB147_60:
	s_or_b32 exec_lo, exec_lo, s5
	v_add3_u32 v1, v1, s7, 56
	s_delay_alu instid0(VALU_DEP_1) | instskip(NEXT) | instid1(VALU_DEP_1)
	v_cmp_gt_u32_e64 s3, s4, v1
	s_and_b32 exec_lo, exec_lo, s3
	s_cbranch_execz .LBB147_66
; %bb.61:
	v_mul_lo_u32 v1, v1, s6
	s_and_saveexec_b32 s3, vcc_lo
	s_cbranch_execnz .LBB147_85
; %bb.62:
	s_or_b32 exec_lo, exec_lo, s3
	s_and_saveexec_b32 s3, s0
	s_cbranch_execnz .LBB147_86
.LBB147_63:
	s_or_b32 exec_lo, exec_lo, s3
	s_and_saveexec_b32 s0, s1
	s_cbranch_execnz .LBB147_87
.LBB147_64:
	s_or_b32 exec_lo, exec_lo, s0
	s_delay_alu instid0(SALU_CYCLE_1)
	s_and_b32 exec_lo, exec_lo, s2
	s_cbranch_execz .LBB147_66
.LBB147_65:
	v_dual_mov_b32 v1, 0 :: v_dual_add_nc_u32 v0, v1, v4
	v_cvt_f16_f32_e64 v2, v177
	s_delay_alu instid0(VALU_DEP_2) | instskip(SKIP_1) | instid1(VALU_DEP_1)
	v_lshlrev_b64 v[0:1], 1, v[0:1]
	s_waitcnt lgkmcnt(0)
	v_add_co_u32 v0, vcc_lo, s8, v0
	s_delay_alu instid0(VALU_DEP_2)
	v_add_co_ci_u32_e32 v1, vcc_lo, s9, v1, vcc_lo
	global_store_b16 v[0:1], v2, off
.LBB147_66:
	s_endpgm
.LBB147_67:
	s_delay_alu instid0(VALU_DEP_1) | instskip(SKIP_1) | instid1(VALU_DEP_2)
	v_dual_mov_b32 v35, 0 :: v_dual_add_nc_u32 v34, v18, v0
	v_cvt_f16_f32_e32 v5, v41
	v_lshlrev_b64 v[34:35], 1, v[34:35]
	s_waitcnt lgkmcnt(0)
	s_delay_alu instid0(VALU_DEP_1) | instskip(NEXT) | instid1(VALU_DEP_1)
	v_add_co_u32 v34, s3, s8, v34
	v_add_co_ci_u32_e64 v35, s3, s9, v35, s3
	global_store_b16 v[34:35], v5, off
	s_or_b32 exec_lo, exec_lo, s5
	s_and_saveexec_b32 s5, s0
	s_cbranch_execz .LBB147_27
.LBB147_68:
	s_delay_alu instid0(VALU_DEP_1) | instskip(SKIP_1) | instid1(VALU_DEP_2)
	v_dual_mov_b32 v35, 0 :: v_dual_add_nc_u32 v34, v18, v2
	v_cvt_f16_f32_e32 v5, v39
	v_lshlrev_b64 v[34:35], 1, v[34:35]
	s_waitcnt lgkmcnt(0)
	s_delay_alu instid0(VALU_DEP_1) | instskip(NEXT) | instid1(VALU_DEP_1)
	v_add_co_u32 v34, s3, s8, v34
	v_add_co_ci_u32_e64 v35, s3, s9, v35, s3
	global_store_b16 v[34:35], v5, off
	s_or_b32 exec_lo, exec_lo, s5
	s_and_saveexec_b32 s5, s1
	s_cbranch_execz .LBB147_28
.LBB147_69:
	v_dual_mov_b32 v35, 0 :: v_dual_add_nc_u32 v34, v18, v3
	v_cvt_f16_f32_e32 v5, v37
	s_delay_alu instid0(VALU_DEP_2) | instskip(SKIP_1) | instid1(VALU_DEP_1)
	v_lshlrev_b64 v[34:35], 1, v[34:35]
	s_waitcnt lgkmcnt(0)
	v_add_co_u32 v34, s3, s8, v34
	s_delay_alu instid0(VALU_DEP_1)
	v_add_co_ci_u32_e64 v35, s3, s9, v35, s3
	global_store_b16 v[34:35], v5, off
	s_or_b32 exec_lo, exec_lo, s5
	s_and_saveexec_b32 s5, s2
	s_cbranch_execnz .LBB147_29
	s_branch .LBB147_30
.LBB147_70:
	s_delay_alu instid0(VALU_DEP_1) | instskip(SKIP_1) | instid1(VALU_DEP_2)
	v_dual_mov_b32 v35, 0 :: v_dual_add_nc_u32 v34, v18, v0
	v_cvt_f16_f32_e32 v5, v33
	v_lshlrev_b64 v[34:35], 1, v[34:35]
	s_waitcnt lgkmcnt(0)
	s_delay_alu instid0(VALU_DEP_1) | instskip(NEXT) | instid1(VALU_DEP_1)
	v_add_co_u32 v34, s3, s8, v34
	v_add_co_ci_u32_e64 v35, s3, s9, v35, s3
	global_store_b16 v[34:35], v5, off
	s_or_b32 exec_lo, exec_lo, s5
	s_and_saveexec_b32 s5, s0
	s_cbranch_execz .LBB147_33
.LBB147_71:
	s_delay_alu instid0(VALU_DEP_1) | instskip(SKIP_1) | instid1(VALU_DEP_2)
	v_dual_mov_b32 v34, 0 :: v_dual_add_nc_u32 v33, v18, v2
	v_cvt_f16_f32_e64 v5, v216
	v_lshlrev_b64 v[33:34], 1, v[33:34]
	s_waitcnt lgkmcnt(0)
	s_delay_alu instid0(VALU_DEP_1) | instskip(NEXT) | instid1(VALU_DEP_1)
	v_add_co_u32 v33, s3, s8, v33
	v_add_co_ci_u32_e64 v34, s3, s9, v34, s3
	global_store_b16 v[33:34], v5, off
	s_or_b32 exec_lo, exec_lo, s5
	s_and_saveexec_b32 s5, s1
	s_cbranch_execz .LBB147_34
.LBB147_72:
	v_dual_mov_b32 v33, 0 :: v_dual_add_nc_u32 v32, v18, v3
	v_cvt_f16_f32_e32 v5, v31
	s_delay_alu instid0(VALU_DEP_2) | instskip(SKIP_1) | instid1(VALU_DEP_1)
	v_lshlrev_b64 v[32:33], 1, v[32:33]
	s_waitcnt lgkmcnt(0)
	v_add_co_u32 v32, s3, s8, v32
	s_delay_alu instid0(VALU_DEP_1)
	v_add_co_ci_u32_e64 v33, s3, s9, v33, s3
	global_store_b16 v[32:33], v5, off
	s_or_b32 exec_lo, exec_lo, s5
	s_and_saveexec_b32 s5, s2
	s_cbranch_execnz .LBB147_35
	s_branch .LBB147_36
.LBB147_73:
	s_delay_alu instid0(VALU_DEP_1) | instskip(SKIP_1) | instid1(VALU_DEP_2)
	v_dual_mov_b32 v31, 0 :: v_dual_add_nc_u32 v30, v18, v0
	v_cvt_f16_f32_e32 v5, v29
	v_lshlrev_b64 v[30:31], 1, v[30:31]
	s_waitcnt lgkmcnt(0)
	s_delay_alu instid0(VALU_DEP_1) | instskip(NEXT) | instid1(VALU_DEP_1)
	v_add_co_u32 v30, s3, s8, v30
	v_add_co_ci_u32_e64 v31, s3, s9, v31, s3
	global_store_b16 v[30:31], v5, off
	s_or_b32 exec_lo, exec_lo, s5
	s_and_saveexec_b32 s5, s0
	s_cbranch_execz .LBB147_39
.LBB147_74:
	s_delay_alu instid0(VALU_DEP_1) | instskip(SKIP_1) | instid1(VALU_DEP_2)
	v_dual_mov_b32 v29, 0 :: v_dual_add_nc_u32 v28, v18, v2
	v_cvt_f16_f32_e32 v5, v27
	v_lshlrev_b64 v[28:29], 1, v[28:29]
	s_waitcnt lgkmcnt(0)
	s_delay_alu instid0(VALU_DEP_1) | instskip(NEXT) | instid1(VALU_DEP_1)
	v_add_co_u32 v28, s3, s8, v28
	v_add_co_ci_u32_e64 v29, s3, s9, v29, s3
	global_store_b16 v[28:29], v5, off
	s_or_b32 exec_lo, exec_lo, s5
	s_and_saveexec_b32 s5, s1
	s_cbranch_execz .LBB147_40
.LBB147_75:
	v_dual_mov_b32 v28, 0 :: v_dual_add_nc_u32 v27, v18, v3
	v_cvt_f16_f32_e64 v5, v214
	s_delay_alu instid0(VALU_DEP_2) | instskip(SKIP_1) | instid1(VALU_DEP_1)
	v_lshlrev_b64 v[27:28], 1, v[27:28]
	s_waitcnt lgkmcnt(0)
	v_add_co_u32 v27, s3, s8, v27
	s_delay_alu instid0(VALU_DEP_1)
	v_add_co_ci_u32_e64 v28, s3, s9, v28, s3
	global_store_b16 v[27:28], v5, off
	s_or_b32 exec_lo, exec_lo, s5
	s_and_saveexec_b32 s5, s2
	s_cbranch_execnz .LBB147_41
	s_branch .LBB147_42
.LBB147_76:
	s_delay_alu instid0(VALU_DEP_1) | instskip(SKIP_1) | instid1(VALU_DEP_2)
	v_dual_mov_b32 v25, 0 :: v_dual_add_nc_u32 v24, v18, v0
	v_cvt_f16_f32_e32 v5, v23
	v_lshlrev_b64 v[24:25], 1, v[24:25]
	s_waitcnt lgkmcnt(0)
	s_delay_alu instid0(VALU_DEP_1) | instskip(NEXT) | instid1(VALU_DEP_1)
	v_add_co_u32 v24, s3, s8, v24
	v_add_co_ci_u32_e64 v25, s3, s9, v25, s3
	global_store_b16 v[24:25], v5, off
	s_or_b32 exec_lo, exec_lo, s5
	s_and_saveexec_b32 s5, s0
	s_cbranch_execz .LBB147_45
.LBB147_77:
	s_delay_alu instid0(VALU_DEP_1) | instskip(SKIP_1) | instid1(VALU_DEP_2)
	v_dual_mov_b32 v24, 0 :: v_dual_add_nc_u32 v23, v18, v2
	v_cvt_f16_f32_e64 v5, v197
	v_lshlrev_b64 v[23:24], 1, v[23:24]
	s_waitcnt lgkmcnt(0)
	s_delay_alu instid0(VALU_DEP_1) | instskip(NEXT) | instid1(VALU_DEP_1)
	v_add_co_u32 v23, s3, s8, v23
	v_add_co_ci_u32_e64 v24, s3, s9, v24, s3
	global_store_b16 v[23:24], v5, off
	s_or_b32 exec_lo, exec_lo, s5
	s_and_saveexec_b32 s5, s1
	s_cbranch_execz .LBB147_46
.LBB147_78:
	v_dual_mov_b32 v22, 0 :: v_dual_add_nc_u32 v21, v18, v3
	v_cvt_f16_f32_e64 v5, v191
	s_delay_alu instid0(VALU_DEP_2) | instskip(SKIP_1) | instid1(VALU_DEP_1)
	v_lshlrev_b64 v[21:22], 1, v[21:22]
	s_waitcnt lgkmcnt(0)
	v_add_co_u32 v21, s3, s8, v21
	s_delay_alu instid0(VALU_DEP_1)
	v_add_co_ci_u32_e64 v22, s3, s9, v22, s3
	global_store_b16 v[21:22], v5, off
	s_or_b32 exec_lo, exec_lo, s5
	s_and_saveexec_b32 s5, s2
	s_cbranch_execnz .LBB147_47
	s_branch .LBB147_48
.LBB147_79:
	s_delay_alu instid0(VALU_DEP_1) | instskip(SKIP_1) | instid1(VALU_DEP_2)
	v_dual_mov_b32 v19, 0 :: v_dual_add_nc_u32 v18, v17, v0
	v_cvt_f16_f32_e32 v5, v16
	v_lshlrev_b64 v[18:19], 1, v[18:19]
	s_waitcnt lgkmcnt(0)
	s_delay_alu instid0(VALU_DEP_1) | instskip(NEXT) | instid1(VALU_DEP_1)
	v_add_co_u32 v18, s3, s8, v18
	v_add_co_ci_u32_e64 v19, s3, s9, v19, s3
	global_store_b16 v[18:19], v5, off
	s_or_b32 exec_lo, exec_lo, s5
	s_and_saveexec_b32 s5, s0
	s_cbranch_execz .LBB147_51
.LBB147_80:
	s_delay_alu instid0(VALU_DEP_1) | instskip(SKIP_1) | instid1(VALU_DEP_2)
	v_dual_mov_b32 v19, 0 :: v_dual_add_nc_u32 v18, v17, v2
	v_cvt_f16_f32_e32 v5, v15
	v_lshlrev_b64 v[18:19], 1, v[18:19]
	s_waitcnt lgkmcnt(0)
	s_delay_alu instid0(VALU_DEP_1) | instskip(NEXT) | instid1(VALU_DEP_1)
	v_add_co_u32 v18, s3, s8, v18
	v_add_co_ci_u32_e64 v19, s3, s9, v19, s3
	global_store_b16 v[18:19], v5, off
	s_or_b32 exec_lo, exec_lo, s5
	s_and_saveexec_b32 s5, s1
	s_cbranch_execz .LBB147_52
.LBB147_81:
	v_dual_mov_b32 v16, 0 :: v_dual_add_nc_u32 v15, v17, v3
	v_cvt_f16_f32_e64 v5, v181
	s_delay_alu instid0(VALU_DEP_2) | instskip(SKIP_1) | instid1(VALU_DEP_1)
	v_lshlrev_b64 v[15:16], 1, v[15:16]
	s_waitcnt lgkmcnt(0)
	v_add_co_u32 v15, s3, s8, v15
	s_delay_alu instid0(VALU_DEP_1)
	v_add_co_ci_u32_e64 v16, s3, s9, v16, s3
	global_store_b16 v[15:16], v5, off
	s_or_b32 exec_lo, exec_lo, s5
	s_and_saveexec_b32 s5, s2
	s_cbranch_execnz .LBB147_53
	s_branch .LBB147_54
.LBB147_82:
	s_delay_alu instid0(VALU_DEP_1) | instskip(SKIP_1) | instid1(VALU_DEP_2)
	v_dual_mov_b32 v15, 0 :: v_dual_add_nc_u32 v14, v13, v0
	v_cvt_f16_f32_e32 v5, v12
	v_lshlrev_b64 v[14:15], 1, v[14:15]
	s_waitcnt lgkmcnt(0)
	s_delay_alu instid0(VALU_DEP_1) | instskip(NEXT) | instid1(VALU_DEP_1)
	v_add_co_u32 v14, s3, s8, v14
	v_add_co_ci_u32_e64 v15, s3, s9, v15, s3
	global_store_b16 v[14:15], v5, off
	s_or_b32 exec_lo, exec_lo, s5
	s_and_saveexec_b32 s5, s0
	s_cbranch_execz .LBB147_57
.LBB147_83:
	s_delay_alu instid0(VALU_DEP_1) | instskip(SKIP_1) | instid1(VALU_DEP_2)
	v_dual_mov_b32 v15, 0 :: v_dual_add_nc_u32 v14, v13, v2
	v_cvt_f16_f32_e64 v5, v179
	v_lshlrev_b64 v[14:15], 1, v[14:15]
	s_waitcnt lgkmcnt(0)
	s_delay_alu instid0(VALU_DEP_1) | instskip(NEXT) | instid1(VALU_DEP_1)
	v_add_co_u32 v14, s3, s8, v14
	v_add_co_ci_u32_e64 v15, s3, s9, v15, s3
	global_store_b16 v[14:15], v5, off
	s_or_b32 exec_lo, exec_lo, s5
	s_and_saveexec_b32 s5, s1
	s_cbranch_execz .LBB147_58
.LBB147_84:
	v_dual_mov_b32 v12, 0 :: v_dual_add_nc_u32 v11, v13, v3
	v_cvt_f16_f32_e32 v5, v127
	s_delay_alu instid0(VALU_DEP_2) | instskip(SKIP_1) | instid1(VALU_DEP_1)
	v_lshlrev_b64 v[11:12], 1, v[11:12]
	s_waitcnt lgkmcnt(0)
	v_add_co_u32 v11, s3, s8, v11
	s_delay_alu instid0(VALU_DEP_1)
	v_add_co_ci_u32_e64 v12, s3, s9, v12, s3
	global_store_b16 v[11:12], v5, off
	s_or_b32 exec_lo, exec_lo, s5
	s_and_saveexec_b32 s5, s2
	s_cbranch_execnz .LBB147_59
	s_branch .LBB147_60
.LBB147_85:
	s_delay_alu instid0(VALU_DEP_1) | instskip(SKIP_1) | instid1(VALU_DEP_2)
	v_dual_mov_b32 v10, 0 :: v_dual_add_nc_u32 v9, v1, v0
	v_cvt_f16_f32_e32 v0, v82
	v_lshlrev_b64 v[9:10], 1, v[9:10]
	s_waitcnt lgkmcnt(0)
	s_delay_alu instid0(VALU_DEP_1) | instskip(NEXT) | instid1(VALU_DEP_2)
	v_add_co_u32 v9, vcc_lo, s8, v9
	v_add_co_ci_u32_e32 v10, vcc_lo, s9, v10, vcc_lo
	global_store_b16 v[9:10], v0, off
	s_or_b32 exec_lo, exec_lo, s3
	s_and_saveexec_b32 s3, s0
	s_cbranch_execz .LBB147_63
.LBB147_86:
	s_delay_alu instid0(VALU_DEP_1) | instskip(SKIP_1) | instid1(VALU_DEP_2)
	v_dual_mov_b32 v9, 0 :: v_dual_add_nc_u32 v8, v1, v2
	v_cvt_f16_f32_e32 v0, v78
	v_lshlrev_b64 v[8:9], 1, v[8:9]
	s_waitcnt lgkmcnt(0)
	s_delay_alu instid0(VALU_DEP_1) | instskip(NEXT) | instid1(VALU_DEP_2)
	v_add_co_u32 v8, vcc_lo, s8, v8
	v_add_co_ci_u32_e32 v9, vcc_lo, s9, v9, vcc_lo
	global_store_b16 v[8:9], v0, off
	s_or_b32 exec_lo, exec_lo, s3
	s_and_saveexec_b32 s0, s1
	s_cbranch_execz .LBB147_64
.LBB147_87:
	v_dual_mov_b32 v3, 0 :: v_dual_add_nc_u32 v2, v1, v3
	v_cvt_f16_f32_e32 v0, v6
	s_delay_alu instid0(VALU_DEP_2) | instskip(SKIP_1) | instid1(VALU_DEP_1)
	v_lshlrev_b64 v[2:3], 1, v[2:3]
	s_waitcnt lgkmcnt(0)
	v_add_co_u32 v2, vcc_lo, s8, v2
	s_delay_alu instid0(VALU_DEP_2) | instskip(SKIP_2) | instid1(SALU_CYCLE_1)
	v_add_co_ci_u32_e32 v3, vcc_lo, s9, v3, vcc_lo
	global_store_b16 v[2:3], v0, off
	s_or_b32 exec_lo, exec_lo, s0
	s_and_b32 exec_lo, exec_lo, s2
	s_cbranch_execnz .LBB147_65
	s_branch .LBB147_66
	.section	.rodata,"a",@progbits
	.p2align	6, 0x0
	.amdhsa_kernel _ZL12mul_mat_q2_KIN3c104HalfELb0EEvPKvS3_PT_iiiii
		.amdhsa_group_segment_fixed_size 31392
		.amdhsa_private_segment_fixed_size 432
		.amdhsa_kernarg_size 44
		.amdhsa_user_sgpr_count 14
		.amdhsa_user_sgpr_dispatch_ptr 0
		.amdhsa_user_sgpr_queue_ptr 0
		.amdhsa_user_sgpr_kernarg_segment_ptr 1
		.amdhsa_user_sgpr_dispatch_id 0
		.amdhsa_user_sgpr_private_segment_size 0
		.amdhsa_wavefront_size32 1
		.amdhsa_uses_dynamic_stack 0
		.amdhsa_enable_private_segment 1
		.amdhsa_system_sgpr_workgroup_id_x 1
		.amdhsa_system_sgpr_workgroup_id_y 1
		.amdhsa_system_sgpr_workgroup_id_z 0
		.amdhsa_system_sgpr_workgroup_info 0
		.amdhsa_system_vgpr_workitem_id 1
		.amdhsa_next_free_vgpr 256
		.amdhsa_next_free_sgpr 22
		.amdhsa_reserve_vcc 1
		.amdhsa_float_round_mode_32 0
		.amdhsa_float_round_mode_16_64 0
		.amdhsa_float_denorm_mode_32 3
		.amdhsa_float_denorm_mode_16_64 3
		.amdhsa_dx10_clamp 1
		.amdhsa_ieee_mode 1
		.amdhsa_fp16_overflow 0
		.amdhsa_workgroup_processor_mode 1
		.amdhsa_memory_ordered 1
		.amdhsa_forward_progress 0
		.amdhsa_shared_vgpr_count 0
		.amdhsa_exception_fp_ieee_invalid_op 0
		.amdhsa_exception_fp_denorm_src 0
		.amdhsa_exception_fp_ieee_div_zero 0
		.amdhsa_exception_fp_ieee_overflow 0
		.amdhsa_exception_fp_ieee_underflow 0
		.amdhsa_exception_fp_ieee_inexact 0
		.amdhsa_exception_int_div_zero 0
	.end_amdhsa_kernel
	.section	.text._ZL12mul_mat_q2_KIN3c104HalfELb0EEvPKvS3_PT_iiiii,"axG",@progbits,_ZL12mul_mat_q2_KIN3c104HalfELb0EEvPKvS3_PT_iiiii,comdat
.Lfunc_end147:
	.size	_ZL12mul_mat_q2_KIN3c104HalfELb0EEvPKvS3_PT_iiiii, .Lfunc_end147-_ZL12mul_mat_q2_KIN3c104HalfELb0EEvPKvS3_PT_iiiii
                                        ; -- End function
	.section	.AMDGPU.csdata,"",@progbits
; Kernel info:
; codeLenInByte = 44168
; NumSgprs: 24
; NumVgprs: 256
; ScratchSize: 432
; MemoryBound: 0
; FloatMode: 240
; IeeeMode: 1
; LDSByteSize: 31392 bytes/workgroup (compile time only)
; SGPRBlocks: 2
; VGPRBlocks: 31
; NumSGPRsForWavesPerEU: 24
; NumVGPRsForWavesPerEU: 256
; Occupancy: 5
; WaveLimiterHint : 0
; COMPUTE_PGM_RSRC2:SCRATCH_EN: 1
; COMPUTE_PGM_RSRC2:USER_SGPR: 14
; COMPUTE_PGM_RSRC2:TRAP_HANDLER: 0
; COMPUTE_PGM_RSRC2:TGID_X_EN: 1
; COMPUTE_PGM_RSRC2:TGID_Y_EN: 1
; COMPUTE_PGM_RSRC2:TGID_Z_EN: 0
; COMPUTE_PGM_RSRC2:TIDIG_COMP_CNT: 1
	.section	.text._ZL12mul_mat_q2_KIN3c104HalfELb1EEvPKvS3_PT_iiiii,"axG",@progbits,_ZL12mul_mat_q2_KIN3c104HalfELb1EEvPKvS3_PT_iiiii,comdat
	.globl	_ZL12mul_mat_q2_KIN3c104HalfELb1EEvPKvS3_PT_iiiii ; -- Begin function _ZL12mul_mat_q2_KIN3c104HalfELb1EEvPKvS3_PT_iiiii
	.p2align	8
	.type	_ZL12mul_mat_q2_KIN3c104HalfELb1EEvPKvS3_PT_iiiii,@function
_ZL12mul_mat_q2_KIN3c104HalfELb1EEvPKvS3_PT_iiiii: ; @_ZL12mul_mat_q2_KIN3c104HalfELb1EEvPKvS3_PT_iiiii
; %bb.0:
	s_clause 0x1
	s_load_b128 s[4:7], s[0:1], 0x18
	s_load_b32 s10, s[0:1], 0x28
	v_bfe_u32 v1, v0, 10, 10
	s_lshl_b32 s11, s15, 6
	scratch_store_b32 off, v1, off offset:476 ; 4-byte Folded Spill
	v_and_b32_e32 v1, 0x3ff, v0
	scratch_store_b32 off, v1, off offset:128 ; 4-byte Folded Spill
	s_waitcnt lgkmcnt(0)
	s_cmpk_gt_i32 s4, 0xff
	s_cbranch_scc1 .LBB148_2
; %bb.1:
	v_bfe_u32 v1, v0, 10, 10
	v_and_b32_e32 v0, 0x3ff, v0
	s_mov_b32 s2, 0
	s_mov_b32 s3, 0
	s_delay_alu instid0(VALU_DEP_2)
	v_add_nc_u32_e32 v2, s11, v1
	s_branch .LBB148_3
.LBB148_2:
	s_mov_b32 s2, -1
                                        ; implicit-def: $sgpr3
                                        ; implicit-def: $vgpr1
                                        ; implicit-def: $vgpr0
                                        ; implicit-def: $vgpr2
.LBB148_3:
	s_load_b64 s[8:9], s[0:1], 0x10
	v_dual_mov_b32 v177, s3 :: v_dual_mov_b32 v104, s3
	v_dual_mov_b32 v185, s3 :: v_dual_mov_b32 v194, s3
	;; [unrolled: 1-line block ×14, first 2 shown]
	v_mov_b32_e32 v63, s3
	v_mov_b32_e32 v77, s3
	v_mov_b32_e32 v79, s3
	v_mov_b32_e32 v205, s3
	s_and_not1_b32 vcc_lo, exec_lo, s2
	s_lshl_b32 s12, s14, 7
	s_cbranch_vccnz .LBB148_15
; %bb.4:
	s_clause 0x1
	scratch_load_b32 v38, off, off offset:128
	scratch_load_b32 v37, off, off offset:476
	s_load_b128 s[0:3], s[0:1], 0x0
	s_ashr_i32 s13, s4, 31
	s_ashr_i32 s14, s7, 31
	s_lshr_b32 s13, s13, 24
	v_mov_b32_e32 v204, 0
	s_add_i32 s4, s4, s13
	s_lshr_b32 s13, s14, 27
	s_ashr_i32 s4, s4, 8
	s_add_i32 s7, s7, s13
	s_mul_i32 s13, s4, s12
	s_ashr_i32 s7, s7, 5
	s_mul_i32 s14, s13, 0x54
	s_mul_hi_i32 s13, s13, 0x54
	v_dual_mov_b32 v205, 0 :: v_dual_mov_b32 v104, 0
	v_dual_mov_b32 v79, 0 :: v_dual_mov_b32 v68, 0
	v_mov_b32_e32 v63, 0
	v_dual_mov_b32 v65, 0 :: v_dual_mov_b32 v64, 0
	s_waitcnt lgkmcnt(0)
	s_add_u32 s0, s0, s14
	s_addc_u32 s1, s1, s13
	s_not_b32 s13, s12
	v_mov_b32_e32 v66, 0
	s_add_i32 s5, s13, s5
	v_dual_mov_b32 v51, 0 :: v_dual_mov_b32 v54, 0
	v_mov_b32_e32 v255, 0
	s_add_i32 s13, s6, -1
	v_dual_mov_b32 v77, 0 :: v_dual_mov_b32 v46, 0
	v_dual_mov_b32 v221, 0 :: v_dual_mov_b32 v194, 0
	v_mov_b32_e32 v127, 0
	v_mov_b32_e32 v177, 0
	v_dual_mov_b32 v181, 0 :: v_dual_mov_b32 v238, 0
	v_dual_mov_b32 v60, 0 :: v_dual_mov_b32 v251, 0
	v_mov_b32_e32 v185, 0
	v_mov_b32_e32 v59, 0
	;; [unrolled: 1-line block ×3, first 2 shown]
	s_waitcnt vmcnt(1)
	v_dual_mov_b32 v217, 0 :: v_dual_lshlrev_b32 v0, 2, v38
	s_waitcnt vmcnt(0)
	v_min_i32_e32 v1, s5, v37
	v_add_nc_u32_e32 v19, 8, v37
	v_add_nc_u32_e32 v11, 0x70, v37
	;; [unrolled: 1-line block ×3, first 2 shown]
	v_and_b32_e32 v2, 60, v0
	v_mul_lo_u32 v4, v1, s4
	v_add_nc_u32_e32 v21, 24, v37
	v_min_i32_e32 v28, s5, v11
	v_min_i32_e32 v3, s5, v20
	scratch_store_b32 off, v2, off offset:220 ; 4-byte Folded Spill
	v_min_i32_e32 v2, s5, v19
	v_add_nc_u32_e32 v22, 32, v37
	v_mul_lo_u32 v18, v28, s4
	scratch_store_b32 off, v4, off offset:224 ; 4-byte Folded Spill
	v_mad_u64_u32 v[4:5], null, 0x84, v1, v[0:1]
	v_mul_lo_u32 v1, v2, s4
	v_add_nc_u32_e32 v23, 40, v37
	v_and_b32_e32 v32, 1, v38
	v_add_nc_u32_e32 v17, s11, v37
	v_add_nc_u32_e32 v24, 48, v37
	;; [unrolled: 1-line block ×3, first 2 shown]
	scratch_store_b64 off, v[4:5], off offset:228 ; 8-byte Folded Spill
	v_lshlrev_b32_e32 v26, 4, v37
	v_mad_u64_u32 v[4:5], null, 0x84, v2, v[0:1]
	scratch_store_b32 off, v1, off offset:236 ; 4-byte Folded Spill
	v_mul_lo_u32 v1, v3, s4
	v_add_nc_u32_e32 v6, 8, v17
	v_add_nc_u32_e32 v7, 16, v17
	v_add_nc_u32_e32 v9, 24, v17
	v_add_nc_u32_e32 v13, 32, v17
	scratch_store_b64 off, v[4:5], off offset:240 ; 8-byte Folded Spill
	v_add_nc_u32_e32 v14, 40, v17
	v_add_nc_u32_e32 v16, 48, v17
	scratch_store_b32 off, v1, off offset:248 ; 4-byte Folded Spill
	v_min_i32_e32 v1, s5, v21
	scratch_store_b32 off, v17, off offset:480 ; 4-byte Folded Spill
	v_cvt_f64_u32_e32 v[7:8], v7
	v_cvt_f64_u32_e32 v[9:10], v9
	v_add_nc_u32_e32 v29, 0x78, v37
	v_mad_u64_u32 v[4:5], null, 0x84, v3, v[0:1]
	v_mul_lo_u32 v2, v1, s4
	v_lshrrev_b32_e32 v31, 3, v38
	s_delay_alu instid0(VALU_DEP_4)
	v_min_i32_e32 v29, s5, v29
	scratch_store_b32 off, v32, off offset:396 ; 4-byte Folded Spill
	v_and_b32_e32 v40, 12, v0
	v_lshrrev_b32_e32 v39, 4, v38
	scratch_store_b64 off, v[4:5], off offset:252 ; 8-byte Folded Spill
	v_mad_u64_u32 v[3:4], null, 0x84, v1, v[0:1]
	scratch_store_b32 off, v2, off offset:260 ; 4-byte Folded Spill
	v_min_i32_e32 v2, s5, v22
	v_min_i32_e32 v1, s5, v23
	v_lshl_add_u32 v31, v37, 2, v31
	v_mul_u32_u24_e32 v57, 0x84, v38
	v_lshlrev_b32_e32 v58, 5, v38
	scratch_store_b64 off, v[3:4], off offset:264 ; 8-byte Folded Spill
	v_mul_lo_u32 v3, v2, s4
	v_add_nc_u32_e32 v36, 64, v31
	scratch_store_b32 off, v39, off offset:216 ; 4-byte Folded Spill
	v_min_i32_e32 v36, s5, v36
	scratch_store_b32 off, v3, off offset:272 ; 4-byte Folded Spill
	v_mad_u64_u32 v[3:4], null, 0x84, v2, v[0:1]
	v_mul_lo_u32 v2, v1, s4
	scratch_store_b64 off, v[3:4], off offset:276 ; 8-byte Folded Spill
	v_mad_u64_u32 v[3:4], null, 0x84, v1, v[0:1]
	scratch_store_b32 off, v2, off offset:284 ; 4-byte Folded Spill
	v_min_i32_e32 v2, s5, v24
	v_add_nc_u32_e32 v1, 64, v37
	scratch_store_b64 off, v[3:4], off offset:288 ; 8-byte Folded Spill
	v_mul_lo_u32 v3, v2, s4
	v_mad_u64_u32 v[4:5], null, 0x84, v2, v[0:1]
	v_min_i32_e32 v1, s5, v1
	v_add_nc_u32_e32 v2, 0x48, v37
	s_clause 0x1
	scratch_store_b32 off, v3, off offset:296
	scratch_store_b64 off, v[4:5], off offset:300
	v_min_i32_e32 v3, s5, v25
	v_min_i32_e32 v2, s5, v2
	s_delay_alu instid0(VALU_DEP_2)
	v_mul_lo_u32 v4, v3, s4
	scratch_store_b32 off, v4, off offset:308 ; 4-byte Folded Spill
	v_mad_u64_u32 v[4:5], null, 0x84, v3, v[0:1]
	v_mul_lo_u32 v3, v1, s4
	scratch_store_b64 off, v[4:5], off offset:312 ; 8-byte Folded Spill
	v_mad_u64_u32 v[4:5], null, 0x84, v1, v[0:1]
	scratch_store_b32 off, v3, off offset:320 ; 4-byte Folded Spill
	v_add_nc_u32_e32 v1, 0x58, v37
	v_add_nc_u32_e32 v3, 0x50, v37
	scratch_store_b64 off, v[4:5], off offset:324 ; 8-byte Folded Spill
	v_mul_lo_u32 v4, v2, s4
	v_min_i32_e32 v3, s5, v3
	scratch_store_b32 off, v4, off offset:332 ; 4-byte Folded Spill
	v_mad_u64_u32 v[4:5], null, 0x84, v2, v[0:1]
	v_min_i32_e32 v1, s5, v1
	v_add_nc_u32_e32 v2, 0x60, v37
	scratch_store_b64 off, v[4:5], off offset:336 ; 8-byte Folded Spill
	v_mul_lo_u32 v4, v3, s4
	v_min_i32_e32 v2, s5, v2
	scratch_store_b32 off, v4, off offset:344 ; 4-byte Folded Spill
	v_mad_u64_u32 v[4:5], null, 0x84, v3, v[0:1]
	v_mul_lo_u32 v3, v1, s4
	scratch_store_b64 off, v[4:5], off offset:348 ; 8-byte Folded Spill
	v_mad_u64_u32 v[4:5], null, 0x84, v1, v[0:1]
	scratch_store_b32 off, v3, off offset:356 ; 4-byte Folded Spill
	v_lshrrev_b32_e32 v1, 1, v38
	v_add_nc_u32_e32 v3, 0x68, v37
	scratch_store_b64 off, v[4:5], off offset:360 ; 8-byte Folded Spill
	v_mul_lo_u32 v4, v2, s4
	v_min_i32_e32 v3, s5, v3
	scratch_store_b32 off, v4, off offset:368 ; 4-byte Folded Spill
	v_mad_u64_u32 v[4:5], null, 0x84, v2, v[0:1]
	v_add_nc_u32_e32 v1, v1, v26
	v_mul_lo_u32 v2, v3, s4
	scratch_store_b64 off, v[4:5], off offset:372 ; 8-byte Folded Spill
	v_mad_u64_u32 v[4:5], null, 0x84, v3, v[0:1]
	s_clause 0x1
	scratch_store_b32 off, v2, off offset:380
	scratch_store_b64 off, v[4:5], off offset:384
	v_and_b32_e32 v5, 0x7f, v1
	v_cvt_f64_i32_e32 v[1:2], s13
	v_cvt_f64_u32_e32 v[3:4], v17
	v_add_nc_u32_e32 v17, 56, v17
	s_delay_alu instid0(VALU_DEP_4) | instskip(SKIP_1) | instid1(VALU_DEP_2)
	v_min_i32_e32 v27, s5, v5
	v_cvt_f64_u32_e32 v[5:6], v6
	v_ashrrev_i32_e32 v12, 31, v27
	s_delay_alu instid0(VALU_DEP_1) | instskip(SKIP_2) | instid1(VALU_DEP_3)
	v_lshrrev_b32_e32 v15, 28, v12
	v_cvt_f64_u32_e32 v[11:12], v13
	v_cvt_f64_u32_e32 v[13:14], v14
	v_add_nc_u32_e32 v30, v27, v15
	v_cvt_f64_u32_e32 v[15:16], v16
	s_delay_alu instid0(VALU_DEP_2)
	v_ashrrev_i32_e32 v30, 4, v30
	v_mad_u64_u32 v[34:35], null, 0x84, v28, v[0:1]
	scratch_store_b32 off, v18, off offset:392 ; 4-byte Folded Spill
	v_cvt_f64_u32_e32 v[17:18], v17
	v_min_f64 v[3:4], v[3:4], v[1:2]
	v_mul_lo_u32 v28, v29, s4
	v_min_f64 v[5:6], v[5:6], v[1:2]
	v_min_f64 v[7:8], v[7:8], v[1:2]
	scratch_store_b64 off, v[34:35], off offset:400 ; 8-byte Folded Spill
	v_mad_u64_u32 v[34:35], null, 0x84, v29, v[0:1]
	v_min_f64 v[9:10], v[9:10], v[1:2]
	v_mul_lo_u32 v29, v27, s4
	scratch_store_b32 off, v28, off offset:408 ; 4-byte Folded Spill
	v_lshlrev_b32_e32 v28, 2, v30
	v_min_f64 v[11:12], v[11:12], v[1:2]
	v_min_f64 v[13:14], v[13:14], v[1:2]
	v_lshlrev_b32_e32 v30, 2, v32
	v_and_b32_e32 v32, 7, v38
	scratch_store_b64 off, v[34:35], off offset:412 ; 8-byte Folded Spill
	v_min_f64 v[15:16], v[15:16], v[1:2]
	v_and_b32_e32 v0, 28, v0
	v_add3_u32 v28, v28, v30, 0x7280
	v_cmp_lt_u32_e32 vcc_lo, 3, v32
	v_add_nc_u32_e32 v30, 32, v31
	v_lshlrev_b32_e32 v32, 2, v32
	v_lshlrev_b32_e32 v27, 3, v27
	v_cndmask_b32_e64 v35, 0, 1, vcc_lo
	scratch_store_b32 off, v29, off offset:420 ; 4-byte Folded Spill
	v_min_i32_e32 v29, s5, v31
	v_min_i32_e32 v30, s5, v30
	v_add_nc_u32_e32 v31, 0x60, v31
	s_delay_alu instid0(VALU_DEP_3) | instskip(NEXT) | instid1(VALU_DEP_2)
	v_ashrrev_i32_e32 v34, 31, v29
	v_min_i32_e32 v31, s5, v31
	s_delay_alu instid0(VALU_DEP_2)
	v_lshrrev_b32_e32 v34, 30, v34
	v_min_f64 v[1:2], v[17:18], v[1:2]
	v_cvt_i32_f64_e32 v4, v[3:4]
	v_mul_lo_u32 v3, v36, s4
	scratch_store_b32 off, v35, off offset:424 ; 4-byte Folded Spill
	v_ashrrev_i32_e32 v35, 31, v30
	v_add_nc_u32_e32 v34, v29, v34
	v_ashrrev_i32_e32 v18, 31, v36
	v_cvt_i32_f64_e32 v5, v[5:6]
	v_cvt_i32_f64_e32 v9, v[9:10]
	v_lshrrev_b32_e32 v35, 30, v35
	scratch_store_b32 off, v3, off offset:440 ; 4-byte Folded Spill
	v_and_b32_e32 v17, -4, v34
	v_lshrrev_b32_e32 v18, 30, v18
	v_mul_lo_u32 v10, v31, s4
	v_add_nc_u32_e32 v34, v30, v35
	v_mul_lo_u32 v35, v29, s4
	v_cvt_i32_f64_e32 v7, v[7:8]
	v_add_nc_u32_e32 v18, v36, v18
	v_cvt_i32_f64_e32 v11, v[11:12]
	v_cvt_i32_f64_e32 v13, v[13:14]
	;; [unrolled: 1-line block ×3, first 2 shown]
	scratch_store_b32 off, v10, off offset:444 ; 4-byte Folded Spill
	v_and_b32_e32 v18, -4, v18
	scratch_store_b32 off, v35, off offset:432 ; 4-byte Folded Spill
	v_ashrrev_i32_e32 v35, 31, v31
	v_and_b32_e32 v15, 31, v38
	v_lshlrev_b32_e32 v8, 5, v36
	v_add3_u32 v6, v18, v32, 0x6200
	v_lshrrev_b32_e32 v18, 2, v38
	v_lshrrev_b32_e32 v35, 30, v35
	v_lshlrev_b32_e32 v15, 2, v15
	v_add3_u32 v17, v17, v32, 0x6200
	v_and_b32_e32 v34, -4, v34
	v_lshl_add_u32 v10, v37, 3, v18
	v_add_nc_u32_e32 v3, v31, v35
	v_add_co_u32 v35, s5, s2, v0
	s_delay_alu instid0(VALU_DEP_1) | instskip(SKIP_1) | instid1(VALU_DEP_4)
	v_add_co_ci_u32_e64 v36, null, s3, 0, s5
	v_cvt_i32_f64_e32 v1, v[1:2]
	v_and_b32_e32 v3, -4, v3
	v_and_b32_e32 v10, 63, v10
	v_lshlrev_b32_e32 v18, 5, v31
	v_lshlrev_b32_e32 v31, 7, v37
	;; [unrolled: 1-line block ×3, first 2 shown]
	v_add3_u32 v12, v3, v32, 0x6200
	v_and_b32_e32 v3, 3, v38
	v_or_b32_e32 v2, s11, v10
	v_add3_u32 v34, v34, v32, 0x6200
	s_movk_i32 s5, 0x1080
	v_and_b32_e32 v32, 0xfc, v38
	v_lshlrev_b32_e32 v16, 2, v3
	v_min_i32_e32 v0, s13, v2
	v_mad_u32_u24 v136, 0x84, v38, s5
	s_movk_i32 s5, 0x2100
	s_delay_alu instid0(VALU_DEP_3) | instskip(SKIP_3) | instid1(SALU_CYCLE_1)
	v_lshl_or_b32 v2, v10, 4, v16
	v_or_b32_e32 v10, v31, v15
	v_mad_u32_u24 v144, 0x84, v38, s5
	s_movk_i32 s5, 0x3180
	v_mad_u32_u24 v152, 0x84, v38, s5
	s_mov_b32 s5, 0
	v_mul_lo_u32 v1, s7, v1
	scratch_store_b64 off, v[35:36], off offset:132 ; 8-byte Folded Spill
	v_mad_u64_u32 v[35:36], null, v0, s7, v[3:4]
	v_add_nc_u32_e32 v0, 0x76a0, v2
	v_mul_lo_u32 v2, s7, v4
	v_mul_lo_u32 v3, s7, v5
	v_add_nc_u32_e32 v5, 0x60, v38
	s_clause 0x1
	scratch_store_b32 off, v1, off offset:200
	scratch_store_b32 off, v0, off offset:140
	v_lshl_or_b32 v0, v19, 7, v15
	v_add_nc_u32_e32 v1, 32, v38
	s_clause 0x1
	scratch_store_b64 off, v[35:36], off offset:448
	scratch_store_b32 off, v2, off offset:144
	v_add_nc_u32_e32 v2, 0x4200, v10
	v_add_nc_u32_e32 v0, 0x4200, v0
	v_lshrrev_b32_e32 v4, 2, v1
	v_and_b32_e32 v62, 0x1fc, v5
	v_and_b32_e32 v33, 0x1fc, v1
	scratch_store_b32 off, v2, off offset:148 ; 4-byte Folded Spill
	v_lshl_or_b32 v2, v20, 7, v15
	s_delay_alu instid0(VALU_DEP_1)
	v_add_nc_u32_e32 v2, 0x4200, v2
	scratch_store_b32 off, v3, off offset:152 ; 4-byte Folded Spill
	v_mul_lo_u32 v3, s7, v7
	scratch_store_b32 off, v0, off offset:156 ; 4-byte Folded Spill
	v_lshl_or_b32 v0, v21, 7, v15
	v_lshrrev_b32_e32 v7, 2, v5
	s_delay_alu instid0(VALU_DEP_2)
	v_add_nc_u32_e32 v0, 0x4200, v0
	scratch_store_b32 off, v3, off offset:160 ; 4-byte Folded Spill
	v_mul_lo_u32 v3, s7, v9
	scratch_store_b32 off, v2, off offset:164 ; 4-byte Folded Spill
	v_lshl_or_b32 v2, v22, 7, v15
	v_add_nc_u32_e32 v22, 0x6e08, v62
	s_delay_alu instid0(VALU_DEP_2) | instskip(SKIP_4) | instid1(VALU_DEP_1)
	v_add_nc_u32_e32 v2, 0x4200, v2
	scratch_store_b32 off, v3, off offset:168 ; 4-byte Folded Spill
	v_mul_lo_u32 v3, s7, v11
	scratch_store_b32 off, v0, off offset:172 ; 4-byte Folded Spill
	v_lshl_or_b32 v0, v23, 7, v15
	v_dual_mov_b32 v23, 0 :: v_dual_add_nc_u32 v0, 0x4200, v0
	scratch_store_b32 off, v3, off offset:176 ; 4-byte Folded Spill
	v_mul_lo_u32 v3, s7, v13
	scratch_store_b32 off, v2, off offset:180 ; 4-byte Folded Spill
	v_lshl_or_b32 v2, v24, 7, v15
	s_delay_alu instid0(VALU_DEP_1)
	v_add_nc_u32_e32 v2, 0x4200, v2
	scratch_store_b32 off, v3, off offset:184 ; 4-byte Folded Spill
	v_mul_lo_u32 v3, s7, v14
	scratch_store_b32 off, v0, off offset:188 ; 4-byte Folded Spill
	v_lshl_or_b32 v0, v25, 7, v15
	scratch_store_b32 off, v2, off offset:196 ; 4-byte Folded Spill
	v_lshlrev_b32_e32 v2, 2, v39
	v_add_nc_u32_e32 v25, 0x6608, v33
	v_add_nc_u32_e32 v0, 0x4200, v0
	scratch_store_b32 off, v3, off offset:192 ; 4-byte Folded Spill
	v_lshlrev_b32_e32 v3, 3, v38
	scratch_store_b32 off, v0, off offset:204 ; 4-byte Folded Spill
	v_add_nc_u32_e32 v0, 64, v38
	v_add3_u32 v61, v2, v3, 0x7280
	v_and_b32_e32 v2, 0x7c, v4
	v_dual_mov_b32 v38, 0 :: v_dual_lshlrev_b32 v3, 3, v1
	s_delay_alu instid0(VALU_DEP_4) | instskip(SKIP_1) | instid1(VALU_DEP_3)
	v_lshrrev_b32_e32 v4, 2, v0
	v_and_b32_e32 v35, 0x1fc, v0
	v_add3_u32 v137, v3, v2, 0x7280
	v_lshlrev_b32_e32 v3, 3, v0
	s_delay_alu instid0(VALU_DEP_4)
	v_and_b32_e32 v2, 0x7c, v4
	v_add_nc_u32_e32 v0, 0x4200, v31
	v_and_b32_e32 v4, 0x7c, v7
	v_lshlrev_b32_e32 v7, 3, v5
	v_add_nc_u32_e32 v24, 0x6a08, v35
	v_add3_u32 v145, v3, v2, 0x7280
	v_add_nc_u32_e32 v2, 0x76a0, v26
	scratch_store_b32 off, v0, off offset:212 ; 4-byte Folded Spill
	v_add_nc_u32_e32 v0, v28, v27
	v_add3_u32 v154, v7, v4, 0x7280
	v_mov_b32_e32 v28, 0
	s_clause 0x1
	scratch_store_b32 off, v2, off offset:208
	scratch_store_b32 off, v40, off offset:428
	v_mul_lo_u32 v40, v30, s4
	v_lshlrev_b32_e32 v30, 5, v30
	scratch_store_b32 off, v0, off offset:456 ; 4-byte Folded Spill
	v_dual_mov_b32 v27, 0 :: v_dual_add_nc_u32 v0, v17, v29
	v_add_nc_u32_e32 v26, 0x6208, v32
	s_clause 0x1
	scratch_store_b32 off, v40, off offset:436
	scratch_store_b32 off, v0, off offset:460
	v_add_nc_u32_e32 v0, v34, v30
	v_mov_b32_e32 v40, 0
	v_mov_b32_e32 v34, 0
	scratch_store_b32 off, v0, off offset:464 ; 4-byte Folded Spill
	v_add_nc_u32_e32 v0, v6, v8
	scratch_store_b32 off, v0, off offset:468 ; 4-byte Folded Spill
	v_add_nc_u32_e32 v0, v12, v18
	s_clause 0x11
	scratch_store_b32 off, v0, off offset:472
	scratch_store_b32 off, v57, off offset:24
	;; [unrolled: 1-line block ×18, first 2 shown]
	s_branch .LBB148_6
.LBB148_5:                              ;   in Loop: Header=BB148_6 Depth=1
	s_add_i32 s5, s5, 2
	s_delay_alu instid0(SALU_CYCLE_1)
	s_cmp_ge_i32 s5, s4
	s_cbranch_scc1 .LBB148_14
.LBB148_6:                              ; =>This Loop Header: Depth=1
                                        ;     Child Loop BB148_8 Depth 2
                                        ;       Child Loop BB148_10 Depth 3
                                        ;       Child Loop BB148_12 Depth 3
	s_clause 0x4
	scratch_load_b32 v2, off, off offset:216
	scratch_load_b32 v4, off, off offset:224
	;; [unrolled: 1-line block ×5, first 2 shown]
	s_mul_i32 s7, s5, 0x54
	s_mul_hi_u32 s13, s5, 0x54
	s_add_u32 s14, s0, s7
	s_addc_u32 s15, s1, s13
	s_lshl_b32 s7, s5, 3
	s_mov_b32 s13, 0
	s_clause 0x3
	scratch_load_b32 v6, off, off offset:236
	scratch_load_b32 v10, off, off offset:260
	;; [unrolled: 1-line block ×4, first 2 shown]
	s_waitcnt vmcnt(8)
	v_mad_u64_u32 v[0:1], null, 0x54, v2, s[14:15]
	scratch_load_b32 v2, off, off offset:220 ; 4-byte Folded Reload
	s_waitcnt vmcnt(0)
	v_add_co_u32 v0, vcc_lo, v0, v2
	v_add_co_ci_u32_e32 v1, vcc_lo, 0, v1, vcc_lo
	s_delay_alu instid0(VALU_DEP_2) | instskip(NEXT) | instid1(VALU_DEP_2)
	v_add_co_u32 v0, vcc_lo, v0, 16
	v_add_co_ci_u32_e32 v1, vcc_lo, 0, v1, vcc_lo
	s_delay_alu instid0(VALU_DEP_1)
	v_mad_i64_i32 v[2:3], null, 0x54, v4, v[0:1]
	v_mad_i64_i32 v[4:5], null, 0x54, v6, v[0:1]
	;; [unrolled: 1-line block ×8, first 2 shown]
	s_clause 0x7
	global_load_b32 v20, v[2:3], off
	global_load_b32 v39, v[4:5], off
	;; [unrolled: 1-line block ×8, first 2 shown]
	s_clause 0x8
	scratch_load_b32 v4, off, off offset:320
	scratch_load_b32 v6, off, off offset:332
	;; [unrolled: 1-line block ×9, first 2 shown]
	s_waitcnt vmcnt(8)
	v_mad_i64_i32 v[2:3], null, 0x54, v4, v[0:1]
	s_waitcnt vmcnt(7)
	v_mad_i64_i32 v[4:5], null, 0x54, v6, v[0:1]
	;; [unrolled: 2-line block ×5, first 2 shown]
	s_waitcnt vmcnt(0)
	v_mad_u64_u32 v[12:13], null, 0x54, v14, s[14:15]
	v_mad_i64_i32 v[14:15], null, 0x54, v16, v[0:1]
	v_mad_i64_i32 v[16:17], null, 0x54, v18, v[0:1]
	;; [unrolled: 1-line block ×3, first 2 shown]
	scratch_load_b32 v21, off, off offset:428 ; 4-byte Folded Reload
	s_mov_b32 s14, 0
	s_waitcnt vmcnt(0)
	v_add_co_u32 v12, vcc_lo, v12, v21
	scratch_load_b32 v21, off, off offset:408 ; 4-byte Folded Reload
	v_add_co_ci_u32_e32 v13, vcc_lo, 0, v13, vcc_lo
	s_waitcnt vmcnt(0)
	v_mad_i64_i32 v[30:31], null, 0x54, v21, v[0:1]
	scratch_load_b32 v21, off, off offset:396 ; 4-byte Folded Reload
	s_waitcnt vmcnt(0)
	v_mad_u64_u32 v[0:1], null, 0x54, v21, v[18:19]
	scratch_load_b32 v21, off, off offset:432 ; 4-byte Folded Reload
	s_waitcnt vmcnt(0)
	v_mad_i64_i32 v[18:19], null, 0x54, v21, v[12:13]
	scratch_load_b32 v21, off, off offset:436 ; 4-byte Folded Reload
	s_waitcnt vmcnt(0)
	v_mad_i64_i32 v[42:43], null, 0x54, v21, v[12:13]
	;; [unrolled: 3-line block ×4, first 2 shown]
	s_clause 0xc
	global_load_b32 v2, v[2:3], off
	global_load_b32 v3, v[4:5], off
	;; [unrolled: 1-line block ×8, first 2 shown]
	global_load_b32 v0, v[0:1], off offset:80
	global_load_b32 v1, v[18:19], off
	global_load_b32 v10, v[42:43], off
	;; [unrolled: 1-line block ×4, first 2 shown]
	scratch_load_b64 v[13:14], off, off offset:448 ; 8-byte Folded Reload
	s_waitcnt vmcnt(0)
	v_add_nc_u32_e32 v13, s7, v13
	scratch_store_b32 off, v13, off offset:124 ; 4-byte Folded Spill
	scratch_load_b64 v[13:14], off, off offset:228 ; 8-byte Folded Reload
	s_waitcnt vmcnt(0)
	ds_store_b32 v13, v20
	scratch_load_b64 v[13:14], off, off offset:240 ; 8-byte Folded Reload
	s_waitcnt vmcnt(0)
	ds_store_b32 v13, v39
	scratch_load_b64 v[13:14], off, off offset:252 ; 8-byte Folded Reload
	s_waitcnt vmcnt(0)
	ds_store_b32 v13, v49
	scratch_load_b64 v[13:14], off, off offset:264 ; 8-byte Folded Reload
	s_waitcnt vmcnt(0)
	ds_store_b32 v13, v50
	scratch_load_b64 v[13:14], off, off offset:276 ; 8-byte Folded Reload
	s_waitcnt vmcnt(0)
	ds_store_b32 v13, v52
	scratch_load_b64 v[13:14], off, off offset:288 ; 8-byte Folded Reload
	s_waitcnt vmcnt(0)
	ds_store_b32 v13, v53
	scratch_load_b64 v[13:14], off, off offset:300 ; 8-byte Folded Reload
	s_waitcnt vmcnt(0)
	ds_store_b32 v13, v55
	scratch_load_b64 v[13:14], off, off offset:312 ; 8-byte Folded Reload
	s_waitcnt vmcnt(0)
	ds_store_b32 v13, v56
	scratch_load_b64 v[13:14], off, off offset:324 ; 8-byte Folded Reload
	s_waitcnt vmcnt(0)
	ds_store_b32 v13, v2
	scratch_load_b64 v[13:14], off, off offset:336 ; 8-byte Folded Reload
	s_waitcnt vmcnt(0)
	ds_store_b32 v13, v3
	scratch_load_b64 v[2:3], off, off offset:348 ; 8-byte Folded Reload
	s_waitcnt vmcnt(0)
	ds_store_b32 v2, v4
	scratch_load_b64 v[2:3], off, off offset:360 ; 8-byte Folded Reload
	s_waitcnt vmcnt(0)
	ds_store_b32 v2, v5
	scratch_load_b64 v[2:3], off, off offset:372 ; 8-byte Folded Reload
	s_waitcnt vmcnt(0)
	ds_store_b32 v2, v6
	scratch_load_b64 v[2:3], off, off offset:384 ; 8-byte Folded Reload
	s_waitcnt vmcnt(0)
	ds_store_b32 v2, v7
	scratch_load_b64 v[2:3], off, off offset:400 ; 8-byte Folded Reload
	s_waitcnt vmcnt(0)
	ds_store_b32 v2, v8
	scratch_load_b64 v[2:3], off, off offset:412 ; 8-byte Folded Reload
	s_waitcnt vmcnt(0)
	ds_store_b32 v2, v9
	scratch_load_b32 v2, off, off offset:456 ; 4-byte Folded Reload
	s_waitcnt vmcnt(0)
	ds_store_b32 v2, v0
	scratch_load_b32 v0, off, off offset:460 ; 4-byte Folded Reload
	s_waitcnt vmcnt(0)
	ds_store_b32 v0, v1
	;; [unrolled: 3-line block ×5, first 2 shown]
	s_branch .LBB148_8
.LBB148_7:                              ;   in Loop: Header=BB148_8 Depth=2
                                        ; implicit-def: $sgpr14
                                        ; implicit-def: $sgpr13
	s_cbranch_execnz .LBB148_5
.LBB148_8:                              ;   Parent Loop BB148_6 Depth=1
                                        ; =>  This Loop Header: Depth=2
                                        ;       Child Loop BB148_10 Depth 3
                                        ;       Child Loop BB148_12 Depth 3
	s_lshr_b32 s15, s14, 1
	s_delay_alu instid0(SALU_CYCLE_1) | instskip(NEXT) | instid1(SALU_CYCLE_1)
	s_or_b32 s15, s15, s5
	s_cmp_lt_i32 s15, s4
	s_cbranch_scc0 .LBB148_7
; %bb.9:                                ;   in Loop: Header=BB148_8 Depth=2
	scratch_load_b32 v0, off, off offset:128 ; 4-byte Folded Reload
	s_or_b32 s16, s14, 1
	s_lshl_b32 s17, s14, 3
	s_mov_b32 s18, 0
	s_lshl_b32 s15, s16, 3
	scratch_load_b64 v[19:20], off, off offset:132 ; 8-byte Folded Reload
	s_waitcnt vmcnt(1)
	v_lshl_add_u32 v0, s14, 5, v0
	s_delay_alu instid0(VALU_DEP_1) | instskip(NEXT) | instid1(VALU_DEP_1)
	v_lshrrev_b32_e32 v0, 3, v0
	v_add_nc_u32_e32 v12, s7, v0
	scratch_load_b32 v0, off, off offset:124 ; 4-byte Folded Reload
	s_waitcnt vmcnt(0)
	v_lshl_add_u32 v13, s14, 2, v0
	scratch_load_b32 v0, off, off offset:144 ; 4-byte Folded Reload
	s_waitcnt vmcnt(0)
	v_add_nc_u32_e32 v2, v12, v0
	scratch_load_b32 v0, off, off offset:152 ; 4-byte Folded Reload
	s_waitcnt vmcnt(0)
	v_add_nc_u32_e32 v4, v12, v0
	;; [unrolled: 3-line block ×7, first 2 shown]
	v_mad_i64_i32 v[0:1], null, v2, 36, v[19:20]
	v_mad_i64_i32 v[2:3], null, v4, 36, v[19:20]
	;; [unrolled: 1-line block ×5, first 2 shown]
	v_mad_u64_u32 v[10:11], null, v13, 36, s[2:3]
	scratch_load_b32 v13, off, off offset:200 ; 4-byte Folded Reload
	s_waitcnt vmcnt(0)
	v_add_nc_u32_e32 v18, v12, v13
	v_mad_i64_i32 v[12:13], null, v14, 36, v[19:20]
	v_mad_i64_i32 v[14:15], null, v16, 36, v[19:20]
	s_delay_alu instid0(VALU_DEP_3)
	v_mad_i64_i32 v[16:17], null, v18, 36, v[19:20]
	s_clause 0x8
	global_load_b32 v10, v[10:11], off
	global_load_b32 v2, v[2:3], off offset:4
	global_load_b32 v3, v[4:5], off offset:4
	;; [unrolled: 1-line block ×8, first 2 shown]
	s_clause 0x2
	scratch_load_b32 v124, off, off offset:212
	scratch_load_b32 v125, off, off offset:208
	;; [unrolled: 1-line block ×3, first 2 shown]
	s_waitcnt vmcnt(11)
	v_cvt_f32_f16_e32 v1, v10
	s_waitcnt vmcnt(0)
	ds_store_b32 v9, v2
	scratch_load_b32 v2, off, off offset:164 ; 4-byte Folded Reload
	s_waitcnt vmcnt(0)
	ds_store_b32 v2, v3
	scratch_load_b32 v2, off, off offset:172 ; 4-byte Folded Reload
	;; [unrolled: 3-line block ×8, first 2 shown]
	s_waitcnt vmcnt(0)
	ds_store_b32 v0, v1
	s_waitcnt lgkmcnt(0)
	s_waitcnt_vscnt null, 0x0
	s_barrier
	buffer_gl0_inv
.LBB148_10:                             ;   Parent Loop BB148_6 Depth=1
                                        ;     Parent Loop BB148_8 Depth=2
                                        ; =>    This Inner Loop Header: Depth=3
	s_clause 0x4
	scratch_store_b32 off, v127, off offset:16
	scratch_store_b32 off, v104, off offset:12
	;; [unrolled: 1-line block ×4, first 2 shown]
	scratch_store_b32 off, v23, off
	ds_load_2addr_b32 v[19:20], v125 offset1:32
	ds_load_b128 v[0:3], v124
	ds_load_b128 v[4:7], v124 offset:16
	s_add_i32 s21, s13, s18
	v_add_nc_u32_e32 v126, s18, v58
	s_and_b32 s20, s21, 0x3ffffff8
	s_lshr_b32 s21, s21, 2
	s_lshl_b32 s20, s20, 2
	s_and_b32 s21, s21, 0x3ffffffc
	s_and_b32 s19, s17, -16
	s_add_i32 s17, s17, 2
	s_waitcnt lgkmcnt(1)
	v_bfe_i32 v84, v0, 0, 8
	s_waitcnt lgkmcnt(0)
	v_ashrrev_i32_e32 v103, 24, v4
	v_ashrrev_i32_e32 v110, 24, v5
	v_bfe_i32 v85, v0, 8, 8
	v_bfe_i32 v86, v0, 16, 8
	v_ashrrev_i32_e32 v87, 24, v0
	v_bfe_i32 v102, v4, 16, 8
	v_bfe_i32 v109, v5, 16, 8
	v_ashrrev_i32_e32 v114, 24, v6
	v_ashrrev_i32_e32 v123, 24, v7
	v_add_nc_u32_e32 v0, v110, v103
	v_bfe_i32 v101, v4, 8, 8
	v_bfe_i32 v108, v5, 8, 8
	;; [unrolled: 1-line block ×4, first 2 shown]
	v_add3_u32 v15, v0, v114, v123
	v_add_nc_u32_e32 v0, v109, v102
	v_bfe_i32 v100, v4, 0, 8
	v_bfe_i32 v13, v5, 0, 8
	;; [unrolled: 1-line block ×4, first 2 shown]
	v_add3_u32 v16, v0, v113, v117
	v_add_nc_u32_e32 v0, v108, v101
	v_ashrrev_i32_e32 v91, 24, v1
	v_bfe_i32 v111, v6, 0, 8
	v_bfe_i32 v115, v7, 0, 8
	;; [unrolled: 1-line block ×3, first 2 shown]
	v_add3_u32 v17, v0, v112, v116
	v_add_nc_u32_e32 v0, v13, v100
	v_ashrrev_i32_e32 v95, 24, v2
	v_ashrrev_i32_e32 v99, 24, v3
	v_bfe_i32 v89, v1, 8, 8
	v_bfe_i32 v94, v2, 16, 8
	v_add3_u32 v14, v0, v111, v115
	v_add_nc_u32_e32 v0, v91, v87
	v_bfe_i32 v98, v3, 16, 8
	v_bfe_i32 v88, v1, 0, 8
	;; [unrolled: 1-line block ×4, first 2 shown]
	v_add3_u32 v18, v0, v95, v99
	v_add_nc_u32_e32 v0, v90, v86
	v_bfe_i32 v92, v2, 0, 8
	v_bfe_i32 v96, v3, 0, 8
	v_add_nc_u32_e32 v2, s20, v57
	s_delay_alu instid0(VALU_DEP_4) | instskip(SKIP_1) | instid1(VALU_DEP_1)
	v_add3_u32 v127, v0, v94, v98
	v_add_nc_u32_e32 v0, v89, v85
	v_add3_u32 v128, v0, v93, v97
	v_add_nc_u32_e32 v0, v88, v84
	s_delay_alu instid0(VALU_DEP_1)
	v_add3_u32 v104, v0, v92, v96
	ds_load_2addr_b32 v[0:1], v2 offset1:1
	s_waitcnt lgkmcnt(0)
	v_ashrrev_i32_e32 v4, s18, v0
	v_ashrrev_i32_e32 v11, s18, v1
	ds_load_2addr_b32 v[0:1], v2 offset0:2 offset1:3
	v_and_b32_e32 v5, 3, v4
	v_bfe_u32 v3, v4, 8, 2
	v_and_b32_e32 v7, 3, v11
	v_bfe_u32 v8, v11, 8, 2
	v_bfe_u32 v10, v11, 16, 2
	;; [unrolled: 1-line block ×3, first 2 shown]
	v_mul_i32_i24_e32 v47, v3, v85
	v_bfe_u32 v6, v4, 16, 2
	v_bfe_u32 v9, v4, 24, 2
	v_mul_i32_i24_e32 v62, v10, v90
	v_mul_i32_i24_e32 v70, v12, v91
	s_delay_alu instid0(VALU_DEP_4) | instskip(NEXT) | instid1(VALU_DEP_4)
	v_mul_i32_i24_e32 v48, v6, v86
	v_mul_i32_i24_e32 v4, v9, v87
	s_waitcnt lgkmcnt(0)
	v_ashrrev_i32_e32 v30, s18, v0
	v_ashrrev_i32_e32 v31, s18, v1
	ds_load_2addr_b32 v[0:1], v2 offset0:4 offset1:5
	v_and_b32_e32 v11, 3, v30
	v_and_b32_e32 v53, 3, v31
	v_bfe_u32 v39, v30, 8, 2
	v_bfe_u32 v52, v30, 16, 2
	v_bfe_u32 v55, v30, 24, 2
	v_mul_i32_i24_e32 v71, v11, v92
	v_mul_i32_i24_e32 v75, v53, v96
	;; [unrolled: 1-line block ×4, first 2 shown]
	v_bfe_u32 v56, v31, 8, 2
	v_mul_i32_i24_e32 v30, v55, v95
	v_bfe_u32 v57, v31, 16, 2
	v_bfe_u32 v58, v31, 24, 2
	s_delay_alu instid0(VALU_DEP_4) | instskip(NEXT) | instid1(VALU_DEP_3)
	v_mul_i32_i24_e32 v76, v56, v97
	v_mul_i32_i24_e32 v78, v57, v98
	s_waitcnt lgkmcnt(0)
	v_ashrrev_i32_e32 v42, s18, v0
	v_ashrrev_i32_e32 v43, s18, v1
	ds_load_2addr_b32 v[0:1], v2 offset0:6 offset1:7
	v_mul_i32_i24_e32 v31, v58, v99
	v_bfe_u32 v79, v43, 24, 2
	s_waitcnt lgkmcnt(0)
	v_ashrrev_i32_e32 v44, s18, v0
	scratch_load_b32 v0, off, off offset:104 ; 4-byte Folded Reload
	v_ashrrev_i32_e32 v45, s18, v1
	v_add_nc_u32_e32 v1, s21, v61
	v_mul_i32_i24_e32 v61, v8, v89
	v_bfe_u32 v80, v44, 8, 2
	v_bfe_u32 v81, v44, 16, 2
	v_and_b32_e32 v118, 3, v45
	v_bfe_u32 v119, v44, 24, 2
	v_bfe_u32 v120, v45, 8, 2
	v_mul_i32_i24_e32 v131, v80, v112
	v_mul_i32_i24_e32 v132, v81, v113
	;; [unrolled: 1-line block ×3, first 2 shown]
	v_bfe_u32 v121, v45, 16, 2
	v_mul_i32_i24_e32 v134, v120, v116
	v_bfe_u32 v122, v45, 24, 2
	s_delay_alu instid0(VALU_DEP_3) | instskip(NEXT) | instid1(VALU_DEP_2)
	v_mul_i32_i24_e32 v135, v121, v117
	v_mul_i32_i24_e32 v45, v122, v123
	s_waitcnt vmcnt(0)
	v_add3_u32 v0, v0, s19, v126
	ds_load_b32 v182, v1
	ds_load_u16 v0, v0 offset:25088
	scratch_load_b32 v21, off, off offset:100 ; 4-byte Folded Reload
	s_waitcnt lgkmcnt(0)
	v_bfe_u32 v195, v0, 4, 4
	v_lshrrev_b16 v1, 8, v0
	s_delay_alu instid0(VALU_DEP_2) | instskip(NEXT) | instid1(VALU_DEP_1)
	v_mul_lo_u32 v2, 0x1010101, v195
	v_bfe_i32 v49, v2, 8, 8
	v_bfe_i32 v50, v2, 16, 8
	v_lshrrev_b32_e32 v201, 24, v2
	v_mul_i32_i24_e32 v2, v5, v84
	s_delay_alu instid0(VALU_DEP_1) | instskip(NEXT) | instid1(VALU_DEP_1)
	v_mad_i32_i24 v2, v7, v88, v2
	v_add3_u32 v2, v2, v71, v47
	v_bfe_u32 v71, v42, 16, 2
	s_delay_alu instid0(VALU_DEP_2) | instskip(NEXT) | instid1(VALU_DEP_2)
	v_add3_u32 v2, v2, v48, v4
	v_mul_i32_i24_e32 v82, v71, v102
	s_delay_alu instid0(VALU_DEP_2) | instskip(SKIP_2) | instid1(VALU_DEP_3)
	v_add3_u32 v2, v2, v75, v61
	v_bfe_u32 v75, v42, 24, 2
	v_and_b32_e32 v61, 15, v0
	v_add3_u32 v2, v2, v62, v70
	v_and_b32_e32 v70, 3, v42
	v_bfe_u32 v62, v42, 8, 2
	v_mul_i32_i24_e32 v42, v75, v103
	s_delay_alu instid0(VALU_DEP_4) | instskip(NEXT) | instid1(VALU_DEP_4)
	v_add3_u32 v2, v2, v72, v73
	v_mul_i32_i24_e32 v47, v70, v100
	v_and_b32_e32 v72, 3, v43
	v_mul_i32_i24_e32 v48, v62, v101
	v_bfe_u32 v73, v43, 8, 2
	v_add3_u32 v2, v2, v30, v76
	v_and_b32_e32 v30, 0xffff, v1
	v_mad_i32_i24 v47, v72, v13, v47
	v_bfe_u32 v76, v43, 16, 2
	v_mul_i32_i24_e32 v83, v73, v108
	v_add3_u32 v2, v2, v78, v31
	v_and_b32_e32 v78, 3, v44
	v_lshrrev_b32_e32 v0, 4, v30
	v_mul_i32_i24_e32 v129, v76, v109
	v_mul_i32_i24_e32 v43, v79, v110
	v_mul_lo_u32 v31, v2, v61
	v_mul_i32_i24_e32 v130, v78, v111
	v_mul_lo_u32 v4, 0x1010101, v0
	v_mul_i32_i24_e32 v44, v119, v114
	v_and_b32_e32 v30, 15, v30
	s_delay_alu instid0(VALU_DEP_4) | instskip(SKIP_2) | instid1(VALU_DEP_3)
	v_add3_u32 v47, v47, v130, v48
	v_mul_i32_i24_e32 v48, v127, v50
	v_bfe_i32 v1, v4, 8, 8
	v_add3_u32 v42, v47, v82, v42
	v_bfe_i32 v2, v4, 16, 8
	v_lshrrev_b32_e32 v4, 24, v4
	v_mul_i32_i24_e32 v47, v18, v201
	v_mul_i32_i24_e32 v82, v128, v49
	v_add3_u32 v42, v42, v133, v83
	v_mul_i32_i24_e32 v83, v195, v104
	s_delay_alu instid0(VALU_DEP_2) | instskip(NEXT) | instid1(VALU_DEP_2)
	v_add3_u32 v42, v42, v129, v43
	v_mad_i32_i24 v83, v0, v14, v83
	v_mul_i32_i24_e32 v43, v15, v4
	s_delay_alu instid0(VALU_DEP_3) | instskip(NEXT) | instid1(VALU_DEP_3)
	v_add3_u32 v42, v42, v131, v132
	v_add3_u32 v47, v83, v47, v48
	s_delay_alu instid0(VALU_DEP_2) | instskip(SKIP_1) | instid1(VALU_DEP_3)
	v_add3_u32 v42, v42, v44, v134
	v_mul_i32_i24_e32 v44, v16, v2
	v_add3_u32 v43, v47, v82, v43
	s_delay_alu instid0(VALU_DEP_3) | instskip(SKIP_1) | instid1(VALU_DEP_1)
	v_add3_u32 v42, v42, v135, v45
	v_mul_i32_i24_e32 v45, v17, v1
	v_add3_u32 v45, v43, v44, v45
	s_delay_alu instid0(VALU_DEP_3) | instskip(SKIP_1) | instid1(VALU_DEP_1)
	v_mad_u64_u32 v[43:44], null, v42, v30, v[31:32]
	v_lshrrev_b32_e32 v31, 16, v182
	v_cvt_f32_f16_e32 v42, v31
	s_delay_alu instid0(VALU_DEP_3) | instskip(SKIP_1) | instid1(VALU_DEP_1)
	v_cvt_f32_i32_e32 v31, v43
	v_cvt_f32_i32_e32 v43, v45
	v_mul_f32_e32 v43, v42, v43
	s_delay_alu instid0(VALU_DEP_1) | instskip(NEXT) | instid1(VALU_DEP_1)
	v_fma_mix_f32 v31, v182, v31, -v43 op_sel_hi:[1,0,0]
	v_dual_fmac_f32 v204, v19, v31 :: v_dual_add_nc_u32 v31, s20, v136
	ds_load_2addr_b32 v[43:44], v31 offset1:1
	s_waitcnt lgkmcnt(0)
	v_ashrrev_i32_e32 v45, s18, v43
	v_ashrrev_i32_e32 v48, s18, v44
	ds_load_2addr_b32 v[43:44], v31 offset0:2 offset1:3
	v_and_b32_e32 v224, 3, v45
	v_bfe_u32 v47, v45, 8, 2
	v_and_b32_e32 v226, 3, v48
	v_bfe_u32 v225, v45, 16, 2
	v_bfe_u32 v228, v45, 24, 2
	;; [unrolled: 1-line block ×3, first 2 shown]
	v_mul_i32_i24_e32 v133, v47, v85
	v_bfe_u32 v229, v48, 16, 2
	v_mul_i32_i24_e32 v134, v225, v86
	v_mul_i32_i24_e32 v45, v228, v87
	;; [unrolled: 1-line block ×3, first 2 shown]
	v_bfe_u32 v231, v48, 24, 2
	v_mul_i32_i24_e32 v136, v229, v90
	s_delay_alu instid0(VALU_DEP_2)
	v_mul_i32_i24_e32 v48, v231, v91
	s_waitcnt lgkmcnt(0)
	v_ashrrev_i32_e32 v82, s18, v43
	v_ashrrev_i32_e32 v83, s18, v44
	ds_load_2addr_b32 v[43:44], v31 offset0:4 offset1:5
	v_and_b32_e32 v230, 3, v82
	v_and_b32_e32 v234, 3, v83
	v_bfe_u32 v232, v82, 8, 2
	v_bfe_u32 v233, v82, 16, 2
	;; [unrolled: 1-line block ×4, first 2 shown]
	v_mul_i32_i24_e32 v141, v234, v96
	v_mul_i32_i24_e32 v139, v232, v93
	;; [unrolled: 1-line block ×5, first 2 shown]
	v_bfe_u32 v236, v83, 16, 2
	v_bfe_u32 v237, v83, 24, 2
	s_delay_alu instid0(VALU_DEP_2)
	v_mul_i32_i24_e32 v143, v236, v98
	s_waitcnt lgkmcnt(0)
	v_ashrrev_i32_e32 v129, s18, v43
	v_ashrrev_i32_e32 v130, s18, v44
	ds_load_2addr_b32 v[43:44], v31 offset0:6 offset1:7
	v_mul_i32_i24_e32 v83, v237, v99
	v_and_b32_e32 v69, 3, v129
	v_bfe_u32 v240, v129, 8, 2
	v_and_b32_e32 v242, 3, v130
	v_bfe_u32 v241, v129, 16, 2
	v_bfe_u32 v244, v129, 24, 2
	;; [unrolled: 1-line block ×5, first 2 shown]
	s_delay_alu instid0(VALU_DEP_4) | instskip(NEXT) | instid1(VALU_DEP_2)
	v_mul_i32_i24_e32 v129, v244, v103
	v_mul_i32_i24_e32 v130, v247, v110
	s_waitcnt lgkmcnt(0)
	v_ashrrev_i32_e32 v131, s18, v43
	v_add_nc_u32_e32 v43, s21, v137
	v_ashrrev_i32_e32 v132, s18, v44
	v_mul_i32_i24_e32 v137, v230, v92
	s_delay_alu instid0(VALU_DEP_4) | instskip(SKIP_1) | instid1(VALU_DEP_4)
	v_and_b32_e32 v246, 3, v131
	v_bfe_u32 v248, v131, 8, 2
	v_and_b32_e32 v250, 3, v132
	v_bfe_u32 v249, v131, 16, 2
	v_bfe_u32 v252, v131, 24, 2
	;; [unrolled: 1-line block ×5, first 2 shown]
	s_delay_alu instid0(VALU_DEP_4) | instskip(NEXT) | instid1(VALU_DEP_2)
	v_mul_i32_i24_e32 v131, v252, v114
	v_mul_i32_i24_e32 v132, v254, v123
	s_waitcnt vmcnt(0)
	v_add3_u32 v31, v21, s19, v126
	ds_load_b32 v138, v43
	ds_load_u16 v31, v31 offset:26112
	scratch_load_b32 v21, off, off offset:96 ; 4-byte Folded Reload
	s_waitcnt lgkmcnt(0)
	v_bfe_u32 v151, v31, 4, 4
	v_lshrrev_b16 v43, 8, v31
	v_and_b32_e32 v239, 15, v31
	s_delay_alu instid0(VALU_DEP_3) | instskip(NEXT) | instid1(VALU_DEP_1)
	v_mul_lo_u32 v44, 0x1010101, v151
	v_bfe_i32 v222, v44, 8, 8
	v_bfe_i32 v223, v44, 16, 8
	v_lshrrev_b32_e32 v155, 24, v44
	v_mul_i32_i24_e32 v44, v224, v84
	s_delay_alu instid0(VALU_DEP_1) | instskip(NEXT) | instid1(VALU_DEP_1)
	v_mad_i32_i24 v44, v226, v88, v44
	v_add3_u32 v44, v44, v137, v133
	v_mul_i32_i24_e32 v133, v240, v101
	v_mul_i32_i24_e32 v137, v246, v111
	s_delay_alu instid0(VALU_DEP_3) | instskip(SKIP_1) | instid1(VALU_DEP_2)
	v_add3_u32 v44, v44, v134, v45
	v_mul_i32_i24_e32 v134, v241, v102
	v_add3_u32 v44, v44, v141, v135
	v_mul_i32_i24_e32 v135, v243, v108
	v_mul_i32_i24_e32 v141, v250, v115
	s_delay_alu instid0(VALU_DEP_3) | instskip(SKIP_1) | instid1(VALU_DEP_2)
	v_add3_u32 v44, v44, v136, v48
	v_mul_i32_i24_e32 v136, v245, v109
	v_add3_u32 v44, v44, v139, v140
	v_mul_i32_i24_e32 v139, v248, v112
	v_mul_i32_i24_e32 v140, v249, v113
	s_delay_alu instid0(VALU_DEP_3) | instskip(SKIP_2) | instid1(VALU_DEP_3)
	v_add3_u32 v44, v44, v82, v142
	v_and_b32_e32 v82, 0xffff, v43
	v_mul_i32_i24_e32 v142, v74, v116
	v_add3_u32 v44, v44, v143, v83
	v_mul_i32_i24_e32 v83, v69, v100
	s_delay_alu instid0(VALU_DEP_4)
	v_lshrrev_b32_e32 v43, 4, v82
	v_mul_i32_i24_e32 v143, v253, v117
	v_and_b32_e32 v27, 15, v82
	v_mul_lo_u32 v31, v44, v239
	v_mad_i32_i24 v83, v242, v13, v83
	v_mul_lo_u32 v48, 0x1010101, v43
	s_delay_alu instid0(VALU_DEP_2) | instskip(SKIP_1) | instid1(VALU_DEP_3)
	v_add3_u32 v83, v83, v137, v133
	v_mul_i32_i24_e32 v133, v127, v223
	v_bfe_i32 v44, v48, 8, 8
	s_delay_alu instid0(VALU_DEP_3) | instskip(SKIP_3) | instid1(VALU_DEP_4)
	v_add3_u32 v83, v83, v134, v129
	v_bfe_i32 v45, v48, 16, 8
	v_lshrrev_b32_e32 v48, 24, v48
	v_mul_i32_i24_e32 v134, v128, v222
	v_add3_u32 v83, v83, v141, v135
	v_mul_i32_i24_e32 v135, v151, v104
	s_delay_alu instid0(VALU_DEP_2) | instskip(NEXT) | instid1(VALU_DEP_2)
	v_add3_u32 v83, v83, v136, v130
	v_mad_i32_i24 v135, v43, v14, v135
	v_mul_i32_i24_e32 v130, v16, v45
	s_delay_alu instid0(VALU_DEP_3) | instskip(NEXT) | instid1(VALU_DEP_1)
	v_add3_u32 v83, v83, v139, v140
	v_add3_u32 v83, v83, v131, v142
	v_mul_i32_i24_e32 v131, v17, v44
	s_delay_alu instid0(VALU_DEP_2) | instskip(SKIP_2) | instid1(VALU_DEP_2)
	v_add3_u32 v129, v83, v143, v132
	v_mul_i32_i24_e32 v132, v18, v155
	v_mul_i32_i24_e32 v83, v15, v48
	v_add3_u32 v132, v135, v132, v133
	s_delay_alu instid0(VALU_DEP_1) | instskip(NEXT) | instid1(VALU_DEP_1)
	v_add3_u32 v83, v132, v134, v83
	v_add3_u32 v130, v83, v130, v131
	v_mad_u64_u32 v[82:83], null, v129, v27, v[31:32]
	v_lshrrev_b32_e32 v31, 16, v138
	s_delay_alu instid0(VALU_DEP_1) | instskip(NEXT) | instid1(VALU_DEP_3)
	v_cvt_f32_f16_e64 v180, v31
	v_cvt_f32_i32_e32 v31, v82
	v_cvt_f32_i32_e32 v82, v130
	s_delay_alu instid0(VALU_DEP_1) | instskip(NEXT) | instid1(VALU_DEP_1)
	v_dual_mul_f32 v82, v180, v82 :: v_dual_add_nc_u32 v131, s21, v145
	v_fma_mix_f32 v31, v138, v31, -v82 op_sel_hi:[1,0,0]
	s_delay_alu instid0(VALU_DEP_1)
	v_fmac_f32_e32 v77, v19, v31
	v_add_nc_u32_e32 v31, s20, v144
	ds_load_2addr_b32 v[82:83], v31 offset1:1
	s_waitcnt lgkmcnt(0)
	v_ashrrev_i32_e32 v129, s18, v82
	v_ashrrev_i32_e32 v130, s18, v83
	ds_load_2addr_b32 v[82:83], v31 offset0:2 offset1:3
	v_and_b32_e32 v187, 3, v129
	v_bfe_u32 v32, v129, 8, 2
	v_and_b32_e32 v189, 3, v130
	v_bfe_u32 v188, v129, 16, 2
	v_bfe_u32 v191, v129, 24, 2
	v_mul_i32_i24_e32 v140, v187, v84
	v_mul_i32_i24_e32 v141, v32, v85
	v_bfe_u32 v190, v130, 8, 2
	v_mul_i32_i24_e32 v142, v188, v86
	v_mul_i32_i24_e32 v129, v191, v87
	v_mad_i32_i24 v140, v189, v88, v140
	v_bfe_u32 v192, v130, 16, 2
	v_mul_i32_i24_e32 v143, v190, v89
	v_bfe_u32 v33, v130, 24, 2
	s_delay_alu instid0(VALU_DEP_3)
	v_mul_i32_i24_e32 v144, v192, v90
	s_waitcnt lgkmcnt(0)
	v_ashrrev_i32_e32 v134, s18, v82
	v_ashrrev_i32_e32 v135, s18, v83
	ds_load_2addr_b32 v[82:83], v31 offset0:4 offset1:5
	v_mul_i32_i24_e32 v130, v33, v91
	v_and_b32_e32 v193, 3, v134
	v_and_b32_e32 v198, 3, v135
	v_bfe_u32 v196, v134, 8, 2
	v_bfe_u32 v197, v134, 16, 2
	;; [unrolled: 1-line block ×3, first 2 shown]
	v_mul_i32_i24_e32 v145, v193, v92
	v_mul_i32_i24_e32 v148, v198, v96
	;; [unrolled: 1-line block ×4, first 2 shown]
	v_bfe_u32 v200, v135, 8, 2
	v_add3_u32 v140, v140, v145, v141
	v_mul_i32_i24_e32 v134, v199, v95
	v_bfe_u32 v202, v135, 16, 2
	v_bfe_u32 v203, v135, 24, 2
	v_mul_i32_i24_e32 v149, v200, v97
	v_add3_u32 v129, v140, v142, v129
	s_waitcnt lgkmcnt(0)
	v_ashrrev_i32_e32 v136, s18, v82
	v_ashrrev_i32_e32 v137, s18, v83
	ds_load_2addr_b32 v[82:83], v31 offset0:6 offset1:7
	v_add3_u32 v129, v129, v148, v143
	v_mul_i32_i24_e32 v150, v202, v98
	v_mul_i32_i24_e32 v135, v203, v99
	v_and_b32_e32 v206, 3, v136
	v_bfe_u32 v36, v136, 8, 2
	v_add3_u32 v129, v129, v144, v130
	v_and_b32_e32 v208, 3, v137
	v_bfe_u32 v207, v136, 16, 2
	v_bfe_u32 v210, v136, 24, 2
	;; [unrolled: 1-line block ×3, first 2 shown]
	v_add3_u32 v129, v129, v146, v147
	v_bfe_u32 v211, v137, 16, 2
	v_bfe_u32 v213, v137, 24, 2
	v_mul_i32_i24_e32 v136, v210, v103
	s_delay_alu instid0(VALU_DEP_4)
	v_add3_u32 v129, v129, v134, v149
	v_mul_i32_i24_e32 v134, v36, v101
	v_mul_i32_i24_e32 v140, v211, v109
	;; [unrolled: 1-line block ×3, first 2 shown]
	s_waitcnt lgkmcnt(0)
	v_ashrrev_i32_e32 v82, s18, v82
	v_add3_u32 v129, v129, v150, v135
	v_ashrrev_i32_e32 v83, s18, v83
	v_mul_i32_i24_e32 v135, v207, v102
	s_delay_alu instid0(VALU_DEP_4) | instskip(SKIP_1) | instid1(VALU_DEP_4)
	v_and_b32_e32 v212, 3, v82
	v_bfe_u32 v214, v82, 8, 2
	v_and_b32_e32 v216, 3, v83
	v_bfe_u32 v215, v82, 16, 2
	v_bfe_u32 v37, v82, 24, 2
	v_mul_i32_i24_e32 v141, v212, v111
	v_mul_i32_i24_e32 v142, v214, v112
	;; [unrolled: 1-line block ×4, first 2 shown]
	v_bfe_u32 v218, v83, 8, 2
	v_mul_i32_i24_e32 v82, v37, v114
	v_bfe_u32 v219, v83, 16, 2
	v_bfe_u32 v220, v83, 24, 2
	s_delay_alu instid0(VALU_DEP_4) | instskip(NEXT) | instid1(VALU_DEP_3)
	v_mul_i32_i24_e32 v145, v218, v116
	v_mul_i32_i24_e32 v146, v219, v117
	s_delay_alu instid0(VALU_DEP_3)
	v_mul_i32_i24_e32 v83, v220, v123
	s_waitcnt vmcnt(0)
	v_add3_u32 v31, v21, s19, v126
	ds_load_b32 v131, v131
	ds_load_u16 v31, v31 offset:27136
	scratch_load_b32 v21, off, off offset:92 ; 4-byte Folded Reload
	s_waitcnt lgkmcnt(0)
	v_lshrrev_b16 v139, 8, v31
	v_and_b32_e32 v35, 15, v31
	v_bfe_u32 v132, v31, 4, 4
	s_delay_alu instid0(VALU_DEP_2) | instskip(NEXT) | instid1(VALU_DEP_4)
	v_mul_lo_u32 v31, v129, v35
	v_and_b32_e32 v129, 0xffff, v139
	v_mul_i32_i24_e32 v139, v209, v108
	s_delay_alu instid0(VALU_DEP_4) | instskip(NEXT) | instid1(VALU_DEP_3)
	v_mul_lo_u32 v133, 0x1010101, v132
	v_lshrrev_b32_e32 v183, 4, v129
	s_delay_alu instid0(VALU_DEP_1) | instskip(NEXT) | instid1(VALU_DEP_3)
	v_mul_lo_u32 v130, 0x1010101, v183
	v_bfe_i32 v178, v133, 16, 8
	v_lshrrev_b32_e32 v166, 24, v133
	v_bfe_i32 v23, v133, 8, 8
	s_delay_alu instid0(VALU_DEP_4) | instskip(SKIP_3) | instid1(VALU_DEP_1)
	v_bfe_i32 v29, v130, 8, 8
	v_bfe_i32 v184, v130, 16, 8
	v_lshrrev_b32_e32 v186, 24, v130
	v_mul_i32_i24_e32 v130, v206, v100
	v_mad_i32_i24 v130, v208, v13, v130
	s_delay_alu instid0(VALU_DEP_1) | instskip(SKIP_1) | instid1(VALU_DEP_2)
	v_add3_u32 v130, v130, v141, v134
	v_mul_i32_i24_e32 v134, v17, v29
	v_add3_u32 v130, v130, v135, v136
	v_mul_i32_i24_e32 v135, v18, v166
	v_mul_i32_i24_e32 v136, v127, v178
	s_delay_alu instid0(VALU_DEP_3) | instskip(SKIP_1) | instid1(VALU_DEP_2)
	v_add3_u32 v130, v130, v144, v139
	v_mul_i32_i24_e32 v139, v132, v104
	v_add3_u32 v130, v130, v140, v137
	s_delay_alu instid0(VALU_DEP_2) | instskip(SKIP_1) | instid1(VALU_DEP_3)
	v_mad_i32_i24 v139, v183, v14, v139
	v_mul_i32_i24_e32 v137, v128, v23
	v_add3_u32 v130, v130, v142, v143
	s_delay_alu instid0(VALU_DEP_3) | instskip(SKIP_1) | instid1(VALU_DEP_3)
	v_add3_u32 v135, v139, v135, v136
	v_and_b32_e32 v136, 15, v129
	v_add3_u32 v82, v130, v82, v145
	s_delay_alu instid0(VALU_DEP_1) | instskip(SKIP_2) | instid1(VALU_DEP_2)
	v_add3_u32 v130, v82, v146, v83
	v_mul_i32_i24_e32 v82, v15, v186
	v_mul_i32_i24_e32 v83, v16, v184
	v_add3_u32 v82, v135, v137, v82
	s_delay_alu instid0(VALU_DEP_1) | instskip(SKIP_2) | instid1(VALU_DEP_1)
	v_add3_u32 v134, v82, v83, v134
	v_mad_u64_u32 v[82:83], null, v130, v136, v[31:32]
	v_lshrrev_b32_e32 v31, 16, v131
	v_cvt_f32_f16_e64 v137, v31
	s_delay_alu instid0(VALU_DEP_3) | instskip(SKIP_1) | instid1(VALU_DEP_1)
	v_cvt_f32_i32_e32 v31, v82
	v_cvt_f32_i32_e32 v82, v134
	v_mul_f32_e32 v82, v137, v82
	s_delay_alu instid0(VALU_DEP_1) | instskip(NEXT) | instid1(VALU_DEP_1)
	v_fma_mix_f32 v31, v131, v31, -v82 op_sel_hi:[1,0,0]
	v_fmac_f32_e32 v255, v19, v31
	v_add_nc_u32_e32 v31, s20, v152
	ds_load_2addr_b32 v[82:83], v31 offset1:1
	s_waitcnt lgkmcnt(0)
	v_ashrrev_i32_e32 v139, s18, v82
	v_ashrrev_i32_e32 v140, s18, v83
	ds_load_2addr_b32 v[82:83], v31 offset0:2 offset1:3
	v_and_b32_e32 v144, 3, v139
	v_bfe_u32 v22, v139, 8, 2
	v_and_b32_e32 v179, 3, v140
	v_bfe_u32 v145, v139, 16, 2
	v_bfe_u32 v148, v139, 24, 2
	v_mul_i32_i24_e32 v84, v144, v84
	v_mul_i32_i24_e32 v85, v22, v85
	v_bfe_u32 v147, v140, 8, 2
	v_mul_i32_i24_e32 v86, v145, v86
	v_mul_i32_i24_e32 v87, v148, v87
	v_mad_i32_i24 v84, v179, v88, v84
	v_bfe_u32 v149, v140, 16, 2
	v_mul_i32_i24_e32 v89, v147, v89
	v_bfe_u32 v146, v140, 24, 2
	s_delay_alu instid0(VALU_DEP_3)
	v_mul_i32_i24_e32 v90, v149, v90
	s_waitcnt lgkmcnt(0)
	v_ashrrev_i32_e32 v141, s18, v82
	v_ashrrev_i32_e32 v143, s18, v83
	ds_load_2addr_b32 v[82:83], v31 offset0:4 offset1:5
	v_mul_i32_i24_e32 v91, v146, v91
	v_and_b32_e32 v150, 3, v141
	v_bfe_u32 v142, v141, 8, 2
	v_bfe_u32 v140, v141, 16, 2
	;; [unrolled: 1-line block ×4, first 2 shown]
	v_mul_i32_i24_e32 v92, v150, v92
	v_mul_i32_i24_e32 v93, v142, v93
	v_mul_i32_i24_e32 v94, v140, v94
	v_mul_i32_i24_e32 v95, v135, v95
	v_mul_i32_i24_e32 v97, v156, v97
	v_add3_u32 v84, v84, v92, v85
	v_bfe_u32 v134, v143, 16, 2
	v_bfe_u32 v159, v143, 24, 2
	s_delay_alu instid0(VALU_DEP_3) | instskip(NEXT) | instid1(VALU_DEP_3)
	v_add3_u32 v84, v84, v86, v87
	v_mul_i32_i24_e32 v98, v134, v98
	s_waitcnt lgkmcnt(0)
	v_ashrrev_i32_e32 v165, s18, v82
	v_ashrrev_i32_e32 v169, s18, v83
	ds_load_2addr_b32 v[82:83], v31 offset0:6 offset1:7
	v_mul_i32_i24_e32 v99, v159, v99
	v_and_b32_e32 v161, 3, v165
	v_bfe_u32 v133, v165, 16, 2
	v_bfe_u32 v164, v169, 8, 2
	;; [unrolled: 1-line block ×4, first 2 shown]
	s_delay_alu instid0(VALU_DEP_4) | instskip(SKIP_4) | instid1(VALU_DEP_2)
	v_mul_i32_i24_e32 v87, v133, v102
	s_waitcnt lgkmcnt(0)
	v_ashrrev_i32_e32 v82, s18, v82
	v_ashrrev_i32_e32 v83, s18, v83
	s_add_i32 s18, s18, 2
	v_bfe_u32 v170, v82, 8, 2
	s_delay_alu instid0(VALU_DEP_2)
	v_and_b32_e32 v172, 3, v83
	v_bfe_u32 v171, v82, 16, 2
	v_bfe_u32 v173, v82, 24, 2
	;; [unrolled: 1-line block ×5, first 2 shown]
	s_delay_alu instid0(VALU_DEP_1)
	v_mul_i32_i24_e32 v83, v176, v123
	s_waitcnt vmcnt(0)
	v_add3_u32 v31, v21, s19, v126
	v_add_nc_u32_e32 v126, s21, v154
	v_and_b32_e32 v154, 3, v143
	ds_load_b32 v126, v126
	ds_load_u16 v31, v31 offset:28160
	v_mul_i32_i24_e32 v96, v154, v96
	s_add_i32 s19, s13, s18
	s_delay_alu instid0(SALU_CYCLE_1) | instskip(NEXT) | instid1(VALU_DEP_1)
	s_cmp_lt_u32 s19, s15
	v_add3_u32 v84, v84, v96, v89
	v_mul_i32_i24_e32 v89, v164, v108
	v_mul_i32_i24_e32 v96, v174, v116
	s_delay_alu instid0(VALU_DEP_3) | instskip(SKIP_2) | instid1(VALU_DEP_3)
	v_add3_u32 v84, v84, v90, v91
	v_mul_i32_i24_e32 v90, v167, v109
	v_mul_i32_i24_e32 v91, v168, v110
	v_add3_u32 v84, v84, v93, v94
	v_mul_i32_i24_e32 v93, v170, v112
	v_mul_i32_i24_e32 v94, v171, v113
	s_waitcnt lgkmcnt(0)
	v_lshrrev_b16 v162, 8, v31
	v_add3_u32 v84, v84, v95, v97
	v_and_b32_e32 v160, 15, v31
	v_bfe_u32 v130, v31, 4, 4
	v_mul_i32_i24_e32 v95, v172, v115
	v_mul_i32_i24_e32 v97, v175, v117
	v_add3_u32 v84, v84, v98, v99
	s_delay_alu instid0(VALU_DEP_4) | instskip(NEXT) | instid1(VALU_DEP_2)
	v_mul_lo_u32 v129, 0x1010101, v130
	v_mul_lo_u32 v31, v84, v160
	v_and_b32_e32 v84, 0xffff, v162
	v_bfe_u32 v162, v165, 8, 2
	s_delay_alu instid0(VALU_DEP_4) | instskip(NEXT) | instid1(VALU_DEP_3)
	v_bfe_i32 v24, v129, 8, 8
	v_lshrrev_b32_e32 v139, 4, v84
	v_bfe_i32 v25, v129, 16, 8
	v_lshrrev_b32_e32 v163, 24, v129
	v_bfe_u32 v129, v165, 24, 2
	v_and_b32_e32 v165, 3, v169
	v_mul_lo_u32 v85, 0x1010101, v139
	v_and_b32_e32 v169, 3, v82
	v_mul_i32_i24_e32 v86, v162, v101
	v_mul_i32_i24_e32 v88, v129, v103
	;; [unrolled: 1-line block ×3, first 2 shown]
	v_and_b32_e32 v158, 15, v84
	v_mul_i32_i24_e32 v92, v169, v111
	v_bfe_i32 v26, v85, 8, 8
	v_bfe_i32 v141, v85, 16, 8
	v_lshrrev_b32_e32 v143, 24, v85
	v_mul_i32_i24_e32 v85, v161, v100
	s_delay_alu instid0(VALU_DEP_1) | instskip(SKIP_1) | instid1(VALU_DEP_2)
	v_mad_i32_i24 v13, v165, v13, v85
	v_mul_i32_i24_e32 v85, v130, v104
	v_add3_u32 v13, v13, v92, v86
	s_delay_alu instid0(VALU_DEP_2) | instskip(NEXT) | instid1(VALU_DEP_2)
	v_mad_i32_i24 v14, v139, v14, v85
	v_add3_u32 v13, v13, v87, v88
	s_delay_alu instid0(VALU_DEP_1) | instskip(NEXT) | instid1(VALU_DEP_1)
	v_add3_u32 v13, v13, v95, v89
	v_add3_u32 v13, v13, v90, v91
	s_delay_alu instid0(VALU_DEP_1) | instskip(NEXT) | instid1(VALU_DEP_1)
	v_add3_u32 v13, v13, v93, v94
	v_add3_u32 v13, v13, v82, v96
	s_delay_alu instid0(VALU_DEP_1)
	v_add3_u32 v82, v13, v97, v83
	v_mul_i32_i24_e32 v13, v15, v143
	v_mul_i32_i24_e32 v15, v16, v141
	;; [unrolled: 1-line block ×6, first 2 shown]
	s_delay_alu instid0(VALU_DEP_2) | instskip(NEXT) | instid1(VALU_DEP_1)
	v_add3_u32 v14, v14, v17, v18
	v_add3_u32 v13, v14, v83, v13
	s_delay_alu instid0(VALU_DEP_1) | instskip(SKIP_2) | instid1(VALU_DEP_1)
	v_add3_u32 v15, v13, v15, v16
	v_mad_u64_u32 v[13:14], null, v82, v158, v[31:32]
	v_lshrrev_b32_e32 v14, 16, v126
	v_cvt_f32_f16_e64 v157, v14
	s_delay_alu instid0(VALU_DEP_4) | instskip(NEXT) | instid1(VALU_DEP_4)
	v_cvt_f32_i32_e32 v14, v15
	v_cvt_f32_i32_e32 v13, v13
	s_delay_alu instid0(VALU_DEP_2) | instskip(NEXT) | instid1(VALU_DEP_1)
	v_mul_f32_e32 v14, v157, v14
	v_fma_mix_f32 v13, v126, v13, -v14 op_sel_hi:[1,0,0]
	s_delay_alu instid0(VALU_DEP_1)
	v_fmac_f32_e32 v251, v19, v13
	ds_load_b128 v[13:16], v124 offset:1024
	s_waitcnt lgkmcnt(0)
	v_bfe_i32 v17, v13, 0, 8
	v_bfe_i32 v18, v13, 8, 8
	v_bfe_i32 v19, v13, 16, 8
	v_ashrrev_i32_e32 v31, 24, v13
	v_bfe_i32 v82, v14, 0, 8
	v_bfe_i32 v83, v14, 8, 8
	v_bfe_i32 v84, v14, 16, 8
	v_ashrrev_i32_e32 v85, 24, v14
	;; [unrolled: 4-line block ×4, first 2 shown]
	ds_load_b128 v[13:16], v124 offset:1040
	v_mul_i32_i24_e32 v106, v84, v10
	v_mul_i32_i24_e32 v107, v85, v12
	s_waitcnt lgkmcnt(0)
	v_ashrrev_i32_e32 v97, 24, v13
	v_ashrrev_i32_e32 v101, 24, v14
	v_bfe_i32 v94, v13, 0, 8
	v_bfe_i32 v95, v13, 8, 8
	;; [unrolled: 1-line block ×4, first 2 shown]
	v_ashrrev_i32_e32 v108, 24, v15
	v_bfe_i32 v109, v16, 0, 8
	v_bfe_i32 v110, v16, 8, 8
	;; [unrolled: 1-line block ×3, first 2 shown]
	v_ashrrev_i32_e32 v16, 24, v16
	v_add_nc_u32_e32 v13, v101, v97
	v_bfe_i32 v99, v14, 8, 8
	v_bfe_i32 v104, v15, 16, 8
	;; [unrolled: 1-line block ×4, first 2 shown]
	v_add3_u32 v112, v13, v108, v16
	v_add_nc_u32_e32 v13, v100, v96
	v_bfe_i32 v102, v15, 0, 8
	v_mul_i32_i24_e32 v14, v19, v6
	v_mul_i32_i24_e32 v15, v31, v9
	;; [unrolled: 1-line block ×3, first 2 shown]
	v_add3_u32 v113, v13, v104, v111
	v_add_nc_u32_e32 v13, v99, v95
	s_delay_alu instid0(VALU_DEP_1) | instskip(SKIP_1) | instid1(VALU_DEP_1)
	v_add3_u32 v114, v13, v103, v110
	v_add_nc_u32_e32 v13, v98, v94
	v_add3_u32 v115, v13, v102, v109
	v_add_nc_u32_e32 v13, v85, v31
	s_delay_alu instid0(VALU_DEP_1) | instskip(SKIP_1) | instid1(VALU_DEP_1)
	v_add3_u32 v116, v13, v89, v93
	v_add_nc_u32_e32 v13, v84, v19
	v_add3_u32 v117, v13, v88, v92
	v_add_nc_u32_e32 v13, v83, v18
	s_delay_alu instid0(VALU_DEP_2) | instskip(NEXT) | instid1(VALU_DEP_2)
	v_mul_i32_i24_e32 v152, v117, v50
	v_add3_u32 v123, v13, v87, v91
	v_add_nc_u32_e32 v13, v82, v17
	s_delay_alu instid0(VALU_DEP_2) | instskip(NEXT) | instid1(VALU_DEP_2)
	v_mul_i32_i24_e32 v153, v123, v49
	v_add3_u32 v105, v13, v86, v90
	v_mul_i32_i24_e32 v13, v17, v5
	s_delay_alu instid0(VALU_DEP_2) | instskip(NEXT) | instid1(VALU_DEP_2)
	v_mul_i32_i24_e32 v127, v105, v195
	v_mad_i32_i24 v13, v18, v3, v13
	s_delay_alu instid0(VALU_DEP_2) | instskip(NEXT) | instid1(VALU_DEP_2)
	v_mad_i32_i24 v127, v116, v201, v127
	v_add3_u32 v13, v13, v14, v15
	v_mul_i32_i24_e32 v14, v82, v7
	v_mul_i32_i24_e32 v15, v83, v8
	s_delay_alu instid0(VALU_DEP_4) | instskip(SKIP_2) | instid1(VALU_DEP_4)
	v_add3_u32 v127, v127, v152, v153
	v_mul_i32_i24_e32 v153, v105, v151
	v_mul_i32_i24_e32 v152, v123, v222
	v_add3_u32 v13, v13, v14, v15
	v_mul_i32_i24_e32 v14, v86, v11
	v_mul_i32_i24_e32 v15, v87, v39
	v_mad_i32_i24 v153, v116, v155, v153
	s_delay_alu instid0(VALU_DEP_4) | instskip(SKIP_2) | instid1(VALU_DEP_3)
	v_add3_u32 v13, v13, v106, v107
	v_mul_i32_i24_e32 v106, v88, v52
	v_mul_i32_i24_e32 v107, v89, v55
	v_add3_u32 v13, v13, v14, v15
	v_mul_i32_i24_e32 v14, v90, v53
	v_mul_i32_i24_e32 v15, v91, v56
	s_delay_alu instid0(VALU_DEP_3) | instskip(SKIP_2) | instid1(VALU_DEP_3)
	v_add3_u32 v13, v13, v106, v107
	v_mul_i32_i24_e32 v106, v92, v57
	v_mul_i32_i24_e32 v107, v93, v58
	v_add3_u32 v13, v13, v14, v15
	v_mul_i32_i24_e32 v14, v94, v70
	v_mul_i32_i24_e32 v15, v96, v71
	s_delay_alu instid0(VALU_DEP_3) | instskip(SKIP_1) | instid1(VALU_DEP_4)
	v_add3_u32 v13, v13, v106, v107
	v_mul_i32_i24_e32 v106, v97, v75
	v_mad_i32_i24 v14, v95, v62, v14
	v_mul_i32_i24_e32 v107, v100, v76
	s_delay_alu instid0(VALU_DEP_4) | instskip(NEXT) | instid1(VALU_DEP_3)
	v_mul_lo_u32 v13, v13, v61
	v_add3_u32 v14, v14, v15, v106
	v_mul_i32_i24_e32 v15, v98, v72
	v_mul_i32_i24_e32 v106, v99, v73
	s_delay_alu instid0(VALU_DEP_1) | instskip(SKIP_2) | instid1(VALU_DEP_3)
	v_add3_u32 v14, v14, v15, v106
	v_mul_i32_i24_e32 v15, v102, v78
	v_mul_i32_i24_e32 v106, v104, v81
	v_add3_u32 v14, v14, v107, v21
	v_mul_i32_i24_e32 v21, v103, v80
	v_mul_i32_i24_e32 v107, v108, v119
	s_delay_alu instid0(VALU_DEP_2) | instskip(SKIP_2) | instid1(VALU_DEP_3)
	v_add3_u32 v14, v14, v15, v21
	v_mul_i32_i24_e32 v15, v109, v118
	v_mul_i32_i24_e32 v21, v110, v120
	v_add3_u32 v14, v14, v106, v107
	v_mul_i32_i24_e32 v106, v111, v121
	v_mul_i32_i24_e32 v107, v16, v122
	s_delay_alu instid0(VALU_DEP_3) | instskip(SKIP_1) | instid1(VALU_DEP_2)
	v_add3_u32 v14, v14, v15, v21
	v_mul_i32_i24_e32 v15, v113, v2
	v_add3_u32 v21, v14, v106, v107
	v_mul_i32_i24_e32 v14, v112, v4
	v_mul_i32_i24_e32 v107, v115, v0
	;; [unrolled: 1-line block ×3, first 2 shown]
	s_delay_alu instid0(VALU_DEP_2) | instskip(SKIP_2) | instid1(VALU_DEP_3)
	v_add3_u32 v14, v127, v107, v14
	v_mul_i32_i24_e32 v107, v101, v247
	v_mul_i32_i24_e32 v127, v117, v223
	v_add3_u32 v106, v14, v15, v106
	v_mad_u64_u32 v[14:15], null, v21, v30, v[13:14]
	v_mul_i32_i24_e32 v15, v31, v228
	v_mul_i32_i24_e32 v21, v84, v229
	v_add3_u32 v127, v153, v127, v152
	v_mul_i32_i24_e32 v153, v105, v132
	v_mul_i32_i24_e32 v152, v123, v23
	v_cvt_f32_i32_e32 v13, v14
	v_cvt_f32_i32_e32 v14, v106
	v_mul_i32_i24_e32 v106, v85, v231
	v_mad_i32_i24 v153, v116, v166, v153
	s_delay_alu instid0(VALU_DEP_3) | instskip(NEXT) | instid1(VALU_DEP_1)
	v_mul_f32_e32 v14, v42, v14
	v_fma_mix_f32 v13, v182, v13, -v14 op_sel_hi:[1,0,0]
	v_mul_i32_i24_e32 v14, v19, v225
	s_delay_alu instid0(VALU_DEP_2) | instskip(SKIP_1) | instid1(VALU_DEP_1)
	v_fmac_f32_e32 v68, v20, v13
	v_mul_i32_i24_e32 v13, v17, v224
	v_mad_i32_i24 v13, v18, v47, v13
	s_delay_alu instid0(VALU_DEP_1) | instskip(SKIP_2) | instid1(VALU_DEP_1)
	v_add3_u32 v13, v13, v14, v15
	v_mul_i32_i24_e32 v14, v82, v226
	v_mul_i32_i24_e32 v15, v83, v227
	v_add3_u32 v13, v13, v14, v15
	v_mul_i32_i24_e32 v14, v86, v230
	v_mul_i32_i24_e32 v15, v87, v232
	s_delay_alu instid0(VALU_DEP_3) | instskip(SKIP_2) | instid1(VALU_DEP_3)
	v_add3_u32 v13, v13, v21, v106
	v_mul_i32_i24_e32 v21, v88, v233
	v_mul_i32_i24_e32 v106, v89, v67
	v_add3_u32 v13, v13, v14, v15
	v_mul_i32_i24_e32 v14, v90, v234
	v_mul_i32_i24_e32 v15, v91, v235
	s_delay_alu instid0(VALU_DEP_3) | instskip(SKIP_2) | instid1(VALU_DEP_3)
	v_add3_u32 v13, v13, v21, v106
	v_mul_i32_i24_e32 v21, v92, v236
	v_mul_i32_i24_e32 v106, v93, v237
	v_add3_u32 v13, v13, v14, v15
	v_mul_i32_i24_e32 v14, v94, v69
	v_mul_i32_i24_e32 v15, v96, v241
	s_delay_alu instid0(VALU_DEP_3) | instskip(SKIP_1) | instid1(VALU_DEP_4)
	v_add3_u32 v13, v13, v21, v106
	v_mul_i32_i24_e32 v21, v97, v244
	v_mad_i32_i24 v14, v95, v240, v14
	v_mul_i32_i24_e32 v106, v100, v245
	s_delay_alu instid0(VALU_DEP_4) | instskip(NEXT) | instid1(VALU_DEP_3)
	v_mul_lo_u32 v13, v13, v239
	v_add3_u32 v14, v14, v15, v21
	v_mul_i32_i24_e32 v15, v98, v242
	v_mul_i32_i24_e32 v21, v99, v243
	s_delay_alu instid0(VALU_DEP_1) | instskip(SKIP_2) | instid1(VALU_DEP_3)
	v_add3_u32 v14, v14, v15, v21
	v_mul_i32_i24_e32 v15, v102, v246
	v_mul_i32_i24_e32 v21, v103, v248
	v_add3_u32 v14, v14, v106, v107
	v_mul_i32_i24_e32 v106, v104, v249
	v_mul_i32_i24_e32 v107, v108, v252
	s_delay_alu instid0(VALU_DEP_3) | instskip(SKIP_2) | instid1(VALU_DEP_3)
	v_add3_u32 v14, v14, v15, v21
	v_mul_i32_i24_e32 v15, v109, v250
	v_mul_i32_i24_e32 v21, v110, v74
	v_add3_u32 v14, v14, v106, v107
	v_mul_i32_i24_e32 v106, v111, v253
	v_mul_i32_i24_e32 v107, v16, v254
	s_delay_alu instid0(VALU_DEP_3) | instskip(SKIP_1) | instid1(VALU_DEP_2)
	v_add3_u32 v14, v14, v15, v21
	v_mul_i32_i24_e32 v15, v113, v45
	v_add3_u32 v21, v14, v106, v107
	v_mul_i32_i24_e32 v14, v112, v48
	v_mul_i32_i24_e32 v107, v115, v43
	;; [unrolled: 1-line block ×3, first 2 shown]
	s_delay_alu instid0(VALU_DEP_2) | instskip(SKIP_2) | instid1(VALU_DEP_3)
	v_add3_u32 v14, v127, v107, v14
	v_mul_i32_i24_e32 v107, v101, v213
	v_mul_i32_i24_e32 v127, v117, v178
	v_add3_u32 v106, v14, v15, v106
	v_mad_u64_u32 v[14:15], null, v21, v27, v[13:14]
	v_mul_i32_i24_e32 v15, v31, v191
	v_mul_i32_i24_e32 v21, v84, v192
	v_add3_u32 v127, v153, v127, v152
	s_delay_alu instid0(VALU_DEP_4) | instskip(SKIP_2) | instid1(VALU_DEP_2)
	v_cvt_f32_i32_e32 v13, v14
	v_cvt_f32_i32_e32 v14, v106
	v_mul_i32_i24_e32 v106, v85, v33
	v_mul_f32_e32 v14, v180, v14
	s_delay_alu instid0(VALU_DEP_1) | instskip(SKIP_1) | instid1(VALU_DEP_2)
	v_fma_mix_f32 v13, v138, v13, -v14 op_sel_hi:[1,0,0]
	v_mul_i32_i24_e32 v14, v19, v188
	v_fmac_f32_e32 v238, v20, v13
	v_mul_i32_i24_e32 v13, v17, v187
	s_delay_alu instid0(VALU_DEP_1) | instskip(NEXT) | instid1(VALU_DEP_1)
	v_mad_i32_i24 v13, v18, v32, v13
	v_add3_u32 v13, v13, v14, v15
	v_mul_i32_i24_e32 v14, v82, v189
	v_mul_i32_i24_e32 v15, v83, v190
	s_delay_alu instid0(VALU_DEP_1) | instskip(SKIP_2) | instid1(VALU_DEP_3)
	v_add3_u32 v13, v13, v14, v15
	v_mul_i32_i24_e32 v14, v86, v193
	v_mul_i32_i24_e32 v15, v87, v196
	v_add3_u32 v13, v13, v21, v106
	v_mul_i32_i24_e32 v21, v88, v197
	v_mul_i32_i24_e32 v106, v89, v199
	s_delay_alu instid0(VALU_DEP_3) | instskip(SKIP_2) | instid1(VALU_DEP_3)
	v_add3_u32 v13, v13, v14, v15
	v_mul_i32_i24_e32 v14, v90, v198
	v_mul_i32_i24_e32 v15, v91, v200
	v_add3_u32 v13, v13, v21, v106
	v_mul_i32_i24_e32 v21, v92, v202
	v_mul_i32_i24_e32 v106, v93, v203
	s_delay_alu instid0(VALU_DEP_3) | instskip(SKIP_2) | instid1(VALU_DEP_3)
	v_add3_u32 v13, v13, v14, v15
	v_mul_i32_i24_e32 v14, v94, v206
	v_mul_i32_i24_e32 v15, v96, v207
	v_add3_u32 v13, v13, v21, v106
	v_mul_i32_i24_e32 v21, v97, v210
	s_delay_alu instid0(VALU_DEP_4) | instskip(SKIP_1) | instid1(VALU_DEP_4)
	v_mad_i32_i24 v14, v95, v36, v14
	v_mul_i32_i24_e32 v106, v100, v211
	v_mul_lo_u32 v13, v13, v35
	s_delay_alu instid0(VALU_DEP_3) | instskip(SKIP_2) | instid1(VALU_DEP_1)
	v_add3_u32 v14, v14, v15, v21
	v_mul_i32_i24_e32 v15, v98, v208
	v_mul_i32_i24_e32 v21, v99, v209
	v_add3_u32 v14, v14, v15, v21
	v_mul_i32_i24_e32 v15, v102, v212
	v_mul_i32_i24_e32 v21, v103, v214
	s_delay_alu instid0(VALU_DEP_3) | instskip(SKIP_2) | instid1(VALU_DEP_3)
	v_add3_u32 v14, v14, v106, v107
	v_mul_i32_i24_e32 v106, v104, v215
	v_mul_i32_i24_e32 v107, v108, v37
	v_add3_u32 v14, v14, v15, v21
	v_mul_i32_i24_e32 v15, v109, v216
	v_mul_i32_i24_e32 v21, v110, v218
	s_delay_alu instid0(VALU_DEP_3) | instskip(SKIP_3) | instid1(VALU_DEP_4)
	v_add3_u32 v14, v14, v106, v107
	v_mul_i32_i24_e32 v106, v111, v219
	v_mul_i32_i24_e32 v107, v16, v220
	;; [unrolled: 1-line block ×3, first 2 shown]
	v_add3_u32 v14, v14, v15, v21
	v_mul_i32_i24_e32 v15, v113, v184
	s_delay_alu instid0(VALU_DEP_2) | instskip(SKIP_3) | instid1(VALU_DEP_2)
	v_add3_u32 v21, v14, v106, v107
	v_mul_i32_i24_e32 v14, v112, v186
	v_mul_i32_i24_e32 v107, v115, v183
	;; [unrolled: 1-line block ×3, first 2 shown]
	v_add3_u32 v14, v127, v107, v14
	s_delay_alu instid0(VALU_DEP_1) | instskip(SKIP_4) | instid1(VALU_DEP_4)
	v_add3_u32 v106, v14, v15, v106
	v_mad_u64_u32 v[14:15], null, v21, v136, v[13:14]
	v_mul_i32_i24_e32 v15, v31, v148
	v_mul_i32_i24_e32 v31, v105, v130
	;; [unrolled: 1-line block ×3, first 2 shown]
	v_cvt_f32_i32_e32 v13, v14
	v_cvt_f32_i32_e32 v14, v106
	s_delay_alu instid0(VALU_DEP_4) | instskip(NEXT) | instid1(VALU_DEP_2)
	v_mad_i32_i24 v31, v116, v163, v31
	v_mul_f32_e32 v14, v137, v14
	s_delay_alu instid0(VALU_DEP_1) | instskip(SKIP_2) | instid1(VALU_DEP_3)
	v_fma_mix_f32 v13, v131, v13, -v14 op_sel_hi:[1,0,0]
	v_mul_i32_i24_e32 v14, v19, v145
	v_mul_i32_i24_e32 v19, v101, v168
	v_fmac_f32_e32 v66, v20, v13
	v_mul_i32_i24_e32 v13, v17, v144
	v_mul_i32_i24_e32 v17, v84, v149
	s_delay_alu instid0(VALU_DEP_2) | instskip(SKIP_1) | instid1(VALU_DEP_2)
	v_mad_i32_i24 v13, v18, v22, v13
	v_mul_i32_i24_e32 v18, v85, v146
	v_add3_u32 v13, v13, v14, v15
	v_mul_i32_i24_e32 v14, v82, v179
	v_mul_i32_i24_e32 v15, v83, v147
	s_delay_alu instid0(VALU_DEP_1) | instskip(SKIP_2) | instid1(VALU_DEP_3)
	v_add3_u32 v13, v13, v14, v15
	v_mul_i32_i24_e32 v14, v86, v150
	v_mul_i32_i24_e32 v15, v87, v142
	v_add3_u32 v13, v13, v17, v18
	v_mul_i32_i24_e32 v17, v88, v140
	v_mul_i32_i24_e32 v18, v89, v135
	s_delay_alu instid0(VALU_DEP_3) | instskip(SKIP_2) | instid1(VALU_DEP_3)
	v_add3_u32 v13, v13, v14, v15
	v_mul_i32_i24_e32 v14, v90, v154
	v_mul_i32_i24_e32 v15, v91, v156
	v_add3_u32 v13, v13, v17, v18
	v_mul_i32_i24_e32 v17, v92, v134
	v_mul_i32_i24_e32 v18, v93, v159
	s_delay_alu instid0(VALU_DEP_3) | instskip(SKIP_2) | instid1(VALU_DEP_3)
	v_add3_u32 v13, v13, v14, v15
	v_mul_i32_i24_e32 v14, v94, v161
	v_mul_i32_i24_e32 v15, v96, v133
	v_add3_u32 v13, v13, v17, v18
	v_mul_i32_i24_e32 v17, v97, v129
	s_delay_alu instid0(VALU_DEP_4) | instskip(SKIP_1) | instid1(VALU_DEP_4)
	v_mad_i32_i24 v14, v95, v162, v14
	v_mul_i32_i24_e32 v18, v100, v167
	v_mul_lo_u32 v13, v13, v160
	s_delay_alu instid0(VALU_DEP_3) | instskip(SKIP_2) | instid1(VALU_DEP_1)
	v_add3_u32 v14, v14, v15, v17
	v_mul_i32_i24_e32 v15, v98, v165
	v_mul_i32_i24_e32 v17, v99, v164
	v_add3_u32 v14, v14, v15, v17
	v_mul_i32_i24_e32 v15, v102, v169
	v_mul_i32_i24_e32 v17, v103, v170
	s_delay_alu instid0(VALU_DEP_3) | instskip(SKIP_2) | instid1(VALU_DEP_3)
	v_add3_u32 v14, v14, v18, v19
	v_mul_i32_i24_e32 v18, v104, v171
	v_mul_i32_i24_e32 v19, v108, v173
	v_add3_u32 v14, v14, v15, v17
	v_mul_i32_i24_e32 v15, v109, v172
	v_mul_i32_i24_e32 v17, v110, v174
	s_delay_alu instid0(VALU_DEP_3) | instskip(SKIP_2) | instid1(VALU_DEP_3)
	v_add3_u32 v14, v14, v18, v19
	v_mul_i32_i24_e32 v18, v111, v175
	v_mul_i32_i24_e32 v19, v117, v25
	v_add3_u32 v14, v14, v15, v17
	v_mul_i32_i24_e32 v15, v113, v141
	s_delay_alu instid0(VALU_DEP_3) | instskip(SKIP_1) | instid1(VALU_DEP_4)
	v_add3_u32 v19, v31, v19, v21
	v_mul_i32_i24_e32 v17, v114, v26
	v_add3_u32 v16, v14, v18, v16
	v_mul_i32_i24_e32 v14, v112, v143
	v_mul_i32_i24_e32 v18, v115, v139
	s_delay_alu instid0(VALU_DEP_1) | instskip(NEXT) | instid1(VALU_DEP_1)
	v_add3_u32 v14, v19, v18, v14
	v_add3_u32 v17, v14, v15, v17
	v_mad_u64_u32 v[14:15], null, v16, v158, v[13:14]
	s_delay_alu instid0(VALU_DEP_1) | instskip(NEXT) | instid1(VALU_DEP_3)
	v_cvt_f32_i32_e32 v13, v14
	v_cvt_f32_i32_e32 v14, v17
	s_delay_alu instid0(VALU_DEP_1) | instskip(NEXT) | instid1(VALU_DEP_1)
	v_mul_f32_e32 v14, v157, v14
	v_fma_mix_f32 v13, v126, v13, -v14 op_sel_hi:[1,0,0]
	s_delay_alu instid0(VALU_DEP_1)
	v_fmac_f32_e32 v65, v20, v13
	ds_load_2addr_b32 v[19:20], v125 offset0:64 offset1:96
	ds_load_b128 v[13:16], v124 offset:2048
	s_waitcnt lgkmcnt(0)
	v_bfe_i32 v17, v13, 0, 8
	v_bfe_i32 v18, v13, 8, 8
	v_bfe_i32 v21, v13, 16, 8
	v_ashrrev_i32_e32 v31, 24, v13
	v_bfe_i32 v82, v14, 0, 8
	v_bfe_i32 v83, v14, 8, 8
	v_bfe_i32 v84, v14, 16, 8
	v_ashrrev_i32_e32 v85, 24, v14
	v_bfe_i32 v86, v15, 0, 8
	v_bfe_i32 v87, v15, 8, 8
	v_bfe_i32 v88, v15, 16, 8
	v_ashrrev_i32_e32 v89, 24, v15
	v_bfe_i32 v90, v16, 0, 8
	v_bfe_i32 v91, v16, 8, 8
	v_bfe_i32 v92, v16, 16, 8
	v_ashrrev_i32_e32 v93, 24, v16
	ds_load_b128 v[13:16], v124 offset:2064
	v_mul_i32_i24_e32 v117, v84, v10
	v_mul_i32_i24_e32 v123, v85, v12
	s_waitcnt lgkmcnt(0)
	v_ashrrev_i32_e32 v97, 24, v13
	v_ashrrev_i32_e32 v101, 24, v14
	v_bfe_i32 v94, v13, 0, 8
	v_bfe_i32 v95, v13, 8, 8
	;; [unrolled: 1-line block ×4, first 2 shown]
	v_ashrrev_i32_e32 v105, 24, v15
	v_bfe_i32 v106, v16, 0, 8
	v_bfe_i32 v107, v16, 8, 8
	;; [unrolled: 1-line block ×3, first 2 shown]
	v_ashrrev_i32_e32 v16, 24, v16
	v_add_nc_u32_e32 v13, v101, v97
	v_bfe_i32 v99, v14, 8, 8
	v_bfe_i32 v104, v15, 16, 8
	v_bfe_i32 v98, v14, 0, 8
	v_bfe_i32 v103, v15, 8, 8
	v_add3_u32 v109, v13, v105, v16
	v_add_nc_u32_e32 v13, v100, v96
	v_bfe_i32 v102, v15, 0, 8
	v_mul_i32_i24_e32 v14, v21, v6
	v_mul_i32_i24_e32 v15, v31, v9
	;; [unrolled: 1-line block ×3, first 2 shown]
	v_add3_u32 v110, v13, v104, v108
	v_add_nc_u32_e32 v13, v99, v95
	s_delay_alu instid0(VALU_DEP_1) | instskip(SKIP_1) | instid1(VALU_DEP_1)
	v_add3_u32 v111, v13, v103, v107
	v_add_nc_u32_e32 v13, v98, v94
	v_add3_u32 v112, v13, v102, v106
	v_add_nc_u32_e32 v13, v85, v31
	s_delay_alu instid0(VALU_DEP_1) | instskip(SKIP_1) | instid1(VALU_DEP_1)
	v_add3_u32 v113, v13, v89, v93
	v_add_nc_u32_e32 v13, v84, v21
	v_add3_u32 v114, v13, v88, v92
	v_add_nc_u32_e32 v13, v83, v18
	s_delay_alu instid0(VALU_DEP_2) | instskip(NEXT) | instid1(VALU_DEP_2)
	v_mul_i32_i24_e32 v152, v114, v50
	v_add3_u32 v115, v13, v87, v91
	v_add_nc_u32_e32 v13, v82, v17
	s_delay_alu instid0(VALU_DEP_2) | instskip(NEXT) | instid1(VALU_DEP_2)
	v_mul_i32_i24_e32 v153, v115, v49
	v_add3_u32 v116, v13, v86, v90
	v_mul_i32_i24_e32 v13, v17, v5
	s_delay_alu instid0(VALU_DEP_2) | instskip(NEXT) | instid1(VALU_DEP_2)
	v_mul_i32_i24_e32 v128, v116, v195
	v_mad_i32_i24 v13, v18, v3, v13
	s_delay_alu instid0(VALU_DEP_2) | instskip(NEXT) | instid1(VALU_DEP_2)
	v_mad_i32_i24 v128, v113, v201, v128
	v_add3_u32 v13, v13, v14, v15
	v_mul_i32_i24_e32 v14, v82, v7
	v_mul_i32_i24_e32 v15, v83, v8
	s_delay_alu instid0(VALU_DEP_4) | instskip(SKIP_2) | instid1(VALU_DEP_4)
	v_add3_u32 v128, v128, v152, v153
	v_mul_i32_i24_e32 v153, v116, v151
	v_mul_i32_i24_e32 v152, v115, v222
	v_add3_u32 v13, v13, v14, v15
	v_mul_i32_i24_e32 v14, v86, v11
	v_mul_i32_i24_e32 v15, v87, v39
	v_mad_i32_i24 v153, v113, v155, v153
	s_delay_alu instid0(VALU_DEP_4) | instskip(SKIP_2) | instid1(VALU_DEP_3)
	v_add3_u32 v13, v13, v117, v123
	v_mul_i32_i24_e32 v117, v88, v52
	v_mul_i32_i24_e32 v123, v89, v55
	v_add3_u32 v13, v13, v14, v15
	v_mul_i32_i24_e32 v14, v90, v53
	v_mul_i32_i24_e32 v15, v91, v56
	s_delay_alu instid0(VALU_DEP_3) | instskip(SKIP_2) | instid1(VALU_DEP_3)
	v_add3_u32 v13, v13, v117, v123
	v_mul_i32_i24_e32 v117, v92, v57
	v_mul_i32_i24_e32 v123, v93, v58
	v_add3_u32 v13, v13, v14, v15
	v_mul_i32_i24_e32 v14, v94, v70
	v_mul_i32_i24_e32 v15, v96, v71
	s_delay_alu instid0(VALU_DEP_3) | instskip(SKIP_1) | instid1(VALU_DEP_4)
	v_add3_u32 v13, v13, v117, v123
	v_mul_i32_i24_e32 v117, v97, v75
	v_mad_i32_i24 v14, v95, v62, v14
	v_mul_i32_i24_e32 v123, v100, v76
	s_delay_alu instid0(VALU_DEP_4) | instskip(NEXT) | instid1(VALU_DEP_3)
	v_mul_lo_u32 v13, v13, v61
	v_add3_u32 v14, v14, v15, v117
	v_mul_i32_i24_e32 v15, v98, v72
	v_mul_i32_i24_e32 v117, v99, v73
	s_delay_alu instid0(VALU_DEP_1) | instskip(SKIP_2) | instid1(VALU_DEP_3)
	v_add3_u32 v14, v14, v15, v117
	v_mul_i32_i24_e32 v15, v102, v78
	v_mul_i32_i24_e32 v117, v103, v80
	v_add3_u32 v14, v14, v123, v127
	v_mul_i32_i24_e32 v123, v104, v81
	v_mul_i32_i24_e32 v127, v105, v119
	s_delay_alu instid0(VALU_DEP_3) | instskip(SKIP_2) | instid1(VALU_DEP_3)
	v_add3_u32 v14, v14, v15, v117
	v_mul_i32_i24_e32 v15, v106, v118
	v_mul_i32_i24_e32 v117, v107, v120
	v_add3_u32 v14, v14, v123, v127
	v_mul_i32_i24_e32 v123, v108, v121
	v_mul_i32_i24_e32 v127, v16, v122
	s_delay_alu instid0(VALU_DEP_3) | instskip(SKIP_1) | instid1(VALU_DEP_2)
	v_add3_u32 v14, v14, v15, v117
	v_mul_i32_i24_e32 v15, v110, v2
	v_add3_u32 v117, v14, v123, v127
	v_mul_i32_i24_e32 v14, v109, v4
	v_mul_i32_i24_e32 v127, v112, v0
	;; [unrolled: 1-line block ×3, first 2 shown]
	s_delay_alu instid0(VALU_DEP_2) | instskip(SKIP_2) | instid1(VALU_DEP_3)
	v_add3_u32 v14, v128, v127, v14
	v_mul_i32_i24_e32 v127, v101, v247
	v_mul_i32_i24_e32 v128, v114, v223
	v_add3_u32 v123, v14, v15, v123
	v_mad_u64_u32 v[14:15], null, v117, v30, v[13:14]
	v_mul_i32_i24_e32 v15, v31, v228
	v_mul_i32_i24_e32 v117, v84, v229
	v_add3_u32 v128, v153, v128, v152
	v_mul_i32_i24_e32 v153, v116, v132
	v_mul_i32_i24_e32 v152, v115, v23
	v_cvt_f32_i32_e32 v13, v14
	v_cvt_f32_i32_e32 v14, v123
	v_mul_i32_i24_e32 v123, v85, v231
	v_mad_i32_i24 v153, v113, v166, v153
	s_delay_alu instid0(VALU_DEP_3) | instskip(NEXT) | instid1(VALU_DEP_1)
	v_mul_f32_e32 v14, v42, v14
	v_fma_mix_f32 v13, v182, v13, -v14 op_sel_hi:[1,0,0]
	v_mul_i32_i24_e32 v14, v21, v225
	s_delay_alu instid0(VALU_DEP_2) | instskip(SKIP_1) | instid1(VALU_DEP_1)
	v_fmac_f32_e32 v64, v19, v13
	v_mul_i32_i24_e32 v13, v17, v224
	v_mad_i32_i24 v13, v18, v47, v13
	s_delay_alu instid0(VALU_DEP_1) | instskip(SKIP_2) | instid1(VALU_DEP_1)
	v_add3_u32 v13, v13, v14, v15
	v_mul_i32_i24_e32 v14, v82, v226
	v_mul_i32_i24_e32 v15, v83, v227
	v_add3_u32 v13, v13, v14, v15
	v_mul_i32_i24_e32 v14, v86, v230
	v_mul_i32_i24_e32 v15, v87, v232
	s_delay_alu instid0(VALU_DEP_3) | instskip(SKIP_2) | instid1(VALU_DEP_3)
	v_add3_u32 v13, v13, v117, v123
	v_mul_i32_i24_e32 v117, v88, v233
	v_mul_i32_i24_e32 v123, v89, v67
	v_add3_u32 v13, v13, v14, v15
	v_mul_i32_i24_e32 v14, v90, v234
	v_mul_i32_i24_e32 v15, v91, v235
	s_delay_alu instid0(VALU_DEP_3) | instskip(SKIP_2) | instid1(VALU_DEP_3)
	v_add3_u32 v13, v13, v117, v123
	v_mul_i32_i24_e32 v117, v92, v236
	v_mul_i32_i24_e32 v123, v93, v237
	v_add3_u32 v13, v13, v14, v15
	v_mul_i32_i24_e32 v14, v94, v69
	v_mul_i32_i24_e32 v15, v96, v241
	s_delay_alu instid0(VALU_DEP_3) | instskip(SKIP_1) | instid1(VALU_DEP_4)
	v_add3_u32 v13, v13, v117, v123
	v_mul_i32_i24_e32 v117, v97, v244
	v_mad_i32_i24 v14, v95, v240, v14
	v_mul_i32_i24_e32 v123, v100, v245
	s_delay_alu instid0(VALU_DEP_4) | instskip(NEXT) | instid1(VALU_DEP_3)
	v_mul_lo_u32 v13, v13, v239
	v_add3_u32 v14, v14, v15, v117
	v_mul_i32_i24_e32 v15, v98, v242
	v_mul_i32_i24_e32 v117, v99, v243
	s_delay_alu instid0(VALU_DEP_1) | instskip(SKIP_2) | instid1(VALU_DEP_3)
	v_add3_u32 v14, v14, v15, v117
	v_mul_i32_i24_e32 v15, v102, v246
	v_mul_i32_i24_e32 v117, v103, v248
	v_add3_u32 v14, v14, v123, v127
	v_mul_i32_i24_e32 v123, v104, v249
	v_mul_i32_i24_e32 v127, v105, v252
	s_delay_alu instid0(VALU_DEP_3) | instskip(SKIP_2) | instid1(VALU_DEP_3)
	v_add3_u32 v14, v14, v15, v117
	v_mul_i32_i24_e32 v15, v106, v250
	v_mul_i32_i24_e32 v117, v107, v74
	v_add3_u32 v14, v14, v123, v127
	v_mul_i32_i24_e32 v123, v108, v253
	v_mul_i32_i24_e32 v127, v16, v254
	s_delay_alu instid0(VALU_DEP_3) | instskip(SKIP_1) | instid1(VALU_DEP_2)
	v_add3_u32 v14, v14, v15, v117
	v_mul_i32_i24_e32 v15, v110, v45
	v_add3_u32 v117, v14, v123, v127
	v_mul_i32_i24_e32 v14, v109, v48
	v_mul_i32_i24_e32 v127, v112, v43
	;; [unrolled: 1-line block ×3, first 2 shown]
	s_delay_alu instid0(VALU_DEP_2) | instskip(SKIP_2) | instid1(VALU_DEP_3)
	v_add3_u32 v14, v128, v127, v14
	v_mul_i32_i24_e32 v127, v101, v213
	v_mul_i32_i24_e32 v128, v114, v178
	v_add3_u32 v123, v14, v15, v123
	v_mad_u64_u32 v[14:15], null, v117, v27, v[13:14]
	v_mul_i32_i24_e32 v15, v31, v191
	v_mul_i32_i24_e32 v117, v84, v192
	v_add3_u32 v128, v153, v128, v152
	s_delay_alu instid0(VALU_DEP_4) | instskip(SKIP_2) | instid1(VALU_DEP_2)
	v_cvt_f32_i32_e32 v13, v14
	v_cvt_f32_i32_e32 v14, v123
	v_mul_i32_i24_e32 v123, v85, v33
	v_mul_f32_e32 v14, v180, v14
	s_delay_alu instid0(VALU_DEP_1) | instskip(SKIP_1) | instid1(VALU_DEP_2)
	v_fma_mix_f32 v13, v138, v13, -v14 op_sel_hi:[1,0,0]
	v_mul_i32_i24_e32 v14, v21, v188
	v_fmac_f32_e32 v63, v19, v13
	v_mul_i32_i24_e32 v13, v17, v187
	s_delay_alu instid0(VALU_DEP_1) | instskip(NEXT) | instid1(VALU_DEP_1)
	v_mad_i32_i24 v13, v18, v32, v13
	v_add3_u32 v13, v13, v14, v15
	v_mul_i32_i24_e32 v14, v82, v189
	v_mul_i32_i24_e32 v15, v83, v190
	s_delay_alu instid0(VALU_DEP_1) | instskip(SKIP_2) | instid1(VALU_DEP_3)
	v_add3_u32 v13, v13, v14, v15
	v_mul_i32_i24_e32 v14, v86, v193
	v_mul_i32_i24_e32 v15, v87, v196
	v_add3_u32 v13, v13, v117, v123
	v_mul_i32_i24_e32 v117, v88, v197
	v_mul_i32_i24_e32 v123, v89, v199
	s_delay_alu instid0(VALU_DEP_3) | instskip(SKIP_2) | instid1(VALU_DEP_3)
	v_add3_u32 v13, v13, v14, v15
	v_mul_i32_i24_e32 v14, v90, v198
	v_mul_i32_i24_e32 v15, v91, v200
	v_add3_u32 v13, v13, v117, v123
	v_mul_i32_i24_e32 v117, v92, v202
	v_mul_i32_i24_e32 v123, v93, v203
	s_delay_alu instid0(VALU_DEP_3) | instskip(SKIP_2) | instid1(VALU_DEP_3)
	v_add3_u32 v13, v13, v14, v15
	v_mul_i32_i24_e32 v14, v94, v206
	v_mul_i32_i24_e32 v15, v96, v207
	v_add3_u32 v13, v13, v117, v123
	v_mul_i32_i24_e32 v117, v97, v210
	s_delay_alu instid0(VALU_DEP_4) | instskip(SKIP_1) | instid1(VALU_DEP_4)
	v_mad_i32_i24 v14, v95, v36, v14
	v_mul_i32_i24_e32 v123, v100, v211
	v_mul_lo_u32 v13, v13, v35
	s_delay_alu instid0(VALU_DEP_3) | instskip(SKIP_2) | instid1(VALU_DEP_1)
	v_add3_u32 v14, v14, v15, v117
	v_mul_i32_i24_e32 v15, v98, v208
	v_mul_i32_i24_e32 v117, v99, v209
	v_add3_u32 v14, v14, v15, v117
	v_mul_i32_i24_e32 v15, v102, v212
	v_mul_i32_i24_e32 v117, v103, v214
	s_delay_alu instid0(VALU_DEP_3) | instskip(SKIP_2) | instid1(VALU_DEP_3)
	v_add3_u32 v14, v14, v123, v127
	v_mul_i32_i24_e32 v123, v104, v215
	v_mul_i32_i24_e32 v127, v105, v37
	v_add3_u32 v14, v14, v15, v117
	v_mul_i32_i24_e32 v15, v106, v216
	v_mul_i32_i24_e32 v117, v107, v218
	s_delay_alu instid0(VALU_DEP_3) | instskip(SKIP_3) | instid1(VALU_DEP_4)
	v_add3_u32 v14, v14, v123, v127
	v_mul_i32_i24_e32 v123, v108, v219
	v_mul_i32_i24_e32 v127, v16, v220
	;; [unrolled: 1-line block ×3, first 2 shown]
	v_add3_u32 v14, v14, v15, v117
	v_mul_i32_i24_e32 v15, v110, v184
	s_delay_alu instid0(VALU_DEP_2) | instskip(SKIP_3) | instid1(VALU_DEP_2)
	v_add3_u32 v117, v14, v123, v127
	v_mul_i32_i24_e32 v14, v109, v186
	v_mul_i32_i24_e32 v127, v112, v183
	;; [unrolled: 1-line block ×3, first 2 shown]
	v_add3_u32 v14, v128, v127, v14
	s_delay_alu instid0(VALU_DEP_1) | instskip(SKIP_3) | instid1(VALU_DEP_3)
	v_add3_u32 v123, v14, v15, v123
	v_mad_u64_u32 v[14:15], null, v117, v136, v[13:14]
	v_mul_i32_i24_e32 v15, v31, v148
	v_mul_i32_i24_e32 v31, v115, v24
	v_cvt_f32_i32_e32 v13, v14
	v_cvt_f32_i32_e32 v14, v123
	s_delay_alu instid0(VALU_DEP_1) | instskip(NEXT) | instid1(VALU_DEP_1)
	v_mul_f32_e32 v14, v137, v14
	v_fma_mix_f32 v13, v131, v13, -v14 op_sel_hi:[1,0,0]
	v_mul_i32_i24_e32 v14, v21, v145
	v_mul_i32_i24_e32 v21, v101, v168
	s_delay_alu instid0(VALU_DEP_3) | instskip(SKIP_2) | instid1(VALU_DEP_2)
	v_fmac_f32_e32 v60, v19, v13
	v_mul_i32_i24_e32 v13, v17, v144
	v_mul_i32_i24_e32 v17, v84, v149
	v_mad_i32_i24 v13, v18, v22, v13
	v_mul_i32_i24_e32 v18, v85, v146
	s_delay_alu instid0(VALU_DEP_2) | instskip(SKIP_3) | instid1(VALU_DEP_2)
	v_add3_u32 v13, v13, v14, v15
	v_mul_i32_i24_e32 v14, v82, v179
	v_mul_i32_i24_e32 v15, v83, v147
	;; [unrolled: 1-line block ×3, first 2 shown]
	v_add3_u32 v13, v13, v14, v15
	v_mul_i32_i24_e32 v14, v86, v150
	v_mul_i32_i24_e32 v15, v87, v142
	s_delay_alu instid0(VALU_DEP_4) | instskip(NEXT) | instid1(VALU_DEP_4)
	v_mad_i32_i24 v82, v113, v163, v82
	v_add3_u32 v13, v13, v17, v18
	v_mul_i32_i24_e32 v17, v88, v140
	v_mul_i32_i24_e32 v18, v89, v135
	s_delay_alu instid0(VALU_DEP_3) | instskip(SKIP_2) | instid1(VALU_DEP_3)
	v_add3_u32 v13, v13, v14, v15
	v_mul_i32_i24_e32 v14, v90, v154
	v_mul_i32_i24_e32 v15, v91, v156
	v_add3_u32 v13, v13, v17, v18
	v_mul_i32_i24_e32 v17, v92, v134
	v_mul_i32_i24_e32 v18, v93, v159
	s_delay_alu instid0(VALU_DEP_3) | instskip(SKIP_2) | instid1(VALU_DEP_3)
	v_add3_u32 v13, v13, v14, v15
	v_mul_i32_i24_e32 v14, v94, v161
	v_mul_i32_i24_e32 v15, v96, v133
	v_add3_u32 v13, v13, v17, v18
	v_mul_i32_i24_e32 v17, v97, v129
	s_delay_alu instid0(VALU_DEP_4) | instskip(SKIP_1) | instid1(VALU_DEP_4)
	v_mad_i32_i24 v14, v95, v162, v14
	v_mul_i32_i24_e32 v18, v100, v167
	v_mul_lo_u32 v13, v13, v160
	s_delay_alu instid0(VALU_DEP_3) | instskip(SKIP_2) | instid1(VALU_DEP_1)
	v_add3_u32 v14, v14, v15, v17
	v_mul_i32_i24_e32 v15, v98, v165
	v_mul_i32_i24_e32 v17, v99, v164
	v_add3_u32 v14, v14, v15, v17
	v_mul_i32_i24_e32 v15, v102, v169
	v_mul_i32_i24_e32 v17, v103, v170
	s_delay_alu instid0(VALU_DEP_3) | instskip(SKIP_2) | instid1(VALU_DEP_3)
	v_add3_u32 v14, v14, v18, v21
	v_mul_i32_i24_e32 v18, v104, v171
	v_mul_i32_i24_e32 v21, v105, v173
	v_add3_u32 v14, v14, v15, v17
	v_mul_i32_i24_e32 v15, v106, v172
	v_mul_i32_i24_e32 v17, v107, v174
	s_delay_alu instid0(VALU_DEP_3) | instskip(SKIP_2) | instid1(VALU_DEP_3)
	v_add3_u32 v14, v14, v18, v21
	v_mul_i32_i24_e32 v18, v108, v175
	v_mul_i32_i24_e32 v21, v114, v25
	v_add3_u32 v14, v14, v15, v17
	v_mul_i32_i24_e32 v15, v110, v141
	s_delay_alu instid0(VALU_DEP_3) | instskip(SKIP_1) | instid1(VALU_DEP_4)
	v_add3_u32 v21, v82, v21, v31
	v_mul_i32_i24_e32 v17, v111, v26
	v_add3_u32 v16, v14, v18, v16
	v_mul_i32_i24_e32 v14, v109, v143
	v_mul_i32_i24_e32 v18, v112, v139
	s_delay_alu instid0(VALU_DEP_1) | instskip(NEXT) | instid1(VALU_DEP_1)
	v_add3_u32 v14, v21, v18, v14
	v_add3_u32 v17, v14, v15, v17
	v_mad_u64_u32 v[14:15], null, v16, v158, v[13:14]
	s_delay_alu instid0(VALU_DEP_1) | instskip(NEXT) | instid1(VALU_DEP_3)
	v_cvt_f32_i32_e32 v13, v14
	v_cvt_f32_i32_e32 v14, v17
	s_delay_alu instid0(VALU_DEP_1) | instskip(NEXT) | instid1(VALU_DEP_1)
	v_mul_f32_e32 v14, v157, v14
	v_fma_mix_f32 v13, v126, v13, -v14 op_sel_hi:[1,0,0]
	s_delay_alu instid0(VALU_DEP_1)
	v_fmac_f32_e32 v59, v19, v13
	ds_load_b128 v[13:16], v124 offset:3072
	s_waitcnt lgkmcnt(0)
	v_bfe_i32 v17, v13, 0, 8
	v_bfe_i32 v18, v13, 8, 8
	v_bfe_i32 v19, v13, 16, 8
	v_ashrrev_i32_e32 v21, 24, v13
	v_bfe_i32 v31, v14, 0, 8
	v_bfe_i32 v82, v14, 8, 8
	v_bfe_i32 v83, v14, 16, 8
	v_ashrrev_i32_e32 v84, 24, v14
	;; [unrolled: 4-line block ×4, first 2 shown]
	ds_load_b128 v[13:16], v124 offset:3088
	v_mul_i32_i24_e32 v116, v83, v10
	v_mul_i32_i24_e32 v117, v84, v12
	s_waitcnt lgkmcnt(0)
	v_ashrrev_i32_e32 v96, 24, v13
	v_ashrrev_i32_e32 v100, 24, v14
	v_bfe_i32 v93, v13, 0, 8
	v_bfe_i32 v94, v13, 8, 8
	;; [unrolled: 1-line block ×4, first 2 shown]
	v_ashrrev_i32_e32 v104, 24, v15
	v_bfe_i32 v105, v16, 0, 8
	v_bfe_i32 v106, v16, 8, 8
	;; [unrolled: 1-line block ×3, first 2 shown]
	v_ashrrev_i32_e32 v16, 24, v16
	v_add_nc_u32_e32 v13, v100, v96
	v_bfe_i32 v98, v14, 8, 8
	v_bfe_i32 v103, v15, 16, 8
	;; [unrolled: 1-line block ×4, first 2 shown]
	v_add3_u32 v108, v13, v104, v16
	v_add_nc_u32_e32 v13, v99, v95
	v_bfe_i32 v101, v15, 0, 8
	v_mul_i32_i24_e32 v14, v19, v6
	v_mul_i32_i24_e32 v15, v21, v9
	v_mul_i32_i24_e32 v123, v100, v79
	v_add3_u32 v109, v13, v103, v107
	v_add_nc_u32_e32 v13, v98, v94
	s_delay_alu instid0(VALU_DEP_1) | instskip(SKIP_1) | instid1(VALU_DEP_1)
	v_add3_u32 v110, v13, v102, v106
	v_add_nc_u32_e32 v13, v97, v93
	v_add3_u32 v111, v13, v101, v105
	v_add_nc_u32_e32 v13, v84, v21
	s_delay_alu instid0(VALU_DEP_1) | instskip(SKIP_1) | instid1(VALU_DEP_1)
	v_add3_u32 v112, v13, v88, v92
	v_add_nc_u32_e32 v13, v83, v19
	v_add3_u32 v113, v13, v87, v91
	v_add_nc_u32_e32 v13, v82, v18
	s_delay_alu instid0(VALU_DEP_2) | instskip(NEXT) | instid1(VALU_DEP_2)
	v_mul_i32_i24_e32 v127, v113, v50
	v_add3_u32 v114, v13, v86, v90
	v_add_nc_u32_e32 v13, v31, v17
	s_delay_alu instid0(VALU_DEP_2) | instskip(NEXT) | instid1(VALU_DEP_2)
	v_mul_i32_i24_e32 v128, v114, v49
	v_add3_u32 v115, v13, v85, v89
	v_mul_i32_i24_e32 v13, v17, v5
	s_delay_alu instid0(VALU_DEP_2) | instskip(NEXT) | instid1(VALU_DEP_2)
	v_mul_i32_i24_e32 v152, v115, v195
	v_mad_i32_i24 v13, v18, v3, v13
	s_delay_alu instid0(VALU_DEP_2) | instskip(NEXT) | instid1(VALU_DEP_2)
	v_mad_i32_i24 v152, v112, v201, v152
	v_add3_u32 v13, v13, v14, v15
	v_mul_i32_i24_e32 v14, v31, v7
	v_mul_i32_i24_e32 v15, v82, v8
	s_delay_alu instid0(VALU_DEP_4) | instskip(SKIP_2) | instid1(VALU_DEP_4)
	v_add3_u32 v127, v152, v127, v128
	v_mul_i32_i24_e32 v152, v115, v151
	v_mul_i32_i24_e32 v128, v114, v222
	v_add3_u32 v13, v13, v14, v15
	v_mul_i32_i24_e32 v14, v85, v11
	v_mul_i32_i24_e32 v15, v86, v39
	v_mad_i32_i24 v152, v112, v155, v152
	s_delay_alu instid0(VALU_DEP_4) | instskip(SKIP_2) | instid1(VALU_DEP_3)
	v_add3_u32 v13, v13, v116, v117
	v_mul_i32_i24_e32 v116, v87, v52
	v_mul_i32_i24_e32 v117, v88, v55
	v_add3_u32 v13, v13, v14, v15
	v_mul_i32_i24_e32 v14, v89, v53
	v_mul_i32_i24_e32 v15, v90, v56
	s_delay_alu instid0(VALU_DEP_3) | instskip(SKIP_2) | instid1(VALU_DEP_3)
	v_add3_u32 v13, v13, v116, v117
	v_mul_i32_i24_e32 v116, v91, v57
	v_mul_i32_i24_e32 v117, v92, v58
	v_add3_u32 v13, v13, v14, v15
	v_mul_i32_i24_e32 v14, v93, v70
	v_mul_i32_i24_e32 v15, v95, v71
	s_delay_alu instid0(VALU_DEP_3) | instskip(SKIP_1) | instid1(VALU_DEP_4)
	v_add3_u32 v13, v13, v116, v117
	v_mul_i32_i24_e32 v116, v96, v75
	v_mad_i32_i24 v14, v94, v62, v14
	v_mul_i32_i24_e32 v117, v99, v76
	s_delay_alu instid0(VALU_DEP_4) | instskip(NEXT) | instid1(VALU_DEP_3)
	v_mul_lo_u32 v13, v13, v61
	v_add3_u32 v14, v14, v15, v116
	v_mul_i32_i24_e32 v15, v97, v72
	v_mul_i32_i24_e32 v116, v98, v73
	s_delay_alu instid0(VALU_DEP_1) | instskip(SKIP_2) | instid1(VALU_DEP_3)
	v_add3_u32 v14, v14, v15, v116
	v_mul_i32_i24_e32 v15, v101, v78
	v_mul_i32_i24_e32 v116, v102, v80
	v_add3_u32 v14, v14, v117, v123
	v_mul_i32_i24_e32 v117, v103, v81
	v_mul_i32_i24_e32 v123, v104, v119
	s_delay_alu instid0(VALU_DEP_3) | instskip(SKIP_2) | instid1(VALU_DEP_3)
	v_add3_u32 v14, v14, v15, v116
	v_mul_i32_i24_e32 v15, v105, v118
	v_mul_i32_i24_e32 v116, v106, v120
	v_add3_u32 v14, v14, v117, v123
	v_mul_i32_i24_e32 v117, v107, v121
	v_mul_i32_i24_e32 v123, v16, v122
	s_delay_alu instid0(VALU_DEP_3) | instskip(SKIP_1) | instid1(VALU_DEP_2)
	v_add3_u32 v14, v14, v15, v116
	v_mul_i32_i24_e32 v15, v109, v2
	v_add3_u32 v116, v14, v117, v123
	v_mul_i32_i24_e32 v14, v108, v4
	v_mul_i32_i24_e32 v123, v111, v0
	;; [unrolled: 1-line block ×3, first 2 shown]
	s_delay_alu instid0(VALU_DEP_2) | instskip(SKIP_2) | instid1(VALU_DEP_3)
	v_add3_u32 v14, v127, v123, v14
	v_mul_i32_i24_e32 v123, v100, v247
	v_mul_i32_i24_e32 v127, v113, v223
	v_add3_u32 v117, v14, v15, v117
	v_mad_u64_u32 v[14:15], null, v116, v30, v[13:14]
	v_mul_i32_i24_e32 v15, v21, v228
	v_mul_i32_i24_e32 v116, v83, v229
	v_add3_u32 v127, v152, v127, v128
	v_mul_i32_i24_e32 v152, v115, v132
	v_mul_i32_i24_e32 v128, v114, v23
	v_cvt_f32_i32_e32 v13, v14
	v_cvt_f32_i32_e32 v14, v117
	v_mul_i32_i24_e32 v117, v84, v231
	v_mad_i32_i24 v152, v112, v166, v152
	s_delay_alu instid0(VALU_DEP_3) | instskip(NEXT) | instid1(VALU_DEP_1)
	v_mul_f32_e32 v14, v42, v14
	v_fma_mix_f32 v13, v182, v13, -v14 op_sel_hi:[1,0,0]
	v_mul_i32_i24_e32 v14, v19, v225
	s_delay_alu instid0(VALU_DEP_2) | instskip(SKIP_1) | instid1(VALU_DEP_1)
	v_fmac_f32_e32 v54, v20, v13
	v_mul_i32_i24_e32 v13, v17, v224
	v_mad_i32_i24 v13, v18, v47, v13
	s_delay_alu instid0(VALU_DEP_1) | instskip(SKIP_2) | instid1(VALU_DEP_1)
	v_add3_u32 v13, v13, v14, v15
	v_mul_i32_i24_e32 v14, v31, v226
	v_mul_i32_i24_e32 v15, v82, v227
	v_add3_u32 v13, v13, v14, v15
	v_mul_i32_i24_e32 v14, v85, v230
	v_mul_i32_i24_e32 v15, v86, v232
	s_delay_alu instid0(VALU_DEP_3) | instskip(SKIP_2) | instid1(VALU_DEP_3)
	v_add3_u32 v13, v13, v116, v117
	v_mul_i32_i24_e32 v116, v87, v233
	v_mul_i32_i24_e32 v117, v88, v67
	v_add3_u32 v13, v13, v14, v15
	v_mul_i32_i24_e32 v14, v89, v234
	v_mul_i32_i24_e32 v15, v90, v235
	s_delay_alu instid0(VALU_DEP_3) | instskip(SKIP_2) | instid1(VALU_DEP_3)
	v_add3_u32 v13, v13, v116, v117
	v_mul_i32_i24_e32 v116, v91, v236
	v_mul_i32_i24_e32 v117, v92, v237
	v_add3_u32 v13, v13, v14, v15
	v_mul_i32_i24_e32 v14, v93, v69
	v_mul_i32_i24_e32 v15, v95, v241
	s_delay_alu instid0(VALU_DEP_3) | instskip(SKIP_1) | instid1(VALU_DEP_4)
	v_add3_u32 v13, v13, v116, v117
	v_mul_i32_i24_e32 v116, v96, v244
	v_mad_i32_i24 v14, v94, v240, v14
	v_mul_i32_i24_e32 v117, v99, v245
	s_delay_alu instid0(VALU_DEP_4) | instskip(NEXT) | instid1(VALU_DEP_3)
	v_mul_lo_u32 v13, v13, v239
	v_add3_u32 v14, v14, v15, v116
	v_mul_i32_i24_e32 v15, v97, v242
	v_mul_i32_i24_e32 v116, v98, v243
	s_delay_alu instid0(VALU_DEP_1) | instskip(SKIP_2) | instid1(VALU_DEP_3)
	v_add3_u32 v14, v14, v15, v116
	v_mul_i32_i24_e32 v15, v101, v246
	v_mul_i32_i24_e32 v116, v102, v248
	v_add3_u32 v14, v14, v117, v123
	v_mul_i32_i24_e32 v117, v103, v249
	v_mul_i32_i24_e32 v123, v104, v252
	s_delay_alu instid0(VALU_DEP_3) | instskip(SKIP_2) | instid1(VALU_DEP_3)
	v_add3_u32 v14, v14, v15, v116
	v_mul_i32_i24_e32 v15, v105, v250
	v_mul_i32_i24_e32 v116, v106, v74
	v_add3_u32 v14, v14, v117, v123
	v_mul_i32_i24_e32 v117, v107, v253
	v_mul_i32_i24_e32 v123, v16, v254
	s_delay_alu instid0(VALU_DEP_3) | instskip(SKIP_1) | instid1(VALU_DEP_2)
	v_add3_u32 v14, v14, v15, v116
	v_mul_i32_i24_e32 v15, v109, v45
	v_add3_u32 v116, v14, v117, v123
	v_mul_i32_i24_e32 v14, v108, v48
	v_mul_i32_i24_e32 v123, v111, v43
	;; [unrolled: 1-line block ×3, first 2 shown]
	s_delay_alu instid0(VALU_DEP_2) | instskip(SKIP_2) | instid1(VALU_DEP_3)
	v_add3_u32 v14, v127, v123, v14
	v_mul_i32_i24_e32 v123, v100, v213
	v_mul_i32_i24_e32 v127, v113, v178
	v_add3_u32 v117, v14, v15, v117
	v_mad_u64_u32 v[14:15], null, v116, v27, v[13:14]
	v_mul_i32_i24_e32 v15, v21, v191
	v_mul_i32_i24_e32 v116, v83, v192
	v_add3_u32 v127, v152, v127, v128
	s_delay_alu instid0(VALU_DEP_4) | instskip(SKIP_2) | instid1(VALU_DEP_2)
	v_cvt_f32_i32_e32 v13, v14
	v_cvt_f32_i32_e32 v14, v117
	v_mul_i32_i24_e32 v117, v84, v33
	v_mul_f32_e32 v14, v180, v14
	s_delay_alu instid0(VALU_DEP_1) | instskip(SKIP_1) | instid1(VALU_DEP_2)
	v_fma_mix_f32 v13, v138, v13, -v14 op_sel_hi:[1,0,0]
	v_mul_i32_i24_e32 v14, v19, v188
	v_fmac_f32_e32 v51, v20, v13
	v_mul_i32_i24_e32 v13, v17, v187
	s_delay_alu instid0(VALU_DEP_1) | instskip(NEXT) | instid1(VALU_DEP_1)
	v_mad_i32_i24 v13, v18, v32, v13
	v_add3_u32 v13, v13, v14, v15
	v_mul_i32_i24_e32 v14, v31, v189
	v_mul_i32_i24_e32 v15, v82, v190
	s_delay_alu instid0(VALU_DEP_1) | instskip(SKIP_2) | instid1(VALU_DEP_3)
	v_add3_u32 v13, v13, v14, v15
	v_mul_i32_i24_e32 v14, v85, v193
	v_mul_i32_i24_e32 v15, v86, v196
	v_add3_u32 v13, v13, v116, v117
	v_mul_i32_i24_e32 v116, v87, v197
	v_mul_i32_i24_e32 v117, v88, v199
	s_delay_alu instid0(VALU_DEP_3) | instskip(SKIP_2) | instid1(VALU_DEP_3)
	v_add3_u32 v13, v13, v14, v15
	v_mul_i32_i24_e32 v14, v89, v198
	v_mul_i32_i24_e32 v15, v90, v200
	v_add3_u32 v13, v13, v116, v117
	v_mul_i32_i24_e32 v116, v91, v202
	v_mul_i32_i24_e32 v117, v92, v203
	s_delay_alu instid0(VALU_DEP_3) | instskip(SKIP_2) | instid1(VALU_DEP_3)
	v_add3_u32 v13, v13, v14, v15
	v_mul_i32_i24_e32 v14, v93, v206
	v_mul_i32_i24_e32 v15, v95, v207
	v_add3_u32 v13, v13, v116, v117
	v_mul_i32_i24_e32 v116, v96, v210
	s_delay_alu instid0(VALU_DEP_4) | instskip(SKIP_1) | instid1(VALU_DEP_4)
	v_mad_i32_i24 v14, v94, v36, v14
	v_mul_i32_i24_e32 v117, v99, v211
	v_mul_lo_u32 v13, v13, v35
	s_delay_alu instid0(VALU_DEP_3) | instskip(SKIP_2) | instid1(VALU_DEP_1)
	v_add3_u32 v14, v14, v15, v116
	v_mul_i32_i24_e32 v15, v97, v208
	v_mul_i32_i24_e32 v116, v98, v209
	v_add3_u32 v14, v14, v15, v116
	v_mul_i32_i24_e32 v15, v101, v212
	v_mul_i32_i24_e32 v116, v102, v214
	s_delay_alu instid0(VALU_DEP_3) | instskip(SKIP_2) | instid1(VALU_DEP_3)
	v_add3_u32 v14, v14, v117, v123
	v_mul_i32_i24_e32 v117, v103, v215
	v_mul_i32_i24_e32 v123, v104, v37
	v_add3_u32 v14, v14, v15, v116
	v_mul_i32_i24_e32 v15, v105, v216
	v_mul_i32_i24_e32 v116, v106, v218
	s_delay_alu instid0(VALU_DEP_3) | instskip(SKIP_3) | instid1(VALU_DEP_4)
	v_add3_u32 v14, v14, v117, v123
	v_mul_i32_i24_e32 v117, v107, v219
	v_mul_i32_i24_e32 v123, v16, v220
	;; [unrolled: 1-line block ×3, first 2 shown]
	v_add3_u32 v14, v14, v15, v116
	v_mul_i32_i24_e32 v15, v109, v184
	s_delay_alu instid0(VALU_DEP_2) | instskip(SKIP_3) | instid1(VALU_DEP_2)
	v_add3_u32 v116, v14, v117, v123
	v_mul_i32_i24_e32 v14, v108, v186
	v_mul_i32_i24_e32 v123, v111, v183
	;; [unrolled: 1-line block ×3, first 2 shown]
	v_add3_u32 v14, v127, v123, v14
	s_delay_alu instid0(VALU_DEP_1) | instskip(SKIP_3) | instid1(VALU_DEP_3)
	v_add3_u32 v117, v14, v15, v117
	v_mad_u64_u32 v[14:15], null, v116, v136, v[13:14]
	v_mul_i32_i24_e32 v15, v21, v148
	v_mul_i32_i24_e32 v21, v114, v24
	v_cvt_f32_i32_e32 v13, v14
	v_cvt_f32_i32_e32 v14, v117
	s_delay_alu instid0(VALU_DEP_1) | instskip(NEXT) | instid1(VALU_DEP_1)
	v_mul_f32_e32 v14, v137, v14
	v_fma_mix_f32 v13, v131, v13, -v14 op_sel_hi:[1,0,0]
	v_mul_i32_i24_e32 v14, v19, v145
	v_mul_i32_i24_e32 v19, v100, v168
	s_delay_alu instid0(VALU_DEP_3) | instskip(SKIP_2) | instid1(VALU_DEP_2)
	v_fmac_f32_e32 v46, v20, v13
	v_mul_i32_i24_e32 v13, v17, v144
	v_mul_i32_i24_e32 v17, v83, v149
	v_mad_i32_i24 v13, v18, v22, v13
	v_mul_i32_i24_e32 v18, v84, v146
	s_delay_alu instid0(VALU_DEP_2) | instskip(SKIP_3) | instid1(VALU_DEP_2)
	v_add3_u32 v13, v13, v14, v15
	v_mul_i32_i24_e32 v14, v31, v179
	v_mul_i32_i24_e32 v15, v82, v147
	;; [unrolled: 1-line block ×3, first 2 shown]
	v_add3_u32 v13, v13, v14, v15
	v_mul_i32_i24_e32 v14, v85, v150
	v_mul_i32_i24_e32 v15, v86, v142
	s_delay_alu instid0(VALU_DEP_4) | instskip(NEXT) | instid1(VALU_DEP_4)
	v_mad_i32_i24 v31, v112, v163, v31
	v_add3_u32 v13, v13, v17, v18
	v_mul_i32_i24_e32 v17, v87, v140
	v_mul_i32_i24_e32 v18, v88, v135
	s_delay_alu instid0(VALU_DEP_3) | instskip(SKIP_2) | instid1(VALU_DEP_3)
	v_add3_u32 v13, v13, v14, v15
	v_mul_i32_i24_e32 v14, v89, v154
	v_mul_i32_i24_e32 v15, v90, v156
	v_add3_u32 v13, v13, v17, v18
	v_mul_i32_i24_e32 v17, v91, v134
	v_mul_i32_i24_e32 v18, v92, v159
	s_delay_alu instid0(VALU_DEP_3) | instskip(SKIP_2) | instid1(VALU_DEP_3)
	v_add3_u32 v13, v13, v14, v15
	v_mul_i32_i24_e32 v14, v93, v161
	v_mul_i32_i24_e32 v15, v95, v133
	v_add3_u32 v13, v13, v17, v18
	v_mul_i32_i24_e32 v17, v96, v129
	s_delay_alu instid0(VALU_DEP_4) | instskip(SKIP_1) | instid1(VALU_DEP_4)
	v_mad_i32_i24 v14, v94, v162, v14
	v_mul_i32_i24_e32 v18, v99, v167
	v_mul_lo_u32 v13, v13, v160
	s_delay_alu instid0(VALU_DEP_3) | instskip(SKIP_2) | instid1(VALU_DEP_1)
	v_add3_u32 v14, v14, v15, v17
	v_mul_i32_i24_e32 v15, v97, v165
	v_mul_i32_i24_e32 v17, v98, v164
	v_add3_u32 v14, v14, v15, v17
	v_mul_i32_i24_e32 v15, v101, v169
	v_mul_i32_i24_e32 v17, v102, v170
	s_delay_alu instid0(VALU_DEP_3) | instskip(SKIP_2) | instid1(VALU_DEP_3)
	v_add3_u32 v14, v14, v18, v19
	v_mul_i32_i24_e32 v18, v103, v171
	v_mul_i32_i24_e32 v19, v104, v173
	v_add3_u32 v14, v14, v15, v17
	v_mul_i32_i24_e32 v15, v105, v172
	v_mul_i32_i24_e32 v17, v106, v174
	s_delay_alu instid0(VALU_DEP_3) | instskip(SKIP_2) | instid1(VALU_DEP_3)
	v_add3_u32 v14, v14, v18, v19
	v_mul_i32_i24_e32 v18, v107, v175
	v_mul_i32_i24_e32 v19, v113, v25
	v_add3_u32 v14, v14, v15, v17
	v_mul_i32_i24_e32 v15, v109, v141
	s_delay_alu instid0(VALU_DEP_3) | instskip(SKIP_1) | instid1(VALU_DEP_4)
	v_add3_u32 v19, v31, v19, v21
	v_mul_i32_i24_e32 v17, v110, v26
	v_add3_u32 v16, v14, v18, v16
	v_mul_i32_i24_e32 v14, v108, v143
	v_mul_i32_i24_e32 v18, v111, v139
	s_delay_alu instid0(VALU_DEP_1) | instskip(NEXT) | instid1(VALU_DEP_1)
	v_add3_u32 v14, v19, v18, v14
	v_add3_u32 v17, v14, v15, v17
	v_mad_u64_u32 v[14:15], null, v16, v158, v[13:14]
	s_delay_alu instid0(VALU_DEP_1) | instskip(NEXT) | instid1(VALU_DEP_3)
	v_cvt_f32_i32_e32 v13, v14
	v_cvt_f32_i32_e32 v14, v17
	s_delay_alu instid0(VALU_DEP_1) | instskip(NEXT) | instid1(VALU_DEP_1)
	v_mul_f32_e32 v14, v157, v14
	v_fma_mix_f32 v13, v126, v13, -v14 op_sel_hi:[1,0,0]
	s_delay_alu instid0(VALU_DEP_1)
	v_fmac_f32_e32 v41, v20, v13
	ds_load_2addr_b32 v[19:20], v125 offset0:128 offset1:160
	ds_load_b128 v[13:16], v124 offset:4096
	s_waitcnt lgkmcnt(0)
	v_bfe_i32 v17, v13, 0, 8
	v_bfe_i32 v18, v13, 8, 8
	v_bfe_i32 v21, v13, 16, 8
	v_ashrrev_i32_e32 v31, 24, v13
	v_bfe_i32 v82, v14, 0, 8
	v_bfe_i32 v83, v14, 8, 8
	v_bfe_i32 v84, v14, 16, 8
	v_ashrrev_i32_e32 v85, 24, v14
	;; [unrolled: 4-line block ×4, first 2 shown]
	ds_load_b128 v[13:16], v124 offset:4112
	v_mul_i32_i24_e32 v117, v84, v10
	v_mul_i32_i24_e32 v123, v85, v12
	s_waitcnt lgkmcnt(0)
	v_ashrrev_i32_e32 v97, 24, v13
	v_ashrrev_i32_e32 v101, 24, v14
	v_bfe_i32 v94, v13, 0, 8
	v_bfe_i32 v95, v13, 8, 8
	;; [unrolled: 1-line block ×4, first 2 shown]
	v_ashrrev_i32_e32 v105, 24, v15
	v_bfe_i32 v106, v16, 0, 8
	v_bfe_i32 v107, v16, 8, 8
	;; [unrolled: 1-line block ×3, first 2 shown]
	v_ashrrev_i32_e32 v16, 24, v16
	v_add_nc_u32_e32 v13, v101, v97
	v_bfe_i32 v99, v14, 8, 8
	v_bfe_i32 v104, v15, 16, 8
	;; [unrolled: 1-line block ×4, first 2 shown]
	v_add3_u32 v109, v13, v105, v16
	v_add_nc_u32_e32 v13, v100, v96
	v_bfe_i32 v102, v15, 0, 8
	v_mul_i32_i24_e32 v14, v21, v6
	v_mul_i32_i24_e32 v15, v31, v9
	;; [unrolled: 1-line block ×3, first 2 shown]
	v_add3_u32 v110, v13, v104, v108
	v_add_nc_u32_e32 v13, v99, v95
	s_delay_alu instid0(VALU_DEP_1) | instskip(SKIP_1) | instid1(VALU_DEP_1)
	v_add3_u32 v111, v13, v103, v107
	v_add_nc_u32_e32 v13, v98, v94
	v_add3_u32 v112, v13, v102, v106
	v_add_nc_u32_e32 v13, v85, v31
	s_delay_alu instid0(VALU_DEP_1) | instskip(SKIP_1) | instid1(VALU_DEP_1)
	v_add3_u32 v113, v13, v89, v93
	v_add_nc_u32_e32 v13, v84, v21
	v_add3_u32 v114, v13, v88, v92
	v_add_nc_u32_e32 v13, v83, v18
	s_delay_alu instid0(VALU_DEP_2) | instskip(NEXT) | instid1(VALU_DEP_2)
	v_mul_i32_i24_e32 v128, v114, v50
	v_add3_u32 v115, v13, v87, v91
	v_add_nc_u32_e32 v13, v82, v17
	s_delay_alu instid0(VALU_DEP_2) | instskip(NEXT) | instid1(VALU_DEP_2)
	v_mul_i32_i24_e32 v152, v115, v49
	v_add3_u32 v116, v13, v86, v90
	v_mul_i32_i24_e32 v13, v17, v5
	s_delay_alu instid0(VALU_DEP_2) | instskip(NEXT) | instid1(VALU_DEP_2)
	v_mul_i32_i24_e32 v153, v116, v195
	v_mad_i32_i24 v13, v18, v3, v13
	s_delay_alu instid0(VALU_DEP_2) | instskip(NEXT) | instid1(VALU_DEP_2)
	v_mad_i32_i24 v153, v113, v201, v153
	v_add3_u32 v13, v13, v14, v15
	v_mul_i32_i24_e32 v14, v82, v7
	v_mul_i32_i24_e32 v15, v83, v8
	s_delay_alu instid0(VALU_DEP_4) | instskip(SKIP_2) | instid1(VALU_DEP_4)
	v_add3_u32 v128, v153, v128, v152
	v_mul_i32_i24_e32 v153, v116, v151
	v_mul_i32_i24_e32 v152, v115, v222
	v_add3_u32 v13, v13, v14, v15
	v_mul_i32_i24_e32 v14, v86, v11
	v_mul_i32_i24_e32 v15, v87, v39
	v_mad_i32_i24 v153, v113, v155, v153
	s_delay_alu instid0(VALU_DEP_4) | instskip(SKIP_2) | instid1(VALU_DEP_3)
	v_add3_u32 v13, v13, v117, v123
	v_mul_i32_i24_e32 v117, v88, v52
	v_mul_i32_i24_e32 v123, v89, v55
	v_add3_u32 v13, v13, v14, v15
	v_mul_i32_i24_e32 v14, v90, v53
	v_mul_i32_i24_e32 v15, v91, v56
	s_delay_alu instid0(VALU_DEP_3) | instskip(SKIP_2) | instid1(VALU_DEP_3)
	v_add3_u32 v13, v13, v117, v123
	v_mul_i32_i24_e32 v117, v92, v57
	v_mul_i32_i24_e32 v123, v93, v58
	v_add3_u32 v13, v13, v14, v15
	v_mul_i32_i24_e32 v14, v94, v70
	v_mul_i32_i24_e32 v15, v96, v71
	s_delay_alu instid0(VALU_DEP_3) | instskip(SKIP_1) | instid1(VALU_DEP_4)
	v_add3_u32 v13, v13, v117, v123
	v_mul_i32_i24_e32 v117, v97, v75
	v_mad_i32_i24 v14, v95, v62, v14
	v_mul_i32_i24_e32 v123, v100, v76
	s_delay_alu instid0(VALU_DEP_4) | instskip(NEXT) | instid1(VALU_DEP_3)
	v_mul_lo_u32 v13, v13, v61
	v_add3_u32 v14, v14, v15, v117
	v_mul_i32_i24_e32 v15, v98, v72
	v_mul_i32_i24_e32 v117, v99, v73
	s_delay_alu instid0(VALU_DEP_1) | instskip(SKIP_2) | instid1(VALU_DEP_3)
	v_add3_u32 v14, v14, v15, v117
	v_mul_i32_i24_e32 v15, v102, v78
	v_mul_i32_i24_e32 v117, v103, v80
	v_add3_u32 v14, v14, v123, v127
	v_mul_i32_i24_e32 v123, v104, v81
	v_mul_i32_i24_e32 v127, v105, v119
	s_delay_alu instid0(VALU_DEP_3) | instskip(SKIP_2) | instid1(VALU_DEP_3)
	v_add3_u32 v14, v14, v15, v117
	v_mul_i32_i24_e32 v15, v106, v118
	v_mul_i32_i24_e32 v117, v107, v120
	v_add3_u32 v14, v14, v123, v127
	v_mul_i32_i24_e32 v123, v108, v121
	v_mul_i32_i24_e32 v127, v16, v122
	s_delay_alu instid0(VALU_DEP_3) | instskip(SKIP_1) | instid1(VALU_DEP_2)
	v_add3_u32 v14, v14, v15, v117
	v_mul_i32_i24_e32 v15, v110, v2
	v_add3_u32 v117, v14, v123, v127
	v_mul_i32_i24_e32 v14, v109, v4
	v_mul_i32_i24_e32 v127, v112, v0
	;; [unrolled: 1-line block ×3, first 2 shown]
	s_delay_alu instid0(VALU_DEP_2) | instskip(SKIP_2) | instid1(VALU_DEP_3)
	v_add3_u32 v14, v128, v127, v14
	v_mul_i32_i24_e32 v127, v101, v247
	v_mul_i32_i24_e32 v128, v114, v223
	v_add3_u32 v123, v14, v15, v123
	v_mad_u64_u32 v[14:15], null, v117, v30, v[13:14]
	v_mul_i32_i24_e32 v15, v31, v228
	v_mul_i32_i24_e32 v117, v84, v229
	v_add3_u32 v128, v153, v128, v152
	v_mul_i32_i24_e32 v153, v116, v132
	v_mul_i32_i24_e32 v152, v115, v23
	v_cvt_f32_i32_e32 v13, v14
	v_cvt_f32_i32_e32 v14, v123
	v_mul_i32_i24_e32 v123, v85, v231
	v_mad_i32_i24 v153, v113, v166, v153
	s_delay_alu instid0(VALU_DEP_3) | instskip(NEXT) | instid1(VALU_DEP_1)
	v_mul_f32_e32 v14, v42, v14
	v_fma_mix_f32 v13, v182, v13, -v14 op_sel_hi:[1,0,0]
	v_mul_i32_i24_e32 v14, v21, v225
	s_delay_alu instid0(VALU_DEP_2) | instskip(SKIP_1) | instid1(VALU_DEP_1)
	v_fmac_f32_e32 v40, v19, v13
	v_mul_i32_i24_e32 v13, v17, v224
	v_mad_i32_i24 v13, v18, v47, v13
	s_delay_alu instid0(VALU_DEP_1) | instskip(SKIP_2) | instid1(VALU_DEP_1)
	v_add3_u32 v13, v13, v14, v15
	v_mul_i32_i24_e32 v14, v82, v226
	v_mul_i32_i24_e32 v15, v83, v227
	v_add3_u32 v13, v13, v14, v15
	v_mul_i32_i24_e32 v14, v86, v230
	v_mul_i32_i24_e32 v15, v87, v232
	s_delay_alu instid0(VALU_DEP_3) | instskip(SKIP_2) | instid1(VALU_DEP_3)
	v_add3_u32 v13, v13, v117, v123
	v_mul_i32_i24_e32 v117, v88, v233
	v_mul_i32_i24_e32 v123, v89, v67
	v_add3_u32 v13, v13, v14, v15
	v_mul_i32_i24_e32 v14, v90, v234
	v_mul_i32_i24_e32 v15, v91, v235
	s_delay_alu instid0(VALU_DEP_3) | instskip(SKIP_2) | instid1(VALU_DEP_3)
	v_add3_u32 v13, v13, v117, v123
	v_mul_i32_i24_e32 v117, v92, v236
	v_mul_i32_i24_e32 v123, v93, v237
	v_add3_u32 v13, v13, v14, v15
	v_mul_i32_i24_e32 v14, v94, v69
	v_mul_i32_i24_e32 v15, v96, v241
	s_delay_alu instid0(VALU_DEP_3) | instskip(SKIP_1) | instid1(VALU_DEP_4)
	v_add3_u32 v13, v13, v117, v123
	v_mul_i32_i24_e32 v117, v97, v244
	v_mad_i32_i24 v14, v95, v240, v14
	v_mul_i32_i24_e32 v123, v100, v245
	s_delay_alu instid0(VALU_DEP_4) | instskip(NEXT) | instid1(VALU_DEP_3)
	v_mul_lo_u32 v13, v13, v239
	v_add3_u32 v14, v14, v15, v117
	v_mul_i32_i24_e32 v15, v98, v242
	v_mul_i32_i24_e32 v117, v99, v243
	s_delay_alu instid0(VALU_DEP_1) | instskip(SKIP_2) | instid1(VALU_DEP_3)
	v_add3_u32 v14, v14, v15, v117
	v_mul_i32_i24_e32 v15, v102, v246
	v_mul_i32_i24_e32 v117, v103, v248
	v_add3_u32 v14, v14, v123, v127
	v_mul_i32_i24_e32 v123, v104, v249
	v_mul_i32_i24_e32 v127, v105, v252
	s_delay_alu instid0(VALU_DEP_3) | instskip(SKIP_2) | instid1(VALU_DEP_3)
	v_add3_u32 v14, v14, v15, v117
	v_mul_i32_i24_e32 v15, v106, v250
	v_mul_i32_i24_e32 v117, v107, v74
	v_add3_u32 v14, v14, v123, v127
	v_mul_i32_i24_e32 v123, v108, v253
	v_mul_i32_i24_e32 v127, v16, v254
	s_delay_alu instid0(VALU_DEP_3) | instskip(SKIP_1) | instid1(VALU_DEP_2)
	v_add3_u32 v14, v14, v15, v117
	v_mul_i32_i24_e32 v15, v110, v45
	v_add3_u32 v117, v14, v123, v127
	v_mul_i32_i24_e32 v14, v109, v48
	v_mul_i32_i24_e32 v127, v112, v43
	;; [unrolled: 1-line block ×3, first 2 shown]
	s_delay_alu instid0(VALU_DEP_2) | instskip(SKIP_2) | instid1(VALU_DEP_3)
	v_add3_u32 v14, v128, v127, v14
	v_mul_i32_i24_e32 v127, v101, v213
	v_mul_i32_i24_e32 v128, v114, v178
	v_add3_u32 v123, v14, v15, v123
	v_mad_u64_u32 v[14:15], null, v117, v27, v[13:14]
	v_mul_i32_i24_e32 v15, v31, v191
	v_mul_i32_i24_e32 v117, v84, v192
	v_add3_u32 v128, v153, v128, v152
	s_delay_alu instid0(VALU_DEP_4) | instskip(SKIP_2) | instid1(VALU_DEP_2)
	v_cvt_f32_i32_e32 v13, v14
	v_cvt_f32_i32_e32 v14, v123
	v_mul_i32_i24_e32 v123, v85, v33
	v_mul_f32_e32 v14, v180, v14
	s_delay_alu instid0(VALU_DEP_1) | instskip(SKIP_1) | instid1(VALU_DEP_2)
	v_fma_mix_f32 v13, v138, v13, -v14 op_sel_hi:[1,0,0]
	v_mul_i32_i24_e32 v14, v21, v188
	v_fmac_f32_e32 v38, v19, v13
	v_mul_i32_i24_e32 v13, v17, v187
	s_delay_alu instid0(VALU_DEP_1) | instskip(NEXT) | instid1(VALU_DEP_1)
	v_mad_i32_i24 v13, v18, v32, v13
	v_add3_u32 v13, v13, v14, v15
	v_mul_i32_i24_e32 v14, v82, v189
	v_mul_i32_i24_e32 v15, v83, v190
	s_delay_alu instid0(VALU_DEP_1) | instskip(SKIP_2) | instid1(VALU_DEP_3)
	v_add3_u32 v13, v13, v14, v15
	v_mul_i32_i24_e32 v14, v86, v193
	v_mul_i32_i24_e32 v15, v87, v196
	v_add3_u32 v13, v13, v117, v123
	v_mul_i32_i24_e32 v117, v88, v197
	v_mul_i32_i24_e32 v123, v89, v199
	s_delay_alu instid0(VALU_DEP_3) | instskip(SKIP_2) | instid1(VALU_DEP_3)
	v_add3_u32 v13, v13, v14, v15
	v_mul_i32_i24_e32 v14, v90, v198
	v_mul_i32_i24_e32 v15, v91, v200
	v_add3_u32 v13, v13, v117, v123
	v_mul_i32_i24_e32 v117, v92, v202
	v_mul_i32_i24_e32 v123, v93, v203
	s_delay_alu instid0(VALU_DEP_3) | instskip(SKIP_2) | instid1(VALU_DEP_3)
	v_add3_u32 v13, v13, v14, v15
	v_mul_i32_i24_e32 v14, v94, v206
	v_mul_i32_i24_e32 v15, v96, v207
	v_add3_u32 v13, v13, v117, v123
	v_mul_i32_i24_e32 v117, v97, v210
	s_delay_alu instid0(VALU_DEP_4) | instskip(SKIP_1) | instid1(VALU_DEP_4)
	v_mad_i32_i24 v14, v95, v36, v14
	v_mul_i32_i24_e32 v123, v100, v211
	v_mul_lo_u32 v13, v13, v35
	s_delay_alu instid0(VALU_DEP_3) | instskip(SKIP_2) | instid1(VALU_DEP_1)
	v_add3_u32 v14, v14, v15, v117
	v_mul_i32_i24_e32 v15, v98, v208
	v_mul_i32_i24_e32 v117, v99, v209
	v_add3_u32 v14, v14, v15, v117
	v_mul_i32_i24_e32 v15, v102, v212
	v_mul_i32_i24_e32 v117, v103, v214
	s_delay_alu instid0(VALU_DEP_3) | instskip(SKIP_2) | instid1(VALU_DEP_3)
	v_add3_u32 v14, v14, v123, v127
	v_mul_i32_i24_e32 v123, v104, v215
	v_mul_i32_i24_e32 v127, v105, v37
	v_add3_u32 v14, v14, v15, v117
	v_mul_i32_i24_e32 v15, v106, v216
	v_mul_i32_i24_e32 v117, v107, v218
	s_delay_alu instid0(VALU_DEP_3) | instskip(SKIP_3) | instid1(VALU_DEP_4)
	v_add3_u32 v14, v14, v123, v127
	v_mul_i32_i24_e32 v123, v108, v219
	v_mul_i32_i24_e32 v127, v16, v220
	;; [unrolled: 1-line block ×3, first 2 shown]
	v_add3_u32 v14, v14, v15, v117
	v_mul_i32_i24_e32 v15, v110, v184
	s_delay_alu instid0(VALU_DEP_2) | instskip(SKIP_3) | instid1(VALU_DEP_2)
	v_add3_u32 v117, v14, v123, v127
	v_mul_i32_i24_e32 v14, v109, v186
	v_mul_i32_i24_e32 v127, v112, v183
	;; [unrolled: 1-line block ×3, first 2 shown]
	v_add3_u32 v14, v128, v127, v14
	s_delay_alu instid0(VALU_DEP_1) | instskip(SKIP_3) | instid1(VALU_DEP_3)
	v_add3_u32 v123, v14, v15, v123
	v_mad_u64_u32 v[14:15], null, v117, v136, v[13:14]
	v_mul_i32_i24_e32 v15, v31, v148
	v_mul_i32_i24_e32 v31, v115, v24
	v_cvt_f32_i32_e32 v13, v14
	v_cvt_f32_i32_e32 v14, v123
	s_delay_alu instid0(VALU_DEP_1) | instskip(NEXT) | instid1(VALU_DEP_1)
	v_mul_f32_e32 v14, v137, v14
	v_fma_mix_f32 v13, v131, v13, -v14 op_sel_hi:[1,0,0]
	v_mul_i32_i24_e32 v14, v21, v145
	v_mul_i32_i24_e32 v21, v101, v168
	s_delay_alu instid0(VALU_DEP_3) | instskip(SKIP_2) | instid1(VALU_DEP_2)
	v_fmac_f32_e32 v221, v19, v13
	v_mul_i32_i24_e32 v13, v17, v144
	v_mul_i32_i24_e32 v17, v84, v149
	v_mad_i32_i24 v13, v18, v22, v13
	v_mul_i32_i24_e32 v18, v85, v146
	s_delay_alu instid0(VALU_DEP_2) | instskip(SKIP_3) | instid1(VALU_DEP_2)
	v_add3_u32 v13, v13, v14, v15
	v_mul_i32_i24_e32 v14, v82, v179
	v_mul_i32_i24_e32 v15, v83, v147
	;; [unrolled: 1-line block ×3, first 2 shown]
	v_add3_u32 v13, v13, v14, v15
	v_mul_i32_i24_e32 v14, v86, v150
	v_mul_i32_i24_e32 v15, v87, v142
	s_delay_alu instid0(VALU_DEP_4) | instskip(NEXT) | instid1(VALU_DEP_4)
	v_mad_i32_i24 v82, v113, v163, v82
	v_add3_u32 v13, v13, v17, v18
	v_mul_i32_i24_e32 v17, v88, v140
	v_mul_i32_i24_e32 v18, v89, v135
	s_delay_alu instid0(VALU_DEP_3) | instskip(SKIP_2) | instid1(VALU_DEP_3)
	v_add3_u32 v13, v13, v14, v15
	v_mul_i32_i24_e32 v14, v90, v154
	v_mul_i32_i24_e32 v15, v91, v156
	v_add3_u32 v13, v13, v17, v18
	v_mul_i32_i24_e32 v17, v92, v134
	v_mul_i32_i24_e32 v18, v93, v159
	s_delay_alu instid0(VALU_DEP_3) | instskip(SKIP_2) | instid1(VALU_DEP_3)
	v_add3_u32 v13, v13, v14, v15
	v_mul_i32_i24_e32 v14, v94, v161
	v_mul_i32_i24_e32 v15, v96, v133
	v_add3_u32 v13, v13, v17, v18
	v_mul_i32_i24_e32 v17, v97, v129
	s_delay_alu instid0(VALU_DEP_4) | instskip(SKIP_1) | instid1(VALU_DEP_4)
	v_mad_i32_i24 v14, v95, v162, v14
	v_mul_i32_i24_e32 v18, v100, v167
	v_mul_lo_u32 v13, v13, v160
	s_delay_alu instid0(VALU_DEP_3) | instskip(SKIP_2) | instid1(VALU_DEP_1)
	v_add3_u32 v14, v14, v15, v17
	v_mul_i32_i24_e32 v15, v98, v165
	v_mul_i32_i24_e32 v17, v99, v164
	v_add3_u32 v14, v14, v15, v17
	v_mul_i32_i24_e32 v15, v102, v169
	v_mul_i32_i24_e32 v17, v103, v170
	s_delay_alu instid0(VALU_DEP_3) | instskip(SKIP_2) | instid1(VALU_DEP_3)
	v_add3_u32 v14, v14, v18, v21
	v_mul_i32_i24_e32 v18, v104, v171
	v_mul_i32_i24_e32 v21, v105, v173
	v_add3_u32 v14, v14, v15, v17
	v_mul_i32_i24_e32 v15, v106, v172
	v_mul_i32_i24_e32 v17, v107, v174
	s_delay_alu instid0(VALU_DEP_3) | instskip(SKIP_2) | instid1(VALU_DEP_3)
	v_add3_u32 v14, v14, v18, v21
	v_mul_i32_i24_e32 v18, v108, v175
	v_mul_i32_i24_e32 v21, v114, v25
	v_add3_u32 v14, v14, v15, v17
	v_mul_i32_i24_e32 v15, v110, v141
	s_delay_alu instid0(VALU_DEP_3) | instskip(SKIP_1) | instid1(VALU_DEP_4)
	v_add3_u32 v21, v82, v21, v31
	v_mul_i32_i24_e32 v17, v111, v26
	v_add3_u32 v16, v14, v18, v16
	v_mul_i32_i24_e32 v14, v109, v143
	v_mul_i32_i24_e32 v18, v112, v139
	s_delay_alu instid0(VALU_DEP_1) | instskip(NEXT) | instid1(VALU_DEP_1)
	v_add3_u32 v14, v21, v18, v14
	v_add3_u32 v17, v14, v15, v17
	v_mad_u64_u32 v[14:15], null, v16, v158, v[13:14]
	s_delay_alu instid0(VALU_DEP_1) | instskip(NEXT) | instid1(VALU_DEP_3)
	v_cvt_f32_i32_e32 v13, v14
	v_cvt_f32_i32_e32 v14, v17
	s_delay_alu instid0(VALU_DEP_1) | instskip(NEXT) | instid1(VALU_DEP_1)
	v_mul_f32_e32 v14, v157, v14
	v_fma_mix_f32 v13, v126, v13, -v14 op_sel_hi:[1,0,0]
	s_delay_alu instid0(VALU_DEP_1)
	v_fmac_f32_e32 v217, v19, v13
	ds_load_b128 v[13:16], v124 offset:5120
	s_waitcnt lgkmcnt(0)
	v_bfe_i32 v17, v13, 0, 8
	v_bfe_i32 v18, v13, 8, 8
	v_bfe_i32 v19, v13, 16, 8
	v_ashrrev_i32_e32 v21, 24, v13
	v_bfe_i32 v31, v14, 0, 8
	v_bfe_i32 v82, v14, 8, 8
	v_bfe_i32 v83, v14, 16, 8
	v_ashrrev_i32_e32 v84, 24, v14
	;; [unrolled: 4-line block ×4, first 2 shown]
	ds_load_b128 v[13:16], v124 offset:5136
	v_mul_i32_i24_e32 v116, v83, v10
	v_mul_i32_i24_e32 v117, v84, v12
	s_waitcnt lgkmcnt(0)
	v_ashrrev_i32_e32 v96, 24, v13
	v_ashrrev_i32_e32 v100, 24, v14
	v_bfe_i32 v93, v13, 0, 8
	v_bfe_i32 v94, v13, 8, 8
	;; [unrolled: 1-line block ×4, first 2 shown]
	v_ashrrev_i32_e32 v104, 24, v15
	v_bfe_i32 v105, v16, 0, 8
	v_bfe_i32 v106, v16, 8, 8
	;; [unrolled: 1-line block ×3, first 2 shown]
	v_ashrrev_i32_e32 v16, 24, v16
	v_add_nc_u32_e32 v13, v100, v96
	v_bfe_i32 v98, v14, 8, 8
	v_bfe_i32 v103, v15, 16, 8
	;; [unrolled: 1-line block ×4, first 2 shown]
	v_add3_u32 v108, v13, v104, v16
	v_add_nc_u32_e32 v13, v99, v95
	v_bfe_i32 v101, v15, 0, 8
	v_mul_i32_i24_e32 v14, v19, v6
	v_mul_i32_i24_e32 v15, v21, v9
	;; [unrolled: 1-line block ×3, first 2 shown]
	v_add3_u32 v109, v13, v103, v107
	v_add_nc_u32_e32 v13, v98, v94
	s_delay_alu instid0(VALU_DEP_1) | instskip(SKIP_1) | instid1(VALU_DEP_1)
	v_add3_u32 v110, v13, v102, v106
	v_add_nc_u32_e32 v13, v97, v93
	v_add3_u32 v111, v13, v101, v105
	v_add_nc_u32_e32 v13, v84, v21
	s_delay_alu instid0(VALU_DEP_1) | instskip(SKIP_1) | instid1(VALU_DEP_1)
	v_add3_u32 v112, v13, v88, v92
	v_add_nc_u32_e32 v13, v83, v19
	v_add3_u32 v113, v13, v87, v91
	v_add_nc_u32_e32 v13, v82, v18
	s_delay_alu instid0(VALU_DEP_2) | instskip(NEXT) | instid1(VALU_DEP_2)
	v_mul_i32_i24_e32 v127, v113, v50
	v_add3_u32 v114, v13, v86, v90
	v_add_nc_u32_e32 v13, v31, v17
	s_delay_alu instid0(VALU_DEP_2) | instskip(NEXT) | instid1(VALU_DEP_2)
	v_mul_i32_i24_e32 v128, v114, v49
	v_add3_u32 v115, v13, v85, v89
	v_mul_i32_i24_e32 v13, v17, v5
	s_delay_alu instid0(VALU_DEP_2) | instskip(NEXT) | instid1(VALU_DEP_2)
	v_mul_i32_i24_e32 v152, v115, v195
	v_mad_i32_i24 v13, v18, v3, v13
	s_delay_alu instid0(VALU_DEP_2) | instskip(NEXT) | instid1(VALU_DEP_2)
	v_mad_i32_i24 v152, v112, v201, v152
	v_add3_u32 v13, v13, v14, v15
	v_mul_i32_i24_e32 v14, v31, v7
	v_mul_i32_i24_e32 v15, v82, v8
	s_delay_alu instid0(VALU_DEP_4) | instskip(SKIP_2) | instid1(VALU_DEP_4)
	v_add3_u32 v127, v152, v127, v128
	v_mul_i32_i24_e32 v152, v115, v151
	v_mul_i32_i24_e32 v128, v114, v222
	v_add3_u32 v13, v13, v14, v15
	v_mul_i32_i24_e32 v14, v85, v11
	v_mul_i32_i24_e32 v15, v86, v39
	v_mad_i32_i24 v152, v112, v155, v152
	s_delay_alu instid0(VALU_DEP_4) | instskip(SKIP_2) | instid1(VALU_DEP_3)
	v_add3_u32 v13, v13, v116, v117
	v_mul_i32_i24_e32 v116, v87, v52
	v_mul_i32_i24_e32 v117, v88, v55
	v_add3_u32 v13, v13, v14, v15
	v_mul_i32_i24_e32 v14, v89, v53
	v_mul_i32_i24_e32 v15, v90, v56
	s_delay_alu instid0(VALU_DEP_3) | instskip(SKIP_2) | instid1(VALU_DEP_3)
	v_add3_u32 v13, v13, v116, v117
	v_mul_i32_i24_e32 v116, v91, v57
	v_mul_i32_i24_e32 v117, v92, v58
	v_add3_u32 v13, v13, v14, v15
	v_mul_i32_i24_e32 v14, v93, v70
	v_mul_i32_i24_e32 v15, v95, v71
	s_delay_alu instid0(VALU_DEP_3) | instskip(SKIP_1) | instid1(VALU_DEP_4)
	v_add3_u32 v13, v13, v116, v117
	v_mul_i32_i24_e32 v116, v96, v75
	v_mad_i32_i24 v14, v94, v62, v14
	v_mul_i32_i24_e32 v117, v99, v76
	s_delay_alu instid0(VALU_DEP_4) | instskip(NEXT) | instid1(VALU_DEP_3)
	v_mul_lo_u32 v13, v13, v61
	v_add3_u32 v14, v14, v15, v116
	v_mul_i32_i24_e32 v15, v97, v72
	v_mul_i32_i24_e32 v116, v98, v73
	s_delay_alu instid0(VALU_DEP_1) | instskip(SKIP_2) | instid1(VALU_DEP_3)
	v_add3_u32 v14, v14, v15, v116
	v_mul_i32_i24_e32 v15, v101, v78
	v_mul_i32_i24_e32 v116, v102, v80
	v_add3_u32 v14, v14, v117, v123
	v_mul_i32_i24_e32 v117, v103, v81
	v_mul_i32_i24_e32 v123, v104, v119
	s_delay_alu instid0(VALU_DEP_3) | instskip(SKIP_2) | instid1(VALU_DEP_3)
	v_add3_u32 v14, v14, v15, v116
	v_mul_i32_i24_e32 v15, v105, v118
	v_mul_i32_i24_e32 v116, v106, v120
	v_add3_u32 v14, v14, v117, v123
	v_mul_i32_i24_e32 v117, v107, v121
	v_mul_i32_i24_e32 v123, v16, v122
	s_delay_alu instid0(VALU_DEP_3) | instskip(SKIP_1) | instid1(VALU_DEP_2)
	v_add3_u32 v14, v14, v15, v116
	v_mul_i32_i24_e32 v15, v109, v2
	v_add3_u32 v116, v14, v117, v123
	v_mul_i32_i24_e32 v14, v108, v4
	v_mul_i32_i24_e32 v123, v111, v0
	;; [unrolled: 1-line block ×3, first 2 shown]
	s_delay_alu instid0(VALU_DEP_2) | instskip(SKIP_2) | instid1(VALU_DEP_3)
	v_add3_u32 v14, v127, v123, v14
	v_mul_i32_i24_e32 v123, v100, v247
	v_mul_i32_i24_e32 v127, v113, v223
	v_add3_u32 v117, v14, v15, v117
	v_mad_u64_u32 v[14:15], null, v116, v30, v[13:14]
	v_mul_i32_i24_e32 v15, v21, v228
	v_mul_i32_i24_e32 v116, v83, v229
	v_add3_u32 v127, v152, v127, v128
	v_mul_i32_i24_e32 v152, v115, v132
	v_mul_i32_i24_e32 v128, v114, v23
	v_cvt_f32_i32_e32 v13, v14
	v_cvt_f32_i32_e32 v14, v117
	v_mul_i32_i24_e32 v117, v84, v231
	v_mad_i32_i24 v152, v112, v166, v152
	s_delay_alu instid0(VALU_DEP_3) | instskip(NEXT) | instid1(VALU_DEP_1)
	v_mul_f32_e32 v14, v42, v14
	v_fma_mix_f32 v13, v182, v13, -v14 op_sel_hi:[1,0,0]
	v_mul_i32_i24_e32 v14, v19, v225
	s_delay_alu instid0(VALU_DEP_2) | instskip(SKIP_1) | instid1(VALU_DEP_1)
	v_fmac_f32_e32 v205, v20, v13
	v_mul_i32_i24_e32 v13, v17, v224
	v_mad_i32_i24 v13, v18, v47, v13
	s_delay_alu instid0(VALU_DEP_1) | instskip(SKIP_2) | instid1(VALU_DEP_1)
	v_add3_u32 v13, v13, v14, v15
	v_mul_i32_i24_e32 v14, v31, v226
	v_mul_i32_i24_e32 v15, v82, v227
	v_add3_u32 v13, v13, v14, v15
	v_mul_i32_i24_e32 v14, v85, v230
	v_mul_i32_i24_e32 v15, v86, v232
	s_delay_alu instid0(VALU_DEP_3) | instskip(SKIP_2) | instid1(VALU_DEP_3)
	v_add3_u32 v13, v13, v116, v117
	v_mul_i32_i24_e32 v116, v87, v233
	v_mul_i32_i24_e32 v117, v88, v67
	v_add3_u32 v13, v13, v14, v15
	v_mul_i32_i24_e32 v14, v89, v234
	v_mul_i32_i24_e32 v15, v90, v235
	s_delay_alu instid0(VALU_DEP_3) | instskip(SKIP_2) | instid1(VALU_DEP_3)
	v_add3_u32 v13, v13, v116, v117
	v_mul_i32_i24_e32 v116, v91, v236
	v_mul_i32_i24_e32 v117, v92, v237
	v_add3_u32 v13, v13, v14, v15
	v_mul_i32_i24_e32 v14, v93, v69
	v_mul_i32_i24_e32 v15, v95, v241
	s_delay_alu instid0(VALU_DEP_3) | instskip(SKIP_1) | instid1(VALU_DEP_4)
	v_add3_u32 v13, v13, v116, v117
	v_mul_i32_i24_e32 v116, v96, v244
	v_mad_i32_i24 v14, v94, v240, v14
	v_mul_i32_i24_e32 v117, v99, v245
	s_delay_alu instid0(VALU_DEP_4) | instskip(NEXT) | instid1(VALU_DEP_3)
	v_mul_lo_u32 v13, v13, v239
	v_add3_u32 v14, v14, v15, v116
	v_mul_i32_i24_e32 v15, v97, v242
	v_mul_i32_i24_e32 v116, v98, v243
	s_delay_alu instid0(VALU_DEP_1) | instskip(SKIP_2) | instid1(VALU_DEP_3)
	v_add3_u32 v14, v14, v15, v116
	v_mul_i32_i24_e32 v15, v101, v246
	v_mul_i32_i24_e32 v116, v102, v248
	v_add3_u32 v14, v14, v117, v123
	v_mul_i32_i24_e32 v117, v103, v249
	v_mul_i32_i24_e32 v123, v104, v252
	s_delay_alu instid0(VALU_DEP_3) | instskip(SKIP_2) | instid1(VALU_DEP_3)
	v_add3_u32 v14, v14, v15, v116
	v_mul_i32_i24_e32 v15, v105, v250
	v_mul_i32_i24_e32 v116, v106, v74
	v_add3_u32 v14, v14, v117, v123
	v_mul_i32_i24_e32 v117, v107, v253
	v_mul_i32_i24_e32 v123, v16, v254
	s_delay_alu instid0(VALU_DEP_3) | instskip(SKIP_1) | instid1(VALU_DEP_2)
	v_add3_u32 v14, v14, v15, v116
	v_mul_i32_i24_e32 v15, v109, v45
	v_add3_u32 v116, v14, v117, v123
	v_mul_i32_i24_e32 v14, v108, v48
	v_mul_i32_i24_e32 v123, v111, v43
	;; [unrolled: 1-line block ×3, first 2 shown]
	s_delay_alu instid0(VALU_DEP_2) | instskip(SKIP_2) | instid1(VALU_DEP_3)
	v_add3_u32 v14, v127, v123, v14
	v_mul_i32_i24_e32 v123, v100, v213
	v_mul_i32_i24_e32 v127, v113, v178
	v_add3_u32 v117, v14, v15, v117
	v_mad_u64_u32 v[14:15], null, v116, v27, v[13:14]
	v_mul_i32_i24_e32 v15, v21, v191
	v_mul_i32_i24_e32 v116, v83, v192
	v_add3_u32 v127, v152, v127, v128
	s_delay_alu instid0(VALU_DEP_4) | instskip(SKIP_2) | instid1(VALU_DEP_2)
	v_cvt_f32_i32_e32 v13, v14
	v_cvt_f32_i32_e32 v14, v117
	v_mul_i32_i24_e32 v117, v84, v33
	v_mul_f32_e32 v14, v180, v14
	s_delay_alu instid0(VALU_DEP_1) | instskip(SKIP_1) | instid1(VALU_DEP_2)
	v_fma_mix_f32 v13, v138, v13, -v14 op_sel_hi:[1,0,0]
	v_mul_i32_i24_e32 v14, v19, v188
	v_fmac_f32_e32 v34, v20, v13
	v_mul_i32_i24_e32 v13, v17, v187
	s_delay_alu instid0(VALU_DEP_1) | instskip(NEXT) | instid1(VALU_DEP_1)
	v_mad_i32_i24 v13, v18, v32, v13
	v_add3_u32 v13, v13, v14, v15
	v_mul_i32_i24_e32 v14, v31, v189
	v_mul_i32_i24_e32 v15, v82, v190
	s_delay_alu instid0(VALU_DEP_1) | instskip(SKIP_2) | instid1(VALU_DEP_3)
	v_add3_u32 v13, v13, v14, v15
	v_mul_i32_i24_e32 v14, v85, v193
	v_mul_i32_i24_e32 v15, v86, v196
	v_add3_u32 v13, v13, v116, v117
	v_mul_i32_i24_e32 v116, v87, v197
	v_mul_i32_i24_e32 v117, v88, v199
	s_delay_alu instid0(VALU_DEP_3) | instskip(SKIP_2) | instid1(VALU_DEP_3)
	v_add3_u32 v13, v13, v14, v15
	v_mul_i32_i24_e32 v14, v89, v198
	v_mul_i32_i24_e32 v15, v90, v200
	v_add3_u32 v13, v13, v116, v117
	v_mul_i32_i24_e32 v116, v91, v202
	v_mul_i32_i24_e32 v117, v92, v203
	s_delay_alu instid0(VALU_DEP_3) | instskip(SKIP_2) | instid1(VALU_DEP_3)
	v_add3_u32 v13, v13, v14, v15
	v_mul_i32_i24_e32 v14, v93, v206
	v_mul_i32_i24_e32 v15, v95, v207
	v_add3_u32 v13, v13, v116, v117
	v_mul_i32_i24_e32 v116, v96, v210
	s_delay_alu instid0(VALU_DEP_4) | instskip(SKIP_1) | instid1(VALU_DEP_4)
	v_mad_i32_i24 v14, v94, v36, v14
	v_mul_i32_i24_e32 v117, v99, v211
	v_mul_lo_u32 v13, v13, v35
	s_delay_alu instid0(VALU_DEP_3) | instskip(SKIP_2) | instid1(VALU_DEP_1)
	v_add3_u32 v14, v14, v15, v116
	v_mul_i32_i24_e32 v15, v97, v208
	v_mul_i32_i24_e32 v116, v98, v209
	v_add3_u32 v14, v14, v15, v116
	v_mul_i32_i24_e32 v15, v101, v212
	v_mul_i32_i24_e32 v116, v102, v214
	s_delay_alu instid0(VALU_DEP_3) | instskip(SKIP_2) | instid1(VALU_DEP_3)
	v_add3_u32 v14, v14, v117, v123
	v_mul_i32_i24_e32 v117, v103, v215
	v_mul_i32_i24_e32 v123, v104, v37
	v_add3_u32 v14, v14, v15, v116
	v_mul_i32_i24_e32 v15, v105, v216
	v_mul_i32_i24_e32 v116, v106, v218
	s_delay_alu instid0(VALU_DEP_3) | instskip(SKIP_3) | instid1(VALU_DEP_4)
	v_add3_u32 v14, v14, v117, v123
	v_mul_i32_i24_e32 v117, v107, v219
	v_mul_i32_i24_e32 v123, v16, v220
	;; [unrolled: 1-line block ×3, first 2 shown]
	v_add3_u32 v14, v14, v15, v116
	v_mul_i32_i24_e32 v15, v109, v184
	s_delay_alu instid0(VALU_DEP_2) | instskip(SKIP_3) | instid1(VALU_DEP_2)
	v_add3_u32 v116, v14, v117, v123
	v_mul_i32_i24_e32 v14, v108, v186
	v_mul_i32_i24_e32 v123, v111, v183
	;; [unrolled: 1-line block ×3, first 2 shown]
	v_add3_u32 v14, v127, v123, v14
	s_delay_alu instid0(VALU_DEP_1) | instskip(SKIP_3) | instid1(VALU_DEP_3)
	v_add3_u32 v117, v14, v15, v117
	v_mad_u64_u32 v[14:15], null, v116, v136, v[13:14]
	v_mul_i32_i24_e32 v15, v21, v148
	v_mul_i32_i24_e32 v21, v114, v24
	v_cvt_f32_i32_e32 v13, v14
	v_cvt_f32_i32_e32 v14, v117
	s_delay_alu instid0(VALU_DEP_1) | instskip(NEXT) | instid1(VALU_DEP_1)
	v_mul_f32_e32 v14, v137, v14
	v_fma_mix_f32 v13, v131, v13, -v14 op_sel_hi:[1,0,0]
	v_mul_i32_i24_e32 v14, v19, v145
	v_mul_i32_i24_e32 v19, v100, v168
	s_delay_alu instid0(VALU_DEP_3) | instskip(SKIP_2) | instid1(VALU_DEP_2)
	v_fmac_f32_e32 v194, v20, v13
	v_mul_i32_i24_e32 v13, v17, v144
	v_mul_i32_i24_e32 v17, v83, v149
	v_mad_i32_i24 v13, v18, v22, v13
	v_mul_i32_i24_e32 v18, v84, v146
	s_delay_alu instid0(VALU_DEP_2) | instskip(SKIP_3) | instid1(VALU_DEP_2)
	v_add3_u32 v13, v13, v14, v15
	v_mul_i32_i24_e32 v14, v31, v179
	v_mul_i32_i24_e32 v15, v82, v147
	;; [unrolled: 1-line block ×3, first 2 shown]
	v_add3_u32 v13, v13, v14, v15
	v_mul_i32_i24_e32 v14, v85, v150
	v_mul_i32_i24_e32 v15, v86, v142
	s_delay_alu instid0(VALU_DEP_4) | instskip(NEXT) | instid1(VALU_DEP_4)
	v_mad_i32_i24 v31, v112, v163, v31
	v_add3_u32 v13, v13, v17, v18
	v_mul_i32_i24_e32 v17, v87, v140
	v_mul_i32_i24_e32 v18, v88, v135
	s_delay_alu instid0(VALU_DEP_3) | instskip(SKIP_2) | instid1(VALU_DEP_3)
	v_add3_u32 v13, v13, v14, v15
	v_mul_i32_i24_e32 v14, v89, v154
	v_mul_i32_i24_e32 v15, v90, v156
	v_add3_u32 v13, v13, v17, v18
	v_mul_i32_i24_e32 v17, v91, v134
	v_mul_i32_i24_e32 v18, v92, v159
	s_delay_alu instid0(VALU_DEP_3) | instskip(SKIP_2) | instid1(VALU_DEP_3)
	v_add3_u32 v13, v13, v14, v15
	v_mul_i32_i24_e32 v14, v93, v161
	v_mul_i32_i24_e32 v15, v95, v133
	v_add3_u32 v13, v13, v17, v18
	v_mul_i32_i24_e32 v17, v96, v129
	s_delay_alu instid0(VALU_DEP_4) | instskip(SKIP_1) | instid1(VALU_DEP_4)
	v_mad_i32_i24 v14, v94, v162, v14
	v_mul_i32_i24_e32 v18, v99, v167
	v_mul_lo_u32 v13, v13, v160
	s_delay_alu instid0(VALU_DEP_3) | instskip(SKIP_2) | instid1(VALU_DEP_1)
	v_add3_u32 v14, v14, v15, v17
	v_mul_i32_i24_e32 v15, v97, v165
	v_mul_i32_i24_e32 v17, v98, v164
	v_add3_u32 v14, v14, v15, v17
	v_mul_i32_i24_e32 v15, v101, v169
	v_mul_i32_i24_e32 v17, v102, v170
	s_delay_alu instid0(VALU_DEP_3) | instskip(SKIP_2) | instid1(VALU_DEP_3)
	v_add3_u32 v14, v14, v18, v19
	v_mul_i32_i24_e32 v18, v103, v171
	v_mul_i32_i24_e32 v19, v104, v173
	v_add3_u32 v14, v14, v15, v17
	v_mul_i32_i24_e32 v15, v105, v172
	v_mul_i32_i24_e32 v17, v106, v174
	s_delay_alu instid0(VALU_DEP_3) | instskip(SKIP_2) | instid1(VALU_DEP_3)
	v_add3_u32 v14, v14, v18, v19
	v_mul_i32_i24_e32 v18, v107, v175
	v_mul_i32_i24_e32 v19, v113, v25
	v_add3_u32 v14, v14, v15, v17
	v_mul_i32_i24_e32 v15, v109, v141
	s_delay_alu instid0(VALU_DEP_3) | instskip(SKIP_1) | instid1(VALU_DEP_4)
	v_add3_u32 v19, v31, v19, v21
	v_mul_i32_i24_e32 v17, v110, v26
	v_add3_u32 v16, v14, v18, v16
	v_mul_i32_i24_e32 v14, v108, v143
	v_mul_i32_i24_e32 v18, v111, v139
	s_delay_alu instid0(VALU_DEP_1) | instskip(NEXT) | instid1(VALU_DEP_1)
	v_add3_u32 v14, v19, v18, v14
	v_add3_u32 v17, v14, v15, v17
	v_mad_u64_u32 v[14:15], null, v16, v158, v[13:14]
	s_delay_alu instid0(VALU_DEP_1) | instskip(NEXT) | instid1(VALU_DEP_3)
	v_cvt_f32_i32_e32 v13, v14
	v_cvt_f32_i32_e32 v14, v17
	s_delay_alu instid0(VALU_DEP_1) | instskip(NEXT) | instid1(VALU_DEP_1)
	v_mul_f32_e32 v14, v157, v14
	v_fma_mix_f32 v13, v126, v13, -v14 op_sel_hi:[1,0,0]
	s_delay_alu instid0(VALU_DEP_1)
	v_fmac_f32_e32 v185, v20, v13
	ds_load_2addr_b32 v[19:20], v125 offset0:192 offset1:224
	ds_load_b128 v[13:16], v124 offset:6144
	v_add_nc_u32_e32 v125, 4, v125
	s_waitcnt lgkmcnt(0)
	v_bfe_i32 v17, v13, 0, 8
	v_bfe_i32 v18, v13, 8, 8
	v_bfe_i32 v21, v13, 16, 8
	v_ashrrev_i32_e32 v31, 24, v13
	v_bfe_i32 v82, v14, 0, 8
	v_bfe_i32 v83, v14, 8, 8
	v_bfe_i32 v84, v14, 16, 8
	v_ashrrev_i32_e32 v85, 24, v14
	;; [unrolled: 4-line block ×4, first 2 shown]
	ds_load_b128 v[13:16], v124 offset:6160
	v_mul_i32_i24_e32 v117, v84, v10
	v_mul_i32_i24_e32 v123, v85, v12
	s_waitcnt lgkmcnt(0)
	v_ashrrev_i32_e32 v97, 24, v13
	v_ashrrev_i32_e32 v101, 24, v14
	v_bfe_i32 v94, v13, 0, 8
	v_bfe_i32 v95, v13, 8, 8
	;; [unrolled: 1-line block ×4, first 2 shown]
	v_ashrrev_i32_e32 v105, 24, v15
	v_bfe_i32 v106, v16, 0, 8
	v_bfe_i32 v107, v16, 8, 8
	;; [unrolled: 1-line block ×3, first 2 shown]
	v_ashrrev_i32_e32 v16, 24, v16
	v_add_nc_u32_e32 v13, v101, v97
	v_bfe_i32 v99, v14, 8, 8
	v_bfe_i32 v104, v15, 16, 8
	;; [unrolled: 1-line block ×4, first 2 shown]
	v_add3_u32 v109, v13, v105, v16
	v_add_nc_u32_e32 v13, v100, v96
	v_bfe_i32 v102, v15, 0, 8
	v_mul_i32_i24_e32 v14, v21, v6
	v_mul_i32_i24_e32 v15, v31, v9
	v_mul_i32_i24_e32 v127, v101, v79
	v_add3_u32 v110, v13, v104, v108
	v_add_nc_u32_e32 v13, v99, v95
	s_delay_alu instid0(VALU_DEP_1) | instskip(SKIP_1) | instid1(VALU_DEP_1)
	v_add3_u32 v111, v13, v103, v107
	v_add_nc_u32_e32 v13, v98, v94
	v_add3_u32 v112, v13, v102, v106
	v_add_nc_u32_e32 v13, v85, v31
	s_delay_alu instid0(VALU_DEP_1) | instskip(SKIP_1) | instid1(VALU_DEP_1)
	v_add3_u32 v113, v13, v89, v93
	v_add_nc_u32_e32 v13, v84, v21
	v_add3_u32 v114, v13, v88, v92
	v_add_nc_u32_e32 v13, v83, v18
	s_delay_alu instid0(VALU_DEP_2) | instskip(NEXT) | instid1(VALU_DEP_2)
	v_mul_i32_i24_e32 v128, v114, v50
	v_add3_u32 v115, v13, v87, v91
	v_add_nc_u32_e32 v13, v82, v17
	s_delay_alu instid0(VALU_DEP_2) | instskip(NEXT) | instid1(VALU_DEP_2)
	v_mul_i32_i24_e32 v152, v115, v49
	v_add3_u32 v116, v13, v86, v90
	v_mul_i32_i24_e32 v13, v17, v5
	s_delay_alu instid0(VALU_DEP_2) | instskip(NEXT) | instid1(VALU_DEP_2)
	v_mul_i32_i24_e32 v153, v116, v195
	v_mad_i32_i24 v13, v18, v3, v13
	s_delay_alu instid0(VALU_DEP_2) | instskip(NEXT) | instid1(VALU_DEP_2)
	v_mad_i32_i24 v153, v113, v201, v153
	v_add3_u32 v13, v13, v14, v15
	v_mul_i32_i24_e32 v14, v82, v7
	v_mul_i32_i24_e32 v15, v83, v8
	s_delay_alu instid0(VALU_DEP_4) | instskip(SKIP_2) | instid1(VALU_DEP_4)
	v_add3_u32 v128, v153, v128, v152
	v_mul_i32_i24_e32 v153, v116, v151
	v_mul_i32_i24_e32 v152, v115, v222
	v_add3_u32 v13, v13, v14, v15
	v_mul_i32_i24_e32 v14, v86, v11
	v_mul_i32_i24_e32 v15, v87, v39
	v_mad_i32_i24 v153, v113, v155, v153
	s_delay_alu instid0(VALU_DEP_4) | instskip(SKIP_2) | instid1(VALU_DEP_3)
	v_add3_u32 v13, v13, v117, v123
	v_mul_i32_i24_e32 v117, v88, v52
	v_mul_i32_i24_e32 v123, v89, v55
	v_add3_u32 v13, v13, v14, v15
	v_mul_i32_i24_e32 v14, v90, v53
	v_mul_i32_i24_e32 v15, v91, v56
	s_delay_alu instid0(VALU_DEP_3) | instskip(SKIP_2) | instid1(VALU_DEP_3)
	v_add3_u32 v13, v13, v117, v123
	v_mul_i32_i24_e32 v117, v92, v57
	v_mul_i32_i24_e32 v123, v93, v58
	v_add3_u32 v13, v13, v14, v15
	v_mul_i32_i24_e32 v14, v94, v70
	v_mul_i32_i24_e32 v15, v96, v71
	s_delay_alu instid0(VALU_DEP_3) | instskip(SKIP_1) | instid1(VALU_DEP_4)
	v_add3_u32 v13, v13, v117, v123
	v_mul_i32_i24_e32 v117, v97, v75
	v_mad_i32_i24 v14, v95, v62, v14
	v_mul_i32_i24_e32 v123, v100, v76
	s_delay_alu instid0(VALU_DEP_4) | instskip(NEXT) | instid1(VALU_DEP_3)
	v_mul_lo_u32 v13, v13, v61
	v_add3_u32 v14, v14, v15, v117
	v_mul_i32_i24_e32 v15, v98, v72
	v_mul_i32_i24_e32 v117, v99, v73
	s_delay_alu instid0(VALU_DEP_1) | instskip(SKIP_2) | instid1(VALU_DEP_3)
	v_add3_u32 v14, v14, v15, v117
	v_mul_i32_i24_e32 v15, v102, v78
	v_mul_i32_i24_e32 v117, v103, v80
	v_add3_u32 v14, v14, v123, v127
	v_mul_i32_i24_e32 v123, v104, v81
	v_mul_i32_i24_e32 v127, v105, v119
	s_delay_alu instid0(VALU_DEP_3) | instskip(SKIP_2) | instid1(VALU_DEP_3)
	v_add3_u32 v14, v14, v15, v117
	v_mul_i32_i24_e32 v15, v106, v118
	v_mul_i32_i24_e32 v117, v107, v120
	v_add3_u32 v14, v14, v123, v127
	v_mul_i32_i24_e32 v123, v108, v121
	v_mul_i32_i24_e32 v127, v16, v122
	s_delay_alu instid0(VALU_DEP_3) | instskip(SKIP_1) | instid1(VALU_DEP_2)
	v_add3_u32 v14, v14, v15, v117
	v_mul_i32_i24_e32 v15, v110, v2
	v_add3_u32 v117, v14, v123, v127
	v_mul_i32_i24_e32 v14, v109, v4
	v_mul_i32_i24_e32 v127, v112, v0
	v_mul_i32_i24_e32 v123, v111, v1
	s_delay_alu instid0(VALU_DEP_2) | instskip(SKIP_2) | instid1(VALU_DEP_3)
	v_add3_u32 v14, v128, v127, v14
	v_mul_i32_i24_e32 v127, v101, v247
	v_mul_i32_i24_e32 v128, v114, v223
	v_add3_u32 v123, v14, v15, v123
	v_mad_u64_u32 v[14:15], null, v117, v30, v[13:14]
	v_mul_i32_i24_e32 v15, v31, v228
	v_mul_i32_i24_e32 v117, v84, v229
	v_add3_u32 v128, v153, v128, v152
	v_mul_i32_i24_e32 v153, v116, v132
	v_mul_i32_i24_e32 v152, v115, v23
	v_cvt_f32_i32_e32 v13, v14
	v_cvt_f32_i32_e32 v14, v123
	v_mul_i32_i24_e32 v123, v85, v231
	v_mad_i32_i24 v153, v113, v166, v153
	s_delay_alu instid0(VALU_DEP_3) | instskip(NEXT) | instid1(VALU_DEP_1)
	v_mul_f32_e32 v14, v42, v14
	v_fma_mix_f32 v13, v182, v13, -v14 op_sel_hi:[1,0,0]
	v_mul_i32_i24_e32 v14, v21, v225
	s_delay_alu instid0(VALU_DEP_2) | instskip(SKIP_1) | instid1(VALU_DEP_1)
	v_fmac_f32_e32 v28, v19, v13
	v_mul_i32_i24_e32 v13, v17, v224
	v_mad_i32_i24 v13, v18, v47, v13
	s_delay_alu instid0(VALU_DEP_1) | instskip(SKIP_2) | instid1(VALU_DEP_1)
	v_add3_u32 v13, v13, v14, v15
	v_mul_i32_i24_e32 v14, v82, v226
	v_mul_i32_i24_e32 v15, v83, v227
	v_add3_u32 v13, v13, v14, v15
	v_mul_i32_i24_e32 v14, v86, v230
	v_mul_i32_i24_e32 v15, v87, v232
	s_delay_alu instid0(VALU_DEP_3) | instskip(SKIP_2) | instid1(VALU_DEP_3)
	v_add3_u32 v13, v13, v117, v123
	v_mul_i32_i24_e32 v117, v88, v233
	v_mul_i32_i24_e32 v123, v89, v67
	v_add3_u32 v13, v13, v14, v15
	v_mul_i32_i24_e32 v14, v90, v234
	v_mul_i32_i24_e32 v15, v91, v235
	s_delay_alu instid0(VALU_DEP_3) | instskip(SKIP_2) | instid1(VALU_DEP_3)
	v_add3_u32 v13, v13, v117, v123
	v_mul_i32_i24_e32 v117, v92, v236
	v_mul_i32_i24_e32 v123, v93, v237
	v_add3_u32 v13, v13, v14, v15
	v_mul_i32_i24_e32 v14, v94, v69
	v_mul_i32_i24_e32 v15, v96, v241
	s_delay_alu instid0(VALU_DEP_3) | instskip(SKIP_1) | instid1(VALU_DEP_4)
	v_add3_u32 v13, v13, v117, v123
	v_mul_i32_i24_e32 v117, v97, v244
	v_mad_i32_i24 v14, v95, v240, v14
	v_mul_i32_i24_e32 v123, v100, v245
	s_delay_alu instid0(VALU_DEP_4) | instskip(NEXT) | instid1(VALU_DEP_3)
	v_mul_lo_u32 v13, v13, v239
	v_add3_u32 v14, v14, v15, v117
	v_mul_i32_i24_e32 v15, v98, v242
	v_mul_i32_i24_e32 v117, v99, v243
	s_delay_alu instid0(VALU_DEP_1) | instskip(SKIP_2) | instid1(VALU_DEP_3)
	v_add3_u32 v14, v14, v15, v117
	v_mul_i32_i24_e32 v15, v102, v246
	v_mul_i32_i24_e32 v117, v103, v248
	v_add3_u32 v14, v14, v123, v127
	v_mul_i32_i24_e32 v123, v104, v249
	v_mul_i32_i24_e32 v127, v105, v252
	s_delay_alu instid0(VALU_DEP_3) | instskip(SKIP_2) | instid1(VALU_DEP_3)
	v_add3_u32 v14, v14, v15, v117
	v_mul_i32_i24_e32 v15, v106, v250
	v_mul_i32_i24_e32 v117, v107, v74
	v_add3_u32 v14, v14, v123, v127
	v_mul_i32_i24_e32 v123, v108, v253
	v_mul_i32_i24_e32 v127, v16, v254
	s_delay_alu instid0(VALU_DEP_3) | instskip(SKIP_1) | instid1(VALU_DEP_2)
	v_add3_u32 v14, v14, v15, v117
	v_mul_i32_i24_e32 v15, v110, v45
	v_add3_u32 v117, v14, v123, v127
	v_mul_i32_i24_e32 v14, v109, v48
	v_mul_i32_i24_e32 v127, v112, v43
	;; [unrolled: 1-line block ×3, first 2 shown]
	s_delay_alu instid0(VALU_DEP_2) | instskip(SKIP_2) | instid1(VALU_DEP_3)
	v_add3_u32 v14, v128, v127, v14
	v_mul_i32_i24_e32 v127, v101, v213
	v_mul_i32_i24_e32 v128, v114, v178
	v_add3_u32 v123, v14, v15, v123
	v_mad_u64_u32 v[14:15], null, v117, v27, v[13:14]
	v_mul_i32_i24_e32 v15, v31, v191
	v_mul_i32_i24_e32 v117, v84, v192
	v_add3_u32 v128, v153, v128, v152
	scratch_load_b32 v152, off, off offset:52 ; 4-byte Folded Reload
	v_cvt_f32_i32_e32 v13, v14
	v_cvt_f32_i32_e32 v14, v123
	v_mul_i32_i24_e32 v123, v85, v33
	s_delay_alu instid0(VALU_DEP_2) | instskip(NEXT) | instid1(VALU_DEP_1)
	v_mul_f32_e32 v14, v180, v14
	v_fma_mix_f32 v13, v138, v13, -v14 op_sel_hi:[1,0,0]
	v_mul_i32_i24_e32 v14, v21, v188
	s_delay_alu instid0(VALU_DEP_2) | instskip(SKIP_1) | instid1(VALU_DEP_1)
	v_fmac_f32_e32 v181, v19, v13
	v_mul_i32_i24_e32 v13, v17, v187
	v_mad_i32_i24 v13, v18, v32, v13
	s_delay_alu instid0(VALU_DEP_1) | instskip(SKIP_2) | instid1(VALU_DEP_1)
	v_add3_u32 v13, v13, v14, v15
	v_mul_i32_i24_e32 v14, v82, v189
	v_mul_i32_i24_e32 v15, v83, v190
	v_add3_u32 v13, v13, v14, v15
	v_mul_i32_i24_e32 v14, v86, v193
	v_mul_i32_i24_e32 v15, v87, v196
	s_delay_alu instid0(VALU_DEP_3) | instskip(SKIP_2) | instid1(VALU_DEP_3)
	v_add3_u32 v13, v13, v117, v123
	v_mul_i32_i24_e32 v117, v88, v197
	v_mul_i32_i24_e32 v123, v89, v199
	v_add3_u32 v13, v13, v14, v15
	v_mul_i32_i24_e32 v14, v90, v198
	v_mul_i32_i24_e32 v15, v91, v200
	s_delay_alu instid0(VALU_DEP_3) | instskip(SKIP_2) | instid1(VALU_DEP_3)
	v_add3_u32 v13, v13, v117, v123
	v_mul_i32_i24_e32 v117, v92, v202
	v_mul_i32_i24_e32 v123, v93, v203
	v_add3_u32 v13, v13, v14, v15
	v_mul_i32_i24_e32 v14, v94, v206
	v_mul_i32_i24_e32 v15, v96, v207
	s_delay_alu instid0(VALU_DEP_3) | instskip(SKIP_1) | instid1(VALU_DEP_4)
	v_add3_u32 v13, v13, v117, v123
	v_mul_i32_i24_e32 v117, v97, v210
	v_mad_i32_i24 v14, v95, v36, v14
	v_mul_i32_i24_e32 v123, v100, v211
	s_delay_alu instid0(VALU_DEP_4) | instskip(NEXT) | instid1(VALU_DEP_3)
	v_mul_lo_u32 v13, v13, v35
	v_add3_u32 v14, v14, v15, v117
	v_mul_i32_i24_e32 v15, v98, v208
	v_mul_i32_i24_e32 v117, v99, v209
	s_delay_alu instid0(VALU_DEP_1) | instskip(SKIP_2) | instid1(VALU_DEP_3)
	v_add3_u32 v14, v14, v15, v117
	v_mul_i32_i24_e32 v15, v102, v212
	v_mul_i32_i24_e32 v117, v103, v214
	v_add3_u32 v14, v14, v123, v127
	v_mul_i32_i24_e32 v123, v104, v215
	v_mul_i32_i24_e32 v127, v105, v37
	s_delay_alu instid0(VALU_DEP_3) | instskip(SKIP_2) | instid1(VALU_DEP_3)
	v_add3_u32 v14, v14, v15, v117
	v_mul_i32_i24_e32 v15, v106, v216
	v_mul_i32_i24_e32 v117, v107, v218
	v_add3_u32 v14, v14, v123, v127
	v_mul_i32_i24_e32 v123, v108, v219
	v_mul_i32_i24_e32 v127, v16, v220
	;; [unrolled: 1-line block ×3, first 2 shown]
	s_delay_alu instid0(VALU_DEP_4) | instskip(SKIP_1) | instid1(VALU_DEP_2)
	v_add3_u32 v14, v14, v15, v117
	v_mul_i32_i24_e32 v15, v110, v184
	v_add3_u32 v117, v14, v123, v127
	v_mul_i32_i24_e32 v14, v109, v186
	v_mul_i32_i24_e32 v127, v112, v183
	;; [unrolled: 1-line block ×3, first 2 shown]
	s_delay_alu instid0(VALU_DEP_2)
	v_add3_u32 v14, v128, v127, v14
	scratch_load_b32 v127, off, off offset:16 ; 4-byte Folded Reload
	v_add3_u32 v123, v14, v15, v123
	v_mad_u64_u32 v[14:15], null, v117, v136, v[13:14]
	v_mul_i32_i24_e32 v15, v31, v148
	v_mul_i32_i24_e32 v31, v115, v24
	s_delay_alu instid0(VALU_DEP_3) | instskip(SKIP_1) | instid1(VALU_DEP_1)
	v_cvt_f32_i32_e32 v13, v14
	v_cvt_f32_i32_e32 v14, v123
	v_mul_f32_e32 v14, v137, v14
	s_delay_alu instid0(VALU_DEP_1) | instskip(SKIP_3) | instid1(VALU_DEP_3)
	v_fma_mix_f32 v13, v131, v13, -v14 op_sel_hi:[1,0,0]
	v_mul_i32_i24_e32 v14, v21, v145
	v_mul_i32_i24_e32 v21, v101, v168
	s_waitcnt vmcnt(0)
	v_fmac_f32_e32 v127, v19, v13
	v_mul_i32_i24_e32 v13, v17, v144
	v_mul_i32_i24_e32 v17, v84, v149
	s_delay_alu instid0(VALU_DEP_2) | instskip(SKIP_1) | instid1(VALU_DEP_2)
	v_mad_i32_i24 v13, v18, v22, v13
	v_mul_i32_i24_e32 v18, v85, v146
	v_add3_u32 v13, v13, v14, v15
	v_mul_i32_i24_e32 v14, v82, v179
	v_mul_i32_i24_e32 v15, v83, v147
	;; [unrolled: 1-line block ×3, first 2 shown]
	s_delay_alu instid0(VALU_DEP_2) | instskip(SKIP_2) | instid1(VALU_DEP_4)
	v_add3_u32 v13, v13, v14, v15
	v_mul_i32_i24_e32 v14, v86, v150
	v_mul_i32_i24_e32 v15, v87, v142
	v_mad_i32_i24 v82, v113, v163, v82
	s_delay_alu instid0(VALU_DEP_4) | instskip(SKIP_2) | instid1(VALU_DEP_3)
	v_add3_u32 v13, v13, v17, v18
	v_mul_i32_i24_e32 v17, v88, v140
	v_mul_i32_i24_e32 v18, v89, v135
	v_add3_u32 v13, v13, v14, v15
	v_mul_i32_i24_e32 v14, v90, v154
	v_mul_i32_i24_e32 v15, v91, v156
	s_delay_alu instid0(VALU_DEP_3) | instskip(SKIP_2) | instid1(VALU_DEP_3)
	v_add3_u32 v13, v13, v17, v18
	v_mul_i32_i24_e32 v17, v92, v134
	v_mul_i32_i24_e32 v18, v93, v159
	v_add3_u32 v13, v13, v14, v15
	v_mul_i32_i24_e32 v14, v94, v161
	v_mul_i32_i24_e32 v15, v96, v133
	s_delay_alu instid0(VALU_DEP_3) | instskip(SKIP_1) | instid1(VALU_DEP_4)
	v_add3_u32 v13, v13, v17, v18
	v_mul_i32_i24_e32 v17, v97, v129
	v_mad_i32_i24 v14, v95, v162, v14
	v_mul_i32_i24_e32 v18, v100, v167
	s_delay_alu instid0(VALU_DEP_4) | instskip(NEXT) | instid1(VALU_DEP_3)
	v_mul_lo_u32 v13, v13, v160
	v_add3_u32 v14, v14, v15, v17
	v_mul_i32_i24_e32 v15, v98, v165
	v_mul_i32_i24_e32 v17, v99, v164
	ds_load_b128 v[97:100], v124 offset:7184
	v_add3_u32 v14, v14, v15, v17
	v_mul_i32_i24_e32 v15, v102, v169
	v_mul_i32_i24_e32 v17, v103, v170
	s_delay_alu instid0(VALU_DEP_3)
	v_add3_u32 v14, v14, v18, v21
	v_mul_i32_i24_e32 v18, v104, v171
	scratch_load_b32 v104, off, off offset:12 ; 4-byte Folded Reload
	v_mul_i32_i24_e32 v21, v105, v173
	v_add3_u32 v14, v14, v15, v17
	v_mul_i32_i24_e32 v15, v106, v172
	v_mul_i32_i24_e32 v17, v107, v174
	s_delay_alu instid0(VALU_DEP_3)
	v_add3_u32 v14, v14, v18, v21
	v_mul_i32_i24_e32 v18, v108, v175
	v_mul_i32_i24_e32 v21, v114, v25
	s_waitcnt lgkmcnt(0)
	v_bfe_i32 v123, v97, 8, 8
	v_ashrrev_i32_e32 v115, 24, v97
	v_add3_u32 v14, v14, v15, v17
	v_mul_i32_i24_e32 v15, v110, v141
	v_add3_u32 v21, v82, v21, v31
	v_mul_i32_i24_e32 v17, v111, v26
	v_ashrrev_i32_e32 v110, 24, v98
	v_add3_u32 v16, v14, v18, v16
	v_mul_i32_i24_e32 v14, v109, v143
	v_mul_i32_i24_e32 v18, v112, v139
	v_bfe_i32 v111, v97, 0, 8
	v_bfe_i32 v112, v97, 16, 8
	;; [unrolled: 1-line block ×4, first 2 shown]
	v_add3_u32 v14, v21, v18, v14
	v_ashrrev_i32_e32 v113, 24, v99
	v_ashrrev_i32_e32 v116, 24, v100
	v_bfe_i32 v108, v99, 16, 8
	v_bfe_i32 v97, v100, 16, 8
	v_add3_u32 v17, v14, v15, v17
	v_mad_u64_u32 v[14:15], null, v16, v158, v[13:14]
	v_bfe_i32 v95, v100, 0, 8
	v_bfe_i32 v96, v100, 8, 8
	s_delay_alu instid0(VALU_DEP_3) | instskip(SKIP_2) | instid1(VALU_DEP_2)
	v_cvt_f32_i32_e32 v13, v14
	v_cvt_f32_i32_e32 v14, v17
	v_bfe_i32 v17, v98, 8, 8
	v_mul_f32_e32 v14, v157, v14
	s_delay_alu instid0(VALU_DEP_1) | instskip(SKIP_1) | instid1(VALU_DEP_1)
	v_fma_mix_f32 v13, v126, v13, -v14 op_sel_hi:[1,0,0]
	s_waitcnt vmcnt(0)
	v_fmac_f32_e32 v104, v19, v13
	ds_load_b128 v[13:16], v124 offset:7168
	v_add_nc_u32_e32 v124, 32, v124
	s_waitcnt lgkmcnt(0)
	v_bfe_i32 v92, v13, 0, 8
	v_bfe_i32 v87, v13, 8, 8
	;; [unrolled: 1-line block ×3, first 2 shown]
	v_ashrrev_i32_e32 v94, 24, v13
	v_bfe_i32 v88, v14, 0, 8
	v_mul_i32_i24_e32 v5, v92, v5
	v_bfe_i32 v89, v14, 8, 8
	v_mul_i32_i24_e32 v6, v93, v6
	v_mul_i32_i24_e32 v9, v94, v9
	v_bfe_i32 v90, v14, 16, 8
	v_mad_i32_i24 v3, v87, v3, v5
	v_ashrrev_i32_e32 v91, 24, v14
	v_mul_i32_i24_e32 v5, v88, v7
	v_bfe_i32 v83, v15, 0, 8
	v_bfe_i32 v84, v15, 8, 8
	v_add3_u32 v3, v3, v6, v9
	v_mul_i32_i24_e32 v6, v89, v8
	v_mul_i32_i24_e32 v7, v90, v10
	;; [unrolled: 1-line block ×3, first 2 shown]
	v_bfe_i32 v85, v15, 16, 8
	v_ashrrev_i32_e32 v86, 24, v15
	v_add3_u32 v3, v3, v5, v6
	v_mul_i32_i24_e32 v5, v83, v11
	v_mul_i32_i24_e32 v6, v84, v39
	v_bfe_i32 v14, v16, 0, 8
	v_bfe_i32 v15, v16, 8, 8
	v_add3_u32 v3, v3, v7, v8
	v_mul_i32_i24_e32 v7, v85, v52
	v_mul_i32_i24_e32 v8, v86, v55
	v_bfe_i32 v18, v16, 16, 8
	v_ashrrev_i32_e32 v82, 24, v16
	v_add3_u32 v3, v3, v5, v6
	v_mul_i32_i24_e32 v5, v14, v53
	v_mul_i32_i24_e32 v6, v15, v56
	v_add_nc_u32_e32 v19, v90, v93
	v_bfe_i32 v16, v98, 0, 8
	v_add3_u32 v3, v3, v7, v8
	v_mul_i32_i24_e32 v7, v18, v57
	v_mul_i32_i24_e32 v8, v82, v58
	scratch_load_b32 v58, off, off offset:28 ; 4-byte Folded Reload
	v_add3_u32 v101, v19, v85, v18
	v_add3_u32 v3, v3, v5, v6
	v_add_nc_u32_e32 v19, v89, v87
	v_mul_i32_i24_e32 v5, v112, v71
	v_mul_i32_i24_e32 v6, v115, v75
	v_bfe_i32 v98, v99, 8, 8
	v_add3_u32 v3, v3, v7, v8
	v_mul_i32_i24_e32 v8, v110, v79
	scratch_load_b32 v79, off, off offset:8 ; 4-byte Folded Reload
	v_add3_u32 v102, v19, v84, v15
	v_add_nc_u32_e32 v19, v88, v92
	v_add_nc_u32_e32 v13, v110, v115
	v_mul_i32_i24_e32 v7, v109, v76
	scratch_load_b32 v57, off, off offset:24 ; 4-byte Folded Reload
	v_add3_u32 v103, v19, v83, v14
	v_mul_lo_u32 v19, v3, v61
	scratch_load_b32 v61, off, off offset:32 ; 4-byte Folded Reload
	v_mul_i32_i24_e32 v3, v111, v70
	v_add3_u32 v114, v13, v113, v116
	v_add_nc_u32_e32 v13, v109, v112
	s_delay_alu instid0(VALU_DEP_3) | instskip(NEXT) | instid1(VALU_DEP_3)
	v_mad_i32_i24 v3, v123, v62, v3
	v_mul_i32_i24_e32 v4, v114, v4
	s_delay_alu instid0(VALU_DEP_3) | instskip(SKIP_1) | instid1(VALU_DEP_4)
	v_add3_u32 v117, v13, v108, v97
	v_add_nc_u32_e32 v13, v17, v123
	v_add3_u32 v3, v3, v5, v6
	v_mul_i32_i24_e32 v5, v16, v72
	v_mul_i32_i24_e32 v6, v17, v73
	s_delay_alu instid0(VALU_DEP_4) | instskip(SKIP_2) | instid1(VALU_DEP_4)
	v_add3_u32 v99, v13, v98, v96
	v_add_nc_u32_e32 v13, v16, v111
	v_mul_i32_i24_e32 v2, v117, v2
	v_add3_u32 v3, v3, v5, v6
	v_mul_i32_i24_e32 v5, v31, v78
	v_mul_i32_i24_e32 v6, v98, v80
	v_add3_u32 v100, v13, v31, v95
	v_add_nc_u32_e32 v13, v91, v94
	v_add3_u32 v3, v3, v7, v8
	v_mul_i32_i24_e32 v7, v108, v81
	v_mul_i32_i24_e32 v8, v113, v119
	;; [unrolled: 1-line block ×3, first 2 shown]
	v_add3_u32 v13, v13, v86, v82
	v_add3_u32 v3, v3, v5, v6
	v_mul_i32_i24_e32 v5, v95, v118
	v_mul_i32_i24_e32 v6, v96, v120
	;; [unrolled: 1-line block ×3, first 2 shown]
	s_delay_alu instid0(VALU_DEP_4) | instskip(SKIP_2) | instid1(VALU_DEP_3)
	v_add3_u32 v3, v3, v7, v8
	v_mul_i32_i24_e32 v7, v97, v121
	v_mul_i32_i24_e32 v8, v116, v122
	v_add3_u32 v3, v3, v5, v6
	v_mul_i32_i24_e32 v5, v101, v50
	v_mul_i32_i24_e32 v6, v102, v49
	s_delay_alu instid0(VALU_DEP_3) | instskip(SKIP_2) | instid1(VALU_DEP_2)
	v_add3_u32 v3, v3, v7, v8
	v_mul_i32_i24_e32 v7, v103, v195
	v_mul_i32_i24_e32 v8, v103, v151
	v_mad_i32_i24 v7, v13, v201, v7
	s_delay_alu instid0(VALU_DEP_2) | instskip(NEXT) | instid1(VALU_DEP_2)
	v_mad_i32_i24 v8, v13, v155, v8
	v_add3_u32 v5, v7, v5, v6
	v_mul_i32_i24_e32 v6, v101, v223
	v_mul_i32_i24_e32 v7, v102, v222
	s_delay_alu instid0(VALU_DEP_3) | instskip(SKIP_2) | instid1(VALU_DEP_4)
	v_add3_u32 v0, v5, v0, v4
	v_mul_i32_i24_e32 v4, v91, v231
	v_mul_i32_i24_e32 v5, v110, v247
	v_add3_u32 v6, v8, v6, v7
	v_mul_i32_i24_e32 v7, v102, v23
	v_add3_u32 v2, v0, v2, v1
	v_mad_u64_u32 v[0:1], null, v3, v30, v[19:20]
	v_mul_i32_i24_e32 v3, v90, v229
	scratch_load_b32 v23, off, off          ; 4-byte Folded Reload
	v_cvt_f32_i32_e32 v1, v2
	v_mul_i32_i24_e32 v2, v94, v228
	v_mul_i32_i24_e32 v8, v103, v132
	v_cvt_f32_i32_e32 v0, v0
	s_delay_alu instid0(VALU_DEP_4) | instskip(NEXT) | instid1(VALU_DEP_3)
	v_mul_f32_e32 v1, v42, v1
	v_mad_i32_i24 v8, v13, v166, v8
	s_delay_alu instid0(VALU_DEP_2) | instskip(SKIP_2) | instid1(VALU_DEP_2)
	v_fma_mix_f32 v0, v182, v0, -v1 op_sel_hi:[1,0,0]
	v_mul_i32_i24_e32 v1, v93, v225
	s_waitcnt vmcnt(3)
	v_fmac_f32_e32 v79, v20, v0
	v_mul_i32_i24_e32 v0, v92, v224
	s_delay_alu instid0(VALU_DEP_1) | instskip(NEXT) | instid1(VALU_DEP_1)
	v_mad_i32_i24 v0, v87, v47, v0
	v_add3_u32 v0, v0, v1, v2
	v_mul_i32_i24_e32 v1, v88, v226
	v_mul_i32_i24_e32 v2, v89, v227
	s_delay_alu instid0(VALU_DEP_1) | instskip(SKIP_2) | instid1(VALU_DEP_3)
	v_add3_u32 v0, v0, v1, v2
	v_mul_i32_i24_e32 v1, v83, v230
	v_mul_i32_i24_e32 v2, v84, v232
	v_add3_u32 v0, v0, v3, v4
	v_mul_i32_i24_e32 v3, v85, v233
	v_mul_i32_i24_e32 v4, v86, v67
	s_delay_alu instid0(VALU_DEP_3) | instskip(SKIP_2) | instid1(VALU_DEP_3)
	v_add3_u32 v0, v0, v1, v2
	v_mul_i32_i24_e32 v1, v14, v234
	v_mul_i32_i24_e32 v2, v15, v235
	v_add3_u32 v0, v0, v3, v4
	v_mul_i32_i24_e32 v3, v18, v236
	v_mul_i32_i24_e32 v4, v82, v237
	s_delay_alu instid0(VALU_DEP_3) | instskip(SKIP_2) | instid1(VALU_DEP_3)
	v_add3_u32 v0, v0, v1, v2
	v_mul_i32_i24_e32 v1, v111, v69
	v_mul_i32_i24_e32 v2, v112, v241
	v_add3_u32 v0, v0, v3, v4
	v_mul_i32_i24_e32 v3, v115, v244
	s_delay_alu instid0(VALU_DEP_4) | instskip(SKIP_1) | instid1(VALU_DEP_4)
	v_mad_i32_i24 v1, v123, v240, v1
	v_mul_i32_i24_e32 v4, v109, v245
	v_mul_lo_u32 v0, v0, v239
	s_delay_alu instid0(VALU_DEP_3) | instskip(SKIP_2) | instid1(VALU_DEP_1)
	v_add3_u32 v1, v1, v2, v3
	v_mul_i32_i24_e32 v2, v16, v242
	v_mul_i32_i24_e32 v3, v17, v243
	v_add3_u32 v1, v1, v2, v3
	v_mul_i32_i24_e32 v2, v31, v246
	v_mul_i32_i24_e32 v3, v98, v248
	s_delay_alu instid0(VALU_DEP_3) | instskip(SKIP_2) | instid1(VALU_DEP_3)
	v_add3_u32 v1, v1, v4, v5
	v_mul_i32_i24_e32 v4, v108, v249
	v_mul_i32_i24_e32 v5, v113, v252
	v_add3_u32 v1, v1, v2, v3
	v_mul_i32_i24_e32 v2, v95, v250
	v_mul_i32_i24_e32 v3, v96, v74
	s_delay_alu instid0(VALU_DEP_3) | instskip(SKIP_2) | instid1(VALU_DEP_3)
	v_add3_u32 v1, v1, v4, v5
	v_mul_i32_i24_e32 v4, v97, v253
	v_mul_i32_i24_e32 v5, v116, v254
	v_add3_u32 v1, v1, v2, v3
	v_mul_i32_i24_e32 v2, v117, v45
	s_delay_alu instid0(VALU_DEP_2) | instskip(SKIP_3) | instid1(VALU_DEP_2)
	v_add3_u32 v3, v1, v4, v5
	v_mul_i32_i24_e32 v1, v114, v48
	v_mul_i32_i24_e32 v5, v100, v43
	;; [unrolled: 1-line block ×3, first 2 shown]
	v_add3_u32 v1, v6, v5, v1
	v_mul_i32_i24_e32 v5, v110, v213
	v_mul_i32_i24_e32 v6, v101, v178
	s_delay_alu instid0(VALU_DEP_3)
	v_add3_u32 v4, v1, v2, v4
	v_mad_u64_u32 v[1:2], null, v3, v27, v[0:1]
	scratch_load_b32 v27, off, off offset:4 ; 4-byte Folded Reload
	v_mul_i32_i24_e32 v2, v94, v191
	v_mul_i32_i24_e32 v3, v90, v192
	v_add3_u32 v6, v8, v6, v7
	v_mul_i32_i24_e32 v7, v103, v130
	v_cvt_f32_i32_e32 v0, v1
	v_cvt_f32_i32_e32 v1, v4
	v_mul_i32_i24_e32 v4, v91, v33
	s_delay_alu instid0(VALU_DEP_4) | instskip(NEXT) | instid1(VALU_DEP_3)
	v_mad_i32_i24 v7, v13, v163, v7
	v_mul_f32_e32 v1, v180, v1
	s_delay_alu instid0(VALU_DEP_1) | instskip(SKIP_2) | instid1(VALU_DEP_2)
	v_fma_mix_f32 v0, v138, v0, -v1 op_sel_hi:[1,0,0]
	v_mul_i32_i24_e32 v1, v93, v188
	s_waitcnt vmcnt(0)
	v_fmac_f32_e32 v27, v20, v0
	v_mul_i32_i24_e32 v0, v92, v187
	s_delay_alu instid0(VALU_DEP_1) | instskip(NEXT) | instid1(VALU_DEP_1)
	v_mad_i32_i24 v0, v87, v32, v0
	v_add3_u32 v0, v0, v1, v2
	v_mul_i32_i24_e32 v1, v88, v189
	v_mul_i32_i24_e32 v2, v89, v190
	s_delay_alu instid0(VALU_DEP_1) | instskip(SKIP_2) | instid1(VALU_DEP_3)
	v_add3_u32 v0, v0, v1, v2
	v_mul_i32_i24_e32 v1, v83, v193
	v_mul_i32_i24_e32 v2, v84, v196
	v_add3_u32 v0, v0, v3, v4
	v_mul_i32_i24_e32 v3, v85, v197
	v_mul_i32_i24_e32 v4, v86, v199
	s_delay_alu instid0(VALU_DEP_3) | instskip(SKIP_2) | instid1(VALU_DEP_3)
	v_add3_u32 v0, v0, v1, v2
	v_mul_i32_i24_e32 v1, v14, v198
	v_mul_i32_i24_e32 v2, v15, v200
	v_add3_u32 v0, v0, v3, v4
	v_mul_i32_i24_e32 v3, v18, v202
	v_mul_i32_i24_e32 v4, v82, v203
	s_delay_alu instid0(VALU_DEP_3) | instskip(SKIP_2) | instid1(VALU_DEP_3)
	v_add3_u32 v0, v0, v1, v2
	v_mul_i32_i24_e32 v1, v111, v206
	v_mul_i32_i24_e32 v2, v112, v207
	v_add3_u32 v0, v0, v3, v4
	v_mul_i32_i24_e32 v3, v115, v210
	s_delay_alu instid0(VALU_DEP_4) | instskip(SKIP_1) | instid1(VALU_DEP_4)
	v_mad_i32_i24 v1, v123, v36, v1
	v_mul_i32_i24_e32 v4, v109, v211
	v_mul_lo_u32 v0, v0, v35
	s_delay_alu instid0(VALU_DEP_3) | instskip(SKIP_2) | instid1(VALU_DEP_1)
	v_add3_u32 v1, v1, v2, v3
	v_mul_i32_i24_e32 v2, v16, v208
	v_mul_i32_i24_e32 v3, v17, v209
	v_add3_u32 v1, v1, v2, v3
	v_mul_i32_i24_e32 v2, v31, v212
	v_mul_i32_i24_e32 v3, v98, v214
	s_delay_alu instid0(VALU_DEP_3) | instskip(SKIP_2) | instid1(VALU_DEP_3)
	v_add3_u32 v1, v1, v4, v5
	v_mul_i32_i24_e32 v4, v108, v215
	v_mul_i32_i24_e32 v5, v113, v37
	v_add3_u32 v1, v1, v2, v3
	v_mul_i32_i24_e32 v2, v95, v216
	v_mul_i32_i24_e32 v3, v96, v218
	s_delay_alu instid0(VALU_DEP_3) | instskip(SKIP_2) | instid1(VALU_DEP_3)
	v_add3_u32 v1, v1, v4, v5
	v_mul_i32_i24_e32 v4, v97, v219
	v_mul_i32_i24_e32 v5, v116, v220
	v_add3_u32 v1, v1, v2, v3
	v_mul_i32_i24_e32 v2, v117, v184
	s_delay_alu instid0(VALU_DEP_2) | instskip(SKIP_3) | instid1(VALU_DEP_2)
	v_add3_u32 v3, v1, v4, v5
	v_mul_i32_i24_e32 v1, v114, v186
	v_mul_i32_i24_e32 v5, v100, v183
	;; [unrolled: 1-line block ×3, first 2 shown]
	v_add3_u32 v1, v6, v5, v1
	v_mul_i32_i24_e32 v5, v101, v25
	v_mul_i32_i24_e32 v6, v102, v24
	s_delay_alu instid0(VALU_DEP_3)
	v_add3_u32 v4, v1, v2, v4
	v_mad_u64_u32 v[1:2], null, v3, v136, v[0:1]
	v_mul_i32_i24_e32 v2, v94, v148
	v_mul_i32_i24_e32 v3, v90, v149
	scratch_load_b32 v136, off, off offset:36 ; 4-byte Folded Reload
	v_add3_u32 v5, v7, v5, v6
	v_cvt_f32_i32_e32 v0, v1
	v_cvt_f32_i32_e32 v1, v4
	v_mul_i32_i24_e32 v4, v91, v146
	s_delay_alu instid0(VALU_DEP_2)
	v_mul_f32_e32 v1, v137, v1
	scratch_load_b32 v137, off, off offset:40 ; 4-byte Folded Reload
	v_fma_mix_f32 v0, v131, v0, -v1 op_sel_hi:[1,0,0]
	v_mul_i32_i24_e32 v1, v93, v145
	scratch_load_b32 v145, off, off offset:48 ; 4-byte Folded Reload
	v_fmac_f32_e32 v23, v20, v0
	v_mul_i32_i24_e32 v0, v92, v144
	scratch_load_b32 v144, off, off offset:44 ; 4-byte Folded Reload
	v_mad_i32_i24 v0, v87, v22, v0
	s_delay_alu instid0(VALU_DEP_1) | instskip(SKIP_2) | instid1(VALU_DEP_1)
	v_add3_u32 v0, v0, v1, v2
	v_mul_i32_i24_e32 v1, v88, v179
	v_mul_i32_i24_e32 v2, v89, v147
	v_add3_u32 v0, v0, v1, v2
	v_mul_i32_i24_e32 v1, v83, v150
	v_mul_i32_i24_e32 v2, v84, v142
	s_delay_alu instid0(VALU_DEP_3) | instskip(SKIP_2) | instid1(VALU_DEP_3)
	v_add3_u32 v0, v0, v3, v4
	v_mul_i32_i24_e32 v3, v85, v140
	v_mul_i32_i24_e32 v4, v86, v135
	v_add3_u32 v0, v0, v1, v2
	v_mul_i32_i24_e32 v1, v14, v154
	scratch_load_b32 v154, off, off offset:56 ; 4-byte Folded Reload
	v_mul_i32_i24_e32 v2, v15, v156
	v_add3_u32 v0, v0, v3, v4
	v_mul_i32_i24_e32 v3, v18, v134
	v_mul_i32_i24_e32 v4, v82, v159
	s_delay_alu instid0(VALU_DEP_3) | instskip(SKIP_2) | instid1(VALU_DEP_3)
	v_add3_u32 v0, v0, v1, v2
	v_mul_i32_i24_e32 v1, v112, v133
	v_mul_i32_i24_e32 v2, v115, v129
	v_add3_u32 v0, v0, v3, v4
	v_mul_i32_i24_e32 v3, v109, v167
	v_mul_i32_i24_e32 v4, v110, v168
	s_delay_alu instid0(VALU_DEP_3) | instskip(SKIP_1) | instid1(VALU_DEP_1)
	v_mul_lo_u32 v19, v0, v160
	v_mul_i32_i24_e32 v0, v111, v161
	v_mad_i32_i24 v0, v123, v162, v0
	s_delay_alu instid0(VALU_DEP_1) | instskip(SKIP_2) | instid1(VALU_DEP_1)
	v_add3_u32 v0, v0, v1, v2
	v_mul_i32_i24_e32 v1, v16, v165
	v_mul_i32_i24_e32 v2, v17, v164
	v_add3_u32 v0, v0, v1, v2
	v_mul_i32_i24_e32 v1, v31, v169
	v_mul_i32_i24_e32 v2, v98, v170
	s_delay_alu instid0(VALU_DEP_3) | instskip(SKIP_2) | instid1(VALU_DEP_3)
	v_add3_u32 v0, v0, v3, v4
	v_mul_i32_i24_e32 v3, v108, v171
	v_mul_i32_i24_e32 v4, v113, v173
	v_add3_u32 v0, v0, v1, v2
	v_mul_i32_i24_e32 v1, v95, v172
	v_mul_i32_i24_e32 v2, v96, v174
	s_delay_alu instid0(VALU_DEP_3) | instskip(SKIP_2) | instid1(VALU_DEP_3)
	v_add3_u32 v0, v0, v3, v4
	v_mul_i32_i24_e32 v3, v97, v175
	v_mul_i32_i24_e32 v4, v116, v176
	v_add3_u32 v0, v0, v1, v2
	v_mul_i32_i24_e32 v1, v117, v141
	v_mul_i32_i24_e32 v2, v99, v26
	s_delay_alu instid0(VALU_DEP_3) | instskip(SKIP_2) | instid1(VALU_DEP_1)
	v_add3_u32 v0, v0, v3, v4
	v_mul_i32_i24_e32 v3, v114, v143
	v_mul_i32_i24_e32 v4, v100, v139
	v_add3_u32 v3, v5, v4, v3
	s_delay_alu instid0(VALU_DEP_1) | instskip(SKIP_1) | instid1(VALU_DEP_2)
	v_add3_u32 v1, v3, v1, v2
	v_mad_u64_u32 v[2:3], null, v0, v158, v[19:20]
	v_cvt_f32_i32_e32 v1, v1
	s_delay_alu instid0(VALU_DEP_2) | instskip(NEXT) | instid1(VALU_DEP_2)
	v_cvt_f32_i32_e32 v0, v2
	v_mul_f32_e32 v1, v157, v1
	s_delay_alu instid0(VALU_DEP_1) | instskip(NEXT) | instid1(VALU_DEP_1)
	v_fma_mix_f32 v0, v126, v0, -v1 op_sel_hi:[1,0,0]
	v_fmac_f32_e32 v177, v20, v0
	s_cbranch_scc1 .LBB148_10
; %bb.11:                               ;   in Loop: Header=BB148_8 Depth=2
	scratch_load_b32 v0, off, off offset:128 ; 4-byte Folded Reload
	s_waitcnt vmcnt(0)
	s_waitcnt_vscnt null, 0x0
	s_barrier
	buffer_gl0_inv
	v_dual_mov_b32 v106, v104 :: v_dual_mov_b32 v159, v255
	v_mov_b32_e32 v134, v127
	v_mov_b32_e32 v208, v28
	;; [unrolled: 1-line block ×12, first 2 shown]
	s_add_i32 s14, s14, 2
	scratch_load_b64 v[19:20], off, off offset:132 ; 8-byte Folded Reload
	s_lshl_b32 s17, s14, 3
	v_mov_b32_e32 v207, v181
	v_mov_b32_e32 v203, v185
	;; [unrolled: 1-line block ×10, first 2 shown]
	v_lshl_add_u32 v0, s16, 5, v0
	s_delay_alu instid0(VALU_DEP_1) | instskip(NEXT) | instid1(VALU_DEP_1)
	v_lshrrev_b32_e32 v0, 3, v0
	v_add_nc_u32_e32 v12, s7, v0
	scratch_load_b32 v0, off, off offset:124 ; 4-byte Folded Reload
	s_waitcnt vmcnt(0)
	v_lshl_add_u32 v13, s16, 2, v0
	scratch_load_b32 v0, off, off offset:144 ; 4-byte Folded Reload
	s_mov_b32 s16, 0
	s_waitcnt vmcnt(0)
	v_add_nc_u32_e32 v2, v12, v0
	scratch_load_b32 v0, off, off offset:152 ; 4-byte Folded Reload
	s_waitcnt vmcnt(0)
	v_add_nc_u32_e32 v4, v12, v0
	scratch_load_b32 v0, off, off offset:160 ; 4-byte Folded Reload
	;; [unrolled: 3-line block ×4, first 2 shown]
	s_waitcnt vmcnt(0)
	v_add_nc_u32_e32 v10, v12, v0
	v_mad_i64_i32 v[0:1], null, v2, 36, v[19:20]
	v_mad_i64_i32 v[2:3], null, v4, 36, v[19:20]
	;; [unrolled: 1-line block ×5, first 2 shown]
	scratch_load_b32 v10, off, off offset:184 ; 4-byte Folded Reload
	s_waitcnt vmcnt(0)
	v_add_nc_u32_e32 v14, v12, v10
	scratch_load_b32 v10, off, off offset:192 ; 4-byte Folded Reload
	s_waitcnt vmcnt(0)
	v_add_nc_u32_e32 v16, v12, v10
	v_mad_u64_u32 v[10:11], null, v13, 36, s[2:3]
	scratch_load_b32 v13, off, off offset:200 ; 4-byte Folded Reload
	s_waitcnt vmcnt(0)
	v_add_nc_u32_e32 v18, v12, v13
	v_mad_i64_i32 v[12:13], null, v14, 36, v[19:20]
	v_mad_i64_i32 v[14:15], null, v16, 36, v[19:20]
	s_delay_alu instid0(VALU_DEP_3)
	v_mad_i64_i32 v[16:17], null, v18, 36, v[19:20]
	s_clause 0x8
	global_load_b32 v10, v[10:11], off
	global_load_b32 v2, v[2:3], off offset:4
	global_load_b32 v3, v[4:5], off offset:4
	;; [unrolled: 1-line block ×8, first 2 shown]
	s_clause 0x2
	scratch_load_b32 v124, off, off offset:212
	scratch_load_b32 v125, off, off offset:208
	;; [unrolled: 1-line block ×3, first 2 shown]
	s_waitcnt vmcnt(11)
	v_cvt_f32_f16_e32 v1, v10
	v_mov_b32_e32 v10, v27
	s_waitcnt vmcnt(0)
	ds_store_b32 v9, v2
	scratch_load_b32 v2, off, off offset:164 ; 4-byte Folded Reload
	v_mov_b32_e32 v9, v79
	s_waitcnt vmcnt(0)
	ds_store_b32 v2, v3
	scratch_load_b32 v2, off, off offset:172 ; 4-byte Folded Reload
	s_waitcnt vmcnt(0)
	ds_store_b32 v2, v4
	scratch_load_b32 v2, off, off offset:180 ; 4-byte Folded Reload
	;; [unrolled: 3-line block ×6, first 2 shown]
	v_mov_b32_e32 v8, v23
	s_waitcnt vmcnt(0)
	ds_store_b32 v2, v0
	scratch_load_b32 v0, off, off offset:140 ; 4-byte Folded Reload
	s_waitcnt vmcnt(0)
	ds_store_b32 v0, v1
	s_waitcnt lgkmcnt(0)
	s_barrier
	buffer_gl0_inv
	scratch_store_b32 off, v221, off offset:20 ; 4-byte Folded Spill
.LBB148_12:                             ;   Parent Loop BB148_6 Depth=1
                                        ;     Parent Loop BB148_8 Depth=2
                                        ; =>    This Inner Loop Header: Depth=3
	s_clause 0x6
	scratch_store_b32 off, v134, off offset:16
	scratch_store_b32 off, v106, off offset:12
	;; [unrolled: 1-line block ×4, first 2 shown]
	scratch_store_b32 off, v8, off
	scratch_store_b32 off, v30, off offset:76
	scratch_store_b32 off, v177, off offset:60
	ds_load_2addr_b32 v[19:20], v125 offset1:32
	ds_load_b128 v[0:3], v124
	ds_load_b128 v[4:7], v124 offset:16
	s_add_i32 s18, s13, s16
	v_add_nc_u32_e32 v104, s16, v58
	s_add_i32 s20, s18, 8
	s_and_b32 s18, s15, -16
	s_and_b32 s19, s20, 0x3ffffff8
	s_lshr_b32 s20, s20, 2
	s_lshl_b32 s19, s19, 2
	s_and_b32 s20, s20, 0x3ffffffc
	s_add_i32 s15, s15, 2
	v_mov_b32_e32 v162, v208
	v_mov_b32_e32 v208, v34
	s_waitcnt lgkmcnt(1)
	v_bfe_i32 v21, v0, 0, 8
	s_waitcnt lgkmcnt(0)
	v_ashrrev_i32_e32 v102, 24, v4
	v_ashrrev_i32_e32 v107, 24, v5
	v_bfe_i32 v84, v0, 8, 8
	v_bfe_i32 v85, v0, 16, 8
	v_ashrrev_i32_e32 v86, 24, v0
	v_bfe_i32 v101, v4, 16, 8
	v_bfe_i32 v106, v5, 16, 8
	v_ashrrev_i32_e32 v111, 24, v6
	v_ashrrev_i32_e32 v115, 24, v7
	v_add_nc_u32_e32 v0, v107, v102
	v_bfe_i32 v100, v4, 8, 8
	v_bfe_i32 v103, v5, 8, 8
	;; [unrolled: 1-line block ×4, first 2 shown]
	v_add3_u32 v15, v0, v111, v115
	v_add_nc_u32_e32 v0, v106, v101
	v_bfe_i32 v99, v4, 0, 8
	v_bfe_i32 v13, v5, 0, 8
	;; [unrolled: 1-line block ×4, first 2 shown]
	v_add3_u32 v16, v0, v110, v114
	v_add_nc_u32_e32 v0, v103, v100
	v_ashrrev_i32_e32 v90, 24, v1
	v_bfe_i32 v108, v6, 0, 8
	v_bfe_i32 v112, v7, 0, 8
	;; [unrolled: 1-line block ×3, first 2 shown]
	v_add3_u32 v17, v0, v109, v113
	v_add_nc_u32_e32 v0, v13, v99
	v_ashrrev_i32_e32 v94, 24, v2
	v_ashrrev_i32_e32 v98, 24, v3
	v_bfe_i32 v88, v1, 8, 8
	v_bfe_i32 v93, v2, 16, 8
	v_add3_u32 v14, v0, v108, v112
	v_add_nc_u32_e32 v0, v90, v86
	v_bfe_i32 v97, v3, 16, 8
	v_bfe_i32 v87, v1, 0, 8
	;; [unrolled: 1-line block ×4, first 2 shown]
	v_add3_u32 v18, v0, v94, v98
	v_add_nc_u32_e32 v0, v89, v85
	v_bfe_i32 v91, v2, 0, 8
	v_bfe_i32 v95, v3, 0, 8
	v_add_nc_u32_e32 v2, s19, v57
	s_delay_alu instid0(VALU_DEP_4) | instskip(SKIP_1) | instid1(VALU_DEP_1)
	v_add3_u32 v116, v0, v93, v97
	v_add_nc_u32_e32 v0, v88, v84
	v_add3_u32 v117, v0, v92, v96
	v_add_nc_u32_e32 v0, v87, v21
	s_delay_alu instid0(VALU_DEP_1)
	v_add3_u32 v123, v0, v91, v95
	ds_load_2addr_b32 v[0:1], v2 offset1:1
	s_waitcnt lgkmcnt(0)
	v_ashrrev_i32_e32 v3, s16, v0
	v_ashrrev_i32_e32 v4, s16, v1
	ds_load_2addr_b32 v[0:1], v2 offset0:2 offset1:3
	v_and_b32_e32 v58, 3, v3
	v_bfe_u32 v53, v3, 8, 2
	v_and_b32_e32 v73, 3, v4
	v_bfe_u32 v56, v3, 24, 2
	v_bfe_u32 v50, v4, 8, 2
	;; [unrolled: 1-line block ×3, first 2 shown]
	v_mul_i32_i24_e32 v10, v53, v84
	v_bfe_u32 v62, v4, 24, 2
	s_delay_alu instid0(VALU_DEP_4) | instskip(NEXT) | instid1(VALU_DEP_4)
	v_mul_i32_i24_e32 v30, v50, v88
	v_mul_i32_i24_e32 v31, v76, v89
	s_delay_alu instid0(VALU_DEP_3)
	v_mul_i32_i24_e32 v4, v62, v90
	s_waitcnt lgkmcnt(0)
	v_ashrrev_i32_e32 v5, s16, v0
	v_ashrrev_i32_e32 v6, s16, v1
	ds_load_2addr_b32 v[0:1], v2 offset0:4 offset1:5
	v_and_b32_e32 v75, 3, v5
	v_and_b32_e32 v80, 3, v6
	v_bfe_u32 v78, v5, 8, 2
	v_bfe_u32 v81, v5, 16, 2
	;; [unrolled: 1-line block ×3, first 2 shown]
	v_mul_i32_i24_e32 v39, v75, v91
	v_mul_i32_i24_e32 v44, v80, v95
	;; [unrolled: 1-line block ×4, first 2 shown]
	v_bfe_u32 v118, v6, 8, 2
	v_mul_i32_i24_e32 v5, v119, v94
	v_bfe_u32 v120, v6, 16, 2
	v_bfe_u32 v121, v6, 24, 2
	s_delay_alu instid0(VALU_DEP_4) | instskip(NEXT) | instid1(VALU_DEP_3)
	v_mul_i32_i24_e32 v45, v118, v96
	v_mul_i32_i24_e32 v47, v120, v97
	s_waitcnt lgkmcnt(0)
	v_ashrrev_i32_e32 v7, s16, v0
	v_ashrrev_i32_e32 v8, s16, v1
	ds_load_2addr_b32 v[0:1], v2 offset0:6 offset1:7
	v_mul_i32_i24_e32 v6, v121, v98
	v_and_b32_e32 v70, 3, v7
	v_bfe_u32 v122, v7, 16, 2
	v_bfe_u32 v72, v7, 24, 2
	v_bfe_u32 v71, v8, 24, 2
	s_delay_alu instid0(VALU_DEP_1)
	v_mul_i32_i24_e32 v82, v71, v107
	s_waitcnt lgkmcnt(0)
	v_ashrrev_i32_e32 v9, s16, v0
	scratch_load_b32 v0, off, off offset:120 ; 4-byte Folded Reload
	v_ashrrev_i32_e32 v12, s16, v1
	v_add_nc_u32_e32 v1, s20, v61
	v_bfe_u32 v61, v3, 16, 2
	v_mul_i32_i24_e32 v3, v56, v86
	v_bfe_u32 v55, v9, 24, 2
	v_bfe_u32 v77, v12, 8, 2
	;; [unrolled: 1-line block ×3, first 2 shown]
	v_mul_i32_i24_e32 v11, v61, v85
	v_bfe_u32 v57, v12, 24, 2
	v_mul_i32_i24_e32 v127, v55, v111
	v_mul_i32_i24_e32 v129, v77, v113
	;; [unrolled: 1-line block ×3, first 2 shown]
	s_delay_alu instid0(VALU_DEP_4)
	v_mul_i32_i24_e32 v131, v57, v115
	s_waitcnt vmcnt(0)
	v_add3_u32 v0, v0, s18, v104
	ds_load_b32 v182, v1
	ds_load_u16 v0, v0
	s_waitcnt lgkmcnt(0)
	v_bfe_u32 v195, v0, 4, 4
	v_lshrrev_b16 v1, 8, v0
	s_delay_alu instid0(VALU_DEP_2) | instskip(NEXT) | instid1(VALU_DEP_1)
	v_mul_lo_u32 v2, 0x1010101, v195
	v_bfe_i32 v23, v2, 8, 8
	v_bfe_i32 v147, v2, 16, 8
	v_lshrrev_b32_e32 v41, 24, v2
	v_mul_i32_i24_e32 v2, v58, v21
	s_delay_alu instid0(VALU_DEP_1) | instskip(NEXT) | instid1(VALU_DEP_1)
	v_mad_i32_i24 v2, v73, v87, v2
	v_add3_u32 v2, v2, v39, v10
	v_bfe_u32 v10, v8, 16, 2
	v_bfe_u32 v39, v9, 16, 2
	s_delay_alu instid0(VALU_DEP_3) | instskip(SKIP_1) | instid1(VALU_DEP_4)
	v_add3_u32 v2, v2, v11, v3
	v_bfe_u32 v11, v9, 8, 2
	v_mul_i32_i24_e32 v48, v10, v106
	s_delay_alu instid0(VALU_DEP_4) | instskip(SKIP_4) | instid1(VALU_DEP_3)
	v_mul_i32_i24_e32 v126, v39, v110
	v_mov_b32_e32 v225, v39
	v_add3_u32 v2, v2, v44, v30
	v_mul_i32_i24_e32 v44, v122, v101
	v_mul_i32_i24_e32 v105, v11, v109
	v_add3_u32 v2, v2, v31, v4
	v_and_b32_e32 v4, 15, v0
	v_and_b32_e32 v31, 0xffff, v1
	v_mov_b32_e32 v1, v23
	s_delay_alu instid0(VALU_DEP_4) | instskip(SKIP_1) | instid1(VALU_DEP_4)
	v_add3_u32 v2, v2, v42, v43
	v_mul_i32_i24_e32 v42, v70, v99
	v_lshrrev_b32_e32 v52, 4, v31
	v_and_b32_e32 v46, 15, v31
                                        ; kill: def $vgpr31 killed $sgpr0 killed $exec
	s_delay_alu instid0(VALU_DEP_4)
	v_add3_u32 v2, v2, v5, v45
	v_bfe_u32 v5, v7, 8, 2
	v_bfe_u32 v7, v8, 8, 2
	v_mul_i32_i24_e32 v45, v72, v102
	v_mul_lo_u32 v0, 0x1010101, v52
	v_add3_u32 v2, v2, v47, v6
	v_mul_i32_i24_e32 v43, v5, v100
	v_mul_i32_i24_e32 v47, v7, v103
	s_delay_alu instid0(VALU_DEP_3)
	v_mul_lo_u32 v30, v2, v4
	v_and_b32_e32 v2, 3, v8
	v_and_b32_e32 v8, 3, v9
	;; [unrolled: 1-line block ×3, first 2 shown]
	v_bfe_i32 v25, v0, 8, 8
	v_bfe_i32 v6, v0, 16, 8
	v_mad_i32_i24 v42, v2, v13, v42
	v_mul_i32_i24_e32 v83, v8, v108
	v_mul_i32_i24_e32 v128, v9, v112
	v_lshrrev_b32_e32 v0, 24, v0
	v_mov_b32_e32 v3, v25
	s_delay_alu instid0(VALU_DEP_4) | instskip(SKIP_3) | instid1(VALU_DEP_4)
	v_add3_u32 v42, v42, v83, v43
	v_mul_i32_i24_e32 v83, v195, v123
	v_mul_i32_i24_e32 v43, v16, v6
	v_mov_b32_e32 v12, v0
	v_add3_u32 v42, v42, v44, v45
	s_delay_alu instid0(VALU_DEP_4) | instskip(SKIP_1) | instid1(VALU_DEP_3)
	v_mad_i32_i24 v83, v52, v14, v83
	v_mul_i32_i24_e32 v45, v17, v25
	v_add3_u32 v42, v42, v128, v47
	v_mul_i32_i24_e32 v47, v18, v41
	s_delay_alu instid0(VALU_DEP_2) | instskip(SKIP_2) | instid1(VALU_DEP_3)
	v_add3_u32 v42, v42, v48, v82
	v_mul_i32_i24_e32 v48, v116, v147
	v_mul_i32_i24_e32 v82, v117, v23
	v_add3_u32 v42, v42, v105, v126
	s_delay_alu instid0(VALU_DEP_3) | instskip(NEXT) | instid1(VALU_DEP_2)
	v_add3_u32 v47, v83, v47, v48
	v_add3_u32 v42, v42, v127, v129
	s_delay_alu instid0(VALU_DEP_1) | instskip(SKIP_1) | instid1(VALU_DEP_1)
	v_add3_u32 v44, v42, v130, v131
	v_mul_i32_i24_e32 v42, v15, v0
	v_add3_u32 v42, v47, v82, v42
	s_delay_alu instid0(VALU_DEP_1) | instskip(NEXT) | instid1(VALU_DEP_4)
	v_add3_u32 v45, v42, v43, v45
	v_mad_u64_u32 v[42:43], null, v44, v46, v[30:31]
	v_lshrrev_b32_e32 v30, 16, v182
	s_delay_alu instid0(VALU_DEP_3) | instskip(NEXT) | instid1(VALU_DEP_2)
	v_cvt_f32_i32_e32 v31, v45
	v_cvt_f32_f16_e32 v51, v30
	s_delay_alu instid0(VALU_DEP_4) | instskip(NEXT) | instid1(VALU_DEP_2)
	v_cvt_f32_i32_e32 v30, v42
	v_dual_mul_f32 v31, v51, v31 :: v_dual_add_nc_u32 v42, s19, v136
	s_delay_alu instid0(VALU_DEP_1) | instskip(NEXT) | instid1(VALU_DEP_1)
	v_fma_mix_f32 v30, v182, v30, -v31 op_sel_hi:[1,0,0]
	v_fmac_f32_e32 v204, v19, v30
	ds_load_2addr_b32 v[30:31], v42 offset1:1
	scratch_store_b32 off, v204, off offset:64 ; 4-byte Folded Spill
	s_waitcnt lgkmcnt(0)
	v_ashrrev_i32_e32 v43, s16, v30
	v_ashrrev_i32_e32 v44, s16, v31
	ds_load_2addr_b32 v[30:31], v42 offset0:2 offset1:3
	v_and_b32_e32 v64, 3, v43
	v_bfe_u32 v60, v43, 8, 2
	v_bfe_u32 v65, v43, 16, 2
	;; [unrolled: 1-line block ×5, first 2 shown]
	v_mul_i32_i24_e32 v126, v60, v84
	v_mul_i32_i24_e32 v127, v65, v85
	;; [unrolled: 1-line block ×4, first 2 shown]
	v_bfe_u32 v238, v44, 24, 2
	v_mul_i32_i24_e32 v129, v236, v89
	s_waitcnt lgkmcnt(0)
	v_ashrrev_i32_e32 v45, s16, v30
	v_ashrrev_i32_e32 v47, s16, v31
	ds_load_2addr_b32 v[30:31], v42 offset0:4 offset1:5
	v_and_b32_e32 v237, 3, v45
	v_and_b32_e32 v241, 3, v47
	v_bfe_u32 v68, v45, 8, 2
	v_bfe_u32 v69, v45, 16, 2
	;; [unrolled: 1-line block ×3, first 2 shown]
	v_mul_i32_i24_e32 v130, v237, v91
	v_mul_i32_i24_e32 v133, v241, v95
	;; [unrolled: 1-line block ×4, first 2 shown]
	v_bfe_u32 v243, v47, 8, 2
	v_mul_i32_i24_e32 v45, v242, v94
	v_bfe_u32 v244, v47, 16, 2
	v_bfe_u32 v245, v47, 24, 2
	s_delay_alu instid0(VALU_DEP_4) | instskip(NEXT) | instid1(VALU_DEP_3)
	v_mul_i32_i24_e32 v134, v243, v96
	v_mul_i32_i24_e32 v135, v244, v97
	s_waitcnt lgkmcnt(0)
	v_ashrrev_i32_e32 v48, s16, v30
	v_ashrrev_i32_e32 v82, s16, v31
	ds_load_2addr_b32 v[30:31], v42 offset0:6 offset1:7
	v_mul_i32_i24_e32 v47, v245, v98
	v_and_b32_e32 v248, 3, v48
	v_bfe_u32 v247, v48, 8, 2
	v_and_b32_e32 v49, 3, v82
	v_bfe_u32 v249, v48, 16, 2
	v_bfe_u32 v74, v48, 24, 2
	;; [unrolled: 1-line block ×5, first 2 shown]
	s_delay_alu instid0(VALU_DEP_1)
	v_mul_i32_i24_e32 v82, v255, v107
	s_waitcnt lgkmcnt(0)
	v_ashrrev_i32_e32 v42, s16, v30
	scratch_load_b32 v30, off, off offset:116 ; 4-byte Folded Reload
	v_ashrrev_i32_e32 v83, s16, v31
	v_add_nc_u32_e32 v31, s20, v137
	v_bfe_u32 v0, v42, 16, 2
	v_and_b32_e32 v254, 3, v42
	s_delay_alu instid0(VALU_DEP_4)
	v_and_b32_e32 v79, 3, v83
	v_bfe_u32 v148, v42, 8, 2
	v_bfe_u32 v48, v83, 24, 2
	v_mov_b32_e32 v150, v0
	v_and_b32_e32 v66, 3, v44
	v_mul_i32_i24_e32 v44, v238, v90
	v_mul_i32_i24_e32 v136, v79, v112
	s_delay_alu instid0(VALU_DEP_4)
	v_mov_b32_e32 v165, v150
	v_mov_b32_e32 v157, v150
	s_waitcnt vmcnt(0)
	v_add3_u32 v30, v30, s18, v104
	ds_load_b32 v138, v31
	ds_load_u16 v30, v30
	s_waitcnt lgkmcnt(0)
	v_bfe_u32 v151, v30, 4, 4
	v_lshrrev_b16 v105, 8, v30
	v_and_b32_e32 v246, 15, v30
	s_delay_alu instid0(VALU_DEP_3) | instskip(NEXT) | instid1(VALU_DEP_3)
	v_mul_lo_u32 v31, 0x1010101, v151
	v_and_b32_e32 v105, 0xffff, v105
	s_delay_alu instid0(VALU_DEP_1) | instskip(SKIP_1) | instid1(VALU_DEP_4)
	v_lshrrev_b32_e32 v226, 4, v105
	v_and_b32_e32 v189, 15, v105
	v_bfe_i32 v54, v31, 8, 8
	v_bfe_i32 v59, v31, 16, 8
	v_lshrrev_b32_e32 v188, 24, v31
	v_mul_i32_i24_e32 v31, v64, v21
	v_mul_lo_u32 v30, 0x1010101, v226
	s_delay_alu instid0(VALU_DEP_2) | instskip(NEXT) | instid1(VALU_DEP_2)
	v_mad_i32_i24 v31, v66, v87, v31
	v_lshrrev_b32_e32 v26, 24, v30
	s_delay_alu instid0(VALU_DEP_2)
	v_add3_u32 v31, v31, v130, v126
	v_mul_i32_i24_e32 v126, v248, v99
	v_mul_i32_i24_e32 v130, v251, v103
	v_bfe_i32 v63, v30, 8, 8
	v_bfe_i32 v250, v30, 16, 8
	v_mov_b32_e32 v30, v191
	v_add3_u32 v31, v31, v127, v43
	v_mul_i32_i24_e32 v127, v247, v100
	v_mad_i32_i24 v126, v49, v13, v126
	v_mov_b32_e32 v43, v207
	s_delay_alu instid0(VALU_DEP_4) | instskip(SKIP_2) | instid1(VALU_DEP_3)
	v_add3_u32 v31, v31, v133, v128
	v_mul_i32_i24_e32 v128, v249, v101
	v_mul_i32_i24_e32 v133, v148, v109
	v_add3_u32 v31, v31, v129, v44
	v_mul_i32_i24_e32 v129, v74, v102
	v_bfe_u32 v44, v83, 8, 2
	s_delay_alu instid0(VALU_DEP_3) | instskip(SKIP_2) | instid1(VALU_DEP_4)
	v_add3_u32 v31, v31, v131, v132
	v_mul_i32_i24_e32 v132, v254, v108
	v_mul_i32_i24_e32 v131, v253, v106
	;; [unrolled: 1-line block ×3, first 2 shown]
	s_delay_alu instid0(VALU_DEP_4) | instskip(NEXT) | instid1(VALU_DEP_4)
	v_add3_u32 v31, v31, v45, v134
	v_add3_u32 v126, v126, v132, v127
	v_mul_i32_i24_e32 v134, v0, v110
	v_bfe_u32 v45, v83, 16, 2
	v_mul_i32_i24_e32 v83, v48, v115
	v_add3_u32 v31, v31, v135, v47
	v_add3_u32 v126, v126, v128, v129
	v_bfe_u32 v47, v42, 24, 2
	v_mul_i32_i24_e32 v139, v45, v114
	v_mul_i32_i24_e32 v128, v18, v188
	;; [unrolled: 1-line block ×3, first 2 shown]
	v_add3_u32 v126, v126, v136, v130
	v_mul_i32_i24_e32 v135, v47, v111
	v_mul_i32_i24_e32 v130, v117, v54
	v_mul_lo_u32 v31, v31, v246
	v_mul_i32_i24_e32 v127, v17, v63
	v_add3_u32 v82, v126, v131, v82
	v_mul_i32_i24_e32 v131, v151, v123
	v_mov_b32_e32 v0, v26
	v_dual_mov_b32 v42, v203 :: v_dual_mov_b32 v203, v194
	s_delay_alu instid0(VALU_DEP_4) | instskip(NEXT) | instid1(VALU_DEP_4)
	v_add3_u32 v82, v82, v133, v134
	v_mad_i32_i24 v131, v226, v14, v131
	s_delay_alu instid0(VALU_DEP_4) | instskip(NEXT) | instid1(VALU_DEP_3)
	v_mov_b32_e32 v149, v0
	v_add3_u32 v82, v82, v135, v137
	s_delay_alu instid0(VALU_DEP_3) | instskip(SKIP_1) | instid1(VALU_DEP_3)
	v_add3_u32 v128, v131, v128, v129
	v_add_nc_u32_e32 v131, s20, v145
	v_add3_u32 v126, v82, v139, v83
	v_mul_i32_i24_e32 v82, v15, v26
	v_mul_i32_i24_e32 v83, v16, v250
	s_delay_alu instid0(VALU_DEP_2) | instskip(NEXT) | instid1(VALU_DEP_1)
	v_add3_u32 v82, v128, v130, v82
	v_add3_u32 v127, v82, v83, v127
	v_mad_u64_u32 v[82:83], null, v126, v189, v[31:32]
	v_lshrrev_b32_e32 v31, 16, v138
	s_delay_alu instid0(VALU_DEP_1) | instskip(NEXT) | instid1(VALU_DEP_3)
	v_cvt_f32_f16_e64 v190, v31
	v_cvt_f32_i32_e32 v31, v82
	v_cvt_f32_i32_e32 v82, v127
	s_delay_alu instid0(VALU_DEP_1) | instskip(NEXT) | instid1(VALU_DEP_1)
	v_mul_f32_e32 v82, v190, v82
	v_fma_mix_f32 v31, v138, v31, -v82 op_sel_hi:[1,0,0]
	s_delay_alu instid0(VALU_DEP_1)
	v_fmac_f32_e32 v29, v19, v31
	v_add_nc_u32_e32 v31, s19, v144
	scratch_store_b32 off, v29, off offset:68 ; 4-byte Folded Spill
	ds_load_2addr_b32 v[82:83], v31 offset1:1
	s_waitcnt lgkmcnt(0)
	v_ashrrev_i32_e32 v105, s16, v82
	v_ashrrev_i32_e32 v126, s16, v83
	ds_load_2addr_b32 v[82:83], v31 offset0:2 offset1:3
	v_and_b32_e32 v192, 3, v105
	v_bfe_u32 v24, v105, 8, 2
	v_and_b32_e32 v25, 3, v126
	v_bfe_u32 v193, v105, 16, 2
	v_bfe_u32 v196, v105, 24, 2
	v_mul_i32_i24_e32 v135, v192, v21
	v_mul_i32_i24_e32 v136, v24, v84
	v_bfe_u32 v26, v126, 8, 2
	v_mul_i32_i24_e32 v137, v193, v85
	v_mul_i32_i24_e32 v105, v196, v86
	v_mad_i32_i24 v135, v25, v87, v135
	v_bfe_u32 v27, v126, 16, 2
	v_mul_i32_i24_e32 v139, v26, v88
	v_bfe_u32 v200, v126, 24, 2
	s_delay_alu instid0(VALU_DEP_3)
	v_mul_i32_i24_e32 v140, v27, v89
	s_waitcnt lgkmcnt(0)
	v_ashrrev_i32_e32 v127, s16, v82
	v_ashrrev_i32_e32 v128, s16, v83
	ds_load_2addr_b32 v[82:83], v31 offset0:4 offset1:5
	v_mul_i32_i24_e32 v126, v200, v90
	v_and_b32_e32 v28, 3, v127
	v_and_b32_e32 v32, 3, v128
	v_bfe_u32 v29, v127, 8, 2
	v_bfe_u32 v202, v127, 16, 2
	;; [unrolled: 1-line block ×3, first 2 shown]
	v_mul_i32_i24_e32 v141, v28, v91
	v_mul_i32_i24_e32 v144, v32, v95
	;; [unrolled: 1-line block ×4, first 2 shown]
	v_bfe_u32 v33, v128, 8, 2
	v_add3_u32 v135, v135, v141, v136
	v_mul_i32_i24_e32 v127, v204, v94
	v_bfe_u32 v35, v128, 16, 2
	v_bfe_u32 v210, v128, 24, 2
	v_mul_i32_i24_e32 v145, v33, v96
	v_add3_u32 v105, v135, v137, v105
	s_waitcnt lgkmcnt(0)
	v_ashrrev_i32_e32 v129, s16, v82
	v_ashrrev_i32_e32 v130, s16, v83
	ds_load_2addr_b32 v[82:83], v31 offset0:6 offset1:7
	scratch_load_b32 v31, off, off offset:112 ; 4-byte Folded Reload
	v_add3_u32 v105, v105, v144, v139
	v_mul_i32_i24_e32 v146, v35, v97
	v_mul_i32_i24_e32 v128, v210, v98
	v_and_b32_e32 v213, 3, v129
	v_bfe_u32 v212, v129, 8, 2
	v_add3_u32 v105, v105, v140, v126
	v_and_b32_e32 v40, 3, v130
	v_bfe_u32 v214, v129, 16, 2
	v_bfe_u32 v217, v129, 24, 2
	;; [unrolled: 1-line block ×3, first 2 shown]
	v_add3_u32 v105, v105, v142, v143
	v_bfe_u32 v37, v130, 16, 2
	v_bfe_u32 v220, v130, 24, 2
	v_mul_i32_i24_e32 v129, v217, v102
	s_delay_alu instid0(VALU_DEP_4)
	v_add3_u32 v105, v105, v127, v145
	v_mul_i32_i24_e32 v127, v212, v100
	v_mul_i32_i24_e32 v135, v37, v106
	s_waitcnt lgkmcnt(0)
	v_ashrrev_i32_e32 v82, s16, v82
	v_ashrrev_i32_e32 v83, s16, v83
	v_add3_u32 v105, v105, v146, v128
	v_mul_i32_i24_e32 v128, v214, v101
	v_mul_i32_i24_e32 v130, v220, v107
	v_and_b32_e32 v218, 3, v82
	v_and_b32_e32 v221, 3, v83
	v_bfe_u32 v219, v82, 8, 2
	v_bfe_u32 v38, v82, 16, 2
	;; [unrolled: 1-line block ×3, first 2 shown]
	v_mul_i32_i24_e32 v136, v218, v108
	v_mul_i32_i24_e32 v140, v221, v112
	;; [unrolled: 1-line block ×4, first 2 shown]
	v_bfe_u32 v146, v83, 8, 2
	v_mul_i32_i24_e32 v82, v145, v111
	v_bfe_u32 v144, v83, 16, 2
	v_bfe_u32 v143, v83, 24, 2
	s_delay_alu instid0(VALU_DEP_4) | instskip(NEXT) | instid1(VALU_DEP_3)
	v_mul_i32_i24_e32 v141, v146, v113
	v_mul_i32_i24_e32 v142, v144, v114
	s_delay_alu instid0(VALU_DEP_3)
	v_mul_i32_i24_e32 v83, v143, v115
	s_waitcnt vmcnt(0)
	v_add3_u32 v31, v31, s18, v104
	ds_load_b32 v131, v131
	ds_load_u16 v31, v31
	s_waitcnt lgkmcnt(0)
	v_lshrrev_b16 v134, 8, v31
	v_and_b32_e32 v211, 15, v31
	v_bfe_u32 v132, v31, 4, 4
	s_delay_alu instid0(VALU_DEP_2) | instskip(NEXT) | instid1(VALU_DEP_4)
	v_mul_lo_u32 v31, v105, v211
	v_and_b32_e32 v105, 0xffff, v134
	v_mul_i32_i24_e32 v134, v216, v103
	s_delay_alu instid0(VALU_DEP_4) | instskip(NEXT) | instid1(VALU_DEP_3)
	v_mul_lo_u32 v133, 0x1010101, v132
	v_lshrrev_b32_e32 v183, 4, v105
	s_delay_alu instid0(VALU_DEP_1) | instskip(NEXT) | instid1(VALU_DEP_3)
	v_mul_lo_u32 v126, 0x1010101, v183
	v_bfe_i32 v206, v133, 8, 8
	v_bfe_i32 v23, v133, 16, 8
	v_lshrrev_b32_e32 v133, 24, v133
	s_delay_alu instid0(VALU_DEP_4) | instskip(SKIP_3) | instid1(VALU_DEP_1)
	v_bfe_i32 v36, v126, 8, 8
	v_bfe_i32 v209, v126, 16, 8
	v_lshrrev_b32_e32 v215, 24, v126
	v_mul_i32_i24_e32 v126, v213, v99
	v_mad_i32_i24 v126, v40, v13, v126
	s_delay_alu instid0(VALU_DEP_1) | instskip(SKIP_2) | instid1(VALU_DEP_3)
	v_add3_u32 v126, v126, v136, v127
	v_mul_i32_i24_e32 v127, v17, v36
	v_and_b32_e32 v136, 15, v105
	v_add3_u32 v126, v126, v128, v129
	v_mul_i32_i24_e32 v128, v18, v133
	v_mul_i32_i24_e32 v129, v116, v23
	s_delay_alu instid0(VALU_DEP_3) | instskip(SKIP_1) | instid1(VALU_DEP_2)
	v_add3_u32 v126, v126, v140, v134
	v_mul_i32_i24_e32 v134, v132, v123
	v_add3_u32 v126, v126, v135, v130
	s_delay_alu instid0(VALU_DEP_2) | instskip(SKIP_1) | instid1(VALU_DEP_3)
	v_mad_i32_i24 v134, v183, v14, v134
	v_mul_i32_i24_e32 v130, v117, v206
	v_add3_u32 v126, v126, v137, v139
	s_delay_alu instid0(VALU_DEP_3) | instskip(NEXT) | instid1(VALU_DEP_2)
	v_add3_u32 v128, v134, v128, v129
	v_add3_u32 v82, v126, v82, v141
	s_delay_alu instid0(VALU_DEP_1) | instskip(SKIP_2) | instid1(VALU_DEP_2)
	v_add3_u32 v126, v82, v142, v83
	v_mul_i32_i24_e32 v82, v15, v215
	v_mul_i32_i24_e32 v83, v16, v209
	v_add3_u32 v82, v128, v130, v82
	s_delay_alu instid0(VALU_DEP_1) | instskip(SKIP_2) | instid1(VALU_DEP_1)
	v_add3_u32 v127, v82, v83, v127
	v_mad_u64_u32 v[82:83], null, v126, v136, v[31:32]
	v_lshrrev_b32_e32 v31, 16, v131
	v_cvt_f32_f16_e64 v137, v31
	s_delay_alu instid0(VALU_DEP_3) | instskip(SKIP_1) | instid1(VALU_DEP_1)
	v_cvt_f32_i32_e32 v31, v82
	v_cvt_f32_i32_e32 v82, v127
	v_mul_f32_e32 v82, v137, v82
	s_delay_alu instid0(VALU_DEP_1) | instskip(NEXT) | instid1(VALU_DEP_1)
	v_fma_mix_f32 v31, v131, v31, -v82 op_sel_hi:[1,0,0]
	v_fmac_f32_e32 v159, v19, v31
	v_add_nc_u32_e32 v31, s19, v152
	scratch_store_b32 off, v159, off offset:72 ; 4-byte Folded Spill
	ds_load_2addr_b32 v[82:83], v31 offset1:1
	s_waitcnt lgkmcnt(0)
	v_ashrrev_i32_e32 v105, s16, v82
	v_ashrrev_i32_e32 v127, s16, v83
	ds_load_2addr_b32 v[82:83], v31 offset0:2 offset1:3
	v_and_b32_e32 v185, 3, v105
	v_bfe_u32 v187, v105, 16, 2
	v_bfe_u32 v164, v105, 24, 2
	;; [unrolled: 1-line block ×4, first 2 shown]
	v_mul_i32_i24_e32 v141, v185, v21
	v_bfe_u32 v21, v105, 8, 2
	v_bfe_u32 v105, v127, 8, 2
	v_mul_i32_i24_e32 v85, v187, v85
	v_mul_i32_i24_e32 v86, v164, v86
	;; [unrolled: 1-line block ×6, first 2 shown]
	s_waitcnt lgkmcnt(0)
	v_ashrrev_i32_e32 v128, s16, v82
	v_ashrrev_i32_e32 v139, s16, v83
	ds_load_2addr_b32 v[82:83], v31 offset0:4 offset1:5
	v_bfe_u32 v135, v128, 8, 2
	v_and_b32_e32 v170, 3, v139
	v_bfe_u32 v142, v128, 16, 2
	v_bfe_u32 v172, v128, 24, 2
	;; [unrolled: 1-line block ×3, first 2 shown]
	v_mul_i32_i24_e32 v92, v135, v92
	v_mul_i32_i24_e32 v95, v170, v95
	;; [unrolled: 1-line block ×5, first 2 shown]
	v_bfe_u32 v174, v139, 16, 2
	v_bfe_u32 v175, v139, 24, 2
	s_delay_alu instid0(VALU_DEP_2) | instskip(NEXT) | instid1(VALU_DEP_2)
	v_mul_i32_i24_e32 v97, v174, v97
	v_mul_i32_i24_e32 v98, v175, v98
	s_waitcnt lgkmcnt(0)
	v_ashrrev_i32_e32 v152, s16, v82
	v_ashrrev_i32_e32 v153, s16, v83
	ds_load_2addr_b32 v[82:83], v31 offset0:6 offset1:7
	scratch_load_b32 v31, off, off offset:108 ; 4-byte Folded Reload
	v_bfe_u32 v177, v152, 8, 2
	v_and_b32_e32 v186, 3, v153
	v_bfe_u32 v179, v152, 16, 2
	v_bfe_u32 v178, v153, 8, 2
	;; [unrolled: 1-line block ×3, first 2 shown]
	s_waitcnt lgkmcnt(0)
	v_ashrrev_i32_e32 v82, s16, v82
	v_ashrrev_i32_e32 v83, s16, v83
	s_add_i32 s16, s16, 2
	s_delay_alu instid0(VALU_DEP_2) | instskip(NEXT) | instid1(VALU_DEP_2)
	v_and_b32_e32 v197, 3, v82
	v_and_b32_e32 v199, 3, v83
	;; [unrolled: 1-line block ×3, first 2 shown]
	v_bfe_u32 v181, v82, 8, 2
	v_bfe_u32 v198, v82, 16, 2
	;; [unrolled: 1-line block ×4, first 2 shown]
	v_mov_b32_e32 v207, v22
	s_delay_alu instid0(VALU_DEP_3)
	v_mul_i32_i24_e32 v82, v184, v111
	s_waitcnt vmcnt(0)
	v_add3_u32 v31, v31, s18, v104
	v_add_nc_u32_e32 v104, s20, v154
	ds_load_b32 v126, v104
	ds_load_u16 v31, v31
	s_add_i32 s18, s13, s16
	s_delay_alu instid0(SALU_CYCLE_1) | instskip(NEXT) | instid1(SALU_CYCLE_1)
	s_add_i32 s18, s18, 8
	s_cmp_lt_u32 s18, s17
	s_waitcnt lgkmcnt(0)
	v_bfe_u32 v130, v31, 4, 4
	v_lshrrev_b16 v140, 8, v31
	v_and_b32_e32 v176, 15, v31
	s_delay_alu instid0(VALU_DEP_3) | instskip(NEXT) | instid1(VALU_DEP_1)
	v_mul_lo_u32 v104, 0x1010101, v130
	v_bfe_i32 v167, v104, 8, 8
	v_bfe_i32 v173, v104, 16, 8
	v_lshrrev_b32_e32 v161, 24, v104
	v_and_b32_e32 v104, 3, v127
	v_and_b32_e32 v127, 3, v128
	s_delay_alu instid0(VALU_DEP_2) | instskip(NEXT) | instid1(VALU_DEP_2)
	v_mad_i32_i24 v87, v104, v87, v141
	v_mul_i32_i24_e32 v91, v127, v91
	v_bfe_u32 v141, v83, 16, 2
	s_delay_alu instid0(VALU_DEP_2) | instskip(SKIP_2) | instid1(VALU_DEP_3)
	v_add3_u32 v84, v87, v91, v84
	v_mul_i32_i24_e32 v87, v179, v101
	v_mul_i32_i24_e32 v91, v180, v107
	v_add3_u32 v84, v84, v85, v86
	v_mul_i32_i24_e32 v86, v177, v100
	s_delay_alu instid0(VALU_DEP_2) | instskip(SKIP_1) | instid1(VALU_DEP_2)
	v_add3_u32 v84, v84, v95, v88
	v_mul_i32_i24_e32 v95, v199, v112
	v_add3_u32 v84, v84, v89, v90
	v_mul_i32_i24_e32 v89, v178, v103
	s_delay_alu instid0(VALU_DEP_2) | instskip(SKIP_2) | instid1(VALU_DEP_3)
	v_add3_u32 v84, v84, v92, v93
	v_mul_i32_i24_e32 v92, v197, v108
	v_mul_i32_i24_e32 v93, v181, v109
	v_add3_u32 v84, v84, v94, v96
	v_mul_i32_i24_e32 v94, v198, v110
	v_mul_i32_i24_e32 v96, v205, v113
	s_delay_alu instid0(VALU_DEP_3) | instskip(SKIP_1) | instid1(VALU_DEP_2)
	v_add3_u32 v84, v84, v97, v98
	v_mul_i32_i24_e32 v97, v141, v114
	v_mul_lo_u32 v31, v84, v176
	v_and_b32_e32 v84, 0xffff, v140
	v_bfe_u32 v140, v83, 24, 2
	s_delay_alu instid0(VALU_DEP_2) | instskip(NEXT) | instid1(VALU_DEP_2)
	v_lshrrev_b32_e32 v139, 4, v84
	v_mul_i32_i24_e32 v83, v140, v115
	v_and_b32_e32 v160, 15, v84
	s_delay_alu instid0(VALU_DEP_3) | instskip(NEXT) | instid1(VALU_DEP_1)
	v_mul_lo_u32 v85, 0x1010101, v139
	v_bfe_i32 v98, v85, 8, 8
	v_bfe_i32 v128, v85, 16, 8
	v_lshrrev_b32_e32 v201, 24, v85
	v_mul_i32_i24_e32 v85, v22, v99
	v_bfe_u32 v22, v152, 24, 2
	s_delay_alu instid0(VALU_DEP_4) | instskip(NEXT) | instid1(VALU_DEP_3)
	v_mov_b32_e32 v191, v128
	v_mad_i32_i24 v13, v186, v13, v85
	s_delay_alu instid0(VALU_DEP_3) | instskip(SKIP_4) | instid1(VALU_DEP_3)
	v_mul_i32_i24_e32 v88, v22, v102
	v_mov_b32_e32 v194, v22
	v_bfe_u32 v22, v153, 16, 2
	v_mul_i32_i24_e32 v85, v130, v123
	v_add3_u32 v13, v13, v92, v86
	v_mul_i32_i24_e32 v90, v22, v106
	s_delay_alu instid0(VALU_DEP_3) | instskip(NEXT) | instid1(VALU_DEP_3)
	v_mad_i32_i24 v14, v139, v14, v85
	v_add3_u32 v13, v13, v87, v88
	v_mov_b32_e32 v34, v22
	v_mov_b32_e32 v22, v98
	s_delay_alu instid0(VALU_DEP_3) | instskip(NEXT) | instid1(VALU_DEP_1)
	v_add3_u32 v13, v13, v95, v89
	v_add3_u32 v13, v13, v90, v91
	s_delay_alu instid0(VALU_DEP_1) | instskip(NEXT) | instid1(VALU_DEP_1)
	v_add3_u32 v13, v13, v93, v94
	v_add3_u32 v13, v13, v82, v96
	s_delay_alu instid0(VALU_DEP_1)
	v_add3_u32 v82, v13, v97, v83
	v_mul_i32_i24_e32 v13, v15, v201
	v_mul_i32_i24_e32 v15, v16, v128
	;; [unrolled: 1-line block ×6, first 2 shown]
	s_delay_alu instid0(VALU_DEP_2) | instskip(NEXT) | instid1(VALU_DEP_1)
	v_add3_u32 v14, v14, v17, v18
	v_add3_u32 v13, v14, v83, v13
	s_delay_alu instid0(VALU_DEP_1) | instskip(SKIP_2) | instid1(VALU_DEP_1)
	v_add3_u32 v15, v13, v15, v16
	v_mad_u64_u32 v[13:14], null, v82, v160, v[31:32]
	v_lshrrev_b32_e32 v14, 16, v126
	v_cvt_f32_f16_e64 v159, v14
	s_delay_alu instid0(VALU_DEP_4) | instskip(NEXT) | instid1(VALU_DEP_4)
	v_cvt_f32_i32_e32 v14, v15
	v_cvt_f32_i32_e32 v13, v13
	s_delay_alu instid0(VALU_DEP_2) | instskip(NEXT) | instid1(VALU_DEP_1)
	v_mul_f32_e32 v14, v159, v14
	v_fma_mix_f32 v13, v126, v13, -v14 op_sel_hi:[1,0,0]
	s_delay_alu instid0(VALU_DEP_1)
	v_fmac_f32_e32 v252, v19, v13
	ds_load_b128 v[13:16], v124 offset:1024
	v_mov_b32_e32 v158, v25
	s_waitcnt lgkmcnt(0)
	v_bfe_i32 v17, v13, 0, 8
	v_bfe_i32 v18, v13, 8, 8
	v_bfe_i32 v19, v13, 16, 8
	v_ashrrev_i32_e32 v31, 24, v13
	v_bfe_i32 v82, v14, 0, 8
	v_bfe_i32 v83, v14, 8, 8
	v_bfe_i32 v84, v14, 16, 8
	v_ashrrev_i32_e32 v85, 24, v14
	;; [unrolled: 4-line block ×4, first 2 shown]
	ds_load_b128 v[13:16], v124 offset:1040
	v_mul_i32_i24_e32 v152, v84, v76
	v_mul_i32_i24_e32 v153, v85, v62
	s_waitcnt lgkmcnt(0)
	v_ashrrev_i32_e32 v97, 24, v13
	v_ashrrev_i32_e32 v101, 24, v14
	v_bfe_i32 v94, v13, 0, 8
	v_bfe_i32 v95, v13, 8, 8
	;; [unrolled: 1-line block ×4, first 2 shown]
	v_ashrrev_i32_e32 v107, 24, v15
	v_bfe_i32 v108, v16, 0, 8
	v_bfe_i32 v109, v16, 8, 8
	;; [unrolled: 1-line block ×3, first 2 shown]
	v_ashrrev_i32_e32 v16, 24, v16
	v_add_nc_u32_e32 v13, v101, v97
	v_bfe_i32 v99, v14, 8, 8
	v_bfe_i32 v106, v15, 16, 8
	;; [unrolled: 1-line block ×4, first 2 shown]
	v_add3_u32 v111, v13, v107, v16
	v_add_nc_u32_e32 v13, v100, v96
	v_bfe_i32 v102, v15, 0, 8
	v_mul_i32_i24_e32 v14, v19, v61
	v_mul_i32_i24_e32 v15, v31, v56
	v_mul_i32_i24_e32 v154, v101, v71
	v_add3_u32 v112, v13, v106, v110
	v_add_nc_u32_e32 v13, v99, v95
	s_delay_alu instid0(VALU_DEP_1) | instskip(SKIP_1) | instid1(VALU_DEP_1)
	v_add3_u32 v113, v13, v103, v109
	v_add_nc_u32_e32 v13, v98, v94
	v_add3_u32 v114, v13, v102, v108
	v_add_nc_u32_e32 v13, v85, v31
	s_delay_alu instid0(VALU_DEP_1) | instskip(SKIP_1) | instid1(VALU_DEP_1)
	v_add3_u32 v115, v13, v89, v93
	v_add_nc_u32_e32 v13, v84, v19
	v_add3_u32 v116, v13, v88, v92
	v_add_nc_u32_e32 v13, v83, v18
	s_delay_alu instid0(VALU_DEP_2) | instskip(NEXT) | instid1(VALU_DEP_2)
	v_mul_i32_i24_e32 v155, v116, v147
	v_add3_u32 v117, v13, v87, v91
	v_add_nc_u32_e32 v13, v82, v17
	s_delay_alu instid0(VALU_DEP_2) | instskip(NEXT) | instid1(VALU_DEP_2)
	v_mul_i32_i24_e32 v156, v117, v1
	v_add3_u32 v123, v13, v86, v90
	v_mul_i32_i24_e32 v13, v17, v58
	s_delay_alu instid0(VALU_DEP_2) | instskip(NEXT) | instid1(VALU_DEP_2)
	v_mul_i32_i24_e32 v128, v123, v195
	v_mad_i32_i24 v13, v18, v53, v13
	s_delay_alu instid0(VALU_DEP_2) | instskip(NEXT) | instid1(VALU_DEP_2)
	v_mad_i32_i24 v128, v115, v41, v128
	v_add3_u32 v13, v13, v14, v15
	v_mul_i32_i24_e32 v14, v82, v73
	v_mul_i32_i24_e32 v15, v83, v50
	s_delay_alu instid0(VALU_DEP_4) | instskip(SKIP_2) | instid1(VALU_DEP_4)
	v_add3_u32 v128, v128, v155, v156
	v_mul_i32_i24_e32 v156, v123, v151
	v_mul_i32_i24_e32 v155, v117, v54
	v_add3_u32 v13, v13, v14, v15
	v_mul_i32_i24_e32 v14, v86, v75
	v_mul_i32_i24_e32 v15, v87, v78
	v_mad_i32_i24 v156, v115, v188, v156
	s_delay_alu instid0(VALU_DEP_4) | instskip(SKIP_2) | instid1(VALU_DEP_3)
	v_add3_u32 v13, v13, v152, v153
	v_mul_i32_i24_e32 v152, v88, v81
	v_mul_i32_i24_e32 v153, v89, v119
	v_add3_u32 v13, v13, v14, v15
	v_mul_i32_i24_e32 v14, v90, v80
	v_mul_i32_i24_e32 v15, v91, v118
	s_delay_alu instid0(VALU_DEP_3) | instskip(SKIP_2) | instid1(VALU_DEP_3)
	v_add3_u32 v13, v13, v152, v153
	v_mul_i32_i24_e32 v152, v92, v120
	v_mul_i32_i24_e32 v153, v93, v121
	v_add3_u32 v13, v13, v14, v15
	v_mul_i32_i24_e32 v14, v94, v70
	v_mul_i32_i24_e32 v15, v96, v122
	s_delay_alu instid0(VALU_DEP_3) | instskip(SKIP_1) | instid1(VALU_DEP_4)
	v_add3_u32 v13, v13, v152, v153
	v_mul_i32_i24_e32 v152, v97, v72
	v_mad_i32_i24 v14, v95, v5, v14
	v_mul_i32_i24_e32 v153, v100, v10
	s_delay_alu instid0(VALU_DEP_4) | instskip(NEXT) | instid1(VALU_DEP_3)
	v_mul_lo_u32 v13, v13, v4
	v_add3_u32 v14, v14, v15, v152
	v_mul_i32_i24_e32 v15, v98, v2
	v_mul_i32_i24_e32 v152, v99, v7
	s_delay_alu instid0(VALU_DEP_1) | instskip(SKIP_2) | instid1(VALU_DEP_3)
	v_add3_u32 v14, v14, v15, v152
	v_mul_i32_i24_e32 v15, v102, v8
	v_mul_i32_i24_e32 v152, v103, v11
	v_add3_u32 v14, v14, v153, v154
	v_mul_i32_i24_e32 v153, v106, v39
	v_mul_i32_i24_e32 v154, v107, v55
	s_delay_alu instid0(VALU_DEP_3) | instskip(SKIP_2) | instid1(VALU_DEP_3)
	v_add3_u32 v14, v14, v15, v152
	v_mul_i32_i24_e32 v15, v108, v9
	v_mul_i32_i24_e32 v152, v109, v77
	v_add3_u32 v14, v14, v153, v154
	v_mul_i32_i24_e32 v153, v110, v227
	v_mul_i32_i24_e32 v154, v16, v57
	s_delay_alu instid0(VALU_DEP_3) | instskip(SKIP_1) | instid1(VALU_DEP_2)
	v_add3_u32 v14, v14, v15, v152
	v_mul_i32_i24_e32 v15, v112, v6
	v_add3_u32 v152, v14, v153, v154
	v_mul_i32_i24_e32 v14, v111, v12
	v_mul_i32_i24_e32 v154, v114, v52
	;; [unrolled: 1-line block ×3, first 2 shown]
	s_delay_alu instid0(VALU_DEP_2) | instskip(SKIP_1) | instid1(VALU_DEP_2)
	v_add3_u32 v14, v128, v154, v14
	v_mul_i32_i24_e32 v154, v116, v59
	v_add3_u32 v128, v14, v15, v153
	v_mad_u64_u32 v[14:15], null, v152, v46, v[13:14]
	v_mul_i32_i24_e32 v15, v31, v235
	v_mul_i32_i24_e32 v152, v85, v238
	;; [unrolled: 1-line block ×3, first 2 shown]
	v_add3_u32 v154, v156, v154, v155
	v_mul_i32_i24_e32 v156, v123, v132
	v_mul_i32_i24_e32 v155, v117, v206
	v_cvt_f32_i32_e32 v13, v14
	v_cvt_f32_i32_e32 v14, v128
	v_mul_i32_i24_e32 v128, v84, v236
	v_mad_i32_i24 v156, v115, v133, v156
	s_delay_alu instid0(VALU_DEP_3) | instskip(NEXT) | instid1(VALU_DEP_1)
	v_mul_f32_e32 v14, v51, v14
	v_fma_mix_f32 v13, v182, v13, -v14 op_sel_hi:[1,0,0]
	v_mul_i32_i24_e32 v14, v19, v65
	s_delay_alu instid0(VALU_DEP_2) | instskip(SKIP_1) | instid1(VALU_DEP_1)
	v_fmac_f32_e32 v240, v20, v13
	v_mul_i32_i24_e32 v13, v17, v64
	v_mad_i32_i24 v13, v18, v60, v13
	s_delay_alu instid0(VALU_DEP_1) | instskip(SKIP_2) | instid1(VALU_DEP_1)
	v_add3_u32 v13, v13, v14, v15
	v_mul_i32_i24_e32 v14, v82, v66
	v_mul_i32_i24_e32 v15, v83, v67
	v_add3_u32 v13, v13, v14, v15
	v_mul_i32_i24_e32 v14, v86, v237
	v_mul_i32_i24_e32 v15, v87, v68
	s_delay_alu instid0(VALU_DEP_3) | instskip(SKIP_2) | instid1(VALU_DEP_3)
	v_add3_u32 v13, v13, v128, v152
	v_mul_i32_i24_e32 v128, v88, v69
	v_mul_i32_i24_e32 v152, v89, v242
	v_add3_u32 v13, v13, v14, v15
	v_mul_i32_i24_e32 v14, v90, v241
	v_mul_i32_i24_e32 v15, v91, v243
	s_delay_alu instid0(VALU_DEP_3) | instskip(SKIP_2) | instid1(VALU_DEP_3)
	v_add3_u32 v13, v13, v128, v152
	v_mul_i32_i24_e32 v128, v92, v244
	v_mul_i32_i24_e32 v152, v93, v245
	v_add3_u32 v13, v13, v14, v15
	v_mul_i32_i24_e32 v14, v94, v248
	v_mul_i32_i24_e32 v15, v96, v249
	s_delay_alu instid0(VALU_DEP_3) | instskip(SKIP_1) | instid1(VALU_DEP_4)
	v_add3_u32 v13, v13, v128, v152
	v_mul_i32_i24_e32 v128, v97, v74
	v_mad_i32_i24 v14, v95, v247, v14
	v_mul_i32_i24_e32 v152, v100, v253
	s_delay_alu instid0(VALU_DEP_4) | instskip(NEXT) | instid1(VALU_DEP_3)
	v_mul_lo_u32 v13, v13, v246
	v_add3_u32 v14, v14, v15, v128
	v_mul_i32_i24_e32 v15, v98, v49
	v_mul_i32_i24_e32 v128, v99, v251
	s_delay_alu instid0(VALU_DEP_1) | instskip(SKIP_2) | instid1(VALU_DEP_3)
	v_add3_u32 v14, v14, v15, v128
	v_mul_i32_i24_e32 v15, v102, v254
	v_mul_i32_i24_e32 v128, v103, v148
	v_add3_u32 v14, v14, v152, v153
	v_mul_i32_i24_e32 v152, v106, v150
	v_mul_i32_i24_e32 v153, v107, v47
	s_delay_alu instid0(VALU_DEP_3) | instskip(SKIP_2) | instid1(VALU_DEP_3)
	v_add3_u32 v14, v14, v15, v128
	v_mul_i32_i24_e32 v15, v108, v79
	v_mul_i32_i24_e32 v128, v109, v44
	v_add3_u32 v14, v14, v152, v153
	v_mul_i32_i24_e32 v152, v110, v45
	v_mul_i32_i24_e32 v153, v16, v48
	s_delay_alu instid0(VALU_DEP_3) | instskip(SKIP_1) | instid1(VALU_DEP_2)
	v_add3_u32 v14, v14, v15, v128
	v_mul_i32_i24_e32 v15, v112, v250
	v_add3_u32 v128, v14, v152, v153
	v_mul_i32_i24_e32 v14, v111, v0
	v_mul_i32_i24_e32 v153, v114, v226
	;; [unrolled: 1-line block ×3, first 2 shown]
	s_delay_alu instid0(VALU_DEP_2) | instskip(SKIP_2) | instid1(VALU_DEP_3)
	v_add3_u32 v14, v154, v153, v14
	v_mul_i32_i24_e32 v153, v101, v220
	v_mul_i32_i24_e32 v154, v116, v23
	v_add3_u32 v152, v14, v15, v152
	v_mad_u64_u32 v[14:15], null, v128, v189, v[13:14]
	v_mul_i32_i24_e32 v15, v31, v196
	v_mul_i32_i24_e32 v128, v84, v27
	v_add3_u32 v154, v156, v154, v155
	s_delay_alu instid0(VALU_DEP_4) | instskip(SKIP_2) | instid1(VALU_DEP_2)
	v_cvt_f32_i32_e32 v13, v14
	v_cvt_f32_i32_e32 v14, v152
	v_mul_i32_i24_e32 v152, v85, v200
	v_mul_f32_e32 v14, v190, v14
	s_delay_alu instid0(VALU_DEP_1) | instskip(SKIP_1) | instid1(VALU_DEP_2)
	v_fma_mix_f32 v13, v138, v13, -v14 op_sel_hi:[1,0,0]
	v_mul_i32_i24_e32 v14, v19, v193
	v_fmac_f32_e32 v239, v20, v13
	v_mul_i32_i24_e32 v13, v17, v192
	s_delay_alu instid0(VALU_DEP_1) | instskip(NEXT) | instid1(VALU_DEP_1)
	v_mad_i32_i24 v13, v18, v24, v13
	v_add3_u32 v13, v13, v14, v15
	v_mul_i32_i24_e32 v14, v82, v25
	v_mul_i32_i24_e32 v15, v83, v26
	s_delay_alu instid0(VALU_DEP_1) | instskip(SKIP_2) | instid1(VALU_DEP_3)
	v_add3_u32 v13, v13, v14, v15
	v_mul_i32_i24_e32 v14, v86, v28
	v_mul_i32_i24_e32 v15, v87, v29
	v_add3_u32 v13, v13, v128, v152
	v_mul_i32_i24_e32 v128, v88, v202
	v_mul_i32_i24_e32 v152, v89, v204
	s_delay_alu instid0(VALU_DEP_3) | instskip(SKIP_2) | instid1(VALU_DEP_3)
	v_add3_u32 v13, v13, v14, v15
	v_mul_i32_i24_e32 v14, v90, v32
	v_mul_i32_i24_e32 v15, v91, v33
	v_add3_u32 v13, v13, v128, v152
	v_mul_i32_i24_e32 v128, v92, v35
	v_mul_i32_i24_e32 v152, v93, v210
	s_delay_alu instid0(VALU_DEP_3) | instskip(SKIP_2) | instid1(VALU_DEP_3)
	v_add3_u32 v13, v13, v14, v15
	v_mul_i32_i24_e32 v14, v94, v213
	v_mul_i32_i24_e32 v15, v96, v214
	v_add3_u32 v13, v13, v128, v152
	v_mul_i32_i24_e32 v128, v97, v217
	s_delay_alu instid0(VALU_DEP_4) | instskip(SKIP_1) | instid1(VALU_DEP_4)
	v_mad_i32_i24 v14, v95, v212, v14
	v_mul_i32_i24_e32 v152, v100, v37
	v_mul_lo_u32 v13, v13, v211
	s_delay_alu instid0(VALU_DEP_3) | instskip(SKIP_2) | instid1(VALU_DEP_1)
	v_add3_u32 v14, v14, v15, v128
	v_mul_i32_i24_e32 v15, v98, v40
	v_mul_i32_i24_e32 v128, v99, v216
	v_add3_u32 v14, v14, v15, v128
	v_mul_i32_i24_e32 v15, v102, v218
	v_mul_i32_i24_e32 v128, v103, v219
	s_delay_alu instid0(VALU_DEP_3) | instskip(SKIP_2) | instid1(VALU_DEP_3)
	v_add3_u32 v14, v14, v152, v153
	v_mul_i32_i24_e32 v152, v106, v38
	v_mul_i32_i24_e32 v153, v107, v145
	v_add3_u32 v14, v14, v15, v128
	v_mul_i32_i24_e32 v15, v108, v221
	v_mul_i32_i24_e32 v128, v109, v146
	s_delay_alu instid0(VALU_DEP_3) | instskip(SKIP_3) | instid1(VALU_DEP_4)
	v_add3_u32 v14, v14, v152, v153
	v_mul_i32_i24_e32 v152, v110, v144
	v_mul_i32_i24_e32 v153, v16, v143
	;; [unrolled: 1-line block ×3, first 2 shown]
	v_add3_u32 v14, v14, v15, v128
	v_mul_i32_i24_e32 v15, v112, v209
	s_delay_alu instid0(VALU_DEP_2) | instskip(SKIP_3) | instid1(VALU_DEP_2)
	v_add3_u32 v128, v14, v152, v153
	v_mul_i32_i24_e32 v14, v111, v215
	v_mul_i32_i24_e32 v153, v114, v183
	;; [unrolled: 1-line block ×3, first 2 shown]
	v_add3_u32 v14, v154, v153, v14
	s_delay_alu instid0(VALU_DEP_1) | instskip(SKIP_3) | instid1(VALU_DEP_3)
	v_add3_u32 v152, v14, v15, v152
	v_mad_u64_u32 v[14:15], null, v128, v136, v[13:14]
	v_mul_i32_i24_e32 v15, v31, v164
	v_mul_i32_i24_e32 v31, v117, v167
	v_cvt_f32_i32_e32 v13, v14
	v_cvt_f32_i32_e32 v14, v152
	s_delay_alu instid0(VALU_DEP_1) | instskip(NEXT) | instid1(VALU_DEP_1)
	v_mul_f32_e32 v14, v137, v14
	v_fma_mix_f32 v13, v131, v13, -v14 op_sel_hi:[1,0,0]
	v_mul_i32_i24_e32 v14, v19, v187
	v_mul_i32_i24_e32 v19, v101, v180
	s_delay_alu instid0(VALU_DEP_3) | instskip(SKIP_2) | instid1(VALU_DEP_2)
	v_fmac_f32_e32 v234, v20, v13
	v_mul_i32_i24_e32 v13, v17, v185
	v_mul_i32_i24_e32 v17, v84, v129
	v_mad_i32_i24 v13, v18, v21, v13
	v_mul_i32_i24_e32 v18, v85, v168
	s_delay_alu instid0(VALU_DEP_2) | instskip(SKIP_3) | instid1(VALU_DEP_2)
	v_add3_u32 v13, v13, v14, v15
	v_mul_i32_i24_e32 v14, v82, v104
	v_mul_i32_i24_e32 v15, v83, v105
	v_mul_i32_i24_e32 v82, v123, v130
	v_add3_u32 v13, v13, v14, v15
	v_mul_i32_i24_e32 v14, v86, v127
	v_mul_i32_i24_e32 v15, v87, v135
	s_delay_alu instid0(VALU_DEP_4) | instskip(NEXT) | instid1(VALU_DEP_4)
	v_mad_i32_i24 v82, v115, v161, v82
	v_add3_u32 v13, v13, v17, v18
	v_mul_i32_i24_e32 v17, v88, v142
	v_mul_i32_i24_e32 v18, v89, v172
	s_delay_alu instid0(VALU_DEP_3) | instskip(SKIP_2) | instid1(VALU_DEP_3)
	v_add3_u32 v13, v13, v14, v15
	v_mul_i32_i24_e32 v14, v90, v170
	v_mul_i32_i24_e32 v15, v91, v171
	v_add3_u32 v13, v13, v17, v18
	v_mul_i32_i24_e32 v17, v92, v174
	v_mul_i32_i24_e32 v18, v93, v175
	s_delay_alu instid0(VALU_DEP_3) | instskip(SKIP_2) | instid1(VALU_DEP_3)
	v_add3_u32 v13, v13, v14, v15
	v_mul_i32_i24_e32 v14, v94, v207
	v_mul_i32_i24_e32 v15, v96, v179
	v_add3_u32 v13, v13, v17, v18
	v_mul_i32_i24_e32 v17, v97, v194
	s_delay_alu instid0(VALU_DEP_4) | instskip(SKIP_1) | instid1(VALU_DEP_4)
	v_mad_i32_i24 v14, v95, v177, v14
	v_mul_i32_i24_e32 v18, v100, v34
	v_mul_lo_u32 v13, v13, v176
	s_delay_alu instid0(VALU_DEP_3) | instskip(SKIP_2) | instid1(VALU_DEP_1)
	v_add3_u32 v14, v14, v15, v17
	v_mul_i32_i24_e32 v15, v98, v186
	v_mul_i32_i24_e32 v17, v99, v178
	v_add3_u32 v14, v14, v15, v17
	v_mul_i32_i24_e32 v15, v102, v197
	v_mul_i32_i24_e32 v17, v103, v181
	s_delay_alu instid0(VALU_DEP_3) | instskip(SKIP_2) | instid1(VALU_DEP_3)
	v_add3_u32 v14, v14, v18, v19
	v_mul_i32_i24_e32 v18, v106, v198
	v_mul_i32_i24_e32 v19, v107, v184
	v_add3_u32 v14, v14, v15, v17
	v_mul_i32_i24_e32 v15, v108, v199
	v_mul_i32_i24_e32 v17, v109, v205
	s_delay_alu instid0(VALU_DEP_3) | instskip(SKIP_2) | instid1(VALU_DEP_3)
	v_add3_u32 v14, v14, v18, v19
	v_mul_i32_i24_e32 v18, v110, v141
	v_mul_i32_i24_e32 v19, v116, v173
	v_add3_u32 v14, v14, v15, v17
	v_mul_i32_i24_e32 v15, v112, v191
	s_delay_alu instid0(VALU_DEP_3) | instskip(SKIP_1) | instid1(VALU_DEP_4)
	v_add3_u32 v19, v82, v19, v31
	v_mul_i32_i24_e32 v17, v113, v22
	v_add3_u32 v16, v14, v18, v16
	v_mul_i32_i24_e32 v14, v111, v201
	v_mul_i32_i24_e32 v18, v114, v139
	s_delay_alu instid0(VALU_DEP_1) | instskip(NEXT) | instid1(VALU_DEP_1)
	v_add3_u32 v14, v19, v18, v14
	v_add3_u32 v17, v14, v15, v17
	v_mad_u64_u32 v[14:15], null, v16, v160, v[13:14]
	s_delay_alu instid0(VALU_DEP_1) | instskip(NEXT) | instid1(VALU_DEP_3)
	v_cvt_f32_i32_e32 v13, v14
	v_cvt_f32_i32_e32 v14, v17
	s_delay_alu instid0(VALU_DEP_1) | instskip(NEXT) | instid1(VALU_DEP_1)
	v_mul_f32_e32 v14, v159, v14
	v_fma_mix_f32 v13, v126, v13, -v14 op_sel_hi:[1,0,0]
	s_delay_alu instid0(VALU_DEP_1)
	v_fmac_f32_e32 v233, v20, v13
	ds_load_2addr_b32 v[19:20], v125 offset0:64 offset1:96
	ds_load_b128 v[13:16], v124 offset:2048
	s_waitcnt lgkmcnt(0)
	v_bfe_i32 v17, v13, 0, 8
	v_bfe_i32 v18, v13, 8, 8
	v_bfe_i32 v31, v13, 16, 8
	v_ashrrev_i32_e32 v82, 24, v13
	v_bfe_i32 v83, v14, 0, 8
	v_bfe_i32 v84, v14, 8, 8
	v_bfe_i32 v85, v14, 16, 8
	v_ashrrev_i32_e32 v86, 24, v14
	;; [unrolled: 4-line block ×4, first 2 shown]
	ds_load_b128 v[13:16], v124 offset:2064
	v_mul_i32_i24_e32 v152, v85, v76
	v_mul_i32_i24_e32 v153, v86, v62
	s_waitcnt lgkmcnt(0)
	v_ashrrev_i32_e32 v98, 24, v13
	v_ashrrev_i32_e32 v102, 24, v14
	v_bfe_i32 v95, v13, 0, 8
	v_bfe_i32 v96, v13, 8, 8
	;; [unrolled: 1-line block ×4, first 2 shown]
	v_ashrrev_i32_e32 v108, 24, v15
	v_bfe_i32 v109, v16, 0, 8
	v_bfe_i32 v110, v16, 8, 8
	;; [unrolled: 1-line block ×3, first 2 shown]
	v_ashrrev_i32_e32 v16, 24, v16
	v_add_nc_u32_e32 v13, v102, v98
	v_bfe_i32 v100, v14, 8, 8
	v_bfe_i32 v107, v15, 16, 8
	;; [unrolled: 1-line block ×4, first 2 shown]
	v_add3_u32 v112, v13, v108, v16
	v_add_nc_u32_e32 v13, v101, v97
	v_bfe_i32 v103, v15, 0, 8
	v_mul_i32_i24_e32 v14, v31, v61
	v_mul_i32_i24_e32 v15, v82, v56
	v_mul_i32_i24_e32 v154, v102, v71
	v_add3_u32 v113, v13, v107, v111
	v_add_nc_u32_e32 v13, v100, v96
	s_delay_alu instid0(VALU_DEP_1) | instskip(SKIP_1) | instid1(VALU_DEP_1)
	v_add3_u32 v114, v13, v106, v110
	v_add_nc_u32_e32 v13, v99, v95
	v_add3_u32 v115, v13, v103, v109
	v_add_nc_u32_e32 v13, v86, v82
	s_delay_alu instid0(VALU_DEP_1) | instskip(SKIP_1) | instid1(VALU_DEP_1)
	v_add3_u32 v116, v13, v90, v94
	v_add_nc_u32_e32 v13, v85, v31
	v_add3_u32 v117, v13, v89, v93
	v_add_nc_u32_e32 v13, v84, v18
	s_delay_alu instid0(VALU_DEP_2) | instskip(NEXT) | instid1(VALU_DEP_2)
	v_mul_i32_i24_e32 v155, v117, v147
	v_add3_u32 v123, v13, v88, v92
	v_add_nc_u32_e32 v13, v83, v17
	s_delay_alu instid0(VALU_DEP_2) | instskip(NEXT) | instid1(VALU_DEP_2)
	v_mul_i32_i24_e32 v156, v123, v1
	v_add3_u32 v128, v13, v87, v91
	v_mul_i32_i24_e32 v13, v17, v58
	s_delay_alu instid0(VALU_DEP_2) | instskip(NEXT) | instid1(VALU_DEP_2)
	v_mul_i32_i24_e32 v134, v128, v195
	v_mad_i32_i24 v13, v18, v53, v13
	s_delay_alu instid0(VALU_DEP_2) | instskip(NEXT) | instid1(VALU_DEP_2)
	v_mad_i32_i24 v134, v116, v41, v134
	v_add3_u32 v13, v13, v14, v15
	v_mul_i32_i24_e32 v14, v83, v73
	v_mul_i32_i24_e32 v15, v84, v50
	s_delay_alu instid0(VALU_DEP_4) | instskip(SKIP_2) | instid1(VALU_DEP_4)
	v_add3_u32 v134, v134, v155, v156
	v_mul_i32_i24_e32 v156, v128, v151
	v_mul_i32_i24_e32 v155, v123, v54
	v_add3_u32 v13, v13, v14, v15
	v_mul_i32_i24_e32 v14, v87, v75
	v_mul_i32_i24_e32 v15, v88, v78
	v_mad_i32_i24 v156, v116, v188, v156
	s_delay_alu instid0(VALU_DEP_4) | instskip(SKIP_2) | instid1(VALU_DEP_3)
	v_add3_u32 v13, v13, v152, v153
	v_mul_i32_i24_e32 v152, v89, v81
	v_mul_i32_i24_e32 v153, v90, v119
	v_add3_u32 v13, v13, v14, v15
	v_mul_i32_i24_e32 v14, v91, v80
	v_mul_i32_i24_e32 v15, v92, v118
	s_delay_alu instid0(VALU_DEP_3) | instskip(SKIP_2) | instid1(VALU_DEP_3)
	v_add3_u32 v13, v13, v152, v153
	v_mul_i32_i24_e32 v152, v93, v120
	v_mul_i32_i24_e32 v153, v94, v121
	v_add3_u32 v13, v13, v14, v15
	v_mul_i32_i24_e32 v14, v95, v70
	v_mul_i32_i24_e32 v15, v97, v122
	s_delay_alu instid0(VALU_DEP_3) | instskip(SKIP_1) | instid1(VALU_DEP_4)
	v_add3_u32 v13, v13, v152, v153
	v_mul_i32_i24_e32 v152, v98, v72
	v_mad_i32_i24 v14, v96, v5, v14
	v_mul_i32_i24_e32 v153, v101, v10
	s_delay_alu instid0(VALU_DEP_4) | instskip(NEXT) | instid1(VALU_DEP_3)
	v_mul_lo_u32 v13, v13, v4
	v_add3_u32 v14, v14, v15, v152
	v_mul_i32_i24_e32 v15, v99, v2
	v_mul_i32_i24_e32 v152, v100, v7
	s_delay_alu instid0(VALU_DEP_1) | instskip(SKIP_2) | instid1(VALU_DEP_3)
	v_add3_u32 v14, v14, v15, v152
	v_mul_i32_i24_e32 v15, v103, v8
	v_mul_i32_i24_e32 v152, v106, v11
	v_add3_u32 v14, v14, v153, v154
	v_mul_i32_i24_e32 v153, v107, v39
	v_mul_i32_i24_e32 v154, v108, v55
	s_delay_alu instid0(VALU_DEP_3) | instskip(SKIP_2) | instid1(VALU_DEP_3)
	v_add3_u32 v14, v14, v15, v152
	v_mul_i32_i24_e32 v15, v109, v9
	v_mul_i32_i24_e32 v152, v110, v77
	v_add3_u32 v14, v14, v153, v154
	v_mul_i32_i24_e32 v153, v111, v227
	v_mul_i32_i24_e32 v154, v16, v57
	s_delay_alu instid0(VALU_DEP_3) | instskip(SKIP_1) | instid1(VALU_DEP_2)
	v_add3_u32 v14, v14, v15, v152
	v_mul_i32_i24_e32 v15, v113, v6
	v_add3_u32 v152, v14, v153, v154
	v_mul_i32_i24_e32 v14, v112, v12
	v_mul_i32_i24_e32 v154, v115, v52
	;; [unrolled: 1-line block ×3, first 2 shown]
	s_delay_alu instid0(VALU_DEP_2) | instskip(SKIP_1) | instid1(VALU_DEP_2)
	v_add3_u32 v14, v134, v154, v14
	v_mul_i32_i24_e32 v154, v117, v59
	v_add3_u32 v134, v14, v15, v153
	v_mad_u64_u32 v[14:15], null, v152, v46, v[13:14]
	v_mul_i32_i24_e32 v15, v82, v235
	v_mul_i32_i24_e32 v152, v86, v238
	;; [unrolled: 1-line block ×3, first 2 shown]
	v_add3_u32 v154, v156, v154, v155
	v_mul_i32_i24_e32 v156, v128, v132
	v_mul_i32_i24_e32 v155, v123, v206
	v_cvt_f32_i32_e32 v13, v14
	v_cvt_f32_i32_e32 v14, v134
	v_mul_i32_i24_e32 v134, v85, v236
	v_mad_i32_i24 v156, v116, v133, v156
	s_delay_alu instid0(VALU_DEP_3) | instskip(NEXT) | instid1(VALU_DEP_1)
	v_mul_f32_e32 v14, v51, v14
	v_fma_mix_f32 v13, v182, v13, -v14 op_sel_hi:[1,0,0]
	v_mul_i32_i24_e32 v14, v31, v65
	s_delay_alu instid0(VALU_DEP_2) | instskip(SKIP_1) | instid1(VALU_DEP_1)
	v_fmac_f32_e32 v232, v19, v13
	v_mul_i32_i24_e32 v13, v17, v64
	v_mad_i32_i24 v13, v18, v60, v13
	s_delay_alu instid0(VALU_DEP_1) | instskip(SKIP_2) | instid1(VALU_DEP_1)
	v_add3_u32 v13, v13, v14, v15
	v_mul_i32_i24_e32 v14, v83, v66
	v_mul_i32_i24_e32 v15, v84, v67
	v_add3_u32 v13, v13, v14, v15
	v_mul_i32_i24_e32 v14, v87, v237
	v_mul_i32_i24_e32 v15, v88, v68
	s_delay_alu instid0(VALU_DEP_3) | instskip(SKIP_2) | instid1(VALU_DEP_3)
	v_add3_u32 v13, v13, v134, v152
	v_mul_i32_i24_e32 v134, v89, v69
	v_mul_i32_i24_e32 v152, v90, v242
	v_add3_u32 v13, v13, v14, v15
	v_mul_i32_i24_e32 v14, v91, v241
	v_mul_i32_i24_e32 v15, v92, v243
	s_delay_alu instid0(VALU_DEP_3) | instskip(SKIP_2) | instid1(VALU_DEP_3)
	v_add3_u32 v13, v13, v134, v152
	v_mul_i32_i24_e32 v134, v93, v244
	v_mul_i32_i24_e32 v152, v94, v245
	v_add3_u32 v13, v13, v14, v15
	v_mul_i32_i24_e32 v14, v95, v248
	v_mul_i32_i24_e32 v15, v97, v249
	s_delay_alu instid0(VALU_DEP_3) | instskip(SKIP_1) | instid1(VALU_DEP_4)
	v_add3_u32 v13, v13, v134, v152
	v_mul_i32_i24_e32 v134, v98, v74
	v_mad_i32_i24 v14, v96, v247, v14
	v_mul_i32_i24_e32 v152, v101, v253
	s_delay_alu instid0(VALU_DEP_4) | instskip(NEXT) | instid1(VALU_DEP_3)
	v_mul_lo_u32 v13, v13, v246
	v_add3_u32 v14, v14, v15, v134
	v_mul_i32_i24_e32 v15, v99, v49
	v_mul_i32_i24_e32 v134, v100, v251
	s_delay_alu instid0(VALU_DEP_1) | instskip(SKIP_2) | instid1(VALU_DEP_3)
	v_add3_u32 v14, v14, v15, v134
	v_mul_i32_i24_e32 v15, v103, v254
	v_mul_i32_i24_e32 v134, v106, v148
	v_add3_u32 v14, v14, v152, v153
	v_mul_i32_i24_e32 v152, v107, v150
	v_mul_i32_i24_e32 v153, v108, v47
	v_mov_b32_e32 v150, v29
	s_delay_alu instid0(VALU_DEP_4) | instskip(SKIP_2) | instid1(VALU_DEP_3)
	v_add3_u32 v14, v14, v15, v134
	v_mul_i32_i24_e32 v15, v109, v79
	v_mul_i32_i24_e32 v134, v110, v44
	v_add3_u32 v14, v14, v152, v153
	v_mul_i32_i24_e32 v152, v111, v45
	v_mul_i32_i24_e32 v153, v16, v48
	s_delay_alu instid0(VALU_DEP_3) | instskip(SKIP_1) | instid1(VALU_DEP_2)
	v_add3_u32 v14, v14, v15, v134
	v_mul_i32_i24_e32 v15, v113, v250
	v_add3_u32 v134, v14, v152, v153
	v_mul_i32_i24_e32 v14, v112, v0
	v_mul_i32_i24_e32 v153, v115, v226
	;; [unrolled: 1-line block ×3, first 2 shown]
	v_mov_b32_e32 v0, v23
	s_delay_alu instid0(VALU_DEP_3) | instskip(SKIP_2) | instid1(VALU_DEP_4)
	v_add3_u32 v14, v154, v153, v14
	v_mul_i32_i24_e32 v153, v102, v220
	v_mul_i32_i24_e32 v154, v117, v23
	v_mov_b32_e32 v163, v0
	s_delay_alu instid0(VALU_DEP_4) | instskip(SKIP_4) | instid1(VALU_DEP_4)
	v_add3_u32 v152, v14, v15, v152
	v_mad_u64_u32 v[14:15], null, v134, v189, v[13:14]
	v_mul_i32_i24_e32 v15, v82, v196
	v_mul_i32_i24_e32 v134, v85, v27
	v_add3_u32 v154, v156, v154, v155
	v_cvt_f32_i32_e32 v13, v14
	v_cvt_f32_i32_e32 v14, v152
	v_mul_i32_i24_e32 v152, v86, v200
	s_delay_alu instid0(VALU_DEP_2) | instskip(NEXT) | instid1(VALU_DEP_1)
	v_mul_f32_e32 v14, v190, v14
	v_fma_mix_f32 v13, v138, v13, -v14 op_sel_hi:[1,0,0]
	v_mul_i32_i24_e32 v14, v31, v193
	s_delay_alu instid0(VALU_DEP_2) | instskip(SKIP_1) | instid1(VALU_DEP_1)
	v_fmac_f32_e32 v231, v19, v13
	v_mul_i32_i24_e32 v13, v17, v192
	v_mad_i32_i24 v13, v18, v24, v13
	s_delay_alu instid0(VALU_DEP_1) | instskip(SKIP_2) | instid1(VALU_DEP_1)
	v_add3_u32 v13, v13, v14, v15
	v_mul_i32_i24_e32 v14, v83, v25
	v_mul_i32_i24_e32 v15, v84, v26
	v_add3_u32 v13, v13, v14, v15
	v_mul_i32_i24_e32 v14, v87, v28
	v_mul_i32_i24_e32 v15, v88, v29
	s_delay_alu instid0(VALU_DEP_3) | instskip(SKIP_2) | instid1(VALU_DEP_3)
	v_add3_u32 v13, v13, v134, v152
	v_mul_i32_i24_e32 v134, v89, v202
	v_mul_i32_i24_e32 v152, v90, v204
	v_add3_u32 v13, v13, v14, v15
	v_mul_i32_i24_e32 v14, v91, v32
	v_mul_i32_i24_e32 v15, v92, v33
	s_delay_alu instid0(VALU_DEP_3) | instskip(SKIP_2) | instid1(VALU_DEP_3)
	v_add3_u32 v13, v13, v134, v152
	v_mul_i32_i24_e32 v134, v93, v35
	v_mul_i32_i24_e32 v152, v94, v210
	v_add3_u32 v13, v13, v14, v15
	v_mul_i32_i24_e32 v14, v95, v213
	v_mul_i32_i24_e32 v15, v97, v214
	s_delay_alu instid0(VALU_DEP_3) | instskip(SKIP_1) | instid1(VALU_DEP_4)
	v_add3_u32 v13, v13, v134, v152
	v_mul_i32_i24_e32 v134, v98, v217
	v_mad_i32_i24 v14, v96, v212, v14
	v_mul_i32_i24_e32 v152, v101, v37
	s_delay_alu instid0(VALU_DEP_4) | instskip(NEXT) | instid1(VALU_DEP_3)
	v_mul_lo_u32 v13, v13, v211
	v_add3_u32 v14, v14, v15, v134
	v_mul_i32_i24_e32 v15, v99, v40
	v_mul_i32_i24_e32 v134, v100, v216
	s_delay_alu instid0(VALU_DEP_1) | instskip(SKIP_2) | instid1(VALU_DEP_3)
	v_add3_u32 v14, v14, v15, v134
	v_mul_i32_i24_e32 v15, v103, v218
	v_mul_i32_i24_e32 v134, v106, v219
	v_add3_u32 v14, v14, v152, v153
	v_mul_i32_i24_e32 v152, v107, v38
	v_mul_i32_i24_e32 v153, v108, v145
	s_delay_alu instid0(VALU_DEP_3) | instskip(SKIP_2) | instid1(VALU_DEP_3)
	v_add3_u32 v14, v14, v15, v134
	v_mul_i32_i24_e32 v15, v109, v221
	v_mul_i32_i24_e32 v134, v110, v146
	v_add3_u32 v14, v14, v152, v153
	v_mul_i32_i24_e32 v152, v111, v144
	v_mul_i32_i24_e32 v153, v16, v143
	;; [unrolled: 1-line block ×3, first 2 shown]
	s_delay_alu instid0(VALU_DEP_4) | instskip(SKIP_1) | instid1(VALU_DEP_2)
	v_add3_u32 v14, v14, v15, v134
	v_mul_i32_i24_e32 v15, v113, v209
	v_add3_u32 v134, v14, v152, v153
	v_mul_i32_i24_e32 v14, v112, v215
	v_mul_i32_i24_e32 v153, v115, v183
	;; [unrolled: 1-line block ×3, first 2 shown]
	s_delay_alu instid0(VALU_DEP_2) | instskip(NEXT) | instid1(VALU_DEP_1)
	v_add3_u32 v14, v154, v153, v14
	v_add3_u32 v152, v14, v15, v152
	v_mad_u64_u32 v[14:15], null, v134, v136, v[13:14]
	v_mul_i32_i24_e32 v15, v82, v164
	v_mul_i32_i24_e32 v82, v123, v167
	s_delay_alu instid0(VALU_DEP_3) | instskip(SKIP_1) | instid1(VALU_DEP_1)
	v_cvt_f32_i32_e32 v13, v14
	v_cvt_f32_i32_e32 v14, v152
	v_mul_f32_e32 v14, v137, v14
	s_delay_alu instid0(VALU_DEP_1) | instskip(SKIP_2) | instid1(VALU_DEP_3)
	v_fma_mix_f32 v13, v131, v13, -v14 op_sel_hi:[1,0,0]
	v_mul_i32_i24_e32 v14, v31, v187
	v_mul_i32_i24_e32 v31, v102, v180
	v_fmac_f32_e32 v230, v19, v13
	v_mul_i32_i24_e32 v13, v17, v185
	v_mul_i32_i24_e32 v17, v85, v129
	s_delay_alu instid0(VALU_DEP_2) | instskip(SKIP_1) | instid1(VALU_DEP_2)
	v_mad_i32_i24 v13, v18, v21, v13
	v_mul_i32_i24_e32 v18, v86, v168
	v_add3_u32 v13, v13, v14, v15
	v_mul_i32_i24_e32 v14, v83, v104
	v_mul_i32_i24_e32 v15, v84, v105
	;; [unrolled: 1-line block ×3, first 2 shown]
	s_delay_alu instid0(VALU_DEP_2) | instskip(SKIP_2) | instid1(VALU_DEP_4)
	v_add3_u32 v13, v13, v14, v15
	v_mul_i32_i24_e32 v14, v87, v127
	v_mul_i32_i24_e32 v15, v88, v135
	v_mad_i32_i24 v83, v116, v161, v83
	s_delay_alu instid0(VALU_DEP_4) | instskip(SKIP_2) | instid1(VALU_DEP_3)
	v_add3_u32 v13, v13, v17, v18
	v_mul_i32_i24_e32 v17, v89, v142
	v_mul_i32_i24_e32 v18, v90, v172
	v_add3_u32 v13, v13, v14, v15
	v_mul_i32_i24_e32 v14, v91, v170
	v_mul_i32_i24_e32 v15, v92, v171
	s_delay_alu instid0(VALU_DEP_3) | instskip(SKIP_2) | instid1(VALU_DEP_3)
	v_add3_u32 v13, v13, v17, v18
	v_mul_i32_i24_e32 v17, v93, v174
	v_mul_i32_i24_e32 v18, v94, v175
	v_add3_u32 v13, v13, v14, v15
	v_mul_i32_i24_e32 v14, v95, v207
	v_mul_i32_i24_e32 v15, v97, v179
	s_delay_alu instid0(VALU_DEP_3) | instskip(SKIP_1) | instid1(VALU_DEP_4)
	v_add3_u32 v13, v13, v17, v18
	v_mul_i32_i24_e32 v17, v98, v194
	v_mad_i32_i24 v14, v96, v177, v14
	v_mul_i32_i24_e32 v18, v101, v34
	s_delay_alu instid0(VALU_DEP_4) | instskip(NEXT) | instid1(VALU_DEP_3)
	v_mul_lo_u32 v13, v13, v176
	v_add3_u32 v14, v14, v15, v17
	v_mul_i32_i24_e32 v15, v99, v186
	v_mul_i32_i24_e32 v17, v100, v178
	s_delay_alu instid0(VALU_DEP_1) | instskip(SKIP_2) | instid1(VALU_DEP_3)
	v_add3_u32 v14, v14, v15, v17
	v_mul_i32_i24_e32 v15, v103, v197
	v_mul_i32_i24_e32 v17, v106, v181
	v_add3_u32 v14, v14, v18, v31
	v_mul_i32_i24_e32 v18, v107, v198
	v_mul_i32_i24_e32 v31, v108, v184
	s_delay_alu instid0(VALU_DEP_3) | instskip(SKIP_2) | instid1(VALU_DEP_3)
	v_add3_u32 v14, v14, v15, v17
	v_mul_i32_i24_e32 v15, v109, v199
	v_mul_i32_i24_e32 v17, v110, v205
	v_add3_u32 v14, v14, v18, v31
	v_mul_i32_i24_e32 v18, v111, v141
	v_mul_i32_i24_e32 v31, v117, v173
	s_delay_alu instid0(VALU_DEP_3) | instskip(SKIP_1) | instid1(VALU_DEP_3)
	v_add3_u32 v14, v14, v15, v17
	v_mul_i32_i24_e32 v15, v113, v191
	v_add3_u32 v31, v83, v31, v82
	v_mul_i32_i24_e32 v17, v114, v22
	s_delay_alu instid0(VALU_DEP_4) | instskip(SKIP_2) | instid1(VALU_DEP_1)
	v_add3_u32 v16, v14, v18, v16
	v_mul_i32_i24_e32 v14, v112, v201
	v_mul_i32_i24_e32 v18, v115, v139
	v_add3_u32 v14, v31, v18, v14
	s_delay_alu instid0(VALU_DEP_1) | instskip(SKIP_1) | instid1(VALU_DEP_1)
	v_add3_u32 v17, v14, v15, v17
	v_mad_u64_u32 v[14:15], null, v16, v160, v[13:14]
	v_cvt_f32_i32_e32 v13, v14
	s_delay_alu instid0(VALU_DEP_3) | instskip(NEXT) | instid1(VALU_DEP_1)
	v_cvt_f32_i32_e32 v14, v17
	v_mul_f32_e32 v14, v159, v14
	s_delay_alu instid0(VALU_DEP_1) | instskip(NEXT) | instid1(VALU_DEP_1)
	v_fma_mix_f32 v13, v126, v13, -v14 op_sel_hi:[1,0,0]
	v_fmac_f32_e32 v229, v19, v13
	ds_load_b128 v[13:16], v124 offset:3072
	v_dual_mov_b32 v23, v2 :: v_dual_mov_b32 v2, v147
	s_delay_alu instid0(VALU_DEP_1)
	v_mov_b32_e32 v147, v23
	s_waitcnt lgkmcnt(0)
	v_bfe_i32 v17, v13, 0, 8
	v_bfe_i32 v18, v13, 8, 8
	v_bfe_i32 v19, v13, 16, 8
	v_ashrrev_i32_e32 v31, 24, v13
	v_bfe_i32 v82, v14, 0, 8
	v_bfe_i32 v83, v14, 8, 8
	v_bfe_i32 v84, v14, 16, 8
	v_ashrrev_i32_e32 v85, 24, v14
	;; [unrolled: 4-line block ×4, first 2 shown]
	ds_load_b128 v[13:16], v124 offset:3088
	v_mul_i32_i24_e32 v128, v84, v76
	v_mul_i32_i24_e32 v134, v85, v62
	s_waitcnt lgkmcnt(0)
	v_ashrrev_i32_e32 v97, 24, v13
	v_ashrrev_i32_e32 v101, 24, v14
	v_bfe_i32 v94, v13, 0, 8
	v_bfe_i32 v95, v13, 8, 8
	;; [unrolled: 1-line block ×4, first 2 shown]
	v_ashrrev_i32_e32 v107, 24, v15
	v_bfe_i32 v108, v16, 0, 8
	v_bfe_i32 v109, v16, 8, 8
	;; [unrolled: 1-line block ×3, first 2 shown]
	v_ashrrev_i32_e32 v16, 24, v16
	v_add_nc_u32_e32 v13, v101, v97
	v_bfe_i32 v99, v14, 8, 8
	v_bfe_i32 v106, v15, 16, 8
	;; [unrolled: 1-line block ×4, first 2 shown]
	v_add3_u32 v111, v13, v107, v16
	v_add_nc_u32_e32 v13, v100, v96
	v_bfe_i32 v102, v15, 0, 8
	v_mul_i32_i24_e32 v14, v19, v61
	v_mul_i32_i24_e32 v15, v31, v56
	;; [unrolled: 1-line block ×3, first 2 shown]
	v_add3_u32 v112, v13, v106, v110
	v_add_nc_u32_e32 v13, v99, v95
	s_delay_alu instid0(VALU_DEP_1) | instskip(SKIP_1) | instid1(VALU_DEP_1)
	v_add3_u32 v113, v13, v103, v109
	v_add_nc_u32_e32 v13, v98, v94
	v_add3_u32 v114, v13, v102, v108
	v_add_nc_u32_e32 v13, v85, v31
	s_delay_alu instid0(VALU_DEP_1) | instskip(SKIP_1) | instid1(VALU_DEP_1)
	v_add3_u32 v115, v13, v89, v93
	v_add_nc_u32_e32 v13, v84, v19
	v_add3_u32 v116, v13, v88, v92
	v_add_nc_u32_e32 v13, v83, v18
	s_delay_alu instid0(VALU_DEP_2) | instskip(NEXT) | instid1(VALU_DEP_2)
	v_mul_i32_i24_e32 v153, v116, v2
	v_add3_u32 v117, v13, v87, v91
	v_add_nc_u32_e32 v13, v82, v17
	s_delay_alu instid0(VALU_DEP_2) | instskip(NEXT) | instid1(VALU_DEP_2)
	v_mul_i32_i24_e32 v154, v117, v1
	v_add3_u32 v123, v13, v86, v90
	v_mul_i32_i24_e32 v13, v17, v58
	s_delay_alu instid0(VALU_DEP_2) | instskip(NEXT) | instid1(VALU_DEP_2)
	v_mul_i32_i24_e32 v155, v123, v195
	v_mad_i32_i24 v13, v18, v53, v13
	s_delay_alu instid0(VALU_DEP_2) | instskip(NEXT) | instid1(VALU_DEP_2)
	v_mad_i32_i24 v155, v115, v41, v155
	v_add3_u32 v13, v13, v14, v15
	v_mul_i32_i24_e32 v14, v82, v73
	v_mul_i32_i24_e32 v15, v83, v50
	s_delay_alu instid0(VALU_DEP_4) | instskip(SKIP_2) | instid1(VALU_DEP_4)
	v_add3_u32 v153, v155, v153, v154
	v_mul_i32_i24_e32 v155, v123, v151
	v_mul_i32_i24_e32 v154, v117, v54
	v_add3_u32 v13, v13, v14, v15
	v_mul_i32_i24_e32 v14, v86, v75
	v_mul_i32_i24_e32 v15, v87, v78
	v_mad_i32_i24 v155, v115, v188, v155
	s_delay_alu instid0(VALU_DEP_4) | instskip(SKIP_2) | instid1(VALU_DEP_3)
	v_add3_u32 v13, v13, v128, v134
	v_mul_i32_i24_e32 v128, v88, v81
	v_mul_i32_i24_e32 v134, v89, v119
	v_add3_u32 v13, v13, v14, v15
	v_mul_i32_i24_e32 v14, v90, v80
	v_mul_i32_i24_e32 v15, v91, v118
	s_delay_alu instid0(VALU_DEP_3) | instskip(SKIP_2) | instid1(VALU_DEP_3)
	v_add3_u32 v13, v13, v128, v134
	v_mul_i32_i24_e32 v128, v92, v120
	v_mul_i32_i24_e32 v134, v93, v121
	v_add3_u32 v13, v13, v14, v15
	v_mul_i32_i24_e32 v14, v94, v70
	v_mul_i32_i24_e32 v15, v96, v122
	s_delay_alu instid0(VALU_DEP_3) | instskip(SKIP_1) | instid1(VALU_DEP_4)
	v_add3_u32 v13, v13, v128, v134
	v_mul_i32_i24_e32 v128, v97, v72
	v_mad_i32_i24 v14, v95, v5, v14
	v_mul_i32_i24_e32 v134, v100, v10
	s_delay_alu instid0(VALU_DEP_4) | instskip(NEXT) | instid1(VALU_DEP_3)
	v_mul_lo_u32 v13, v13, v4
	v_add3_u32 v14, v14, v15, v128
	v_mul_i32_i24_e32 v15, v98, v23
	v_mul_i32_i24_e32 v128, v99, v7
	s_delay_alu instid0(VALU_DEP_1) | instskip(SKIP_2) | instid1(VALU_DEP_3)
	v_add3_u32 v14, v14, v15, v128
	v_mul_i32_i24_e32 v15, v102, v8
	v_mul_i32_i24_e32 v128, v103, v11
	v_add3_u32 v14, v14, v134, v152
	v_mul_i32_i24_e32 v134, v106, v39
	v_mul_i32_i24_e32 v152, v107, v55
	s_delay_alu instid0(VALU_DEP_3) | instskip(SKIP_2) | instid1(VALU_DEP_3)
	v_add3_u32 v14, v14, v15, v128
	v_mul_i32_i24_e32 v15, v108, v9
	v_mul_i32_i24_e32 v128, v109, v77
	v_add3_u32 v14, v14, v134, v152
	v_mul_i32_i24_e32 v134, v110, v227
	v_mul_i32_i24_e32 v152, v16, v57
	s_delay_alu instid0(VALU_DEP_3) | instskip(SKIP_1) | instid1(VALU_DEP_2)
	v_add3_u32 v14, v14, v15, v128
	v_mul_i32_i24_e32 v15, v112, v6
	v_add3_u32 v128, v14, v134, v152
	v_mul_i32_i24_e32 v14, v111, v12
	v_mul_i32_i24_e32 v152, v114, v52
	;; [unrolled: 1-line block ×3, first 2 shown]
	s_delay_alu instid0(VALU_DEP_2) | instskip(SKIP_2) | instid1(VALU_DEP_3)
	v_add3_u32 v14, v153, v152, v14
	v_mul_i32_i24_e32 v152, v101, v255
	v_mul_i32_i24_e32 v153, v116, v59
	v_add3_u32 v134, v14, v15, v134
	v_mad_u64_u32 v[14:15], null, v128, v46, v[13:14]
	v_mul_i32_i24_e32 v15, v31, v235
	v_mul_i32_i24_e32 v128, v84, v236
	v_add3_u32 v153, v155, v153, v154
	v_mul_i32_i24_e32 v155, v123, v132
	v_mul_i32_i24_e32 v154, v117, v206
	v_cvt_f32_i32_e32 v13, v14
	v_cvt_f32_i32_e32 v14, v134
	v_mul_i32_i24_e32 v134, v85, v238
	v_mad_i32_i24 v155, v115, v133, v155
	s_delay_alu instid0(VALU_DEP_3) | instskip(NEXT) | instid1(VALU_DEP_1)
	v_mul_f32_e32 v14, v51, v14
	v_fma_mix_f32 v13, v182, v13, -v14 op_sel_hi:[1,0,0]
	v_mul_i32_i24_e32 v14, v19, v65
	s_delay_alu instid0(VALU_DEP_2) | instskip(SKIP_1) | instid1(VALU_DEP_1)
	v_fmac_f32_e32 v228, v20, v13
	v_mul_i32_i24_e32 v13, v17, v64
	v_mad_i32_i24 v13, v18, v60, v13
	s_delay_alu instid0(VALU_DEP_1) | instskip(SKIP_2) | instid1(VALU_DEP_1)
	v_add3_u32 v13, v13, v14, v15
	v_mul_i32_i24_e32 v14, v82, v66
	v_mul_i32_i24_e32 v15, v83, v67
	v_add3_u32 v13, v13, v14, v15
	v_mul_i32_i24_e32 v14, v86, v237
	v_mul_i32_i24_e32 v15, v87, v68
	s_delay_alu instid0(VALU_DEP_3) | instskip(SKIP_2) | instid1(VALU_DEP_3)
	v_add3_u32 v13, v13, v128, v134
	v_mul_i32_i24_e32 v128, v88, v69
	v_mul_i32_i24_e32 v134, v89, v242
	v_add3_u32 v13, v13, v14, v15
	v_mul_i32_i24_e32 v14, v90, v241
	v_mul_i32_i24_e32 v15, v91, v243
	s_delay_alu instid0(VALU_DEP_3) | instskip(SKIP_2) | instid1(VALU_DEP_3)
	v_add3_u32 v13, v13, v128, v134
	v_mul_i32_i24_e32 v128, v92, v244
	v_mul_i32_i24_e32 v134, v93, v245
	v_add3_u32 v13, v13, v14, v15
	v_mul_i32_i24_e32 v14, v94, v248
	v_mul_i32_i24_e32 v15, v96, v249
	s_delay_alu instid0(VALU_DEP_3) | instskip(SKIP_1) | instid1(VALU_DEP_4)
	v_add3_u32 v13, v13, v128, v134
	v_mul_i32_i24_e32 v128, v97, v74
	v_mad_i32_i24 v14, v95, v247, v14
	v_mul_i32_i24_e32 v134, v100, v253
	s_delay_alu instid0(VALU_DEP_4) | instskip(NEXT) | instid1(VALU_DEP_3)
	v_mul_lo_u32 v13, v13, v246
	v_add3_u32 v14, v14, v15, v128
	v_mul_i32_i24_e32 v15, v98, v49
	v_mul_i32_i24_e32 v128, v99, v251
	s_delay_alu instid0(VALU_DEP_1) | instskip(SKIP_2) | instid1(VALU_DEP_3)
	v_add3_u32 v14, v14, v15, v128
	v_mul_i32_i24_e32 v15, v102, v254
	v_mul_i32_i24_e32 v128, v103, v148
	v_add3_u32 v14, v14, v134, v152
	v_mul_i32_i24_e32 v134, v106, v157
	v_mul_i32_i24_e32 v152, v107, v47
	s_delay_alu instid0(VALU_DEP_3) | instskip(SKIP_2) | instid1(VALU_DEP_3)
	v_add3_u32 v14, v14, v15, v128
	v_mul_i32_i24_e32 v15, v108, v79
	v_mul_i32_i24_e32 v128, v109, v44
	v_add3_u32 v14, v14, v134, v152
	v_mul_i32_i24_e32 v134, v110, v45
	v_mul_i32_i24_e32 v152, v16, v48
	s_delay_alu instid0(VALU_DEP_3) | instskip(SKIP_1) | instid1(VALU_DEP_2)
	v_add3_u32 v14, v14, v15, v128
	v_mul_i32_i24_e32 v15, v112, v250
	v_add3_u32 v128, v14, v134, v152
	v_mul_i32_i24_e32 v14, v111, v149
	v_mul_i32_i24_e32 v152, v114, v226
	;; [unrolled: 1-line block ×3, first 2 shown]
	s_delay_alu instid0(VALU_DEP_2) | instskip(SKIP_2) | instid1(VALU_DEP_3)
	v_add3_u32 v14, v153, v152, v14
	v_mul_i32_i24_e32 v152, v101, v220
	v_mul_i32_i24_e32 v153, v116, v0
	v_add3_u32 v134, v14, v15, v134
	v_mad_u64_u32 v[14:15], null, v128, v189, v[13:14]
	v_mul_i32_i24_e32 v15, v31, v196
	v_mul_i32_i24_e32 v128, v84, v27
	v_add3_u32 v153, v155, v153, v154
	s_delay_alu instid0(VALU_DEP_4) | instskip(SKIP_2) | instid1(VALU_DEP_2)
	v_cvt_f32_i32_e32 v13, v14
	v_cvt_f32_i32_e32 v14, v134
	v_mul_i32_i24_e32 v134, v85, v200
	v_mul_f32_e32 v14, v190, v14
	s_delay_alu instid0(VALU_DEP_1) | instskip(SKIP_1) | instid1(VALU_DEP_2)
	v_fma_mix_f32 v13, v138, v13, -v14 op_sel_hi:[1,0,0]
	v_mul_i32_i24_e32 v14, v19, v193
	v_fmac_f32_e32 v222, v20, v13
	v_mul_i32_i24_e32 v13, v17, v192
	s_delay_alu instid0(VALU_DEP_1) | instskip(NEXT) | instid1(VALU_DEP_1)
	v_mad_i32_i24 v13, v18, v24, v13
	v_add3_u32 v13, v13, v14, v15
	v_mul_i32_i24_e32 v14, v82, v25
	v_mul_i32_i24_e32 v15, v83, v26
	s_delay_alu instid0(VALU_DEP_1) | instskip(SKIP_2) | instid1(VALU_DEP_3)
	v_add3_u32 v13, v13, v14, v15
	v_mul_i32_i24_e32 v14, v86, v28
	v_mul_i32_i24_e32 v15, v87, v29
	v_add3_u32 v13, v13, v128, v134
	v_mul_i32_i24_e32 v128, v88, v202
	v_mul_i32_i24_e32 v134, v89, v204
	s_delay_alu instid0(VALU_DEP_3) | instskip(SKIP_2) | instid1(VALU_DEP_3)
	v_add3_u32 v13, v13, v14, v15
	v_mul_i32_i24_e32 v14, v90, v32
	v_mul_i32_i24_e32 v15, v91, v33
	v_add3_u32 v13, v13, v128, v134
	v_mul_i32_i24_e32 v128, v92, v35
	v_mul_i32_i24_e32 v134, v93, v210
	s_delay_alu instid0(VALU_DEP_3) | instskip(SKIP_2) | instid1(VALU_DEP_3)
	v_add3_u32 v13, v13, v14, v15
	v_mul_i32_i24_e32 v14, v94, v213
	v_mul_i32_i24_e32 v15, v96, v214
	v_add3_u32 v13, v13, v128, v134
	v_mul_i32_i24_e32 v128, v97, v217
	s_delay_alu instid0(VALU_DEP_4) | instskip(SKIP_1) | instid1(VALU_DEP_4)
	v_mad_i32_i24 v14, v95, v212, v14
	v_mul_i32_i24_e32 v134, v100, v37
	v_mul_lo_u32 v13, v13, v211
	s_delay_alu instid0(VALU_DEP_3) | instskip(SKIP_2) | instid1(VALU_DEP_1)
	v_add3_u32 v14, v14, v15, v128
	v_mul_i32_i24_e32 v15, v98, v40
	v_mul_i32_i24_e32 v128, v99, v216
	v_add3_u32 v14, v14, v15, v128
	v_mul_i32_i24_e32 v15, v102, v218
	v_mul_i32_i24_e32 v128, v103, v219
	s_delay_alu instid0(VALU_DEP_3) | instskip(SKIP_2) | instid1(VALU_DEP_3)
	v_add3_u32 v14, v14, v134, v152
	v_mul_i32_i24_e32 v134, v106, v38
	v_mul_i32_i24_e32 v152, v107, v145
	v_add3_u32 v14, v14, v15, v128
	v_mul_i32_i24_e32 v15, v108, v221
	v_mul_i32_i24_e32 v128, v109, v146
	s_delay_alu instid0(VALU_DEP_3) | instskip(SKIP_3) | instid1(VALU_DEP_4)
	v_add3_u32 v14, v14, v134, v152
	v_mul_i32_i24_e32 v134, v110, v144
	v_mul_i32_i24_e32 v152, v16, v143
	v_mul_i32_i24_e32 v16, v16, v140
	v_add3_u32 v14, v14, v15, v128
	v_mul_i32_i24_e32 v15, v112, v209
	s_delay_alu instid0(VALU_DEP_2) | instskip(SKIP_3) | instid1(VALU_DEP_2)
	v_add3_u32 v128, v14, v134, v152
	v_mul_i32_i24_e32 v14, v111, v215
	v_mul_i32_i24_e32 v152, v114, v183
	v_mul_i32_i24_e32 v134, v113, v36
	v_add3_u32 v14, v153, v152, v14
	s_delay_alu instid0(VALU_DEP_1) | instskip(SKIP_3) | instid1(VALU_DEP_3)
	v_add3_u32 v134, v14, v15, v134
	v_mad_u64_u32 v[14:15], null, v128, v136, v[13:14]
	v_mul_i32_i24_e32 v15, v31, v164
	v_mul_i32_i24_e32 v31, v117, v167
	v_cvt_f32_i32_e32 v13, v14
	v_cvt_f32_i32_e32 v14, v134
	s_delay_alu instid0(VALU_DEP_1) | instskip(NEXT) | instid1(VALU_DEP_1)
	v_mul_f32_e32 v14, v137, v14
	v_fma_mix_f32 v13, v131, v13, -v14 op_sel_hi:[1,0,0]
	v_mul_i32_i24_e32 v14, v19, v187
	v_mul_i32_i24_e32 v19, v101, v180
	s_delay_alu instid0(VALU_DEP_3) | instskip(SKIP_2) | instid1(VALU_DEP_2)
	v_fmac_f32_e32 v169, v20, v13
	v_mul_i32_i24_e32 v13, v17, v185
	v_mul_i32_i24_e32 v17, v84, v129
	v_mad_i32_i24 v13, v18, v21, v13
	v_mul_i32_i24_e32 v18, v85, v168
	s_delay_alu instid0(VALU_DEP_2) | instskip(SKIP_3) | instid1(VALU_DEP_2)
	v_add3_u32 v13, v13, v14, v15
	v_mul_i32_i24_e32 v14, v82, v104
	v_mul_i32_i24_e32 v15, v83, v105
	;; [unrolled: 1-line block ×3, first 2 shown]
	v_add3_u32 v13, v13, v14, v15
	v_mul_i32_i24_e32 v14, v86, v127
	v_mul_i32_i24_e32 v15, v87, v135
	s_delay_alu instid0(VALU_DEP_4) | instskip(NEXT) | instid1(VALU_DEP_4)
	v_mad_i32_i24 v82, v115, v161, v82
	v_add3_u32 v13, v13, v17, v18
	v_mul_i32_i24_e32 v17, v88, v142
	v_mul_i32_i24_e32 v18, v89, v172
	s_delay_alu instid0(VALU_DEP_3) | instskip(SKIP_2) | instid1(VALU_DEP_3)
	v_add3_u32 v13, v13, v14, v15
	v_mul_i32_i24_e32 v14, v90, v170
	v_mul_i32_i24_e32 v15, v91, v171
	v_add3_u32 v13, v13, v17, v18
	v_mul_i32_i24_e32 v17, v92, v174
	v_mul_i32_i24_e32 v18, v93, v175
	s_delay_alu instid0(VALU_DEP_3) | instskip(SKIP_2) | instid1(VALU_DEP_3)
	v_add3_u32 v13, v13, v14, v15
	v_mul_i32_i24_e32 v14, v94, v207
	v_mul_i32_i24_e32 v15, v96, v179
	v_add3_u32 v13, v13, v17, v18
	v_mul_i32_i24_e32 v17, v97, v194
	s_delay_alu instid0(VALU_DEP_4) | instskip(SKIP_1) | instid1(VALU_DEP_4)
	v_mad_i32_i24 v14, v95, v177, v14
	v_mul_i32_i24_e32 v18, v100, v34
	v_mul_lo_u32 v13, v13, v176
	s_delay_alu instid0(VALU_DEP_3) | instskip(SKIP_2) | instid1(VALU_DEP_1)
	v_add3_u32 v14, v14, v15, v17
	v_mul_i32_i24_e32 v15, v98, v186
	v_mul_i32_i24_e32 v17, v99, v178
	v_add3_u32 v14, v14, v15, v17
	v_mul_i32_i24_e32 v15, v102, v197
	v_mul_i32_i24_e32 v17, v103, v181
	s_delay_alu instid0(VALU_DEP_3) | instskip(SKIP_2) | instid1(VALU_DEP_3)
	v_add3_u32 v14, v14, v18, v19
	v_mul_i32_i24_e32 v18, v106, v198
	v_mul_i32_i24_e32 v19, v107, v184
	v_add3_u32 v14, v14, v15, v17
	v_mul_i32_i24_e32 v15, v108, v199
	v_mul_i32_i24_e32 v17, v109, v205
	s_delay_alu instid0(VALU_DEP_3) | instskip(SKIP_2) | instid1(VALU_DEP_3)
	v_add3_u32 v14, v14, v18, v19
	v_mul_i32_i24_e32 v18, v110, v141
	v_mul_i32_i24_e32 v19, v116, v173
	v_add3_u32 v14, v14, v15, v17
	v_mul_i32_i24_e32 v15, v112, v191
	s_delay_alu instid0(VALU_DEP_3) | instskip(SKIP_1) | instid1(VALU_DEP_4)
	v_add3_u32 v19, v82, v19, v31
	v_mul_i32_i24_e32 v17, v113, v22
	v_add3_u32 v16, v14, v18, v16
	v_mul_i32_i24_e32 v14, v111, v201
	v_mul_i32_i24_e32 v18, v114, v139
	s_delay_alu instid0(VALU_DEP_1) | instskip(NEXT) | instid1(VALU_DEP_1)
	v_add3_u32 v14, v19, v18, v14
	v_add3_u32 v17, v14, v15, v17
	v_mad_u64_u32 v[14:15], null, v16, v160, v[13:14]
	s_delay_alu instid0(VALU_DEP_1) | instskip(NEXT) | instid1(VALU_DEP_3)
	v_cvt_f32_i32_e32 v13, v14
	v_cvt_f32_i32_e32 v14, v17
	s_delay_alu instid0(VALU_DEP_1) | instskip(NEXT) | instid1(VALU_DEP_1)
	v_mul_f32_e32 v14, v159, v14
	v_fma_mix_f32 v13, v126, v13, -v14 op_sel_hi:[1,0,0]
	s_delay_alu instid0(VALU_DEP_1)
	v_fmac_f32_e32 v166, v20, v13
	s_clause 0x1
	scratch_store_b32 off, v222, off offset:88
	scratch_store_b32 off, v169, off offset:84
	v_dual_mov_b32 v169, v2 :: v_dual_mov_b32 v222, v3
	scratch_store_b32 off, v166, off offset:80 ; 4-byte Folded Spill
	ds_load_2addr_b32 v[19:20], v125 offset0:128 offset1:160
	ds_load_b128 v[13:16], v124 offset:4096
	v_mov_b32_e32 v166, v1
	s_waitcnt lgkmcnt(0)
	v_bfe_i32 v17, v13, 0, 8
	v_bfe_i32 v18, v13, 8, 8
	v_bfe_i32 v31, v13, 16, 8
	v_ashrrev_i32_e32 v82, 24, v13
	v_bfe_i32 v83, v14, 0, 8
	v_bfe_i32 v84, v14, 8, 8
	v_bfe_i32 v85, v14, 16, 8
	v_ashrrev_i32_e32 v86, 24, v14
	;; [unrolled: 4-line block ×4, first 2 shown]
	ds_load_b128 v[13:16], v124 offset:4112
	v_mul_i32_i24_e32 v134, v85, v76
	v_mul_i32_i24_e32 v152, v86, v62
	s_waitcnt lgkmcnt(0)
	v_ashrrev_i32_e32 v98, 24, v13
	v_ashrrev_i32_e32 v102, 24, v14
	v_bfe_i32 v95, v13, 0, 8
	v_bfe_i32 v96, v13, 8, 8
	;; [unrolled: 1-line block ×4, first 2 shown]
	v_ashrrev_i32_e32 v108, 24, v15
	v_bfe_i32 v109, v16, 0, 8
	v_bfe_i32 v110, v16, 8, 8
	;; [unrolled: 1-line block ×3, first 2 shown]
	v_ashrrev_i32_e32 v16, 24, v16
	v_add_nc_u32_e32 v13, v102, v98
	v_bfe_i32 v100, v14, 8, 8
	v_bfe_i32 v107, v15, 16, 8
	;; [unrolled: 1-line block ×4, first 2 shown]
	v_add3_u32 v112, v13, v108, v16
	v_add_nc_u32_e32 v13, v101, v97
	v_bfe_i32 v103, v15, 0, 8
	v_mul_i32_i24_e32 v14, v31, v61
	v_mul_i32_i24_e32 v15, v82, v56
	;; [unrolled: 1-line block ×3, first 2 shown]
	v_add3_u32 v113, v13, v107, v111
	v_add_nc_u32_e32 v13, v100, v96
	s_delay_alu instid0(VALU_DEP_1) | instskip(SKIP_1) | instid1(VALU_DEP_1)
	v_add3_u32 v114, v13, v106, v110
	v_add_nc_u32_e32 v13, v99, v95
	v_add3_u32 v115, v13, v103, v109
	v_add_nc_u32_e32 v13, v86, v82
	s_delay_alu instid0(VALU_DEP_1) | instskip(SKIP_1) | instid1(VALU_DEP_1)
	v_add3_u32 v116, v13, v90, v94
	v_add_nc_u32_e32 v13, v85, v31
	v_add3_u32 v117, v13, v89, v93
	v_add_nc_u32_e32 v13, v84, v18
	s_delay_alu instid0(VALU_DEP_2) | instskip(NEXT) | instid1(VALU_DEP_2)
	v_mul_i32_i24_e32 v154, v117, v2
	v_add3_u32 v123, v13, v88, v92
	v_dual_mov_b32 v2, v26 :: v_dual_add_nc_u32 v13, v83, v17
	s_delay_alu instid0(VALU_DEP_2) | instskip(NEXT) | instid1(VALU_DEP_2)
	v_mul_i32_i24_e32 v155, v123, v1
	v_add3_u32 v128, v13, v87, v91
	v_mul_i32_i24_e32 v13, v17, v58
	v_mov_b32_e32 v1, v24
	s_delay_alu instid0(VALU_DEP_3) | instskip(NEXT) | instid1(VALU_DEP_3)
	v_mul_i32_i24_e32 v156, v128, v195
	v_mad_i32_i24 v13, v18, v53, v13
	s_delay_alu instid0(VALU_DEP_2) | instskip(NEXT) | instid1(VALU_DEP_2)
	v_mad_i32_i24 v156, v116, v41, v156
	v_add3_u32 v13, v13, v14, v15
	v_mul_i32_i24_e32 v14, v83, v73
	v_mul_i32_i24_e32 v15, v84, v50
	s_delay_alu instid0(VALU_DEP_4) | instskip(SKIP_2) | instid1(VALU_DEP_4)
	v_add3_u32 v154, v156, v154, v155
	v_mul_i32_i24_e32 v156, v128, v151
	v_mul_i32_i24_e32 v155, v123, v54
	v_add3_u32 v13, v13, v14, v15
	v_mul_i32_i24_e32 v14, v87, v75
	v_mul_i32_i24_e32 v15, v88, v78
	v_mad_i32_i24 v156, v116, v188, v156
	s_delay_alu instid0(VALU_DEP_4) | instskip(SKIP_2) | instid1(VALU_DEP_3)
	v_add3_u32 v13, v13, v134, v152
	v_mul_i32_i24_e32 v134, v89, v81
	v_mul_i32_i24_e32 v152, v90, v119
	v_add3_u32 v13, v13, v14, v15
	v_mul_i32_i24_e32 v14, v91, v80
	v_mul_i32_i24_e32 v15, v92, v118
	s_delay_alu instid0(VALU_DEP_3) | instskip(SKIP_2) | instid1(VALU_DEP_3)
	v_add3_u32 v13, v13, v134, v152
	v_mul_i32_i24_e32 v134, v93, v120
	v_mul_i32_i24_e32 v152, v94, v121
	v_add3_u32 v13, v13, v14, v15
	v_mul_i32_i24_e32 v14, v95, v70
	v_mul_i32_i24_e32 v15, v97, v122
	s_delay_alu instid0(VALU_DEP_3) | instskip(SKIP_1) | instid1(VALU_DEP_4)
	v_add3_u32 v13, v13, v134, v152
	v_mul_i32_i24_e32 v134, v98, v72
	v_mad_i32_i24 v14, v96, v5, v14
	v_mul_i32_i24_e32 v152, v101, v10
	s_delay_alu instid0(VALU_DEP_4) | instskip(NEXT) | instid1(VALU_DEP_3)
	v_mul_lo_u32 v13, v13, v4
	v_add3_u32 v14, v14, v15, v134
	v_mul_i32_i24_e32 v15, v99, v23
	v_mul_i32_i24_e32 v134, v100, v7
	v_mov_b32_e32 v23, v207
	v_mov_b32_e32 v207, v43
	s_delay_alu instid0(VALU_DEP_3) | instskip(SKIP_2) | instid1(VALU_DEP_3)
	v_add3_u32 v14, v14, v15, v134
	v_mul_i32_i24_e32 v15, v103, v8
	v_mul_i32_i24_e32 v134, v106, v11
	v_add3_u32 v14, v14, v152, v153
	v_mul_i32_i24_e32 v152, v107, v39
	v_mul_i32_i24_e32 v153, v108, v55
	v_mov_b32_e32 v39, v28
	s_delay_alu instid0(VALU_DEP_4) | instskip(SKIP_2) | instid1(VALU_DEP_3)
	v_add3_u32 v14, v14, v15, v134
	v_mul_i32_i24_e32 v15, v109, v9
	v_mul_i32_i24_e32 v134, v110, v77
	v_add3_u32 v14, v14, v152, v153
	v_mul_i32_i24_e32 v152, v111, v227
	v_mul_i32_i24_e32 v153, v16, v57
	s_delay_alu instid0(VALU_DEP_3) | instskip(SKIP_1) | instid1(VALU_DEP_2)
	v_add3_u32 v14, v14, v15, v134
	v_mul_i32_i24_e32 v15, v113, v6
	v_add3_u32 v134, v14, v152, v153
	v_mul_i32_i24_e32 v14, v112, v12
	v_mul_i32_i24_e32 v153, v115, v52
	;; [unrolled: 1-line block ×3, first 2 shown]
	v_mov_b32_e32 v3, v27
	s_delay_alu instid0(VALU_DEP_3) | instskip(SKIP_2) | instid1(VALU_DEP_3)
	v_add3_u32 v14, v154, v153, v14
	v_mul_i32_i24_e32 v153, v102, v255
	v_mul_i32_i24_e32 v154, v117, v59
	v_add3_u32 v152, v14, v15, v152
	v_mad_u64_u32 v[14:15], null, v134, v46, v[13:14]
	v_mul_i32_i24_e32 v15, v82, v235
	v_mul_i32_i24_e32 v134, v85, v236
	v_add3_u32 v154, v156, v154, v155
	v_mul_i32_i24_e32 v156, v128, v132
	v_mul_i32_i24_e32 v155, v123, v206
	v_cvt_f32_i32_e32 v13, v14
	v_cvt_f32_i32_e32 v14, v152
	v_mul_i32_i24_e32 v152, v86, v238
	v_mad_i32_i24 v156, v116, v133, v156
	s_delay_alu instid0(VALU_DEP_3) | instskip(NEXT) | instid1(VALU_DEP_1)
	v_mul_f32_e32 v14, v51, v14
	v_fma_mix_f32 v13, v182, v13, -v14 op_sel_hi:[1,0,0]
	v_mul_i32_i24_e32 v14, v31, v65
	s_delay_alu instid0(VALU_DEP_2) | instskip(SKIP_1) | instid1(VALU_DEP_1)
	v_fmac_f32_e32 v224, v19, v13
	v_mul_i32_i24_e32 v13, v17, v64
	v_mad_i32_i24 v13, v18, v60, v13
	s_delay_alu instid0(VALU_DEP_1) | instskip(SKIP_2) | instid1(VALU_DEP_1)
	v_add3_u32 v13, v13, v14, v15
	v_mul_i32_i24_e32 v14, v83, v66
	v_mul_i32_i24_e32 v15, v84, v67
	v_add3_u32 v13, v13, v14, v15
	v_mul_i32_i24_e32 v14, v87, v237
	v_mul_i32_i24_e32 v15, v88, v68
	s_delay_alu instid0(VALU_DEP_3) | instskip(SKIP_2) | instid1(VALU_DEP_3)
	v_add3_u32 v13, v13, v134, v152
	v_mul_i32_i24_e32 v134, v89, v69
	v_mul_i32_i24_e32 v152, v90, v242
	v_add3_u32 v13, v13, v14, v15
	v_mul_i32_i24_e32 v14, v91, v241
	v_mul_i32_i24_e32 v15, v92, v243
	s_delay_alu instid0(VALU_DEP_3) | instskip(SKIP_2) | instid1(VALU_DEP_3)
	v_add3_u32 v13, v13, v134, v152
	v_mul_i32_i24_e32 v134, v93, v244
	v_mul_i32_i24_e32 v152, v94, v245
	v_add3_u32 v13, v13, v14, v15
	v_mul_i32_i24_e32 v14, v95, v248
	v_mul_i32_i24_e32 v15, v97, v249
	s_delay_alu instid0(VALU_DEP_3) | instskip(SKIP_1) | instid1(VALU_DEP_4)
	v_add3_u32 v13, v13, v134, v152
	v_mul_i32_i24_e32 v134, v98, v74
	v_mad_i32_i24 v14, v96, v247, v14
	v_mul_i32_i24_e32 v152, v101, v253
	s_delay_alu instid0(VALU_DEP_4) | instskip(NEXT) | instid1(VALU_DEP_3)
	v_mul_lo_u32 v13, v13, v246
	v_add3_u32 v14, v14, v15, v134
	v_mul_i32_i24_e32 v15, v99, v49
	v_mul_i32_i24_e32 v134, v100, v251
	s_delay_alu instid0(VALU_DEP_1) | instskip(SKIP_2) | instid1(VALU_DEP_3)
	v_add3_u32 v14, v14, v15, v134
	v_mul_i32_i24_e32 v15, v103, v254
	v_mul_i32_i24_e32 v134, v106, v148
	v_add3_u32 v14, v14, v152, v153
	v_mul_i32_i24_e32 v152, v107, v157
	v_mul_i32_i24_e32 v153, v108, v47
	s_delay_alu instid0(VALU_DEP_3) | instskip(SKIP_2) | instid1(VALU_DEP_3)
	v_add3_u32 v14, v14, v15, v134
	v_mul_i32_i24_e32 v15, v109, v79
	v_mul_i32_i24_e32 v134, v110, v44
	v_add3_u32 v14, v14, v152, v153
	v_mul_i32_i24_e32 v152, v111, v45
	v_mul_i32_i24_e32 v153, v16, v48
	s_delay_alu instid0(VALU_DEP_3) | instskip(SKIP_1) | instid1(VALU_DEP_2)
	v_add3_u32 v14, v14, v15, v134
	v_mul_i32_i24_e32 v15, v113, v250
	v_add3_u32 v134, v14, v152, v153
	v_mul_i32_i24_e32 v14, v112, v149
	v_mul_i32_i24_e32 v153, v115, v226
	;; [unrolled: 1-line block ×3, first 2 shown]
	s_delay_alu instid0(VALU_DEP_2)
	v_add3_u32 v14, v154, v153, v14
	v_mul_i32_i24_e32 v154, v117, v0
	scratch_load_b32 v0, off, off offset:20 ; 4-byte Folded Reload
	v_mul_i32_i24_e32 v153, v102, v220
	v_add3_u32 v152, v14, v15, v152
	v_mad_u64_u32 v[14:15], null, v134, v189, v[13:14]
	v_mul_i32_i24_e32 v15, v82, v196
	v_mul_i32_i24_e32 v134, v85, v27
	v_add3_u32 v154, v156, v154, v155
	v_mov_b32_e32 v27, v197
	v_cvt_f32_i32_e32 v13, v14
	v_cvt_f32_i32_e32 v14, v152
	v_mul_i32_i24_e32 v152, v86, v200
	s_delay_alu instid0(VALU_DEP_2) | instskip(NEXT) | instid1(VALU_DEP_1)
	v_mul_f32_e32 v14, v190, v14
	v_fma_mix_f32 v13, v138, v13, -v14 op_sel_hi:[1,0,0]
	v_mul_i32_i24_e32 v14, v31, v193
	s_delay_alu instid0(VALU_DEP_2) | instskip(SKIP_1) | instid1(VALU_DEP_1)
	v_fmac_f32_e32 v223, v19, v13
	v_mul_i32_i24_e32 v13, v17, v192
	v_mad_i32_i24 v13, v18, v24, v13
	v_dual_mov_b32 v24, v191 :: v_dual_mov_b32 v191, v30
	scratch_load_b32 v30, off, off offset:76 ; 4-byte Folded Reload
	v_add3_u32 v13, v13, v14, v15
	v_mul_i32_i24_e32 v14, v83, v25
	v_mul_i32_i24_e32 v15, v84, v26
	v_mov_b32_e32 v26, v194
	v_dual_mov_b32 v194, v203 :: v_dual_mov_b32 v203, v42
	v_mov_b32_e32 v25, v34
	s_delay_alu instid0(VALU_DEP_4)
	v_add3_u32 v13, v13, v14, v15
	v_mul_i32_i24_e32 v14, v87, v28
	v_mul_i32_i24_e32 v15, v88, v29
	v_mov_b32_e32 v157, v32
	v_mov_b32_e32 v34, v208
	v_add3_u32 v13, v13, v134, v152
	v_mul_i32_i24_e32 v134, v89, v202
	v_mul_i32_i24_e32 v152, v90, v204
	v_mov_b32_e32 v208, v162
	v_mov_b32_e32 v28, v198
	v_add3_u32 v13, v13, v14, v15
	v_mul_i32_i24_e32 v14, v91, v32
	v_mul_i32_i24_e32 v15, v92, v33
	v_dual_mov_b32 v29, v199 :: v_dual_mov_b32 v32, v201
	s_delay_alu instid0(VALU_DEP_4)
	v_add3_u32 v13, v13, v134, v152
	v_mul_i32_i24_e32 v134, v93, v35
	v_mul_i32_i24_e32 v152, v94, v210
	v_mov_b32_e32 v162, v165
	v_mov_b32_e32 v42, v157
	v_add3_u32 v13, v13, v14, v15
	v_mul_i32_i24_e32 v14, v95, v213
	v_mul_i32_i24_e32 v15, v97, v214
	s_delay_alu instid0(VALU_DEP_3) | instskip(SKIP_1) | instid1(VALU_DEP_4)
	v_add3_u32 v13, v13, v134, v152
	v_mul_i32_i24_e32 v134, v98, v217
	v_mad_i32_i24 v14, v96, v212, v14
	v_mul_i32_i24_e32 v152, v101, v37
	s_delay_alu instid0(VALU_DEP_4) | instskip(NEXT) | instid1(VALU_DEP_3)
	v_mul_lo_u32 v13, v13, v211
	v_add3_u32 v14, v14, v15, v134
	v_mul_i32_i24_e32 v15, v99, v40
	v_mul_i32_i24_e32 v134, v100, v216
	s_delay_alu instid0(VALU_DEP_1) | instskip(SKIP_2) | instid1(VALU_DEP_3)
	v_add3_u32 v14, v14, v15, v134
	v_mul_i32_i24_e32 v15, v103, v218
	v_mul_i32_i24_e32 v134, v106, v219
	v_add3_u32 v14, v14, v152, v153
	v_mul_i32_i24_e32 v152, v107, v38
	v_mul_i32_i24_e32 v153, v108, v145
	s_delay_alu instid0(VALU_DEP_3) | instskip(SKIP_2) | instid1(VALU_DEP_3)
	v_add3_u32 v14, v14, v15, v134
	v_mul_i32_i24_e32 v15, v109, v221
	v_mul_i32_i24_e32 v134, v110, v146
	v_add3_u32 v14, v14, v152, v153
	v_mul_i32_i24_e32 v152, v111, v144
	v_mul_i32_i24_e32 v153, v16, v143
	;; [unrolled: 1-line block ×3, first 2 shown]
	s_delay_alu instid0(VALU_DEP_4) | instskip(SKIP_1) | instid1(VALU_DEP_2)
	v_add3_u32 v14, v14, v15, v134
	v_mul_i32_i24_e32 v15, v113, v209
	v_add3_u32 v134, v14, v152, v153
	v_mul_i32_i24_e32 v14, v112, v215
	v_mul_i32_i24_e32 v153, v115, v183
	;; [unrolled: 1-line block ×3, first 2 shown]
	s_delay_alu instid0(VALU_DEP_2) | instskip(NEXT) | instid1(VALU_DEP_1)
	v_add3_u32 v14, v154, v153, v14
	v_add3_u32 v152, v14, v15, v152
	v_mad_u64_u32 v[14:15], null, v134, v136, v[13:14]
	v_mul_i32_i24_e32 v15, v82, v164
	v_mul_i32_i24_e32 v82, v123, v167
	s_delay_alu instid0(VALU_DEP_3) | instskip(SKIP_1) | instid1(VALU_DEP_1)
	v_cvt_f32_i32_e32 v13, v14
	v_cvt_f32_i32_e32 v14, v152
	v_mul_f32_e32 v14, v137, v14
	s_delay_alu instid0(VALU_DEP_1) | instskip(SKIP_3) | instid1(VALU_DEP_3)
	v_fma_mix_f32 v13, v131, v13, -v14 op_sel_hi:[1,0,0]
	v_mul_i32_i24_e32 v14, v31, v187
	v_mul_i32_i24_e32 v31, v102, v180
	s_waitcnt vmcnt(1)
	v_fmac_f32_e32 v0, v19, v13
	v_mul_i32_i24_e32 v13, v17, v185
	v_mul_i32_i24_e32 v17, v85, v129
	s_delay_alu instid0(VALU_DEP_2) | instskip(SKIP_1) | instid1(VALU_DEP_2)
	v_mad_i32_i24 v13, v18, v21, v13
	v_mul_i32_i24_e32 v18, v86, v168
	v_add3_u32 v13, v13, v14, v15
	v_mul_i32_i24_e32 v14, v83, v104
	v_mul_i32_i24_e32 v15, v84, v105
	;; [unrolled: 1-line block ×3, first 2 shown]
	s_delay_alu instid0(VALU_DEP_2) | instskip(SKIP_2) | instid1(VALU_DEP_4)
	v_add3_u32 v13, v13, v14, v15
	v_mul_i32_i24_e32 v14, v87, v127
	v_mul_i32_i24_e32 v15, v88, v135
	v_mad_i32_i24 v83, v116, v161, v83
	s_delay_alu instid0(VALU_DEP_4) | instskip(SKIP_2) | instid1(VALU_DEP_3)
	v_add3_u32 v13, v13, v17, v18
	v_mul_i32_i24_e32 v17, v89, v142
	v_mul_i32_i24_e32 v18, v90, v172
	v_add3_u32 v13, v13, v14, v15
	v_mul_i32_i24_e32 v14, v91, v170
	v_mul_i32_i24_e32 v15, v92, v171
	s_delay_alu instid0(VALU_DEP_3) | instskip(SKIP_2) | instid1(VALU_DEP_3)
	v_add3_u32 v13, v13, v17, v18
	v_mul_i32_i24_e32 v17, v93, v174
	v_mul_i32_i24_e32 v18, v94, v175
	v_add3_u32 v13, v13, v14, v15
	v_mul_i32_i24_e32 v14, v95, v23
	v_mul_i32_i24_e32 v15, v97, v179
	s_delay_alu instid0(VALU_DEP_3) | instskip(SKIP_1) | instid1(VALU_DEP_4)
	v_add3_u32 v13, v13, v17, v18
	v_mul_i32_i24_e32 v17, v98, v26
	v_mad_i32_i24 v14, v96, v177, v14
	v_mul_i32_i24_e32 v18, v101, v25
	s_delay_alu instid0(VALU_DEP_4) | instskip(NEXT) | instid1(VALU_DEP_3)
	v_mul_lo_u32 v13, v13, v176
	v_add3_u32 v14, v14, v15, v17
	v_mul_i32_i24_e32 v15, v99, v186
	v_mul_i32_i24_e32 v17, v100, v178
	s_delay_alu instid0(VALU_DEP_1) | instskip(SKIP_2) | instid1(VALU_DEP_3)
	v_add3_u32 v14, v14, v15, v17
	v_mul_i32_i24_e32 v15, v103, v197
	v_mul_i32_i24_e32 v17, v106, v181
	v_add3_u32 v14, v14, v18, v31
	v_mul_i32_i24_e32 v18, v107, v198
	v_mul_i32_i24_e32 v31, v108, v184
	s_delay_alu instid0(VALU_DEP_3) | instskip(SKIP_2) | instid1(VALU_DEP_3)
	v_add3_u32 v14, v14, v15, v17
	v_mul_i32_i24_e32 v15, v109, v199
	v_mul_i32_i24_e32 v17, v110, v205
	v_add3_u32 v14, v14, v18, v31
	v_mul_i32_i24_e32 v18, v111, v141
	v_mul_i32_i24_e32 v31, v117, v173
	s_delay_alu instid0(VALU_DEP_3) | instskip(SKIP_1) | instid1(VALU_DEP_3)
	v_add3_u32 v14, v14, v15, v17
	v_mul_i32_i24_e32 v15, v113, v24
	v_add3_u32 v31, v83, v31, v82
	v_mul_i32_i24_e32 v17, v114, v22
	s_delay_alu instid0(VALU_DEP_4) | instskip(SKIP_2) | instid1(VALU_DEP_1)
	v_add3_u32 v16, v14, v18, v16
	v_mul_i32_i24_e32 v14, v112, v201
	v_mul_i32_i24_e32 v18, v115, v139
	v_add3_u32 v14, v31, v18, v14
	s_delay_alu instid0(VALU_DEP_1) | instskip(SKIP_1) | instid1(VALU_DEP_1)
	v_add3_u32 v17, v14, v15, v17
	v_mad_u64_u32 v[14:15], null, v16, v160, v[13:14]
	v_cvt_f32_i32_e32 v13, v14
	s_delay_alu instid0(VALU_DEP_3) | instskip(NEXT) | instid1(VALU_DEP_1)
	v_cvt_f32_i32_e32 v14, v17
	v_mul_f32_e32 v14, v159, v14
	s_delay_alu instid0(VALU_DEP_1) | instskip(NEXT) | instid1(VALU_DEP_1)
	v_fma_mix_f32 v13, v126, v13, -v14 op_sel_hi:[1,0,0]
	v_fmac_f32_e32 v191, v19, v13
	ds_load_b128 v[13:16], v124 offset:5120
	s_waitcnt lgkmcnt(0)
	v_bfe_i32 v17, v13, 0, 8
	v_bfe_i32 v18, v13, 8, 8
	v_bfe_i32 v19, v13, 16, 8
	v_ashrrev_i32_e32 v31, 24, v13
	v_bfe_i32 v82, v14, 0, 8
	v_bfe_i32 v83, v14, 8, 8
	v_bfe_i32 v84, v14, 16, 8
	v_ashrrev_i32_e32 v85, 24, v14
	;; [unrolled: 4-line block ×4, first 2 shown]
	ds_load_b128 v[13:16], v124 offset:5136
	v_mul_i32_i24_e32 v128, v84, v76
	v_mul_i32_i24_e32 v134, v85, v62
	s_waitcnt lgkmcnt(0)
	v_ashrrev_i32_e32 v97, 24, v13
	v_ashrrev_i32_e32 v101, 24, v14
	v_bfe_i32 v94, v13, 0, 8
	v_bfe_i32 v95, v13, 8, 8
	;; [unrolled: 1-line block ×4, first 2 shown]
	v_ashrrev_i32_e32 v107, 24, v15
	v_bfe_i32 v108, v16, 0, 8
	v_bfe_i32 v109, v16, 8, 8
	;; [unrolled: 1-line block ×3, first 2 shown]
	v_ashrrev_i32_e32 v16, 24, v16
	v_add_nc_u32_e32 v13, v101, v97
	v_bfe_i32 v99, v14, 8, 8
	v_bfe_i32 v106, v15, 16, 8
	;; [unrolled: 1-line block ×4, first 2 shown]
	v_add3_u32 v111, v13, v107, v16
	v_add_nc_u32_e32 v13, v100, v96
	v_bfe_i32 v102, v15, 0, 8
	v_mul_i32_i24_e32 v14, v19, v61
	v_mul_i32_i24_e32 v15, v31, v56
	;; [unrolled: 1-line block ×3, first 2 shown]
	v_add3_u32 v112, v13, v106, v110
	v_add_nc_u32_e32 v13, v99, v95
	s_delay_alu instid0(VALU_DEP_1)
	v_add3_u32 v113, v13, v103, v109
	v_add_nc_u32_e32 v13, v98, v94
	scratch_store_b32 off, v0, off offset:20 ; 4-byte Folded Spill
	v_mov_b32_e32 v0, v50
	v_add3_u32 v114, v13, v102, v108
	v_add_nc_u32_e32 v13, v85, v31
	s_delay_alu instid0(VALU_DEP_1) | instskip(SKIP_1) | instid1(VALU_DEP_1)
	v_add3_u32 v115, v13, v89, v93
	v_add_nc_u32_e32 v13, v84, v19
	v_add3_u32 v116, v13, v88, v92
	v_add_nc_u32_e32 v13, v83, v18
	s_delay_alu instid0(VALU_DEP_2) | instskip(NEXT) | instid1(VALU_DEP_2)
	v_mul_i32_i24_e32 v153, v116, v169
	v_add3_u32 v117, v13, v87, v91
	v_add_nc_u32_e32 v13, v82, v17
	s_delay_alu instid0(VALU_DEP_2) | instskip(NEXT) | instid1(VALU_DEP_2)
	v_mul_i32_i24_e32 v154, v117, v166
	v_add3_u32 v123, v13, v86, v90
	v_mul_i32_i24_e32 v13, v17, v58
	s_delay_alu instid0(VALU_DEP_2) | instskip(NEXT) | instid1(VALU_DEP_2)
	v_mul_i32_i24_e32 v155, v123, v195
	v_mad_i32_i24 v13, v18, v53, v13
	s_delay_alu instid0(VALU_DEP_2) | instskip(NEXT) | instid1(VALU_DEP_2)
	v_mad_i32_i24 v155, v115, v41, v155
	v_add3_u32 v13, v13, v14, v15
	v_mul_i32_i24_e32 v14, v82, v73
	v_mul_i32_i24_e32 v15, v83, v50
	s_delay_alu instid0(VALU_DEP_4) | instskip(SKIP_2) | instid1(VALU_DEP_4)
	v_add3_u32 v153, v155, v153, v154
	v_mul_i32_i24_e32 v155, v123, v151
	v_mul_i32_i24_e32 v154, v117, v54
	v_add3_u32 v13, v13, v14, v15
	v_mul_i32_i24_e32 v14, v86, v75
	v_mul_i32_i24_e32 v15, v87, v78
	v_mad_i32_i24 v155, v115, v188, v155
	s_delay_alu instid0(VALU_DEP_4) | instskip(SKIP_2) | instid1(VALU_DEP_3)
	v_add3_u32 v13, v13, v128, v134
	v_mul_i32_i24_e32 v128, v88, v81
	v_mul_i32_i24_e32 v134, v89, v119
	v_add3_u32 v13, v13, v14, v15
	v_mul_i32_i24_e32 v14, v90, v80
	v_mul_i32_i24_e32 v15, v91, v118
	s_delay_alu instid0(VALU_DEP_3) | instskip(SKIP_2) | instid1(VALU_DEP_3)
	v_add3_u32 v13, v13, v128, v134
	v_mul_i32_i24_e32 v128, v92, v120
	v_mul_i32_i24_e32 v134, v93, v121
	v_add3_u32 v13, v13, v14, v15
	v_mul_i32_i24_e32 v14, v94, v70
	v_mul_i32_i24_e32 v15, v96, v122
	s_delay_alu instid0(VALU_DEP_3) | instskip(SKIP_1) | instid1(VALU_DEP_4)
	v_add3_u32 v13, v13, v128, v134
	v_mul_i32_i24_e32 v128, v97, v72
	v_mad_i32_i24 v14, v95, v5, v14
	v_mul_i32_i24_e32 v134, v100, v10
	s_delay_alu instid0(VALU_DEP_4) | instskip(NEXT) | instid1(VALU_DEP_3)
	v_mul_lo_u32 v13, v13, v4
	v_add3_u32 v14, v14, v15, v128
	v_mul_i32_i24_e32 v15, v98, v147
	v_mul_i32_i24_e32 v128, v99, v7
	s_delay_alu instid0(VALU_DEP_1) | instskip(SKIP_2) | instid1(VALU_DEP_3)
	v_add3_u32 v14, v14, v15, v128
	v_mul_i32_i24_e32 v15, v102, v8
	v_mul_i32_i24_e32 v128, v103, v11
	v_add3_u32 v14, v14, v134, v152
	v_mul_i32_i24_e32 v134, v106, v225
	v_mul_i32_i24_e32 v152, v107, v55
	s_delay_alu instid0(VALU_DEP_3) | instskip(SKIP_2) | instid1(VALU_DEP_3)
	v_add3_u32 v14, v14, v15, v128
	v_mul_i32_i24_e32 v15, v108, v9
	v_mul_i32_i24_e32 v128, v109, v77
	v_add3_u32 v14, v14, v134, v152
	v_mul_i32_i24_e32 v134, v110, v227
	v_mul_i32_i24_e32 v152, v16, v57
	s_delay_alu instid0(VALU_DEP_3) | instskip(SKIP_1) | instid1(VALU_DEP_2)
	v_add3_u32 v14, v14, v15, v128
	v_mul_i32_i24_e32 v15, v112, v6
	v_add3_u32 v128, v14, v134, v152
	v_mul_i32_i24_e32 v14, v111, v12
	v_mul_i32_i24_e32 v152, v114, v52
	;; [unrolled: 1-line block ×3, first 2 shown]
	s_delay_alu instid0(VALU_DEP_2) | instskip(SKIP_2) | instid1(VALU_DEP_3)
	v_add3_u32 v14, v153, v152, v14
	v_mul_i32_i24_e32 v152, v101, v255
	v_mul_i32_i24_e32 v153, v116, v59
	v_add3_u32 v134, v14, v15, v134
	v_mad_u64_u32 v[14:15], null, v128, v46, v[13:14]
	v_mul_i32_i24_e32 v15, v31, v235
	v_mul_i32_i24_e32 v128, v84, v236
	v_add3_u32 v153, v155, v153, v154
	v_mul_i32_i24_e32 v155, v123, v132
	v_mul_i32_i24_e32 v154, v117, v206
	v_cvt_f32_i32_e32 v13, v14
	v_cvt_f32_i32_e32 v14, v134
	v_mul_i32_i24_e32 v134, v85, v238
	v_mad_i32_i24 v155, v115, v133, v155
	s_delay_alu instid0(VALU_DEP_3) | instskip(NEXT) | instid1(VALU_DEP_1)
	v_mul_f32_e32 v14, v51, v14
	v_fma_mix_f32 v13, v182, v13, -v14 op_sel_hi:[1,0,0]
	v_mul_i32_i24_e32 v14, v19, v65
	s_waitcnt vmcnt(0)
	s_delay_alu instid0(VALU_DEP_2) | instskip(SKIP_1) | instid1(VALU_DEP_1)
	v_fmac_f32_e32 v30, v20, v13
	v_mul_i32_i24_e32 v13, v17, v64
	v_mad_i32_i24 v13, v18, v60, v13
	s_delay_alu instid0(VALU_DEP_1) | instskip(SKIP_2) | instid1(VALU_DEP_1)
	v_add3_u32 v13, v13, v14, v15
	v_mul_i32_i24_e32 v14, v82, v66
	v_mul_i32_i24_e32 v15, v83, v67
	v_add3_u32 v13, v13, v14, v15
	v_mul_i32_i24_e32 v14, v86, v237
	v_mul_i32_i24_e32 v15, v87, v68
	s_delay_alu instid0(VALU_DEP_3) | instskip(SKIP_2) | instid1(VALU_DEP_3)
	v_add3_u32 v13, v13, v128, v134
	v_mul_i32_i24_e32 v128, v88, v69
	v_mul_i32_i24_e32 v134, v89, v242
	v_add3_u32 v13, v13, v14, v15
	v_mul_i32_i24_e32 v14, v90, v241
	v_mul_i32_i24_e32 v15, v91, v243
	s_delay_alu instid0(VALU_DEP_3) | instskip(SKIP_2) | instid1(VALU_DEP_3)
	v_add3_u32 v13, v13, v128, v134
	v_mul_i32_i24_e32 v128, v92, v244
	v_mul_i32_i24_e32 v134, v93, v245
	v_add3_u32 v13, v13, v14, v15
	v_mul_i32_i24_e32 v14, v94, v248
	v_mul_i32_i24_e32 v15, v96, v249
	s_delay_alu instid0(VALU_DEP_3) | instskip(SKIP_1) | instid1(VALU_DEP_4)
	v_add3_u32 v13, v13, v128, v134
	v_mul_i32_i24_e32 v128, v97, v74
	v_mad_i32_i24 v14, v95, v247, v14
	v_mul_i32_i24_e32 v134, v100, v253
	s_delay_alu instid0(VALU_DEP_4) | instskip(NEXT) | instid1(VALU_DEP_3)
	v_mul_lo_u32 v13, v13, v246
	v_add3_u32 v14, v14, v15, v128
	v_mul_i32_i24_e32 v15, v98, v49
	v_mul_i32_i24_e32 v128, v99, v251
	s_delay_alu instid0(VALU_DEP_1) | instskip(SKIP_2) | instid1(VALU_DEP_3)
	v_add3_u32 v14, v14, v15, v128
	v_mul_i32_i24_e32 v15, v102, v254
	v_mul_i32_i24_e32 v128, v103, v148
	v_add3_u32 v14, v14, v134, v152
	v_mul_i32_i24_e32 v134, v106, v165
	v_mul_i32_i24_e32 v152, v107, v47
	s_delay_alu instid0(VALU_DEP_3) | instskip(SKIP_2) | instid1(VALU_DEP_3)
	v_add3_u32 v14, v14, v15, v128
	v_mul_i32_i24_e32 v15, v108, v79
	v_mul_i32_i24_e32 v128, v109, v44
	v_add3_u32 v14, v14, v134, v152
	v_mul_i32_i24_e32 v134, v110, v45
	v_mul_i32_i24_e32 v152, v16, v48
	s_delay_alu instid0(VALU_DEP_3) | instskip(SKIP_1) | instid1(VALU_DEP_2)
	v_add3_u32 v14, v14, v15, v128
	v_mul_i32_i24_e32 v15, v112, v250
	v_add3_u32 v128, v14, v134, v152
	v_mul_i32_i24_e32 v14, v111, v149
	v_mul_i32_i24_e32 v152, v114, v226
	;; [unrolled: 1-line block ×3, first 2 shown]
	s_delay_alu instid0(VALU_DEP_2) | instskip(SKIP_2) | instid1(VALU_DEP_3)
	v_add3_u32 v14, v153, v152, v14
	v_mul_i32_i24_e32 v152, v101, v220
	v_mul_i32_i24_e32 v153, v116, v163
	v_add3_u32 v134, v14, v15, v134
	v_mad_u64_u32 v[14:15], null, v128, v189, v[13:14]
	v_mul_i32_i24_e32 v15, v31, v196
	v_mul_i32_i24_e32 v128, v84, v3
	v_add3_u32 v153, v155, v153, v154
	s_delay_alu instid0(VALU_DEP_4) | instskip(SKIP_2) | instid1(VALU_DEP_2)
	v_cvt_f32_i32_e32 v13, v14
	v_cvt_f32_i32_e32 v14, v134
	v_mul_i32_i24_e32 v134, v85, v200
	v_mul_f32_e32 v14, v190, v14
	s_delay_alu instid0(VALU_DEP_1) | instskip(SKIP_1) | instid1(VALU_DEP_2)
	v_fma_mix_f32 v13, v138, v13, -v14 op_sel_hi:[1,0,0]
	v_mul_i32_i24_e32 v14, v19, v193
	v_fmac_f32_e32 v34, v20, v13
	v_mul_i32_i24_e32 v13, v17, v192
	s_delay_alu instid0(VALU_DEP_1) | instskip(NEXT) | instid1(VALU_DEP_1)
	v_mad_i32_i24 v13, v18, v1, v13
	v_add3_u32 v13, v13, v14, v15
	v_mul_i32_i24_e32 v14, v82, v158
	v_mul_i32_i24_e32 v15, v83, v2
	s_delay_alu instid0(VALU_DEP_1) | instskip(SKIP_2) | instid1(VALU_DEP_3)
	v_add3_u32 v13, v13, v14, v15
	v_mul_i32_i24_e32 v14, v86, v39
	v_mul_i32_i24_e32 v15, v87, v150
	v_add3_u32 v13, v13, v128, v134
	v_mul_i32_i24_e32 v128, v88, v202
	v_mul_i32_i24_e32 v134, v89, v204
	s_delay_alu instid0(VALU_DEP_3) | instskip(SKIP_2) | instid1(VALU_DEP_3)
	v_add3_u32 v13, v13, v14, v15
	v_mul_i32_i24_e32 v14, v90, v157
	v_mul_i32_i24_e32 v15, v91, v33
	v_add3_u32 v13, v13, v128, v134
	v_mul_i32_i24_e32 v128, v92, v35
	v_mul_i32_i24_e32 v134, v93, v210
	s_delay_alu instid0(VALU_DEP_3) | instskip(SKIP_2) | instid1(VALU_DEP_3)
	v_add3_u32 v13, v13, v14, v15
	v_mul_i32_i24_e32 v14, v94, v213
	v_mul_i32_i24_e32 v15, v96, v214
	v_add3_u32 v13, v13, v128, v134
	v_mul_i32_i24_e32 v128, v97, v217
	s_delay_alu instid0(VALU_DEP_4) | instskip(SKIP_1) | instid1(VALU_DEP_4)
	v_mad_i32_i24 v14, v95, v212, v14
	v_mul_i32_i24_e32 v134, v100, v37
	v_mul_lo_u32 v13, v13, v211
	s_delay_alu instid0(VALU_DEP_3) | instskip(SKIP_2) | instid1(VALU_DEP_1)
	v_add3_u32 v14, v14, v15, v128
	v_mul_i32_i24_e32 v15, v98, v40
	v_mul_i32_i24_e32 v128, v99, v216
	v_add3_u32 v14, v14, v15, v128
	v_mul_i32_i24_e32 v15, v102, v218
	v_mul_i32_i24_e32 v128, v103, v219
	s_delay_alu instid0(VALU_DEP_3) | instskip(SKIP_2) | instid1(VALU_DEP_3)
	v_add3_u32 v14, v14, v134, v152
	v_mul_i32_i24_e32 v134, v106, v38
	v_mul_i32_i24_e32 v152, v107, v145
	v_add3_u32 v14, v14, v15, v128
	v_mul_i32_i24_e32 v15, v108, v221
	v_mul_i32_i24_e32 v128, v109, v146
	s_delay_alu instid0(VALU_DEP_3) | instskip(SKIP_3) | instid1(VALU_DEP_4)
	v_add3_u32 v14, v14, v134, v152
	v_mul_i32_i24_e32 v134, v110, v144
	v_mul_i32_i24_e32 v152, v16, v143
	;; [unrolled: 1-line block ×3, first 2 shown]
	v_add3_u32 v14, v14, v15, v128
	v_mul_i32_i24_e32 v15, v112, v209
	s_delay_alu instid0(VALU_DEP_2) | instskip(SKIP_3) | instid1(VALU_DEP_2)
	v_add3_u32 v128, v14, v134, v152
	v_mul_i32_i24_e32 v14, v111, v215
	v_mul_i32_i24_e32 v152, v114, v183
	v_mul_i32_i24_e32 v134, v113, v36
	v_add3_u32 v14, v153, v152, v14
	s_delay_alu instid0(VALU_DEP_1) | instskip(SKIP_3) | instid1(VALU_DEP_3)
	v_add3_u32 v134, v14, v15, v134
	v_mad_u64_u32 v[14:15], null, v128, v136, v[13:14]
	v_mul_i32_i24_e32 v15, v31, v164
	v_mul_i32_i24_e32 v31, v117, v167
	v_cvt_f32_i32_e32 v13, v14
	v_cvt_f32_i32_e32 v14, v134
	s_delay_alu instid0(VALU_DEP_1) | instskip(NEXT) | instid1(VALU_DEP_1)
	v_mul_f32_e32 v14, v137, v14
	v_fma_mix_f32 v13, v131, v13, -v14 op_sel_hi:[1,0,0]
	v_mul_i32_i24_e32 v14, v19, v187
	v_mul_i32_i24_e32 v19, v101, v180
	s_delay_alu instid0(VALU_DEP_3) | instskip(SKIP_2) | instid1(VALU_DEP_2)
	v_fmac_f32_e32 v194, v20, v13
	v_mul_i32_i24_e32 v13, v17, v185
	v_mul_i32_i24_e32 v17, v84, v129
	v_mad_i32_i24 v13, v18, v21, v13
	v_mul_i32_i24_e32 v18, v85, v168
	s_delay_alu instid0(VALU_DEP_2) | instskip(SKIP_3) | instid1(VALU_DEP_2)
	v_add3_u32 v13, v13, v14, v15
	v_mul_i32_i24_e32 v14, v82, v104
	v_mul_i32_i24_e32 v15, v83, v105
	;; [unrolled: 1-line block ×3, first 2 shown]
	v_add3_u32 v13, v13, v14, v15
	v_mul_i32_i24_e32 v14, v86, v127
	v_mul_i32_i24_e32 v15, v87, v135
	s_delay_alu instid0(VALU_DEP_4) | instskip(NEXT) | instid1(VALU_DEP_4)
	v_mad_i32_i24 v82, v115, v161, v82
	v_add3_u32 v13, v13, v17, v18
	v_mul_i32_i24_e32 v17, v88, v142
	v_mul_i32_i24_e32 v18, v89, v172
	s_delay_alu instid0(VALU_DEP_3) | instskip(SKIP_2) | instid1(VALU_DEP_3)
	v_add3_u32 v13, v13, v14, v15
	v_mul_i32_i24_e32 v14, v90, v170
	v_mul_i32_i24_e32 v15, v91, v171
	v_add3_u32 v13, v13, v17, v18
	v_mul_i32_i24_e32 v17, v92, v174
	v_mul_i32_i24_e32 v18, v93, v175
	s_delay_alu instid0(VALU_DEP_3) | instskip(SKIP_2) | instid1(VALU_DEP_3)
	v_add3_u32 v13, v13, v14, v15
	v_mul_i32_i24_e32 v14, v94, v23
	v_mul_i32_i24_e32 v15, v96, v179
	v_add3_u32 v13, v13, v17, v18
	v_mul_i32_i24_e32 v17, v97, v26
	s_delay_alu instid0(VALU_DEP_4) | instskip(SKIP_1) | instid1(VALU_DEP_4)
	v_mad_i32_i24 v14, v95, v177, v14
	v_mul_i32_i24_e32 v18, v100, v25
	v_mul_lo_u32 v13, v13, v176
	s_delay_alu instid0(VALU_DEP_3) | instskip(SKIP_2) | instid1(VALU_DEP_1)
	v_add3_u32 v14, v14, v15, v17
	v_mul_i32_i24_e32 v15, v98, v186
	v_mul_i32_i24_e32 v17, v99, v178
	v_add3_u32 v14, v14, v15, v17
	v_mul_i32_i24_e32 v15, v102, v197
	v_mul_i32_i24_e32 v17, v103, v181
	s_delay_alu instid0(VALU_DEP_3) | instskip(SKIP_3) | instid1(VALU_DEP_4)
	v_add3_u32 v14, v14, v18, v19
	v_mul_i32_i24_e32 v18, v106, v198
	v_mul_i32_i24_e32 v19, v107, v184
	v_mov_b32_e32 v198, v2
	v_add3_u32 v14, v14, v15, v17
	v_mul_i32_i24_e32 v15, v108, v199
	v_mul_i32_i24_e32 v17, v109, v205
	s_delay_alu instid0(VALU_DEP_3) | instskip(SKIP_2) | instid1(VALU_DEP_3)
	v_add3_u32 v14, v14, v18, v19
	v_mul_i32_i24_e32 v18, v110, v141
	v_mul_i32_i24_e32 v19, v116, v173
	v_add3_u32 v14, v14, v15, v17
	v_mul_i32_i24_e32 v15, v112, v24
	s_delay_alu instid0(VALU_DEP_3) | instskip(SKIP_1) | instid1(VALU_DEP_4)
	v_add3_u32 v19, v82, v19, v31
	v_mul_i32_i24_e32 v17, v113, v22
	v_add3_u32 v16, v14, v18, v16
	v_mul_i32_i24_e32 v14, v111, v201
	v_mul_i32_i24_e32 v18, v114, v139
	s_delay_alu instid0(VALU_DEP_1) | instskip(NEXT) | instid1(VALU_DEP_1)
	v_add3_u32 v14, v19, v18, v14
	v_add3_u32 v17, v14, v15, v17
	v_mad_u64_u32 v[14:15], null, v16, v160, v[13:14]
	s_delay_alu instid0(VALU_DEP_1) | instskip(NEXT) | instid1(VALU_DEP_3)
	v_cvt_f32_i32_e32 v13, v14
	v_cvt_f32_i32_e32 v14, v17
	s_delay_alu instid0(VALU_DEP_1) | instskip(NEXT) | instid1(VALU_DEP_1)
	v_mul_f32_e32 v14, v159, v14
	v_fma_mix_f32 v13, v126, v13, -v14 op_sel_hi:[1,0,0]
	s_delay_alu instid0(VALU_DEP_1)
	v_fmac_f32_e32 v203, v20, v13
	ds_load_2addr_b32 v[19:20], v125 offset0:192 offset1:224
	ds_load_b128 v[13:16], v124 offset:6144
	v_add_nc_u32_e32 v125, 4, v125
	s_waitcnt lgkmcnt(0)
	v_bfe_i32 v17, v13, 0, 8
	v_bfe_i32 v18, v13, 8, 8
	v_bfe_i32 v31, v13, 16, 8
	v_ashrrev_i32_e32 v82, 24, v13
	v_bfe_i32 v83, v14, 0, 8
	v_bfe_i32 v84, v14, 8, 8
	v_bfe_i32 v85, v14, 16, 8
	v_ashrrev_i32_e32 v86, 24, v14
	;; [unrolled: 4-line block ×4, first 2 shown]
	ds_load_b128 v[13:16], v124 offset:6160
	v_mul_i32_i24_e32 v134, v85, v76
	v_mul_i32_i24_e32 v152, v86, v62
	s_waitcnt lgkmcnt(0)
	v_ashrrev_i32_e32 v98, 24, v13
	v_ashrrev_i32_e32 v102, 24, v14
	v_bfe_i32 v95, v13, 0, 8
	v_bfe_i32 v96, v13, 8, 8
	;; [unrolled: 1-line block ×4, first 2 shown]
	v_ashrrev_i32_e32 v108, 24, v15
	v_bfe_i32 v109, v16, 0, 8
	v_bfe_i32 v110, v16, 8, 8
	;; [unrolled: 1-line block ×3, first 2 shown]
	v_ashrrev_i32_e32 v16, 24, v16
	v_add_nc_u32_e32 v13, v102, v98
	v_bfe_i32 v100, v14, 8, 8
	v_bfe_i32 v107, v15, 16, 8
	;; [unrolled: 1-line block ×4, first 2 shown]
	v_add3_u32 v112, v13, v108, v16
	v_add_nc_u32_e32 v13, v101, v97
	v_bfe_i32 v103, v15, 0, 8
	v_mul_i32_i24_e32 v14, v31, v61
	v_mul_i32_i24_e32 v15, v82, v56
	;; [unrolled: 1-line block ×3, first 2 shown]
	v_add3_u32 v113, v13, v107, v111
	v_add_nc_u32_e32 v13, v100, v96
	s_delay_alu instid0(VALU_DEP_1) | instskip(SKIP_1) | instid1(VALU_DEP_1)
	v_add3_u32 v114, v13, v106, v110
	v_add_nc_u32_e32 v13, v99, v95
	v_add3_u32 v115, v13, v103, v109
	v_add_nc_u32_e32 v13, v86, v82
	s_delay_alu instid0(VALU_DEP_1) | instskip(SKIP_1) | instid1(VALU_DEP_1)
	v_add3_u32 v116, v13, v90, v94
	v_add_nc_u32_e32 v13, v85, v31
	v_add3_u32 v117, v13, v89, v93
	v_add_nc_u32_e32 v13, v84, v18
	s_delay_alu instid0(VALU_DEP_2) | instskip(NEXT) | instid1(VALU_DEP_2)
	v_mul_i32_i24_e32 v154, v117, v169
	v_add3_u32 v123, v13, v88, v92
	v_add_nc_u32_e32 v13, v83, v17
	s_delay_alu instid0(VALU_DEP_2) | instskip(NEXT) | instid1(VALU_DEP_2)
	v_mul_i32_i24_e32 v155, v123, v166
	v_add3_u32 v128, v13, v87, v91
	v_mul_i32_i24_e32 v13, v17, v58
	s_delay_alu instid0(VALU_DEP_2) | instskip(NEXT) | instid1(VALU_DEP_2)
	v_mul_i32_i24_e32 v156, v128, v195
	v_mad_i32_i24 v13, v18, v53, v13
	s_delay_alu instid0(VALU_DEP_2) | instskip(NEXT) | instid1(VALU_DEP_2)
	v_mad_i32_i24 v156, v116, v41, v156
	v_add3_u32 v13, v13, v14, v15
	v_mul_i32_i24_e32 v14, v83, v73
	v_mul_i32_i24_e32 v15, v84, v50
	v_mov_b32_e32 v50, v75
	v_add3_u32 v154, v156, v154, v155
	v_mul_i32_i24_e32 v156, v128, v151
	v_mul_i32_i24_e32 v155, v123, v54
	v_add3_u32 v13, v13, v14, v15
	v_mul_i32_i24_e32 v14, v87, v75
	v_mul_i32_i24_e32 v15, v88, v78
	v_dual_mov_b32 v75, v78 :: v_dual_mov_b32 v78, v80
	s_delay_alu instid0(VALU_DEP_4) | instskip(SKIP_3) | instid1(VALU_DEP_4)
	v_add3_u32 v13, v13, v134, v152
	v_mul_i32_i24_e32 v134, v89, v81
	v_mul_i32_i24_e32 v152, v90, v119
	v_mad_i32_i24 v156, v116, v188, v156
	v_add3_u32 v13, v13, v14, v15
	v_mul_i32_i24_e32 v14, v91, v80
	v_mul_i32_i24_e32 v15, v92, v118
	v_mov_b32_e32 v80, v118
	v_mov_b32_e32 v118, v120
	v_add3_u32 v13, v13, v134, v152
	v_mul_i32_i24_e32 v134, v93, v120
	v_mul_i32_i24_e32 v152, v94, v121
	v_mov_b32_e32 v120, v121
	s_delay_alu instid0(VALU_DEP_4) | instskip(SKIP_2) | instid1(VALU_DEP_3)
	v_add3_u32 v13, v13, v14, v15
	v_mul_i32_i24_e32 v14, v95, v70
	v_mul_i32_i24_e32 v15, v97, v122
	v_add3_u32 v13, v13, v134, v152
	v_mul_i32_i24_e32 v134, v98, v72
	s_delay_alu instid0(VALU_DEP_4) | instskip(SKIP_1) | instid1(VALU_DEP_4)
	v_mad_i32_i24 v14, v96, v5, v14
	v_mul_i32_i24_e32 v152, v101, v10
	v_mul_lo_u32 v13, v13, v4
	s_delay_alu instid0(VALU_DEP_3) | instskip(SKIP_2) | instid1(VALU_DEP_1)
	v_add3_u32 v14, v14, v15, v134
	v_mul_i32_i24_e32 v15, v99, v147
	v_mul_i32_i24_e32 v134, v100, v7
	v_add3_u32 v14, v14, v15, v134
	v_mul_i32_i24_e32 v15, v103, v8
	v_mul_i32_i24_e32 v134, v106, v11
	s_delay_alu instid0(VALU_DEP_3) | instskip(SKIP_2) | instid1(VALU_DEP_3)
	v_add3_u32 v14, v14, v152, v153
	v_mul_i32_i24_e32 v152, v107, v225
	v_mul_i32_i24_e32 v153, v108, v55
	v_add3_u32 v14, v14, v15, v134
	v_mul_i32_i24_e32 v15, v109, v9
	v_mul_i32_i24_e32 v134, v110, v77
	s_delay_alu instid0(VALU_DEP_3) | instskip(SKIP_2) | instid1(VALU_DEP_3)
	v_add3_u32 v14, v14, v152, v153
	v_mul_i32_i24_e32 v152, v111, v227
	v_mul_i32_i24_e32 v153, v16, v57
	v_add3_u32 v14, v14, v15, v134
	v_mul_i32_i24_e32 v15, v113, v6
	s_delay_alu instid0(VALU_DEP_2) | instskip(SKIP_3) | instid1(VALU_DEP_2)
	v_add3_u32 v134, v14, v152, v153
	v_mul_i32_i24_e32 v14, v112, v12
	v_mul_i32_i24_e32 v153, v115, v52
	;; [unrolled: 1-line block ×3, first 2 shown]
	v_add3_u32 v14, v154, v153, v14
	v_mul_i32_i24_e32 v153, v102, v255
	v_mul_i32_i24_e32 v154, v117, v59
	s_delay_alu instid0(VALU_DEP_3)
	v_add3_u32 v152, v14, v15, v152
	v_mad_u64_u32 v[14:15], null, v134, v46, v[13:14]
	v_mul_i32_i24_e32 v15, v82, v235
	v_mul_i32_i24_e32 v134, v85, v236
	v_add3_u32 v154, v156, v154, v155
	v_mul_i32_i24_e32 v156, v128, v132
	v_mul_i32_i24_e32 v155, v123, v206
	v_cvt_f32_i32_e32 v13, v14
	v_cvt_f32_i32_e32 v14, v152
	v_mul_i32_i24_e32 v152, v86, v238
	v_mad_i32_i24 v156, v116, v133, v156
	s_delay_alu instid0(VALU_DEP_3) | instskip(NEXT) | instid1(VALU_DEP_1)
	v_mul_f32_e32 v14, v51, v14
	v_fma_mix_f32 v13, v182, v13, -v14 op_sel_hi:[1,0,0]
	v_mov_b32_e32 v121, v122
	v_mul_i32_i24_e32 v14, v31, v65
	v_mov_b32_e32 v122, v225
	s_delay_alu instid0(VALU_DEP_4) | instskip(SKIP_1) | instid1(VALU_DEP_1)
	v_fmac_f32_e32 v208, v19, v13
	v_mul_i32_i24_e32 v13, v17, v64
	v_mad_i32_i24 v13, v18, v60, v13
	s_delay_alu instid0(VALU_DEP_1) | instskip(SKIP_2) | instid1(VALU_DEP_1)
	v_add3_u32 v13, v13, v14, v15
	v_mul_i32_i24_e32 v14, v83, v66
	v_mul_i32_i24_e32 v15, v84, v67
	v_add3_u32 v13, v13, v14, v15
	v_mul_i32_i24_e32 v14, v87, v237
	v_mul_i32_i24_e32 v15, v88, v68
	s_delay_alu instid0(VALU_DEP_3) | instskip(SKIP_2) | instid1(VALU_DEP_3)
	v_add3_u32 v13, v13, v134, v152
	v_mul_i32_i24_e32 v134, v89, v69
	v_mul_i32_i24_e32 v152, v90, v242
	v_add3_u32 v13, v13, v14, v15
	v_mul_i32_i24_e32 v14, v91, v241
	v_mul_i32_i24_e32 v15, v92, v243
	s_delay_alu instid0(VALU_DEP_3) | instskip(SKIP_2) | instid1(VALU_DEP_3)
	v_add3_u32 v13, v13, v134, v152
	v_mul_i32_i24_e32 v134, v93, v244
	v_mul_i32_i24_e32 v152, v94, v245
	v_add3_u32 v13, v13, v14, v15
	v_mul_i32_i24_e32 v14, v95, v248
	v_mul_i32_i24_e32 v15, v97, v249
	s_delay_alu instid0(VALU_DEP_3) | instskip(SKIP_1) | instid1(VALU_DEP_4)
	v_add3_u32 v13, v13, v134, v152
	v_mul_i32_i24_e32 v134, v98, v74
	v_mad_i32_i24 v14, v96, v247, v14
	v_mul_i32_i24_e32 v152, v101, v253
	s_delay_alu instid0(VALU_DEP_4) | instskip(NEXT) | instid1(VALU_DEP_3)
	v_mul_lo_u32 v13, v13, v246
	v_add3_u32 v14, v14, v15, v134
	v_mul_i32_i24_e32 v15, v99, v49
	v_mul_i32_i24_e32 v134, v100, v251
	s_delay_alu instid0(VALU_DEP_1) | instskip(SKIP_2) | instid1(VALU_DEP_3)
	v_add3_u32 v14, v14, v15, v134
	v_mul_i32_i24_e32 v15, v103, v254
	v_mul_i32_i24_e32 v134, v106, v148
	v_add3_u32 v14, v14, v152, v153
	v_mul_i32_i24_e32 v152, v107, v165
	v_mul_i32_i24_e32 v153, v108, v47
	s_delay_alu instid0(VALU_DEP_3) | instskip(SKIP_2) | instid1(VALU_DEP_3)
	v_add3_u32 v14, v14, v15, v134
	v_mul_i32_i24_e32 v15, v109, v79
	v_mul_i32_i24_e32 v134, v110, v44
	v_add3_u32 v14, v14, v152, v153
	v_mul_i32_i24_e32 v152, v111, v45
	v_mul_i32_i24_e32 v153, v16, v48
	s_delay_alu instid0(VALU_DEP_3) | instskip(SKIP_1) | instid1(VALU_DEP_2)
	v_add3_u32 v14, v14, v15, v134
	v_mul_i32_i24_e32 v15, v113, v250
	v_add3_u32 v134, v14, v152, v153
	v_mul_i32_i24_e32 v14, v112, v149
	v_mul_i32_i24_e32 v153, v115, v226
	;; [unrolled: 1-line block ×3, first 2 shown]
	s_delay_alu instid0(VALU_DEP_2) | instskip(SKIP_2) | instid1(VALU_DEP_3)
	v_add3_u32 v14, v154, v153, v14
	v_mul_i32_i24_e32 v153, v102, v220
	v_mul_i32_i24_e32 v154, v117, v163
	v_add3_u32 v152, v14, v15, v152
	v_mad_u64_u32 v[14:15], null, v134, v189, v[13:14]
	v_mul_i32_i24_e32 v15, v82, v196
	v_mul_i32_i24_e32 v134, v85, v3
	v_add3_u32 v154, v156, v154, v155
	s_delay_alu instid0(VALU_DEP_4) | instskip(SKIP_2) | instid1(VALU_DEP_2)
	v_cvt_f32_i32_e32 v13, v14
	v_cvt_f32_i32_e32 v14, v152
	v_mul_i32_i24_e32 v152, v86, v200
	v_mul_f32_e32 v14, v190, v14
	s_delay_alu instid0(VALU_DEP_1) | instskip(SKIP_1) | instid1(VALU_DEP_2)
	v_fma_mix_f32 v13, v138, v13, -v14 op_sel_hi:[1,0,0]
	v_mul_i32_i24_e32 v14, v31, v193
	v_fmac_f32_e32 v207, v19, v13
	v_mul_i32_i24_e32 v13, v17, v192
	s_delay_alu instid0(VALU_DEP_1) | instskip(NEXT) | instid1(VALU_DEP_1)
	v_mad_i32_i24 v13, v18, v1, v13
	v_add3_u32 v13, v13, v14, v15
	v_mul_i32_i24_e32 v14, v83, v158
	v_mul_i32_i24_e32 v15, v84, v2
	s_delay_alu instid0(VALU_DEP_1) | instskip(SKIP_2) | instid1(VALU_DEP_3)
	v_add3_u32 v13, v13, v14, v15
	v_mul_i32_i24_e32 v14, v87, v39
	v_mul_i32_i24_e32 v15, v88, v150
	v_add3_u32 v13, v13, v134, v152
	v_mul_i32_i24_e32 v134, v89, v202
	v_mul_i32_i24_e32 v152, v90, v204
	s_delay_alu instid0(VALU_DEP_3) | instskip(SKIP_3) | instid1(VALU_DEP_4)
	v_add3_u32 v13, v13, v14, v15
	v_mul_i32_i24_e32 v14, v91, v157
	v_mul_i32_i24_e32 v15, v92, v33
	v_mov_b32_e32 v157, v163
	v_add3_u32 v13, v13, v134, v152
	v_mul_i32_i24_e32 v134, v93, v35
	v_mul_i32_i24_e32 v152, v94, v210
	s_delay_alu instid0(VALU_DEP_3) | instskip(SKIP_2) | instid1(VALU_DEP_3)
	v_add3_u32 v13, v13, v14, v15
	v_mul_i32_i24_e32 v14, v95, v213
	v_mul_i32_i24_e32 v15, v97, v214
	v_add3_u32 v13, v13, v134, v152
	v_mul_i32_i24_e32 v134, v98, v217
	s_delay_alu instid0(VALU_DEP_4) | instskip(SKIP_1) | instid1(VALU_DEP_4)
	v_mad_i32_i24 v14, v96, v212, v14
	v_mul_i32_i24_e32 v152, v101, v37
	v_mul_lo_u32 v13, v13, v211
	s_delay_alu instid0(VALU_DEP_3) | instskip(SKIP_2) | instid1(VALU_DEP_1)
	v_add3_u32 v14, v14, v15, v134
	v_mul_i32_i24_e32 v15, v99, v40
	v_mul_i32_i24_e32 v134, v100, v216
	v_add3_u32 v14, v14, v15, v134
	v_mul_i32_i24_e32 v15, v103, v218
	v_mul_i32_i24_e32 v134, v106, v219
	s_delay_alu instid0(VALU_DEP_3) | instskip(SKIP_2) | instid1(VALU_DEP_3)
	v_add3_u32 v14, v14, v152, v153
	v_mul_i32_i24_e32 v152, v107, v38
	v_mul_i32_i24_e32 v153, v108, v145
	v_add3_u32 v14, v14, v15, v134
	v_mul_i32_i24_e32 v15, v109, v221
	v_mul_i32_i24_e32 v134, v110, v146
	s_delay_alu instid0(VALU_DEP_3) | instskip(SKIP_3) | instid1(VALU_DEP_4)
	v_add3_u32 v14, v14, v152, v153
	v_mul_i32_i24_e32 v152, v111, v144
	v_mul_i32_i24_e32 v153, v16, v143
	;; [unrolled: 1-line block ×3, first 2 shown]
	v_add3_u32 v14, v14, v15, v134
	v_mul_i32_i24_e32 v15, v113, v209
	s_delay_alu instid0(VALU_DEP_2) | instskip(SKIP_3) | instid1(VALU_DEP_2)
	v_add3_u32 v134, v14, v152, v153
	v_mul_i32_i24_e32 v14, v112, v215
	v_mul_i32_i24_e32 v153, v115, v183
	;; [unrolled: 1-line block ×3, first 2 shown]
	v_add3_u32 v14, v154, v153, v14
	scratch_load_b32 v154, off, off offset:56 ; 4-byte Folded Reload
	v_add3_u32 v152, v14, v15, v152
	v_mad_u64_u32 v[14:15], null, v134, v136, v[13:14]
	scratch_load_b32 v134, off, off offset:16 ; 4-byte Folded Reload
	v_mul_i32_i24_e32 v15, v82, v164
	v_mul_i32_i24_e32 v82, v123, v167
	v_cvt_f32_i32_e32 v13, v14
	v_cvt_f32_i32_e32 v14, v152
	v_mov_b32_e32 v199, v3
	scratch_load_b32 v152, off, off offset:52 ; 4-byte Folded Reload
	v_mul_f32_e32 v14, v137, v14
	s_delay_alu instid0(VALU_DEP_1)
	v_fma_mix_f32 v13, v131, v13, -v14 op_sel_hi:[1,0,0]
	v_mov_b32_e32 v197, v1
	v_mul_i32_i24_e32 v14, v31, v187
	v_mul_i32_i24_e32 v31, v102, v180
	s_waitcnt vmcnt(1)
	v_fmac_f32_e32 v134, v19, v13
	v_mul_i32_i24_e32 v13, v17, v185
	v_mul_i32_i24_e32 v17, v85, v129
	s_delay_alu instid0(VALU_DEP_2) | instskip(SKIP_1) | instid1(VALU_DEP_2)
	v_mad_i32_i24 v13, v18, v21, v13
	v_mul_i32_i24_e32 v18, v86, v168
	v_add3_u32 v13, v13, v14, v15
	v_mul_i32_i24_e32 v14, v83, v104
	v_mul_i32_i24_e32 v15, v84, v105
	;; [unrolled: 1-line block ×3, first 2 shown]
	s_delay_alu instid0(VALU_DEP_2) | instskip(SKIP_2) | instid1(VALU_DEP_4)
	v_add3_u32 v13, v13, v14, v15
	v_mul_i32_i24_e32 v14, v87, v127
	v_mul_i32_i24_e32 v15, v88, v135
	v_mad_i32_i24 v83, v116, v161, v83
	s_delay_alu instid0(VALU_DEP_4) | instskip(SKIP_2) | instid1(VALU_DEP_3)
	v_add3_u32 v13, v13, v17, v18
	v_mul_i32_i24_e32 v17, v89, v142
	v_mul_i32_i24_e32 v18, v90, v172
	v_add3_u32 v13, v13, v14, v15
	v_mul_i32_i24_e32 v14, v91, v170
	v_mul_i32_i24_e32 v15, v92, v171
	s_delay_alu instid0(VALU_DEP_3) | instskip(SKIP_2) | instid1(VALU_DEP_3)
	v_add3_u32 v13, v13, v17, v18
	v_mul_i32_i24_e32 v17, v93, v174
	v_mul_i32_i24_e32 v18, v94, v175
	v_add3_u32 v13, v13, v14, v15
	v_mul_i32_i24_e32 v14, v95, v23
	v_mul_i32_i24_e32 v15, v97, v179
	s_delay_alu instid0(VALU_DEP_3) | instskip(SKIP_1) | instid1(VALU_DEP_4)
	v_add3_u32 v13, v13, v17, v18
	v_mul_i32_i24_e32 v17, v98, v26
	v_mad_i32_i24 v14, v96, v177, v14
	v_mul_i32_i24_e32 v18, v101, v25
	s_delay_alu instid0(VALU_DEP_4) | instskip(NEXT) | instid1(VALU_DEP_3)
	v_mul_lo_u32 v13, v13, v176
	v_add3_u32 v14, v14, v15, v17
	v_mul_i32_i24_e32 v15, v99, v186
	v_mul_i32_i24_e32 v17, v100, v178
	ds_load_b128 v[97:100], v124 offset:7184
	v_add3_u32 v14, v14, v15, v17
	v_mul_i32_i24_e32 v17, v106, v181
	scratch_load_b32 v106, off, off offset:12 ; 4-byte Folded Reload
	v_mul_i32_i24_e32 v15, v103, v27
	v_add3_u32 v14, v14, v18, v31
	v_mul_i32_i24_e32 v18, v107, v28
	v_mul_i32_i24_e32 v31, v108, v184
	s_delay_alu instid0(VALU_DEP_3) | instskip(SKIP_2) | instid1(VALU_DEP_3)
	v_add3_u32 v14, v14, v15, v17
	v_mul_i32_i24_e32 v15, v109, v29
	v_mul_i32_i24_e32 v17, v110, v205
	v_add3_u32 v14, v14, v18, v31
	v_mul_i32_i24_e32 v18, v111, v141
	v_mul_i32_i24_e32 v31, v117, v173
	s_waitcnt lgkmcnt(0)
	v_bfe_i32 v111, v97, 0, 8
	v_bfe_i32 v109, v98, 16, 8
	v_add3_u32 v14, v14, v15, v17
	v_mul_i32_i24_e32 v15, v113, v24
	v_add3_u32 v31, v83, v31, v82
	v_mul_i32_i24_e32 v17, v114, v22
	v_bfe_i32 v123, v97, 8, 8
	v_add3_u32 v16, v14, v18, v16
	v_mul_i32_i24_e32 v14, v112, v32
	v_mul_i32_i24_e32 v18, v115, v139
	v_bfe_i32 v112, v97, 16, 8
	v_ashrrev_i32_e32 v115, 24, v97
	v_mul_i32_i24_e32 v3, v109, v10
	scratch_load_b32 v10, off, off offset:4 ; 4-byte Folded Reload
	v_add3_u32 v14, v31, v18, v14
	v_mov_b32_e32 v201, v39
	v_mul_i32_i24_e32 v39, v111, v70
	v_mul_i32_i24_e32 v2, v115, v72
	v_ashrrev_i32_e32 v110, 24, v98
	v_add3_u32 v17, v14, v15, v17
	v_mad_u64_u32 v[14:15], null, v16, v160, v[13:14]
	v_mad_i32_i24 v39, v123, v5, v39
	v_bfe_i32 v108, v99, 8, 8
	v_mul_i32_i24_e32 v5, v110, v71
	v_bfe_i32 v95, v100, 0, 8
	v_ashrrev_i32_e32 v31, 24, v99
	v_ashrrev_i32_e32 v116, 24, v100
	v_cvt_f32_i32_e32 v13, v14
	v_cvt_f32_i32_e32 v14, v17
	v_bfe_i32 v17, v98, 8, 8
	v_bfe_i32 v113, v99, 16, 8
	;; [unrolled: 1-line block ×4, first 2 shown]
	v_mul_f32_e32 v14, v159, v14
	v_mul_i32_i24_e32 v1, v17, v7
	s_delay_alu instid0(VALU_DEP_2) | instskip(SKIP_1) | instid1(VALU_DEP_1)
	v_fma_mix_f32 v13, v126, v13, -v14 op_sel_hi:[1,0,0]
	s_waitcnt vmcnt(1)
	v_fmac_f32_e32 v106, v19, v13
	ds_load_b128 v[13:16], v124 offset:7168
	v_add_nc_u32_e32 v124, 32, v124
	s_waitcnt lgkmcnt(0)
	v_bfe_i32 v93, v13, 16, 8
	v_bfe_i32 v90, v14, 16, 8
	;; [unrolled: 1-line block ×6, first 2 shown]
	v_add_nc_u32_e32 v19, v90, v93
	v_bfe_i32 v92, v13, 0, 8
	v_bfe_i32 v88, v14, 0, 8
	;; [unrolled: 1-line block ×4, first 2 shown]
	v_ashrrev_i32_e32 v86, 24, v15
	v_bfe_i32 v15, v16, 8, 8
	v_add3_u32 v101, v19, v85, v18
	v_add_nc_u32_e32 v19, v89, v87
	v_ashrrev_i32_e32 v91, 24, v14
	v_bfe_i32 v14, v16, 0, 8
	v_ashrrev_i32_e32 v94, 24, v13
	v_ashrrev_i32_e32 v82, 24, v16
	v_add3_u32 v102, v19, v84, v15
	v_add_nc_u32_e32 v19, v88, v92
	v_mul_i32_i24_e32 v62, v91, v62
	v_bfe_i32 v16, v98, 0, 8
	v_bfe_i32 v98, v99, 0, 8
	v_add_nc_u32_e32 v13, v110, v115
	v_add3_u32 v103, v19, v83, v14
	v_mul_i32_i24_e32 v19, v92, v58
	v_mul_i32_i24_e32 v58, v93, v61
	;; [unrolled: 1-line block ×4, first 2 shown]
	v_add3_u32 v114, v13, v31, v116
	v_mad_i32_i24 v19, v87, v53, v19
	v_add_nc_u32_e32 v13, v109, v112
	v_mul_i32_i24_e32 v7, v103, v195
	s_delay_alu instid0(VALU_DEP_3)
	v_add3_u32 v19, v19, v58, v61
	v_mul_i32_i24_e32 v58, v89, v0
	v_mul_i32_i24_e32 v61, v90, v76
	;; [unrolled: 1-line block ×3, first 2 shown]
	v_add3_u32 v117, v13, v113, v97
	v_add_nc_u32_e32 v13, v17, v123
	v_add3_u32 v19, v19, v56, v58
	v_mul_i32_i24_e32 v56, v83, v50
	v_mul_i32_i24_e32 v58, v84, v75
	s_delay_alu instid0(VALU_DEP_4) | instskip(NEXT) | instid1(VALU_DEP_4)
	v_add3_u32 v99, v13, v108, v96
	v_add3_u32 v19, v19, v61, v62
	v_mul_i32_i24_e32 v61, v85, v81
	v_mul_i32_i24_e32 v62, v86, v119
	v_add_nc_u32_e32 v13, v16, v111
	s_delay_alu instid0(VALU_DEP_4) | instskip(SKIP_2) | instid1(VALU_DEP_4)
	v_add3_u32 v19, v19, v56, v58
	v_mul_i32_i24_e32 v56, v14, v78
	v_mul_i32_i24_e32 v58, v15, v80
	v_add3_u32 v100, v13, v98, v95
	v_add_nc_u32_e32 v13, v91, v94
	v_add3_u32 v19, v19, v61, v62
	v_mul_i32_i24_e32 v61, v18, v118
	v_mul_i32_i24_e32 v62, v82, v120
	s_delay_alu instid0(VALU_DEP_4) | instskip(NEXT) | instid1(VALU_DEP_4)
	v_add3_u32 v13, v13, v86, v82
	v_add3_u32 v19, v19, v56, v58
	v_mul_i32_i24_e32 v56, v112, v121
	scratch_load_b32 v58, off, off offset:28 ; 4-byte Folded Reload
	v_mad_i32_i24 v7, v13, v41, v7
	v_add3_u32 v19, v19, v61, v62
	scratch_load_b32 v61, off, off offset:32 ; 4-byte Folded Reload
	v_add3_u32 v2, v39, v56, v2
	v_mul_lo_u32 v19, v19, v4
	v_mul_i32_i24_e32 v4, v31, v55
	s_delay_alu instid0(VALU_DEP_3) | instskip(SKIP_3) | instid1(VALU_DEP_4)
	v_add3_u32 v0, v2, v0, v1
	v_mul_i32_i24_e32 v1, v98, v8
	v_mul_i32_i24_e32 v2, v108, v11
	;; [unrolled: 1-line block ×3, first 2 shown]
	v_add3_u32 v0, v0, v3, v5
	v_mul_i32_i24_e32 v3, v113, v122
	v_mul_i32_i24_e32 v5, v101, v169
	scratch_load_b32 v169, off, off offset:84 ; 4-byte Folded Reload
	v_mad_i32_i24 v8, v13, v188, v8
	v_add3_u32 v0, v0, v1, v2
	v_mul_i32_i24_e32 v1, v95, v9
	scratch_load_b32 v9, off, off offset:8  ; 4-byte Folded Reload
	v_mul_i32_i24_e32 v2, v96, v77
	v_add3_u32 v0, v0, v3, v4
	v_mul_i32_i24_e32 v3, v97, v227
	v_mul_i32_i24_e32 v4, v116, v57
	s_delay_alu instid0(VALU_DEP_3)
	v_add3_u32 v0, v0, v1, v2
	v_mul_i32_i24_e32 v2, v117, v6
	v_mul_i32_i24_e32 v6, v102, v166
	;; [unrolled: 1-line block ×3, first 2 shown]
	s_clause 0x1
	scratch_load_b32 v166, off, off offset:80
	scratch_load_b32 v57, off, off offset:24
	v_add3_u32 v0, v0, v3, v4
	v_mul_i32_i24_e32 v4, v100, v52
	v_add3_u32 v5, v7, v5, v6
	v_mul_i32_i24_e32 v3, v99, v222
	v_mul_i32_i24_e32 v6, v101, v59
	v_mul_i32_i24_e32 v7, v102, v54
	scratch_load_b32 v222, off, off offset:88 ; 4-byte Folded Reload
	v_add3_u32 v1, v5, v4, v1
	v_mul_i32_i24_e32 v4, v91, v238
	v_mul_i32_i24_e32 v5, v110, v255
	v_add3_u32 v6, v8, v6, v7
	v_mul_i32_i24_e32 v8, v103, v132
	v_add3_u32 v3, v1, v2, v3
	v_mad_u64_u32 v[1:2], null, v0, v46, v[19:20]
	v_mul_i32_i24_e32 v2, v94, v235
	v_mul_i32_i24_e32 v7, v102, v206
	v_mad_i32_i24 v8, v13, v133, v8
	s_delay_alu instid0(VALU_DEP_4) | instskip(SKIP_2) | instid1(VALU_DEP_2)
	v_cvt_f32_i32_e32 v0, v1
	v_cvt_f32_i32_e32 v1, v3
	v_mul_i32_i24_e32 v3, v90, v236
	v_mul_f32_e32 v1, v51, v1
	s_delay_alu instid0(VALU_DEP_1) | instskip(SKIP_2) | instid1(VALU_DEP_2)
	v_fma_mix_f32 v0, v182, v0, -v1 op_sel_hi:[1,0,0]
	v_mul_i32_i24_e32 v1, v93, v65
	s_waitcnt vmcnt(3)
	v_fmac_f32_e32 v9, v20, v0
	v_mul_i32_i24_e32 v0, v92, v64
	s_delay_alu instid0(VALU_DEP_1) | instskip(NEXT) | instid1(VALU_DEP_1)
	v_mad_i32_i24 v0, v87, v60, v0
	v_add3_u32 v0, v0, v1, v2
	v_mul_i32_i24_e32 v1, v88, v66
	v_mul_i32_i24_e32 v2, v89, v67
	s_delay_alu instid0(VALU_DEP_1) | instskip(SKIP_2) | instid1(VALU_DEP_3)
	v_add3_u32 v0, v0, v1, v2
	v_mul_i32_i24_e32 v1, v83, v237
	v_mul_i32_i24_e32 v2, v84, v68
	v_add3_u32 v0, v0, v3, v4
	v_mul_i32_i24_e32 v3, v85, v69
	v_mul_i32_i24_e32 v4, v86, v242
	s_delay_alu instid0(VALU_DEP_3) | instskip(SKIP_2) | instid1(VALU_DEP_3)
	v_add3_u32 v0, v0, v1, v2
	v_mul_i32_i24_e32 v1, v14, v241
	v_mul_i32_i24_e32 v2, v15, v243
	v_add3_u32 v0, v0, v3, v4
	v_mul_i32_i24_e32 v3, v18, v244
	v_mul_i32_i24_e32 v4, v82, v245
	s_delay_alu instid0(VALU_DEP_3) | instskip(SKIP_2) | instid1(VALU_DEP_3)
	v_add3_u32 v0, v0, v1, v2
	v_mul_i32_i24_e32 v1, v111, v248
	v_mul_i32_i24_e32 v2, v112, v249
	v_add3_u32 v0, v0, v3, v4
	v_mul_i32_i24_e32 v3, v115, v74
	s_delay_alu instid0(VALU_DEP_4) | instskip(SKIP_1) | instid1(VALU_DEP_4)
	v_mad_i32_i24 v1, v123, v247, v1
	v_mul_i32_i24_e32 v4, v109, v253
	v_mul_lo_u32 v0, v0, v246
	s_delay_alu instid0(VALU_DEP_3) | instskip(SKIP_2) | instid1(VALU_DEP_1)
	v_add3_u32 v1, v1, v2, v3
	v_mul_i32_i24_e32 v2, v16, v49
	v_mul_i32_i24_e32 v3, v17, v251
	v_add3_u32 v1, v1, v2, v3
	v_mul_i32_i24_e32 v2, v98, v254
	v_mul_i32_i24_e32 v3, v108, v148
	s_delay_alu instid0(VALU_DEP_3) | instskip(SKIP_2) | instid1(VALU_DEP_3)
	v_add3_u32 v1, v1, v4, v5
	v_mul_i32_i24_e32 v4, v113, v162
	v_mul_i32_i24_e32 v5, v31, v47
	v_add3_u32 v1, v1, v2, v3
	v_mul_i32_i24_e32 v2, v95, v79
	v_mul_i32_i24_e32 v3, v96, v44
	s_delay_alu instid0(VALU_DEP_3) | instskip(SKIP_2) | instid1(VALU_DEP_3)
	v_add3_u32 v1, v1, v4, v5
	v_mul_i32_i24_e32 v4, v97, v45
	v_mul_i32_i24_e32 v5, v116, v48
	v_add3_u32 v1, v1, v2, v3
	v_mul_i32_i24_e32 v2, v117, v250
	s_delay_alu instid0(VALU_DEP_2) | instskip(SKIP_3) | instid1(VALU_DEP_2)
	v_add3_u32 v3, v1, v4, v5
	v_mul_i32_i24_e32 v1, v114, v149
	v_mul_i32_i24_e32 v5, v100, v226
	;; [unrolled: 1-line block ×3, first 2 shown]
	v_add3_u32 v1, v6, v5, v1
	v_mul_i32_i24_e32 v6, v101, v157
	v_mul_i32_i24_e32 v5, v110, v220
	s_delay_alu instid0(VALU_DEP_3) | instskip(NEXT) | instid1(VALU_DEP_3)
	v_add3_u32 v4, v1, v2, v4
	v_add3_u32 v6, v8, v6, v7
	scratch_load_b32 v8, off, off           ; 4-byte Folded Reload
	v_mad_u64_u32 v[1:2], null, v3, v189, v[0:1]
	v_mul_i32_i24_e32 v2, v94, v196
	v_mul_i32_i24_e32 v3, v90, v199
	;; [unrolled: 1-line block ×3, first 2 shown]
	s_delay_alu instid0(VALU_DEP_4) | instskip(SKIP_2) | instid1(VALU_DEP_4)
	v_cvt_f32_i32_e32 v0, v1
	v_cvt_f32_i32_e32 v1, v4
	v_mul_i32_i24_e32 v4, v91, v200
	v_mad_i32_i24 v7, v13, v161, v7
	s_delay_alu instid0(VALU_DEP_3) | instskip(NEXT) | instid1(VALU_DEP_1)
	v_mul_f32_e32 v1, v190, v1
	v_fma_mix_f32 v0, v138, v0, -v1 op_sel_hi:[1,0,0]
	v_mul_i32_i24_e32 v1, v93, v193
	s_delay_alu instid0(VALU_DEP_2) | instskip(SKIP_1) | instid1(VALU_DEP_1)
	v_fmac_f32_e32 v10, v20, v0
	v_mul_i32_i24_e32 v0, v92, v192
	v_mad_i32_i24 v0, v87, v197, v0
	s_delay_alu instid0(VALU_DEP_1) | instskip(SKIP_2) | instid1(VALU_DEP_1)
	v_add3_u32 v0, v0, v1, v2
	v_mul_i32_i24_e32 v1, v88, v158
	v_mul_i32_i24_e32 v2, v89, v198
	v_add3_u32 v0, v0, v1, v2
	v_mul_i32_i24_e32 v1, v83, v201
	v_mul_i32_i24_e32 v2, v84, v150
	s_delay_alu instid0(VALU_DEP_3)
	v_add3_u32 v0, v0, v3, v4
	v_mul_i32_i24_e32 v3, v85, v202
	v_mul_i32_i24_e32 v4, v86, v204
	scratch_load_b32 v204, off, off offset:64 ; 4-byte Folded Reload
	v_add3_u32 v0, v0, v1, v2
	v_mul_i32_i24_e32 v1, v14, v42
	v_mul_i32_i24_e32 v2, v15, v33
	s_delay_alu instid0(VALU_DEP_3) | instskip(SKIP_2) | instid1(VALU_DEP_3)
	v_add3_u32 v0, v0, v3, v4
	v_mul_i32_i24_e32 v3, v18, v35
	v_mul_i32_i24_e32 v4, v82, v210
	v_add3_u32 v0, v0, v1, v2
	v_mul_i32_i24_e32 v1, v111, v213
	v_mul_i32_i24_e32 v2, v112, v214
	s_delay_alu instid0(VALU_DEP_3) | instskip(SKIP_1) | instid1(VALU_DEP_4)
	v_add3_u32 v0, v0, v3, v4
	v_mul_i32_i24_e32 v3, v115, v217
	v_mad_i32_i24 v1, v123, v212, v1
	v_mul_i32_i24_e32 v4, v109, v37
	s_delay_alu instid0(VALU_DEP_4) | instskip(NEXT) | instid1(VALU_DEP_3)
	v_mul_lo_u32 v0, v0, v211
	v_add3_u32 v1, v1, v2, v3
	v_mul_i32_i24_e32 v2, v16, v40
	v_mul_i32_i24_e32 v3, v17, v216
	s_delay_alu instid0(VALU_DEP_1) | instskip(SKIP_2) | instid1(VALU_DEP_3)
	v_add3_u32 v1, v1, v2, v3
	v_mul_i32_i24_e32 v2, v98, v218
	v_mul_i32_i24_e32 v3, v108, v219
	v_add3_u32 v1, v1, v4, v5
	v_mul_i32_i24_e32 v4, v113, v38
	v_mul_i32_i24_e32 v5, v31, v145
	scratch_load_b32 v145, off, off offset:48 ; 4-byte Folded Reload
	v_add3_u32 v1, v1, v2, v3
	v_mul_i32_i24_e32 v2, v95, v221
	v_mul_i32_i24_e32 v3, v96, v146
	s_delay_alu instid0(VALU_DEP_3)
	v_add3_u32 v1, v1, v4, v5
	v_mul_i32_i24_e32 v4, v97, v144
	v_mul_i32_i24_e32 v5, v116, v143
	scratch_load_b32 v144, off, off offset:44 ; 4-byte Folded Reload
	v_add3_u32 v1, v1, v2, v3
	v_mul_i32_i24_e32 v2, v117, v209
	s_delay_alu instid0(VALU_DEP_2) | instskip(SKIP_3) | instid1(VALU_DEP_2)
	v_add3_u32 v3, v1, v4, v5
	v_mul_i32_i24_e32 v1, v114, v215
	v_mul_i32_i24_e32 v5, v100, v183
	;; [unrolled: 1-line block ×3, first 2 shown]
	v_add3_u32 v1, v6, v5, v1
	v_mul_i32_i24_e32 v5, v101, v173
	v_mul_i32_i24_e32 v6, v102, v167
	s_delay_alu instid0(VALU_DEP_3)
	v_add3_u32 v4, v1, v2, v4
	v_mad_u64_u32 v[1:2], null, v3, v136, v[0:1]
	v_mul_i32_i24_e32 v2, v94, v164
	v_mul_i32_i24_e32 v3, v90, v129
	v_add3_u32 v5, v7, v5, v6
	scratch_load_b32 v136, off, off offset:36 ; 4-byte Folded Reload
	v_cvt_f32_i32_e32 v0, v1
	v_cvt_f32_i32_e32 v1, v4
	v_mul_i32_i24_e32 v4, v91, v168
	s_delay_alu instid0(VALU_DEP_2) | instskip(SKIP_4) | instid1(VALU_DEP_2)
	v_mul_f32_e32 v1, v137, v1
	scratch_load_b32 v137, off, off offset:40 ; 4-byte Folded Reload
	v_fma_mix_f32 v0, v131, v0, -v1 op_sel_hi:[1,0,0]
	v_mul_i32_i24_e32 v1, v93, v187
	s_waitcnt vmcnt(5)
	v_fmac_f32_e32 v8, v20, v0
	v_mul_i32_i24_e32 v0, v92, v185
	s_delay_alu instid0(VALU_DEP_1) | instskip(NEXT) | instid1(VALU_DEP_1)
	v_mad_i32_i24 v0, v87, v21, v0
	v_add3_u32 v0, v0, v1, v2
	v_mul_i32_i24_e32 v1, v88, v104
	v_mul_i32_i24_e32 v2, v89, v105
	s_delay_alu instid0(VALU_DEP_1) | instskip(SKIP_2) | instid1(VALU_DEP_3)
	v_add3_u32 v0, v0, v1, v2
	v_mul_i32_i24_e32 v1, v83, v127
	v_mul_i32_i24_e32 v2, v84, v135
	v_add3_u32 v0, v0, v3, v4
	v_mul_i32_i24_e32 v3, v85, v142
	v_mul_i32_i24_e32 v4, v86, v172
	s_delay_alu instid0(VALU_DEP_3) | instskip(SKIP_2) | instid1(VALU_DEP_3)
	v_add3_u32 v0, v0, v1, v2
	v_mul_i32_i24_e32 v1, v14, v170
	v_mul_i32_i24_e32 v2, v15, v171
	v_add3_u32 v0, v0, v3, v4
	v_mul_i32_i24_e32 v3, v18, v174
	v_mul_i32_i24_e32 v4, v82, v175
	s_delay_alu instid0(VALU_DEP_3) | instskip(SKIP_2) | instid1(VALU_DEP_3)
	v_add3_u32 v0, v0, v1, v2
	v_mul_i32_i24_e32 v1, v112, v179
	v_mul_i32_i24_e32 v2, v115, v26
	v_add3_u32 v0, v0, v3, v4
	v_mul_i32_i24_e32 v3, v109, v25
	v_mul_i32_i24_e32 v4, v110, v180
	s_delay_alu instid0(VALU_DEP_3) | instskip(SKIP_1) | instid1(VALU_DEP_1)
	v_mul_lo_u32 v19, v0, v176
	v_mul_i32_i24_e32 v0, v111, v23
	v_mad_i32_i24 v0, v123, v177, v0
	s_delay_alu instid0(VALU_DEP_1) | instskip(SKIP_2) | instid1(VALU_DEP_1)
	v_add3_u32 v0, v0, v1, v2
	v_mul_i32_i24_e32 v1, v16, v186
	v_mul_i32_i24_e32 v2, v17, v178
	v_add3_u32 v0, v0, v1, v2
	v_mul_i32_i24_e32 v1, v98, v27
	v_mul_i32_i24_e32 v2, v108, v181
	s_delay_alu instid0(VALU_DEP_3) | instskip(SKIP_2) | instid1(VALU_DEP_3)
	v_add3_u32 v0, v0, v3, v4
	v_mul_i32_i24_e32 v3, v113, v28
	v_mul_i32_i24_e32 v4, v31, v184
	v_add3_u32 v0, v0, v1, v2
	v_mul_i32_i24_e32 v1, v95, v29
	v_mul_i32_i24_e32 v2, v96, v205
	scratch_load_b32 v29, off, off offset:68 ; 4-byte Folded Reload
	v_add3_u32 v0, v0, v3, v4
	v_mul_i32_i24_e32 v3, v97, v141
	v_mul_i32_i24_e32 v4, v116, v140
	s_delay_alu instid0(VALU_DEP_3) | instskip(SKIP_2) | instid1(VALU_DEP_3)
	v_add3_u32 v0, v0, v1, v2
	v_mul_i32_i24_e32 v1, v117, v24
	v_mul_i32_i24_e32 v2, v99, v22
	v_add3_u32 v0, v0, v3, v4
	v_mul_i32_i24_e32 v3, v114, v32
	v_mul_i32_i24_e32 v4, v100, v139
	s_delay_alu instid0(VALU_DEP_1) | instskip(NEXT) | instid1(VALU_DEP_1)
	v_add3_u32 v3, v5, v4, v3
	v_add3_u32 v1, v3, v1, v2
	v_mad_u64_u32 v[2:3], null, v0, v160, v[19:20]
	s_delay_alu instid0(VALU_DEP_2) | instskip(NEXT) | instid1(VALU_DEP_2)
	v_cvt_f32_i32_e32 v1, v1
	v_cvt_f32_i32_e32 v0, v2
	s_delay_alu instid0(VALU_DEP_2)
	v_mul_f32_e32 v1, v159, v1
	s_clause 0x1
	scratch_load_b32 v159, off, off offset:72
	scratch_load_b32 v177, off, off offset:60
	v_fma_mix_f32 v0, v126, v0, -v1 op_sel_hi:[1,0,0]
	s_waitcnt vmcnt(0)
	s_delay_alu instid0(VALU_DEP_1)
	v_fmac_f32_e32 v177, v20, v0
	s_cbranch_scc1 .LBB148_12
; %bb.13:                               ;   in Loop: Header=BB148_8 Depth=2
	s_waitcnt_vscnt null, 0x0
	s_barrier
	buffer_gl0_inv
	s_clause 0x8
	scratch_load_b32 v62, off, off offset:92
	scratch_load_b32 v35, off, off offset:96
	;; [unrolled: 1-line block ×9, first 2 shown]
	s_add_i32 s13, s13, 16
	v_dual_mov_b32 v23, v8 :: v_dual_mov_b32 v104, v106
	v_dual_mov_b32 v27, v10 :: v_dual_mov_b32 v28, v208
	;; [unrolled: 1-line block ×11, first 2 shown]
	v_mov_b32_e32 v63, v231
	v_mov_b32_e32 v65, v233
	;; [unrolled: 1-line block ×5, first 2 shown]
	s_cmp_eq_u32 s14, 4
	s_cselect_b32 s15, -1, 0
	s_delay_alu instid0(SALU_CYCLE_1)
	s_and_b32 vcc_lo, exec_lo, s15
	s_cbranch_vccz .LBB148_8
	s_branch .LBB148_5
.LBB148_14:
	s_clause 0x2
	scratch_load_b32 v1, off, off offset:476
	scratch_load_b32 v0, off, off offset:128
	;; [unrolled: 1-line block ×3, first 2 shown]
.LBB148_15:
	s_mov_b32 s0, exec_lo
	s_waitcnt vmcnt(0)
	v_cmpx_gt_u32_e64 s6, v2
	s_cbranch_execz .LBB148_66
; %bb.16:
	v_add_nc_u32_e32 v0, s12, v0
	v_mul_lo_u32 v5, v2, s10
	s_delay_alu instid0(VALU_DEP_2)
	v_cmp_gt_u32_e32 vcc_lo, s10, v0
	s_and_saveexec_b32 s1, vcc_lo
	s_cbranch_execz .LBB148_18
; %bb.17:
	s_delay_alu instid0(VALU_DEP_2) | instskip(SKIP_1) | instid1(VALU_DEP_2)
	v_dual_mov_b32 v3, 0 :: v_dual_add_nc_u32 v2, v0, v5
	v_cvt_f16_f32_e64 v4, v204
	v_lshlrev_b64 v[2:3], 1, v[2:3]
	s_waitcnt lgkmcnt(0)
	s_delay_alu instid0(VALU_DEP_1) | instskip(NEXT) | instid1(VALU_DEP_1)
	v_add_co_u32 v2, s0, s8, v2
	v_add_co_ci_u32_e64 v3, s0, s9, v3, s0
	global_store_b16 v[2:3], v4, off
.LBB148_18:
	s_or_b32 exec_lo, exec_lo, s1
	v_add_nc_u32_e32 v2, 32, v0
	s_delay_alu instid0(VALU_DEP_1) | instskip(NEXT) | instid1(VALU_DEP_1)
	v_cmp_gt_u32_e64 s0, s10, v2
	s_and_saveexec_b32 s2, s0
	s_cbranch_execz .LBB148_20
; %bb.19:
	v_dual_mov_b32 v4, 0 :: v_dual_add_nc_u32 v3, v2, v5
	v_cvt_f16_f32_e32 v6, v77
	s_delay_alu instid0(VALU_DEP_2) | instskip(SKIP_1) | instid1(VALU_DEP_1)
	v_lshlrev_b64 v[3:4], 1, v[3:4]
	s_waitcnt lgkmcnt(0)
	v_add_co_u32 v3, s1, s8, v3
	s_delay_alu instid0(VALU_DEP_1)
	v_add_co_ci_u32_e64 v4, s1, s9, v4, s1
	global_store_b16 v[3:4], v6, off
.LBB148_20:
	s_or_b32 exec_lo, exec_lo, s2
	v_add_nc_u32_e32 v3, 64, v0
	s_delay_alu instid0(VALU_DEP_1) | instskip(NEXT) | instid1(VALU_DEP_1)
	v_cmp_gt_u32_e64 s1, s10, v3
	s_and_saveexec_b32 s3, s1
	s_cbranch_execz .LBB148_22
; %bb.21:
	v_dual_mov_b32 v7, 0 :: v_dual_add_nc_u32 v6, v3, v5
	v_cvt_f16_f32_e64 v4, v255
	s_delay_alu instid0(VALU_DEP_2) | instskip(SKIP_1) | instid1(VALU_DEP_1)
	v_lshlrev_b64 v[6:7], 1, v[6:7]
	s_waitcnt lgkmcnt(0)
	v_add_co_u32 v6, s2, s8, v6
	s_delay_alu instid0(VALU_DEP_1)
	v_add_co_ci_u32_e64 v7, s2, s9, v7, s2
	global_store_b16 v[6:7], v4, off
.LBB148_22:
	s_or_b32 exec_lo, exec_lo, s3
	v_add_nc_u32_e32 v4, 0x60, v0
	s_delay_alu instid0(VALU_DEP_1) | instskip(NEXT) | instid1(VALU_DEP_1)
	v_cmp_gt_u32_e64 s2, s10, v4
	s_and_saveexec_b32 s4, s2
	s_cbranch_execz .LBB148_24
; %bb.23:
	v_dual_mov_b32 v6, 0 :: v_dual_add_nc_u32 v5, v4, v5
	v_cvt_f16_f32_e64 v7, v251
	s_delay_alu instid0(VALU_DEP_2) | instskip(SKIP_1) | instid1(VALU_DEP_1)
	v_lshlrev_b64 v[5:6], 1, v[5:6]
	s_waitcnt lgkmcnt(0)
	v_add_co_u32 v5, s3, s8, v5
	s_delay_alu instid0(VALU_DEP_1)
	v_add_co_ci_u32_e64 v6, s3, s9, v6, s3
	global_store_b16 v[5:6], v7, off
.LBB148_24:
	s_or_b32 exec_lo, exec_lo, s4
	v_add3_u32 v5, v1, s11, 8
	s_delay_alu instid0(VALU_DEP_1) | instskip(NEXT) | instid1(VALU_DEP_1)
	v_cmp_gt_u32_e64 s3, s6, v5
	s_and_b32 exec_lo, exec_lo, s3
	s_cbranch_execz .LBB148_66
; %bb.25:
	v_mul_lo_u32 v5, v5, s10
	s_and_saveexec_b32 s4, vcc_lo
	s_cbranch_execnz .LBB148_67
; %bb.26:
	s_or_b32 exec_lo, exec_lo, s4
	s_and_saveexec_b32 s4, s0
	s_cbranch_execnz .LBB148_68
.LBB148_27:
	s_or_b32 exec_lo, exec_lo, s4
	s_and_saveexec_b32 s4, s1
	s_cbranch_execnz .LBB148_69
.LBB148_28:
	s_or_b32 exec_lo, exec_lo, s4
	s_and_saveexec_b32 s4, s2
	s_cbranch_execz .LBB148_30
.LBB148_29:
	v_dual_mov_b32 v6, 0 :: v_dual_add_nc_u32 v5, v5, v4
	v_cvt_f16_f32_e32 v7, v65
	s_delay_alu instid0(VALU_DEP_2) | instskip(SKIP_1) | instid1(VALU_DEP_1)
	v_lshlrev_b64 v[5:6], 1, v[5:6]
	s_waitcnt lgkmcnt(0)
	v_add_co_u32 v5, s3, s8, v5
	s_delay_alu instid0(VALU_DEP_1)
	v_add_co_ci_u32_e64 v6, s3, s9, v6, s3
	global_store_b16 v[5:6], v7, off
.LBB148_30:
	s_or_b32 exec_lo, exec_lo, s4
	v_add3_u32 v5, v1, s11, 16
	s_delay_alu instid0(VALU_DEP_1) | instskip(NEXT) | instid1(VALU_DEP_1)
	v_cmp_gt_u32_e64 s3, s6, v5
	s_and_b32 exec_lo, exec_lo, s3
	s_cbranch_execz .LBB148_66
; %bb.31:
	v_mul_lo_u32 v5, v5, s10
	s_and_saveexec_b32 s4, vcc_lo
	s_cbranch_execnz .LBB148_70
; %bb.32:
	s_or_b32 exec_lo, exec_lo, s4
	s_and_saveexec_b32 s4, s0
	s_cbranch_execnz .LBB148_71
.LBB148_33:
	s_or_b32 exec_lo, exec_lo, s4
	s_and_saveexec_b32 s4, s1
	s_cbranch_execnz .LBB148_72
.LBB148_34:
	s_or_b32 exec_lo, exec_lo, s4
	s_and_saveexec_b32 s4, s2
	s_cbranch_execz .LBB148_36
.LBB148_35:
	v_dual_mov_b32 v6, 0 :: v_dual_add_nc_u32 v5, v5, v4
	v_cvt_f16_f32_e32 v7, v59
	s_delay_alu instid0(VALU_DEP_2) | instskip(SKIP_1) | instid1(VALU_DEP_1)
	v_lshlrev_b64 v[5:6], 1, v[5:6]
	s_waitcnt lgkmcnt(0)
	v_add_co_u32 v5, s3, s8, v5
	s_delay_alu instid0(VALU_DEP_1)
	v_add_co_ci_u32_e64 v6, s3, s9, v6, s3
	global_store_b16 v[5:6], v7, off
.LBB148_36:
	s_or_b32 exec_lo, exec_lo, s4
	v_add3_u32 v5, v1, s11, 24
	s_delay_alu instid0(VALU_DEP_1) | instskip(NEXT) | instid1(VALU_DEP_1)
	v_cmp_gt_u32_e64 s3, s6, v5
	s_and_b32 exec_lo, exec_lo, s3
	s_cbranch_execz .LBB148_66
; %bb.37:
	v_mul_lo_u32 v5, v5, s10
	s_and_saveexec_b32 s4, vcc_lo
	s_cbranch_execnz .LBB148_73
; %bb.38:
	s_or_b32 exec_lo, exec_lo, s4
	s_and_saveexec_b32 s4, s0
	s_cbranch_execnz .LBB148_74
.LBB148_39:
	s_or_b32 exec_lo, exec_lo, s4
	s_and_saveexec_b32 s4, s1
	s_cbranch_execnz .LBB148_75
.LBB148_40:
	s_or_b32 exec_lo, exec_lo, s4
	s_and_saveexec_b32 s4, s2
	s_cbranch_execz .LBB148_42
.LBB148_41:
	v_dual_mov_b32 v6, 0 :: v_dual_add_nc_u32 v5, v5, v4
	v_cvt_f16_f32_e32 v7, v41
	s_delay_alu instid0(VALU_DEP_2) | instskip(SKIP_1) | instid1(VALU_DEP_1)
	v_lshlrev_b64 v[5:6], 1, v[5:6]
	s_waitcnt lgkmcnt(0)
	v_add_co_u32 v5, s3, s8, v5
	s_delay_alu instid0(VALU_DEP_1)
	v_add_co_ci_u32_e64 v6, s3, s9, v6, s3
	global_store_b16 v[5:6], v7, off
.LBB148_42:
	s_or_b32 exec_lo, exec_lo, s4
	v_add3_u32 v5, v1, s11, 32
	s_delay_alu instid0(VALU_DEP_1) | instskip(NEXT) | instid1(VALU_DEP_1)
	v_cmp_gt_u32_e64 s3, s6, v5
	s_and_b32 exec_lo, exec_lo, s3
	s_cbranch_execz .LBB148_66
; %bb.43:
	v_mul_lo_u32 v5, v5, s10
	s_and_saveexec_b32 s4, vcc_lo
	s_cbranch_execnz .LBB148_76
; %bb.44:
	s_or_b32 exec_lo, exec_lo, s4
	s_and_saveexec_b32 s4, s0
	s_cbranch_execnz .LBB148_77
.LBB148_45:
	s_or_b32 exec_lo, exec_lo, s4
	s_and_saveexec_b32 s4, s1
	s_cbranch_execnz .LBB148_78
.LBB148_46:
	s_or_b32 exec_lo, exec_lo, s4
	s_and_saveexec_b32 s4, s2
	s_cbranch_execz .LBB148_48
.LBB148_47:
	v_dual_mov_b32 v6, 0 :: v_dual_add_nc_u32 v5, v5, v4
	v_cvt_f16_f32_e64 v7, v217
	s_delay_alu instid0(VALU_DEP_2) | instskip(SKIP_1) | instid1(VALU_DEP_1)
	v_lshlrev_b64 v[5:6], 1, v[5:6]
	s_waitcnt lgkmcnt(0)
	v_add_co_u32 v5, s3, s8, v5
	s_delay_alu instid0(VALU_DEP_1)
	v_add_co_ci_u32_e64 v6, s3, s9, v6, s3
	global_store_b16 v[5:6], v7, off
.LBB148_48:
	s_or_b32 exec_lo, exec_lo, s4
	v_add3_u32 v5, v1, s11, 40
	s_delay_alu instid0(VALU_DEP_1) | instskip(NEXT) | instid1(VALU_DEP_1)
	v_cmp_gt_u32_e64 s3, s6, v5
	s_and_b32 exec_lo, exec_lo, s3
	s_cbranch_execz .LBB148_66
; %bb.49:
	v_mul_lo_u32 v5, v5, s10
	s_and_saveexec_b32 s4, vcc_lo
	s_cbranch_execnz .LBB148_79
; %bb.50:
	s_or_b32 exec_lo, exec_lo, s4
	s_and_saveexec_b32 s4, s0
	s_cbranch_execnz .LBB148_80
.LBB148_51:
	s_or_b32 exec_lo, exec_lo, s4
	s_and_saveexec_b32 s4, s1
	s_cbranch_execnz .LBB148_81
.LBB148_52:
	s_or_b32 exec_lo, exec_lo, s4
	s_and_saveexec_b32 s4, s2
	s_cbranch_execz .LBB148_54
.LBB148_53:
	v_dual_mov_b32 v6, 0 :: v_dual_add_nc_u32 v5, v5, v4
	v_cvt_f16_f32_e64 v7, v185
	s_delay_alu instid0(VALU_DEP_2) | instskip(SKIP_1) | instid1(VALU_DEP_1)
	v_lshlrev_b64 v[5:6], 1, v[5:6]
	s_waitcnt lgkmcnt(0)
	v_add_co_u32 v5, s3, s8, v5
	s_delay_alu instid0(VALU_DEP_1)
	v_add_co_ci_u32_e64 v6, s3, s9, v6, s3
	global_store_b16 v[5:6], v7, off
.LBB148_54:
	s_or_b32 exec_lo, exec_lo, s4
	v_add3_u32 v5, v1, s11, 48
	s_delay_alu instid0(VALU_DEP_1) | instskip(NEXT) | instid1(VALU_DEP_1)
	v_cmp_gt_u32_e64 s3, s6, v5
	s_and_b32 exec_lo, exec_lo, s3
	s_cbranch_execz .LBB148_66
; %bb.55:
	v_mul_lo_u32 v5, v5, s10
	s_and_saveexec_b32 s4, vcc_lo
	s_cbranch_execnz .LBB148_82
; %bb.56:
	s_or_b32 exec_lo, exec_lo, s4
	s_and_saveexec_b32 s4, s0
	s_cbranch_execnz .LBB148_83
.LBB148_57:
	s_or_b32 exec_lo, exec_lo, s4
	s_and_saveexec_b32 s4, s1
	s_cbranch_execnz .LBB148_84
.LBB148_58:
	s_or_b32 exec_lo, exec_lo, s4
	s_and_saveexec_b32 s4, s2
	s_cbranch_execz .LBB148_60
.LBB148_59:
	v_dual_mov_b32 v6, 0 :: v_dual_add_nc_u32 v5, v5, v4
	v_cvt_f16_f32_e32 v7, v104
	s_delay_alu instid0(VALU_DEP_2) | instskip(SKIP_1) | instid1(VALU_DEP_1)
	v_lshlrev_b64 v[5:6], 1, v[5:6]
	s_waitcnt lgkmcnt(0)
	v_add_co_u32 v5, s3, s8, v5
	s_delay_alu instid0(VALU_DEP_1)
	v_add_co_ci_u32_e64 v6, s3, s9, v6, s3
	global_store_b16 v[5:6], v7, off
.LBB148_60:
	s_or_b32 exec_lo, exec_lo, s4
	v_add3_u32 v1, v1, s11, 56
	s_delay_alu instid0(VALU_DEP_1) | instskip(NEXT) | instid1(VALU_DEP_1)
	v_cmp_gt_u32_e64 s3, s6, v1
	s_and_b32 exec_lo, exec_lo, s3
	s_cbranch_execz .LBB148_66
; %bb.61:
	v_mul_lo_u32 v1, v1, s10
	s_and_saveexec_b32 s3, vcc_lo
	s_cbranch_execnz .LBB148_85
; %bb.62:
	s_or_b32 exec_lo, exec_lo, s3
	s_and_saveexec_b32 s3, s0
	s_cbranch_execnz .LBB148_86
.LBB148_63:
	s_or_b32 exec_lo, exec_lo, s3
	s_and_saveexec_b32 s0, s1
	s_cbranch_execnz .LBB148_87
.LBB148_64:
	s_or_b32 exec_lo, exec_lo, s0
	s_delay_alu instid0(SALU_CYCLE_1)
	s_and_b32 exec_lo, exec_lo, s2
	s_cbranch_execz .LBB148_66
.LBB148_65:
	v_dual_mov_b32 v1, 0 :: v_dual_add_nc_u32 v0, v1, v4
	v_cvt_f16_f32_e64 v2, v177
	s_delay_alu instid0(VALU_DEP_2) | instskip(SKIP_1) | instid1(VALU_DEP_1)
	v_lshlrev_b64 v[0:1], 1, v[0:1]
	s_waitcnt lgkmcnt(0)
	v_add_co_u32 v0, vcc_lo, s8, v0
	s_delay_alu instid0(VALU_DEP_2)
	v_add_co_ci_u32_e32 v1, vcc_lo, s9, v1, vcc_lo
	global_store_b16 v[0:1], v2, off
.LBB148_66:
	s_endpgm
.LBB148_67:
	s_delay_alu instid0(VALU_DEP_1) | instskip(SKIP_1) | instid1(VALU_DEP_2)
	v_dual_mov_b32 v7, 0 :: v_dual_add_nc_u32 v6, v5, v0
	v_cvt_f16_f32_e32 v8, v68
	v_lshlrev_b64 v[6:7], 1, v[6:7]
	s_waitcnt lgkmcnt(0)
	s_delay_alu instid0(VALU_DEP_1) | instskip(NEXT) | instid1(VALU_DEP_1)
	v_add_co_u32 v6, s3, s8, v6
	v_add_co_ci_u32_e64 v7, s3, s9, v7, s3
	global_store_b16 v[6:7], v8, off
	s_or_b32 exec_lo, exec_lo, s4
	s_and_saveexec_b32 s4, s0
	s_cbranch_execz .LBB148_27
.LBB148_68:
	s_delay_alu instid0(VALU_DEP_1) | instskip(SKIP_1) | instid1(VALU_DEP_2)
	v_dual_mov_b32 v7, 0 :: v_dual_add_nc_u32 v6, v5, v2
	v_cvt_f16_f32_e64 v8, v238
	v_lshlrev_b64 v[6:7], 1, v[6:7]
	s_waitcnt lgkmcnt(0)
	s_delay_alu instid0(VALU_DEP_1) | instskip(NEXT) | instid1(VALU_DEP_1)
	v_add_co_u32 v6, s3, s8, v6
	v_add_co_ci_u32_e64 v7, s3, s9, v7, s3
	global_store_b16 v[6:7], v8, off
	s_or_b32 exec_lo, exec_lo, s4
	s_and_saveexec_b32 s4, s1
	s_cbranch_execz .LBB148_28
.LBB148_69:
	v_dual_mov_b32 v7, 0 :: v_dual_add_nc_u32 v6, v5, v3
	v_cvt_f16_f32_e32 v8, v66
	s_delay_alu instid0(VALU_DEP_2) | instskip(SKIP_1) | instid1(VALU_DEP_1)
	v_lshlrev_b64 v[6:7], 1, v[6:7]
	s_waitcnt lgkmcnt(0)
	v_add_co_u32 v6, s3, s8, v6
	s_delay_alu instid0(VALU_DEP_1)
	v_add_co_ci_u32_e64 v7, s3, s9, v7, s3
	global_store_b16 v[6:7], v8, off
	s_or_b32 exec_lo, exec_lo, s4
	s_and_saveexec_b32 s4, s2
	s_cbranch_execnz .LBB148_29
	s_branch .LBB148_30
.LBB148_70:
	s_delay_alu instid0(VALU_DEP_1) | instskip(SKIP_1) | instid1(VALU_DEP_2)
	v_dual_mov_b32 v7, 0 :: v_dual_add_nc_u32 v6, v5, v0
	v_cvt_f16_f32_e32 v8, v64
	v_lshlrev_b64 v[6:7], 1, v[6:7]
	s_waitcnt lgkmcnt(0)
	s_delay_alu instid0(VALU_DEP_1) | instskip(NEXT) | instid1(VALU_DEP_1)
	v_add_co_u32 v6, s3, s8, v6
	v_add_co_ci_u32_e64 v7, s3, s9, v7, s3
	global_store_b16 v[6:7], v8, off
	s_or_b32 exec_lo, exec_lo, s4
	s_and_saveexec_b32 s4, s0
	s_cbranch_execz .LBB148_33
.LBB148_71:
	s_delay_alu instid0(VALU_DEP_1) | instskip(SKIP_1) | instid1(VALU_DEP_2)
	v_dual_mov_b32 v7, 0 :: v_dual_add_nc_u32 v6, v5, v2
	v_cvt_f16_f32_e32 v8, v63
	v_lshlrev_b64 v[6:7], 1, v[6:7]
	s_waitcnt lgkmcnt(0)
	s_delay_alu instid0(VALU_DEP_1) | instskip(NEXT) | instid1(VALU_DEP_1)
	v_add_co_u32 v6, s3, s8, v6
	v_add_co_ci_u32_e64 v7, s3, s9, v7, s3
	global_store_b16 v[6:7], v8, off
	s_or_b32 exec_lo, exec_lo, s4
	s_and_saveexec_b32 s4, s1
	s_cbranch_execz .LBB148_34
.LBB148_72:
	v_dual_mov_b32 v7, 0 :: v_dual_add_nc_u32 v6, v5, v3
	v_cvt_f16_f32_e32 v8, v60
	s_delay_alu instid0(VALU_DEP_2) | instskip(SKIP_1) | instid1(VALU_DEP_1)
	v_lshlrev_b64 v[6:7], 1, v[6:7]
	s_waitcnt lgkmcnt(0)
	v_add_co_u32 v6, s3, s8, v6
	s_delay_alu instid0(VALU_DEP_1)
	v_add_co_ci_u32_e64 v7, s3, s9, v7, s3
	global_store_b16 v[6:7], v8, off
	s_or_b32 exec_lo, exec_lo, s4
	s_and_saveexec_b32 s4, s2
	s_cbranch_execnz .LBB148_35
	s_branch .LBB148_36
.LBB148_73:
	s_delay_alu instid0(VALU_DEP_1) | instskip(SKIP_1) | instid1(VALU_DEP_2)
	v_dual_mov_b32 v7, 0 :: v_dual_add_nc_u32 v6, v5, v0
	v_cvt_f16_f32_e32 v8, v54
	v_lshlrev_b64 v[6:7], 1, v[6:7]
	s_waitcnt lgkmcnt(0)
	s_delay_alu instid0(VALU_DEP_1) | instskip(NEXT) | instid1(VALU_DEP_1)
	v_add_co_u32 v6, s3, s8, v6
	v_add_co_ci_u32_e64 v7, s3, s9, v7, s3
	global_store_b16 v[6:7], v8, off
	s_or_b32 exec_lo, exec_lo, s4
	s_and_saveexec_b32 s4, s0
	s_cbranch_execz .LBB148_39
.LBB148_74:
	s_delay_alu instid0(VALU_DEP_1) | instskip(SKIP_1) | instid1(VALU_DEP_2)
	v_dual_mov_b32 v7, 0 :: v_dual_add_nc_u32 v6, v5, v2
	v_cvt_f16_f32_e32 v8, v51
	v_lshlrev_b64 v[6:7], 1, v[6:7]
	s_waitcnt lgkmcnt(0)
	s_delay_alu instid0(VALU_DEP_1) | instskip(NEXT) | instid1(VALU_DEP_1)
	v_add_co_u32 v6, s3, s8, v6
	v_add_co_ci_u32_e64 v7, s3, s9, v7, s3
	global_store_b16 v[6:7], v8, off
	s_or_b32 exec_lo, exec_lo, s4
	s_and_saveexec_b32 s4, s1
	s_cbranch_execz .LBB148_40
.LBB148_75:
	v_dual_mov_b32 v7, 0 :: v_dual_add_nc_u32 v6, v5, v3
	v_cvt_f16_f32_e32 v8, v46
	s_delay_alu instid0(VALU_DEP_2) | instskip(SKIP_1) | instid1(VALU_DEP_1)
	v_lshlrev_b64 v[6:7], 1, v[6:7]
	s_waitcnt lgkmcnt(0)
	v_add_co_u32 v6, s3, s8, v6
	s_delay_alu instid0(VALU_DEP_1)
	v_add_co_ci_u32_e64 v7, s3, s9, v7, s3
	global_store_b16 v[6:7], v8, off
	s_or_b32 exec_lo, exec_lo, s4
	s_and_saveexec_b32 s4, s2
	s_cbranch_execnz .LBB148_41
	s_branch .LBB148_42
.LBB148_76:
	s_delay_alu instid0(VALU_DEP_1) | instskip(SKIP_1) | instid1(VALU_DEP_2)
	v_dual_mov_b32 v7, 0 :: v_dual_add_nc_u32 v6, v5, v0
	v_cvt_f16_f32_e32 v8, v40
	v_lshlrev_b64 v[6:7], 1, v[6:7]
	s_waitcnt lgkmcnt(0)
	s_delay_alu instid0(VALU_DEP_1) | instskip(NEXT) | instid1(VALU_DEP_1)
	v_add_co_u32 v6, s3, s8, v6
	v_add_co_ci_u32_e64 v7, s3, s9, v7, s3
	global_store_b16 v[6:7], v8, off
	s_or_b32 exec_lo, exec_lo, s4
	s_and_saveexec_b32 s4, s0
	s_cbranch_execz .LBB148_45
.LBB148_77:
	s_delay_alu instid0(VALU_DEP_1) | instskip(SKIP_1) | instid1(VALU_DEP_2)
	v_dual_mov_b32 v7, 0 :: v_dual_add_nc_u32 v6, v5, v2
	v_cvt_f16_f32_e32 v8, v38
	v_lshlrev_b64 v[6:7], 1, v[6:7]
	s_waitcnt lgkmcnt(0)
	s_delay_alu instid0(VALU_DEP_1) | instskip(NEXT) | instid1(VALU_DEP_1)
	v_add_co_u32 v6, s3, s8, v6
	v_add_co_ci_u32_e64 v7, s3, s9, v7, s3
	global_store_b16 v[6:7], v8, off
	s_or_b32 exec_lo, exec_lo, s4
	s_and_saveexec_b32 s4, s1
	s_cbranch_execz .LBB148_46
.LBB148_78:
	v_dual_mov_b32 v7, 0 :: v_dual_add_nc_u32 v6, v5, v3
	v_cvt_f16_f32_e64 v8, v221
	s_delay_alu instid0(VALU_DEP_2) | instskip(SKIP_1) | instid1(VALU_DEP_1)
	v_lshlrev_b64 v[6:7], 1, v[6:7]
	s_waitcnt lgkmcnt(0)
	v_add_co_u32 v6, s3, s8, v6
	s_delay_alu instid0(VALU_DEP_1)
	v_add_co_ci_u32_e64 v7, s3, s9, v7, s3
	global_store_b16 v[6:7], v8, off
	s_or_b32 exec_lo, exec_lo, s4
	s_and_saveexec_b32 s4, s2
	s_cbranch_execnz .LBB148_47
	s_branch .LBB148_48
.LBB148_79:
	s_delay_alu instid0(VALU_DEP_1) | instskip(SKIP_1) | instid1(VALU_DEP_2)
	v_dual_mov_b32 v7, 0 :: v_dual_add_nc_u32 v6, v5, v0
	v_cvt_f16_f32_e64 v8, v205
	v_lshlrev_b64 v[6:7], 1, v[6:7]
	s_waitcnt lgkmcnt(0)
	s_delay_alu instid0(VALU_DEP_1) | instskip(NEXT) | instid1(VALU_DEP_1)
	v_add_co_u32 v6, s3, s8, v6
	v_add_co_ci_u32_e64 v7, s3, s9, v7, s3
	global_store_b16 v[6:7], v8, off
	s_or_b32 exec_lo, exec_lo, s4
	s_and_saveexec_b32 s4, s0
	s_cbranch_execz .LBB148_51
.LBB148_80:
	s_delay_alu instid0(VALU_DEP_1) | instskip(SKIP_1) | instid1(VALU_DEP_2)
	v_dual_mov_b32 v7, 0 :: v_dual_add_nc_u32 v6, v5, v2
	v_cvt_f16_f32_e32 v8, v34
	v_lshlrev_b64 v[6:7], 1, v[6:7]
	s_waitcnt lgkmcnt(0)
	s_delay_alu instid0(VALU_DEP_1) | instskip(NEXT) | instid1(VALU_DEP_1)
	v_add_co_u32 v6, s3, s8, v6
	v_add_co_ci_u32_e64 v7, s3, s9, v7, s3
	global_store_b16 v[6:7], v8, off
	s_or_b32 exec_lo, exec_lo, s4
	s_and_saveexec_b32 s4, s1
	s_cbranch_execz .LBB148_52
.LBB148_81:
	v_dual_mov_b32 v7, 0 :: v_dual_add_nc_u32 v6, v5, v3
	v_cvt_f16_f32_e64 v8, v194
	s_delay_alu instid0(VALU_DEP_2) | instskip(SKIP_1) | instid1(VALU_DEP_1)
	v_lshlrev_b64 v[6:7], 1, v[6:7]
	s_waitcnt lgkmcnt(0)
	v_add_co_u32 v6, s3, s8, v6
	s_delay_alu instid0(VALU_DEP_1)
	v_add_co_ci_u32_e64 v7, s3, s9, v7, s3
	global_store_b16 v[6:7], v8, off
	s_or_b32 exec_lo, exec_lo, s4
	s_and_saveexec_b32 s4, s2
	s_cbranch_execnz .LBB148_53
	s_branch .LBB148_54
.LBB148_82:
	s_delay_alu instid0(VALU_DEP_1) | instskip(SKIP_1) | instid1(VALU_DEP_2)
	v_dual_mov_b32 v7, 0 :: v_dual_add_nc_u32 v6, v5, v0
	v_cvt_f16_f32_e32 v8, v28
	v_lshlrev_b64 v[6:7], 1, v[6:7]
	s_waitcnt lgkmcnt(0)
	s_delay_alu instid0(VALU_DEP_1) | instskip(NEXT) | instid1(VALU_DEP_1)
	v_add_co_u32 v6, s3, s8, v6
	v_add_co_ci_u32_e64 v7, s3, s9, v7, s3
	global_store_b16 v[6:7], v8, off
	s_or_b32 exec_lo, exec_lo, s4
	s_and_saveexec_b32 s4, s0
	s_cbranch_execz .LBB148_57
.LBB148_83:
	s_delay_alu instid0(VALU_DEP_1) | instskip(SKIP_1) | instid1(VALU_DEP_2)
	v_dual_mov_b32 v7, 0 :: v_dual_add_nc_u32 v6, v5, v2
	v_cvt_f16_f32_e64 v8, v181
	v_lshlrev_b64 v[6:7], 1, v[6:7]
	s_waitcnt lgkmcnt(0)
	s_delay_alu instid0(VALU_DEP_1) | instskip(NEXT) | instid1(VALU_DEP_1)
	v_add_co_u32 v6, s3, s8, v6
	v_add_co_ci_u32_e64 v7, s3, s9, v7, s3
	global_store_b16 v[6:7], v8, off
	s_or_b32 exec_lo, exec_lo, s4
	s_and_saveexec_b32 s4, s1
	s_cbranch_execz .LBB148_58
.LBB148_84:
	v_dual_mov_b32 v7, 0 :: v_dual_add_nc_u32 v6, v5, v3
	v_cvt_f16_f32_e32 v8, v127
	s_delay_alu instid0(VALU_DEP_2) | instskip(SKIP_1) | instid1(VALU_DEP_1)
	v_lshlrev_b64 v[6:7], 1, v[6:7]
	s_waitcnt lgkmcnt(0)
	v_add_co_u32 v6, s3, s8, v6
	s_delay_alu instid0(VALU_DEP_1)
	v_add_co_ci_u32_e64 v7, s3, s9, v7, s3
	global_store_b16 v[6:7], v8, off
	s_or_b32 exec_lo, exec_lo, s4
	s_and_saveexec_b32 s4, s2
	s_cbranch_execnz .LBB148_59
	s_branch .LBB148_60
.LBB148_85:
	s_delay_alu instid0(VALU_DEP_1) | instskip(SKIP_1) | instid1(VALU_DEP_2)
	v_dual_mov_b32 v6, 0 :: v_dual_add_nc_u32 v5, v1, v0
	v_cvt_f16_f32_e32 v0, v79
	v_lshlrev_b64 v[5:6], 1, v[5:6]
	s_waitcnt lgkmcnt(0)
	s_delay_alu instid0(VALU_DEP_1) | instskip(NEXT) | instid1(VALU_DEP_2)
	v_add_co_u32 v5, vcc_lo, s8, v5
	v_add_co_ci_u32_e32 v6, vcc_lo, s9, v6, vcc_lo
	global_store_b16 v[5:6], v0, off
	s_or_b32 exec_lo, exec_lo, s3
	s_and_saveexec_b32 s3, s0
	s_cbranch_execz .LBB148_63
.LBB148_86:
	s_delay_alu instid0(VALU_DEP_1) | instskip(SKIP_1) | instid1(VALU_DEP_2)
	v_dual_mov_b32 v6, 0 :: v_dual_add_nc_u32 v5, v1, v2
	v_cvt_f16_f32_e32 v0, v27
	v_lshlrev_b64 v[5:6], 1, v[5:6]
	s_waitcnt lgkmcnt(0)
	s_delay_alu instid0(VALU_DEP_1) | instskip(NEXT) | instid1(VALU_DEP_2)
	v_add_co_u32 v5, vcc_lo, s8, v5
	v_add_co_ci_u32_e32 v6, vcc_lo, s9, v6, vcc_lo
	global_store_b16 v[5:6], v0, off
	s_or_b32 exec_lo, exec_lo, s3
	s_and_saveexec_b32 s0, s1
	s_cbranch_execz .LBB148_64
.LBB148_87:
	v_dual_mov_b32 v3, 0 :: v_dual_add_nc_u32 v2, v1, v3
	v_cvt_f16_f32_e32 v0, v23
	s_delay_alu instid0(VALU_DEP_2) | instskip(SKIP_1) | instid1(VALU_DEP_1)
	v_lshlrev_b64 v[2:3], 1, v[2:3]
	s_waitcnt lgkmcnt(0)
	v_add_co_u32 v2, vcc_lo, s8, v2
	s_delay_alu instid0(VALU_DEP_2) | instskip(SKIP_2) | instid1(SALU_CYCLE_1)
	v_add_co_ci_u32_e32 v3, vcc_lo, s9, v3, vcc_lo
	global_store_b16 v[2:3], v0, off
	s_or_b32 exec_lo, exec_lo, s0
	s_and_b32 exec_lo, exec_lo, s2
	s_cbranch_execnz .LBB148_65
	s_branch .LBB148_66
	.section	.rodata,"a",@progbits
	.p2align	6, 0x0
	.amdhsa_kernel _ZL12mul_mat_q2_KIN3c104HalfELb1EEvPKvS3_PT_iiiii
		.amdhsa_group_segment_fixed_size 31392
		.amdhsa_private_segment_fixed_size 488
		.amdhsa_kernarg_size 44
		.amdhsa_user_sgpr_count 14
		.amdhsa_user_sgpr_dispatch_ptr 0
		.amdhsa_user_sgpr_queue_ptr 0
		.amdhsa_user_sgpr_kernarg_segment_ptr 1
		.amdhsa_user_sgpr_dispatch_id 0
		.amdhsa_user_sgpr_private_segment_size 0
		.amdhsa_wavefront_size32 1
		.amdhsa_uses_dynamic_stack 0
		.amdhsa_enable_private_segment 1
		.amdhsa_system_sgpr_workgroup_id_x 1
		.amdhsa_system_sgpr_workgroup_id_y 1
		.amdhsa_system_sgpr_workgroup_id_z 0
		.amdhsa_system_sgpr_workgroup_info 0
		.amdhsa_system_vgpr_workitem_id 1
		.amdhsa_next_free_vgpr 256
		.amdhsa_next_free_sgpr 22
		.amdhsa_reserve_vcc 1
		.amdhsa_float_round_mode_32 0
		.amdhsa_float_round_mode_16_64 0
		.amdhsa_float_denorm_mode_32 3
		.amdhsa_float_denorm_mode_16_64 3
		.amdhsa_dx10_clamp 1
		.amdhsa_ieee_mode 1
		.amdhsa_fp16_overflow 0
		.amdhsa_workgroup_processor_mode 1
		.amdhsa_memory_ordered 1
		.amdhsa_forward_progress 0
		.amdhsa_shared_vgpr_count 0
		.amdhsa_exception_fp_ieee_invalid_op 0
		.amdhsa_exception_fp_denorm_src 0
		.amdhsa_exception_fp_ieee_div_zero 0
		.amdhsa_exception_fp_ieee_overflow 0
		.amdhsa_exception_fp_ieee_underflow 0
		.amdhsa_exception_fp_ieee_inexact 0
		.amdhsa_exception_int_div_zero 0
	.end_amdhsa_kernel
	.section	.text._ZL12mul_mat_q2_KIN3c104HalfELb1EEvPKvS3_PT_iiiii,"axG",@progbits,_ZL12mul_mat_q2_KIN3c104HalfELb1EEvPKvS3_PT_iiiii,comdat
.Lfunc_end148:
	.size	_ZL12mul_mat_q2_KIN3c104HalfELb1EEvPKvS3_PT_iiiii, .Lfunc_end148-_ZL12mul_mat_q2_KIN3c104HalfELb1EEvPKvS3_PT_iiiii
                                        ; -- End function
	.section	.AMDGPU.csdata,"",@progbits
; Kernel info:
; codeLenInByte = 44384
; NumSgprs: 24
; NumVgprs: 256
; ScratchSize: 488
; MemoryBound: 0
; FloatMode: 240
; IeeeMode: 1
; LDSByteSize: 31392 bytes/workgroup (compile time only)
; SGPRBlocks: 2
; VGPRBlocks: 31
; NumSGPRsForWavesPerEU: 24
; NumVGPRsForWavesPerEU: 256
; Occupancy: 5
; WaveLimiterHint : 0
; COMPUTE_PGM_RSRC2:SCRATCH_EN: 1
; COMPUTE_PGM_RSRC2:USER_SGPR: 14
; COMPUTE_PGM_RSRC2:TRAP_HANDLER: 0
; COMPUTE_PGM_RSRC2:TGID_X_EN: 1
; COMPUTE_PGM_RSRC2:TGID_Y_EN: 1
; COMPUTE_PGM_RSRC2:TGID_Z_EN: 0
; COMPUTE_PGM_RSRC2:TIDIG_COMP_CNT: 1
	.section	.text._ZL12mul_mat_q3_KIN3c104HalfELb0EEvPKvS3_PT_iiiii,"axG",@progbits,_ZL12mul_mat_q3_KIN3c104HalfELb0EEvPKvS3_PT_iiiii,comdat
	.globl	_ZL12mul_mat_q3_KIN3c104HalfELb0EEvPKvS3_PT_iiiii ; -- Begin function _ZL12mul_mat_q3_KIN3c104HalfELb0EEvPKvS3_PT_iiiii
	.p2align	8
	.type	_ZL12mul_mat_q3_KIN3c104HalfELb0EEvPKvS3_PT_iiiii,@function
_ZL12mul_mat_q3_KIN3c104HalfELb0EEvPKvS3_PT_iiiii: ; @_ZL12mul_mat_q3_KIN3c104HalfELb0EEvPKvS3_PT_iiiii
; %bb.0:
	s_clause 0x1
	s_load_b32 s11, s[0:1], 0x18
	s_load_b128 s[4:7], s[0:1], 0x20
	v_bfe_u32 v1, v0, 10, 10
	s_waitcnt lgkmcnt(0)
	s_lshl_b32 s7, s15, 6
	scratch_store_b32 off, v1, off offset:516 ; 4-byte Folded Spill
	v_and_b32_e32 v1, 0x3ff, v0
	scratch_store_b32 off, v1, off offset:152 ; 4-byte Folded Spill
	s_cmpk_gt_i32 s11, 0xff
	s_cbranch_scc1 .LBB149_2
; %bb.1:
	v_bfe_u32 v1, v0, 10, 10
	v_and_b32_e32 v0, 0x3ff, v0
	s_mov_b32 s2, 0
	s_mov_b32 s3, 0
	s_delay_alu instid0(VALU_DEP_2)
	v_add_nc_u32_e32 v2, s7, v1
	s_branch .LBB149_3
.LBB149_2:
	s_mov_b32 s2, -1
                                        ; implicit-def: $sgpr3
                                        ; implicit-def: $vgpr1
                                        ; implicit-def: $vgpr0
                                        ; implicit-def: $vgpr2
.LBB149_3:
	s_load_b64 s[8:9], s[0:1], 0x10
	v_dual_mov_b32 v28, s3 :: v_dual_mov_b32 v127, s3
	v_dual_mov_b32 v50, s3 :: v_dual_mov_b32 v81, s3
	;; [unrolled: 1-line block ×15, first 2 shown]
	v_mov_b32_e32 v229, s3
	v_mov_b32_e32 v235, s3
	s_and_not1_b32 vcc_lo, exec_lo, s2
	s_lshl_b32 s10, s14, 7
	s_cbranch_vccnz .LBB149_15
; %bb.4:
	s_clause 0x1
	scratch_load_b32 v46, off, off offset:152
	scratch_load_b32 v45, off, off offset:516
	s_load_b128 s[0:3], s[0:1], 0x0
	s_ashr_i32 s12, s11, 31
	s_ashr_i32 s16, s5, 31
	s_lshr_b32 s12, s12, 24
	v_mov_b32_e32 v56, 0
	s_add_i32 s11, s11, s12
	s_lshr_b32 s12, s16, 27
	s_ashr_i32 s11, s11, 8
	s_add_i32 s5, s5, s12
	s_mul_i32 s12, s11, s10
	s_ashr_i32 s16, s5, 5
	s_mul_i32 s5, s12, 0x6e
	s_mul_hi_i32 s12, s12, 0x6e
	s_movk_i32 s13, 0x1080
	s_movk_i32 s14, 0x2100
	;; [unrolled: 1-line block ×3, first 2 shown]
	v_dual_mov_b32 v88, 0 :: v_dual_mov_b32 v235, 0
	v_mov_b32_e32 v122, 0
	v_mov_b32_e32 v120, 0
	s_waitcnt lgkmcnt(0)
	s_add_u32 s5, s0, s5
	s_addc_u32 s12, s1, s12
	s_lshl_b32 s0, s11, 3
	s_lshl_b32 s1, s11, 4
	s_add_i32 s17, s4, -1
	v_mov_b32_e32 v229, 0
	v_mov_b32_e32 v193, 0
	;; [unrolled: 1-line block ×3, first 2 shown]
	v_dual_mov_b32 v75, 0 :: v_dual_mov_b32 v52, 0
	v_mov_b32_e32 v79, 0
	v_mov_b32_e32 v87, 0
	;; [unrolled: 1-line block ×3, first 2 shown]
	v_dual_mov_b32 v137, 0 :: v_dual_mov_b32 v82, 0
	v_dual_mov_b32 v83, 0 :: v_dual_mov_b32 v78, 0
	;; [unrolled: 1-line block ×3, first 2 shown]
	v_mov_b32_e32 v74, 0
	v_mov_b32_e32 v86, 0
	;; [unrolled: 1-line block ×4, first 2 shown]
	v_dual_mov_b32 v50, 0 :: v_dual_mov_b32 v89, 0
	v_mov_b32_e32 v119, 0
	v_mov_b32_e32 v127, 0
	;; [unrolled: 1-line block ×4, first 2 shown]
	s_waitcnt vmcnt(1)
	v_lshlrev_b32_e32 v19, 2, v46
	s_waitcnt vmcnt(0)
	v_mad_i32_i24 v2, s11, v45, s0
	v_and_b32_e32 v0, 15, v46
	v_and_b32_e32 v3, 1, v46
	v_lshrrev_b32_e32 v47, 4, v46
	v_lshlrev_b32_e32 v1, 1, v45
	v_add_nc_u32_e32 v4, s0, v2
	scratch_store_b32 off, v2, off offset:248 ; 4-byte Folded Spill
	v_cmp_lt_u32_e32 vcc_lo, 7, v0
	v_lshlrev_b32_e32 v41, 2, v0
	v_mad_u32_u24 v5, 0x84, v45, v19
	scratch_store_b32 off, v4, off offset:252 ; 4-byte Folded Spill
	v_add_nc_u32_e32 v4, s0, v4
	v_cndmask_b32_e64 v0, 0, 1, vcc_lo
	scratch_store_b32 off, v3, off offset:244 ; 4-byte Folded Spill
	v_add_nc_u32_e32 v18, v47, v1
	s_clause 0x1
	scratch_store_b32 off, v0, off offset:268
	scratch_store_b32 off, v4, off offset:264
	v_add_nc_u32_e32 v7, s0, v4
	v_add_nc_u16 v0, v47, v1
	v_lshlrev_b32_e32 v20, 4, v45
	v_lshrrev_b32_e32 v21, 1, v46
	v_lshlrev_b32_e32 v3, 2, v3
	scratch_store_b32 off, v7, off offset:272 ; 4-byte Folded Spill
	v_add_nc_u32_e32 v1, s0, v7
	v_mul_i32_i24_e32 v7, s11, v45
	v_add_nc_u32_e32 v2, v21, v20
	v_lshrrev_b16 v0, 1, v0
	v_add_nc_u32_e32 v24, 32, v18
	v_mad_i32_i24 v17, s11, v18, s1
	scratch_store_b32 off, v7, off offset:284 ; 4-byte Folded Spill
	v_add_nc_u32_e32 v7, 0x420, v5
	v_and_b32_e32 v0, 0xffff, v0
	v_add_nc_u32_e32 v15, s7, v45
	v_add_nc_u32_e32 v34, s1, v17
	v_add_nc_u32_e32 v28, 48, v18
	scratch_store_b32 off, v7, off offset:288 ; 4-byte Folded Spill
	v_add_nc_u32_e32 v7, 0x840, v5
	v_add_nc_u32_e32 v4, 8, v15
	;; [unrolled: 1-line block ×5, first 2 shown]
	scratch_store_b32 off, v7, off offset:292 ; 4-byte Folded Spill
	v_add_nc_u32_e32 v7, 0xc60, v5
	s_clause 0x1
	scratch_store_b32 off, v7, off offset:296
	scratch_store_b32 off, v1, off offset:280
	v_add_nc_u32_e32 v7, 0x1080, v5
	v_add_nc_u32_e32 v1, s0, v1
	;; [unrolled: 1-line block ×5, first 2 shown]
	scratch_store_b32 off, v7, off offset:304 ; 4-byte Folded Spill
	v_add_nc_u32_e32 v7, 0x14a0, v5
	v_cvt_f64_u32_e32 v[10:11], v10
	v_cvt_f64_u32_e32 v[12:13], v12
	v_lshlrev_b32_e32 v29, 1, v28
	v_add_nc_u32_e32 v30, 64, v18
	scratch_store_b32 off, v7, off offset:308 ; 4-byte Folded Spill
	v_add_nc_u32_e32 v7, 0x18c0, v5
	v_add_nc_u32_e32 v31, 0x50, v18
	v_and_b32_e32 v29, 0xffc, v29
	v_add_nc_u32_e32 v38, s1, v37
	v_lshlrev_b32_e32 v33, 1, v30
	scratch_store_b32 off, v7, off offset:312 ; 4-byte Folded Spill
	v_add_nc_u32_e32 v7, 0x1ce0, v5
	s_clause 0x1
	scratch_store_b32 off, v7, off offset:316
	scratch_store_b32 off, v1, off offset:300
	v_add_nc_u32_e32 v7, 0x2100, v5
	v_add_nc_u32_e32 v1, s0, v1
	;; [unrolled: 1-line block ×3, first 2 shown]
	v_lshlrev_b32_e32 v36, 6, v28
	v_lshlrev_b32_e32 v23, 6, v18
	scratch_store_b32 off, v7, off offset:324 ; 4-byte Folded Spill
	v_add_nc_u32_e32 v7, 0x2520, v5
	v_and_b32_e32 v22, 7, v46
	v_and_b32_e32 v33, 0xffc, v33
	v_lshlrev_b32_e32 v39, 6, v31
	v_lshlrev_b32_e32 v66, 5, v46
	scratch_store_b32 off, v7, off offset:328 ; 4-byte Folded Spill
	v_add_nc_u32_e32 v7, 0x2940, v5
	v_add3_u32 v33, v33, v41, 0x4200
	v_lshlrev_b32_e32 v48, 2, v22
	v_lshl_add_u32 v59, v46, 4, v21
	v_mul_u32_u24_e32 v60, 0x84, v46
	scratch_store_b32 off, v7, off offset:332 ; 4-byte Folded Spill
	v_add_nc_u32_e32 v7, 0x2d60, v5
	s_clause 0x1
	scratch_store_b32 off, v7, off offset:336
	scratch_store_b32 off, v1, off offset:320
	v_add_nc_u32_e32 v7, 0x3180, v5
	v_add_nc_u32_e32 v1, s0, v1
	v_mad_u32_u24 v63, 0x84, v46, s13
	v_mad_u32_u24 v76, 0x84, v46, s14
	v_mad_u32_u24 v90, 0x84, v46, s15
	scratch_store_b32 off, v7, off offset:344 ; 4-byte Folded Spill
	v_add_nc_u32_e32 v7, 0x35a0, v5
	v_and_b32_e32 v95, 0xfc, v46
	s_mov_b32 s13, 0
	scratch_store_b32 off, v7, off offset:348 ; 4-byte Folded Spill
	v_add_nc_u32_e32 v7, 0x39c0, v5
	s_clause 0x1
	scratch_store_b32 off, v7, off offset:352
	scratch_store_b32 off, v5, off offset:260
	v_add_nc_u32_e32 v5, 0x3de0, v5
	s_clause 0x1
	scratch_store_b32 off, v5, off offset:356
	scratch_store_b32 off, v1, off offset:340
	v_add_nc_u32_e32 v5, s0, v1
	v_and_b32_e32 v1, 0x7f, v2
	v_mul_i32_i24_e32 v7, s11, v18
	v_lshrrev_b32_e32 v2, 2, v2
	v_add_nc_u32_e32 v99, 0x8308, v95
	scratch_store_b32 off, v5, off offset:360 ; 4-byte Folded Spill
	v_mul_i32_i24_e32 v8, s11, v1
	scratch_store_b32 off, v7, off offset:364 ; 4-byte Folded Spill
	v_add_nc_u32_e32 v7, s0, v5
	s_clause 0x1
	scratch_store_b32 off, v8, off offset:372
	scratch_store_b32 off, v7, off offset:368
	v_add_nc_u32_e32 v7, s0, v7
	v_lshl_or_b32 v1, v1, 3, v3
	v_and_b32_e32 v2, 28, v2
	v_add_nc_u32_e32 v5, 16, v18
	v_add_nc_u32_e32 v8, 24, v15
	s_clause 0x1
	scratch_store_b32 off, v17, off offset:396
	scratch_store_b32 off, v34, off offset:404
	v_add3_u32 v1, v1, v2, 0x9380
	scratch_store_b32 off, v7, off offset:376 ; 4-byte Folded Spill
	v_add_nc_u32_e32 v7, s0, v7
	v_lshlrev_b32_e32 v3, 1, v5
	v_lshlrev_b32_e32 v25, 6, v5
	;; [unrolled: 1-line block ×4, first 2 shown]
	v_add_nc_u32_e32 v0, s0, v7
	v_and_b32_e32 v3, 0xffc, v3
	scratch_store_b32 off, v7, off offset:380 ; 4-byte Folded Spill
	v_and_b32_e32 v26, 0xffc, v5
	v_add3_u32 v27, v2, v41, 0x4200
	v_add_nc_u32_e32 v5, s0, v0
	s_clause 0x1
	scratch_store_b32 off, v1, off offset:384
	scratch_store_b32 off, v0, off offset:388
	v_cvt_f64_i32_e32 v[0:1], s17
	v_add3_u32 v32, v3, v41, 0x4200
	v_add_nc_u32_e32 v2, s0, v5
	scratch_store_b32 off, v5, off offset:392 ; 4-byte Folded Spill
	v_cvt_f64_u32_e32 v[4:5], v4
	v_cvt_f64_u32_e32 v[6:7], v6
	;; [unrolled: 1-line block ×3, first 2 shown]
	s_clause 0x1
	scratch_store_b32 off, v2, off offset:400
	scratch_store_b32 off, v37, off offset:408
	v_cvt_f64_u32_e32 v[2:3], v15
	scratch_store_b32 off, v15, off offset:520 ; 4-byte Folded Spill
	v_cvt_f64_u32_e32 v[14:15], v14
	v_cvt_f64_u32_e32 v[16:17], v16
	v_add3_u32 v34, v29, v41, 0x4200
	v_lshlrev_b32_e32 v29, 1, v31
	v_lshlrev_b32_e32 v37, 6, v30
	v_add_nc_u32_e32 v30, s1, v38
	scratch_store_b32 off, v38, off offset:412 ; 4-byte Folded Spill
	v_add3_u32 v26, v26, v41, 0x4200
	v_and_b32_e32 v28, 0xffc, v29
	v_lshlrev_b32_e32 v29, 1, v35
	scratch_store_b32 off, v30, off offset:416 ; 4-byte Folded Spill
	v_add_nc_u32_e32 v30, s1, v30
	scratch_store_b32 off, v41, off offset:256 ; 4-byte Folded Spill
	v_add3_u32 v38, v28, v41, 0x4200
	v_and_b32_e32 v28, 0xffc, v29
	v_add_nc_u32_e32 v29, 0x70, v18
	v_and_b32_e32 v18, 3, v46
	scratch_store_b32 off, v30, off offset:420 ; 4-byte Folded Spill
	v_add_nc_u32_e32 v30, s1, v30
	v_add3_u32 v40, v28, v41, 0x4200
	v_lshlrev_b32_e32 v28, 1, v29
	v_cmp_gt_u32_e32 vcc_lo, 2, v18
	s_lshl_b32 s0, s11, 5
	scratch_store_b32 off, v30, off offset:424 ; 4-byte Folded Spill
	v_add_nc_u16 v30, v18, -2
	v_and_b32_e32 v28, 0xffc, v28
	v_lshlrev_b32_e32 v42, 6, v29
	v_min_f64 v[10:11], v[10:11], v[0:1]
	v_min_f64 v[12:13], v[12:13], v[0:1]
	v_lshlrev_b32_e32 v24, 6, v24
	v_add3_u32 v41, v28, v41, 0x4200
	v_min_f64 v[4:5], v[4:5], v[0:1]
	v_min_f64 v[6:7], v[6:7], v[0:1]
	;; [unrolled: 1-line block ×3, first 2 shown]
	v_lshlrev_b32_e32 v35, 6, v35
	v_min_f64 v[2:3], v[2:3], v[0:1]
	v_min_f64 v[14:15], v[14:15], v[0:1]
	;; [unrolled: 1-line block ×3, first 2 shown]
	v_cndmask_b32_e32 v17, v30, v18, vcc_lo
	v_cmp_lt_u32_e32 vcc_lo, 1, v18
	v_lshrrev_b32_e32 v16, 3, v46
	s_delay_alu instid0(VALU_DEP_3) | instskip(SKIP_2) | instid1(VALU_DEP_4)
	v_dual_mov_b32 v30, 0 :: v_dual_and_b32 v17, 0xff, v17
	v_cndmask_b32_e64 v28, 0, 1, vcc_lo
	v_cmp_lt_u32_e32 vcc_lo, 3, v22
	v_lshl_add_u32 v16, v45, 2, v16
	s_delay_alu instid0(VALU_DEP_4) | instskip(SKIP_1) | instid1(VALU_DEP_3)
	v_lshlrev_b32_e32 v17, 2, v17
	v_cndmask_b32_e64 v22, 0, 1, vcc_lo
	v_lshlrev_b32_e32 v44, 5, v16
	scratch_store_b32 off, v22, off offset:428 ; 4-byte Folded Spill
	v_lshlrev_b32_e32 v22, 2, v28
	v_and_b32_e32 v28, 0x7fc, v16
	s_delay_alu instid0(VALU_DEP_1)
	v_add3_u32 v43, v28, v48, 0x8300
	v_mad_i32_i24 v28, s11, v16, s0
	scratch_store_b32 off, v17, off offset:436 ; 4-byte Folded Spill
	v_lshlrev_b32_e32 v17, 1, v18
	scratch_store_b32 off, v22, off offset:432 ; 4-byte Folded Spill
	v_cvt_i32_f64_e32 v4, v[4:5]
	v_cvt_i32_f64_e32 v6, v[6:7]
	;; [unrolled: 1-line block ×3, first 2 shown]
	scratch_store_b32 off, v17, off offset:440 ; 4-byte Folded Spill
	v_cvt_i32_f64_e32 v9, v[10:11]
	v_cvt_i32_f64_e32 v2, v[2:3]
	v_lshrrev_b32_e32 v10, 2, v46
	v_add_nc_u32_e32 v22, 32, v16
	v_cvt_i32_f64_e32 v0, v[0:1]
	v_mul_i32_i24_e32 v17, s11, v16
	v_add_nc_u32_e32 v5, 64, v16
	v_lshl_add_u32 v10, v45, 3, v10
	v_cvt_i32_f64_e32 v11, v[12:13]
	v_cvt_i32_f64_e32 v13, v[14:15]
	v_and_b32_e32 v15, 28, v19
	v_lshlrev_b32_e32 v19, 2, v18
	v_and_b32_e32 v10, 63, v10
	scratch_store_b32 off, v17, off offset:444 ; 4-byte Folded Spill
	v_and_b32_e32 v17, 0xffc, v22
	v_lshlrev_b32_e32 v3, 5, v22
	v_add_nc_u32_e32 v22, s0, v28
	v_and_b32_e32 v12, 0xffc, v5
	v_add_nc_u32_e32 v8, 0x60, v16
	v_or_b32_e32 v16, s7, v10
	v_lshl_or_b32 v10, v10, 4, v19
	v_add3_u32 v17, v17, v48, 0x8300
	v_add3_u32 v1, v12, v48, 0x8300
	v_add_nc_u32_e32 v12, s0, v22
	scratch_store_b32 off, v28, off offset:448 ; 4-byte Folded Spill
	v_add_co_u32 v28, s0, s2, v15
	v_and_b32_e32 v14, 0xffc, v8
	scratch_store_b32 off, v12, off offset:456 ; 4-byte Folded Spill
	v_add_co_ci_u32_e64 v29, null, s3, 0, s0
	v_add_nc_u32_e32 v10, 0x97a0, v10
	v_add3_u32 v12, v14, v48, 0x8300
	v_and_b32_e32 v14, 31, v46
	scratch_store_b64 off, v[28:29], off offset:156 ; 8-byte Folded Spill
	v_min_i32_e32 v15, s17, v16
	v_lshlrev_b32_e32 v5, 5, v5
	v_lshlrev_b32_e32 v8, 5, v8
	v_mul_lo_u32 v2, s16, v2
	scratch_store_b32 off, v10, off offset:164 ; 4-byte Folded Spill
	v_mad_u64_u32 v[28:29], null, v15, s16, v[18:19]
	v_mul_lo_u32 v0, s16, v0
	v_lshlrev_b32_e32 v10, 3, v46
	s_clause 0x1
	scratch_store_b32 off, v2, off offset:168
	scratch_store_b32 off, v22, off offset:452
	v_lshlrev_b32_e32 v22, 7, v45
	scratch_store_b32 off, v0, off offset:224 ; 4-byte Folded Spill
	v_add_nc_u32_e32 v0, 64, v46
	v_lshl_or_b32 v14, v14, 2, v22
	s_delay_alu instid0(VALU_DEP_2) | instskip(NEXT) | instid1(VALU_DEP_2)
	v_and_b32_e32 v93, 0x1fc, v0
	v_add_nc_u32_e32 v2, 0x6300, v14
	s_delay_alu instid0(VALU_DEP_2)
	v_add_nc_u32_e32 v97, 0x8b08, v93
	scratch_store_b32 off, v2, off offset:172 ; 4-byte Folded Spill
	v_mul_lo_u32 v2, s16, v4
	v_add_nc_u32_e32 v4, 0x7f00, v14
	scratch_store_b32 off, v2, off offset:176 ; 4-byte Folded Spill
	v_add_nc_u32_e32 v2, 0x6700, v14
	s_clause 0x1
	scratch_store_b32 off, v48, off offset:276
	scratch_store_b32 off, v2, off offset:180
	v_mul_lo_u32 v2, s16, v6
	scratch_store_b64 off, v[28:29], off offset:460 ; 8-byte Folded Spill
	v_dual_mov_b32 v29, 0 :: v_dual_add_nc_u32 v6, 0x60, v46
	v_mov_b32_e32 v28, 0
	s_delay_alu instid0(VALU_DEP_2)
	v_and_b32_e32 v92, 0x1fc, v6
	scratch_store_b32 off, v2, off offset:184 ; 4-byte Folded Spill
	v_add_nc_u32_e32 v2, 0x6b00, v14
	v_add_nc_u32_e32 v96, 0x8f08, v92
	scratch_store_b32 off, v2, off offset:188 ; 4-byte Folded Spill
	v_mul_lo_u32 v2, s16, v7
	v_lshrrev_b32_e32 v7, 1, v0
	s_delay_alu instid0(VALU_DEP_1)
	v_lshl_add_u32 v68, v0, 4, v7
	v_lshlrev_b32_e32 v7, 3, v6
	scratch_store_b32 off, v2, off offset:192 ; 4-byte Folded Spill
	v_add_nc_u32_e32 v2, 0x6f00, v14
	scratch_store_b32 off, v2, off offset:196 ; 4-byte Folded Spill
	v_mul_lo_u32 v2, s16, v9
	v_lshlrev_b32_e32 v9, 2, v47
	s_delay_alu instid0(VALU_DEP_1)
	v_add3_u32 v61, v9, v10, 0x9380
	scratch_store_b32 off, v2, off offset:200 ; 4-byte Folded Spill
	v_add_nc_u32_e32 v2, 0x7300, v14
	scratch_store_b32 off, v2, off offset:204 ; 4-byte Folded Spill
	v_mul_lo_u32 v2, s16, v11
	scratch_store_b32 off, v2, off offset:208 ; 4-byte Folded Spill
	v_add_nc_u32_e32 v2, 0x7700, v14
	scratch_store_b32 off, v2, off offset:212 ; 4-byte Folded Spill
	v_mul_lo_u32 v2, s16, v13
	v_lshrrev_b32_e32 v13, 1, v6
	s_delay_alu instid0(VALU_DEP_1) | instskip(SKIP_4) | instid1(VALU_DEP_1)
	v_lshl_add_u32 v84, v6, 4, v13
	scratch_store_b32 off, v2, off offset:216 ; 4-byte Folded Spill
	v_add_nc_u32_e32 v2, 0x7b00, v14
	scratch_store_b32 off, v2, off offset:220 ; 4-byte Folded Spill
	v_add_nc_u32_e32 v2, 32, v46
	v_lshrrev_b32_e32 v11, 2, v2
	v_lshlrev_b32_e32 v10, 3, v2
	v_and_b32_e32 v94, 0x1fc, v2
	s_delay_alu instid0(VALU_DEP_3) | instskip(SKIP_1) | instid1(VALU_DEP_3)
	v_and_b32_e32 v9, 0x7c, v11
	v_lshrrev_b32_e32 v11, 2, v0
	v_add_nc_u32_e32 v98, 0x8708, v94
	s_delay_alu instid0(VALU_DEP_3)
	v_add3_u32 v65, v10, v9, 0x9380
	v_lshlrev_b32_e32 v10, 3, v0
	v_add_nc_u32_e32 v0, 0x6300, v22
	scratch_store_b32 off, v4, off offset:228 ; 4-byte Folded Spill
	v_lshrrev_b32_e32 v4, 1, v2
	v_and_b32_e32 v9, 0x7c, v11
	scratch_store_b32 off, v0, off offset:236 ; 4-byte Folded Spill
	v_add_nc_u32_e32 v0, v27, v23
	v_lshl_add_u32 v62, v2, 4, v4
	v_lshrrev_b32_e32 v4, 2, v6
	v_add3_u32 v77, v10, v9, 0x9380
	scratch_store_b32 off, v0, off offset:468 ; 4-byte Folded Spill
	v_add_nc_u32_e32 v0, v32, v25
	v_and_b32_e32 v4, 0x7c, v4
	s_clause 0x1
	scratch_store_b32 off, v47, off offset:240
	scratch_store_b32 off, v0, off offset:472
	v_add3_u32 v91, v7, v4, 0x9380
	v_add_nc_u32_e32 v4, 0x97a0, v20
	v_add_nc_u32_e32 v0, v26, v24
	s_clause 0x1
	scratch_store_b32 off, v4, off offset:232
	scratch_store_b32 off, v0, off offset:476
	v_add_nc_u32_e32 v0, v34, v36
	scratch_store_b32 off, v0, off offset:480 ; 4-byte Folded Spill
	v_add_nc_u32_e32 v0, v33, v37
	scratch_store_b32 off, v0, off offset:484 ; 4-byte Folded Spill
	;; [unrolled: 2-line block ×8, first 2 shown]
	v_add_nc_u32_e32 v0, v12, v8
	s_clause 0x15
	scratch_store_b32 off, v0, off offset:512
	scratch_store_b32 off, v66, off offset:8
	;; [unrolled: 1-line block ×20, first 2 shown]
	scratch_store_b32 off, v65, off
	scratch_store_b32 off, v91, off offset:4
	s_branch .LBB149_6
.LBB149_5:                              ;   in Loop: Header=BB149_6 Depth=1
	s_add_i32 s13, s13, 2
	s_delay_alu instid0(SALU_CYCLE_1)
	s_cmp_ge_i32 s13, s11
	s_cbranch_scc1 .LBB149_14
.LBB149_6:                              ; =>This Loop Header: Depth=1
                                        ;     Child Loop BB149_8 Depth 2
                                        ;       Child Loop BB149_10 Depth 3
                                        ;       Child Loop BB149_12 Depth 3
	s_clause 0x5
	scratch_load_b32 v2, off, off offset:240
	scratch_load_b32 v6, off, off offset:248
	;; [unrolled: 1-line block ×6, first 2 shown]
	s_mul_i32 s0, s13, 0x6e
	s_mul_hi_u32 s1, s13, 0x6e
	s_add_u32 s0, s5, s0
	s_addc_u32 s1, s12, s1
	s_clause 0x1
	scratch_load_b32 v4, off, off offset:284
	scratch_load_b32 v18, off, off offset:320
	s_mov_b32 s14, 0
	scratch_load_b32 v12, off, off offset:272 ; 4-byte Folded Reload
	s_waitcnt vmcnt(8)
	v_mad_u64_u32 v[0:1], null, 0x6e, v2, s[0:1]
	scratch_load_b32 v2, off, off offset:256 ; 4-byte Folded Reload
	s_waitcnt vmcnt(0)
	v_add_co_u32 v0, vcc_lo, v0, v2
	v_add_co_ci_u32_e32 v1, vcc_lo, 0, v1, vcc_lo
	s_delay_alu instid0(VALU_DEP_2) | instskip(NEXT) | instid1(VALU_DEP_2)
	v_add_co_u32 v0, vcc_lo, v0, 32
	v_add_co_ci_u32_e32 v1, vcc_lo, 0, v1, vcc_lo
	s_delay_alu instid0(VALU_DEP_1)
	v_mad_u64_u32 v[2:3], null, 0x6e, v4, v[0:1]
	v_mad_u64_u32 v[4:5], null, 0x6e, v6, v[0:1]
	;; [unrolled: 1-line block ×8, first 2 shown]
	s_clause 0x7
	global_load_b32 v41, v[2:3], off
	global_load_b32 v42, v[4:5], off
	;; [unrolled: 1-line block ×8, first 2 shown]
	s_clause 0x11
	scratch_load_b32 v4, off, off offset:340
	scratch_load_b32 v6, off, off offset:360
	;; [unrolled: 1-line block ×18, first 2 shown]
	s_waitcnt vmcnt(17)
	v_mad_u64_u32 v[2:3], null, 0x6e, v4, v[0:1]
	s_waitcnt vmcnt(16)
	v_mad_u64_u32 v[4:5], null, 0x6e, v6, v[0:1]
	s_waitcnt vmcnt(15)
	v_mad_u64_u32 v[6:7], null, 0x6e, v8, v[0:1]
	s_waitcnt vmcnt(14)
	v_mad_u64_u32 v[8:9], null, 0x6e, v10, v[0:1]
	s_waitcnt vmcnt(13)
	v_mad_u64_u32 v[10:11], null, 0x6e, v12, v[0:1]
	s_waitcnt vmcnt(9)
	v_mad_u64_u32 v[12:13], null, 0x6e, v14, s[0:1]
	v_mad_u64_u32 v[14:15], null, 0x6e, v16, v[0:1]
	v_mad_u64_u32 v[16:17], null, 0x6e, v18, v[0:1]
	;; [unrolled: 1-line block ×3, first 2 shown]
	scratch_load_b32 v20, off, off offset:276 ; 4-byte Folded Reload
	s_waitcnt vmcnt(0)
	v_add_co_u32 v12, vcc_lo, v12, v20
	v_mad_u64_u32 v[20:21], null, 0x6e, v22, v[0:1]
	scratch_load_b32 v22, off, off offset:244 ; 4-byte Folded Reload
	v_add_co_ci_u32_e32 v13, vcc_lo, 0, v13, vcc_lo
	s_waitcnt vmcnt(0)
	v_mad_u64_u32 v[0:1], null, 0x6e, v22, v[18:19]
	scratch_load_b32 v22, off, off offset:364 ; 4-byte Folded Reload
	s_waitcnt vmcnt(0)
	v_mad_u64_u32 v[18:19], null, 0x6e, v22, v[12:13]
	v_mad_u64_u32 v[22:23], null, 0x6e, v24, v[12:13]
	;; [unrolled: 1-line block ×9, first 2 shown]
	scratch_load_b32 v55, off, off offset:444 ; 4-byte Folded Reload
	v_add_co_u32 v26, vcc_lo, 0x60, v26
	v_add_co_ci_u32_e32 v27, vcc_lo, 0, v27, vcc_lo
	s_lshl_b32 s0, s13, 3
	s_mov_b32 s1, 0
	s_waitcnt vmcnt(0)
	s_delay_alu instid0(VALU_DEP_1)
	v_mad_u64_u32 v[12:13], null, 0x6e, v55, v[26:27]
	s_clause 0x8
	global_load_u16 v55, v[0:1], off offset:108
	global_load_b32 v67, v[18:19], off
	global_load_b32 v69, v[22:23], off
	;; [unrolled: 1-line block ×8, first 2 shown]
	s_clause 0x3
	scratch_load_b32 v36, off, off offset:436
	scratch_load_b32 v22, off, off offset:448
	;; [unrolled: 1-line block ×4, first 2 shown]
	s_waitcnt vmcnt(3)
	v_add_co_u32 v0, vcc_lo, v12, v36
	s_waitcnt vmcnt(2)
	v_mad_u64_u32 v[18:19], null, 0x6e, v22, v[26:27]
	s_waitcnt vmcnt(1)
	v_mad_u64_u32 v[22:23], null, 0x6e, v24, v[26:27]
	;; [unrolled: 2-line block ×3, first 2 shown]
	v_add_co_ci_u32_e32 v1, vcc_lo, 0, v13, vcc_lo
	s_clause 0xc
	global_load_b32 v26, v[2:3], off
	global_load_b32 v27, v[4:5], off
	;; [unrolled: 1-line block ×8, first 2 shown]
	global_load_b32 v14, v[24:25], off offset:8
	global_load_b32 v15, v[22:23], off offset:8
	;; [unrolled: 1-line block ×3, first 2 shown]
	global_load_b32 v17, v[0:1], off
	global_load_b32 v12, v[12:13], off offset:8
	v_add_co_u32 v0, vcc_lo, v18, v36
	v_add_co_ci_u32_e32 v1, vcc_lo, 0, v19, vcc_lo
	v_add_co_u32 v2, vcc_lo, v22, v36
	v_add_co_ci_u32_e32 v3, vcc_lo, 0, v23, vcc_lo
	;; [unrolled: 2-line block ×3, first 2 shown]
	s_clause 0x2
	global_load_b32 v0, v[0:1], off
	global_load_b32 v1, v[2:3], off
	;; [unrolled: 1-line block ×3, first 2 shown]
	s_clause 0x1
	scratch_load_b64 v[3:4], off, off offset:460
	scratch_load_b32 v23, off, off offset:260
	s_waitcnt vmcnt(1)
	v_not_b32_e32 v4, v67
	v_not_b32_e32 v5, v69
	;; [unrolled: 1-line block ×8, first 2 shown]
	v_add_nc_u32_e32 v3, s0, v3
	s_waitcnt vmcnt(0)
	ds_store_b32 v23, v41
	scratch_load_b32 v23, off, off offset:288 ; 4-byte Folded Reload
	scratch_store_b32 off, v3, off offset:148 ; 4-byte Folded Spill
	v_cvt_f32_f16_e32 v3, v55
	s_waitcnt vmcnt(0)
	ds_store_b32 v23, v42
	scratch_load_b32 v23, off, off offset:292 ; 4-byte Folded Reload
	s_waitcnt vmcnt(0)
	ds_store_b32 v23, v43
	scratch_load_b32 v23, off, off offset:296 ; 4-byte Folded Reload
	;; [unrolled: 3-line block ×10, first 2 shown]
	s_waitcnt vmcnt(0)
	ds_store_b32 v6, v7
	s_clause 0x1
	scratch_load_b32 v6, off, off offset:344
	scratch_load_b32 v7, off, off offset:432
	s_waitcnt vmcnt(1)
	ds_store_b32 v6, v8
	s_clause 0x1
	scratch_load_b32 v6, off, off offset:348
	scratch_load_b32 v8, off, off offset:440
	s_waitcnt vmcnt(2)
	v_ashrrev_i32_e32 v0, v7, v0
	v_ashrrev_i32_e32 v1, v7, v1
	;; [unrolled: 1-line block ×3, first 2 shown]
	s_delay_alu instid0(VALU_DEP_3) | instskip(NEXT) | instid1(VALU_DEP_3)
	v_and_b32_e32 v0, 0xf0f0f0f, v0
	v_and_b32_e32 v1, 0xf0f0f0f, v1
	s_delay_alu instid0(VALU_DEP_3)
	v_and_b32_e32 v2, 0xf0f0f0f, v2
	s_waitcnt vmcnt(1)
	ds_store_b32 v6, v9
	scratch_load_b32 v6, off, off offset:352 ; 4-byte Folded Reload
	s_waitcnt vmcnt(0)
	ds_store_b32 v6, v10
	scratch_load_b32 v6, off, off offset:356 ; 4-byte Folded Reload
	;; [unrolled: 3-line block ×4, first 2 shown]
	v_ashrrev_i32_e32 v6, v8, v15
	s_delay_alu instid0(VALU_DEP_1) | instskip(NEXT) | instid1(VALU_DEP_1)
	v_lshlrev_b32_e32 v6, 4, v6
	v_and_or_b32 v1, 0x30303030, v6, v1
	s_delay_alu instid0(VALU_DEP_1) | instskip(SKIP_4) | instid1(VALU_DEP_1)
	v_and_b32_e32 v9, 0x3f00, v1
	s_waitcnt vmcnt(0)
	ds_store_b32 v3, v4
	scratch_load_b32 v3, off, off offset:472 ; 4-byte Folded Reload
	v_ashrrev_i32_e32 v4, v8, v12
	v_lshlrev_b32_e32 v4, 4, v4
	s_waitcnt vmcnt(0)
	ds_store_b32 v3, v5
	scratch_load_b32 v3, off, off offset:476 ; 4-byte Folded Reload
	v_ashrrev_i32_e32 v5, v8, v16
	s_delay_alu instid0(VALU_DEP_1) | instskip(NEXT) | instid1(VALU_DEP_1)
	v_lshlrev_b32_e32 v5, 4, v5
	v_and_or_b32 v0, 0x30303030, v5, v0
	s_delay_alu instid0(VALU_DEP_1)
	v_lshrrev_b32_e32 v6, 16, v0
	s_waitcnt vmcnt(0)
	ds_store_b32 v3, v13
	scratch_load_b32 v3, off, off offset:480 ; 4-byte Folded Reload
	v_and_b32_e32 v13, 0x3f00, v6
	v_lshlrev_b16 v6, 8, v6
	s_delay_alu instid0(VALU_DEP_1)
	v_add_nc_u16 v6, v6, 0xe000
	s_waitcnt vmcnt(0)
	ds_store_b32 v3, v18
	scratch_load_b32 v3, off, off offset:484 ; 4-byte Folded Reload
	s_waitcnt vmcnt(0)
	ds_store_b32 v3, v19
	v_ashrrev_i32_e32 v3, v7, v17
	v_ashrrev_i32_e32 v7, v8, v14
	v_lshrrev_b32_e32 v8, 16, v1
	v_lshlrev_b16 v1, 8, v1
	s_delay_alu instid0(VALU_DEP_4) | instskip(NEXT) | instid1(VALU_DEP_4)
	v_and_b32_e32 v3, 0xf0f0f0f, v3
	v_lshlrev_b32_e32 v7, 4, v7
	s_delay_alu instid0(VALU_DEP_4)
	v_and_b32_e32 v14, 0x3f00, v8
	v_lshlrev_b16 v8, 8, v8
	v_add_nc_u16 v1, v1, 0xe000
	v_and_or_b32 v3, 0x30303030, v4, v3
	scratch_load_b32 v4, off, off offset:488 ; 4-byte Folded Reload
	v_and_or_b32 v2, 0x30303030, v7, v2
	v_add_nc_u16 v8, v8, 0xe000
	v_and_b32_e32 v7, 0x3f00, v0
	v_and_b32_e32 v5, 0x3f00, v3
	v_lshlrev_b16 v0, 8, v0
	v_lshrrev_b16 v1, 8, v1
	v_lshrrev_b32_e32 v10, 16, v2
	v_and_b32_e32 v11, 0x3f00, v2
	v_lshlrev_b16 v2, 8, v2
	v_add_nc_u16 v0, v0, 0xe000
	v_or_b32_e32 v1, v9, v1
	v_and_b32_e32 v15, 0x3f00, v10
	v_lshlrev_b16 v10, 8, v10
	v_add_nc_u16 v2, v2, 0xe000
	v_lshrrev_b16 v0, 8, v0
	v_add_nc_u16 v1, v1, 0xe000
	s_delay_alu instid0(VALU_DEP_4) | instskip(NEXT) | instid1(VALU_DEP_4)
	v_add_nc_u16 v10, v10, 0xe000
	v_lshrrev_b16 v2, 8, v2
	s_delay_alu instid0(VALU_DEP_4) | instskip(NEXT) | instid1(VALU_DEP_4)
	v_or_b32_e32 v0, v7, v0
	v_and_b32_e32 v1, 0xffff, v1
	s_delay_alu instid0(VALU_DEP_4) | instskip(NEXT) | instid1(VALU_DEP_4)
	v_lshrrev_b16 v7, 8, v10
	v_or_b32_e32 v2, v11, v2
	s_delay_alu instid0(VALU_DEP_4) | instskip(NEXT) | instid1(VALU_DEP_3)
	v_add_nc_u16 v0, v0, 0xe000
	v_or_b32_e32 v7, v15, v7
	s_delay_alu instid0(VALU_DEP_3) | instskip(NEXT) | instid1(VALU_DEP_3)
	v_add_nc_u16 v2, v2, 0xe000
	v_and_b32_e32 v0, 0xffff, v0
	s_delay_alu instid0(VALU_DEP_3) | instskip(NEXT) | instid1(VALU_DEP_3)
	v_add_nc_u16 v7, v7, 0xe000
	v_and_b32_e32 v2, 0xffff, v2
	s_delay_alu instid0(VALU_DEP_2) | instskip(NEXT) | instid1(VALU_DEP_1)
	v_lshlrev_b32_e32 v7, 16, v7
	v_or_b32_e32 v2, v2, v7
	s_waitcnt vmcnt(0)
	ds_store_b32 v4, v20
	v_lshrrev_b32_e32 v4, 16, v3
	v_lshlrev_b16 v3, 8, v3
	s_delay_alu instid0(VALU_DEP_2) | instskip(SKIP_1) | instid1(VALU_DEP_3)
	v_and_b32_e32 v12, 0x3f00, v4
	v_lshlrev_b16 v4, 8, v4
	v_add_nc_u16 v3, v3, 0xe000
	s_delay_alu instid0(VALU_DEP_2) | instskip(NEXT) | instid1(VALU_DEP_2)
	v_add_nc_u16 v4, v4, 0xe000
	v_lshrrev_b16 v3, 8, v3
	s_delay_alu instid0(VALU_DEP_2) | instskip(NEXT) | instid1(VALU_DEP_2)
	v_lshrrev_b16 v4, 8, v4
	v_or_b32_e32 v3, v5, v3
	v_lshrrev_b16 v5, 8, v6
	v_lshrrev_b16 v6, 8, v8
	scratch_load_b32 v8, off, off offset:492 ; 4-byte Folded Reload
	v_or_b32_e32 v4, v12, v4
	v_add_nc_u16 v3, v3, 0xe000
	v_or_b32_e32 v5, v13, v5
	v_or_b32_e32 v6, v14, v6
	s_delay_alu instid0(VALU_DEP_4) | instskip(NEXT) | instid1(VALU_DEP_4)
	v_add_nc_u16 v4, v4, 0xe000
	v_and_b32_e32 v3, 0xffff, v3
	s_delay_alu instid0(VALU_DEP_4) | instskip(NEXT) | instid1(VALU_DEP_4)
	v_add_nc_u16 v5, v5, 0xe000
	v_add_nc_u16 v6, v6, 0xe000
	s_delay_alu instid0(VALU_DEP_4) | instskip(NEXT) | instid1(VALU_DEP_3)
	v_lshlrev_b32_e32 v4, 16, v4
	v_lshlrev_b32_e32 v5, 16, v5
	s_delay_alu instid0(VALU_DEP_3) | instskip(NEXT) | instid1(VALU_DEP_3)
	v_lshlrev_b32_e32 v6, 16, v6
	v_or_b32_e32 v3, v3, v4
	scratch_load_b32 v4, off, off offset:496 ; 4-byte Folded Reload
	v_or_b32_e32 v0, v0, v5
	v_or_b32_e32 v1, v1, v6
	s_waitcnt vmcnt(1)
	ds_store_b32 v8, v21
	s_waitcnt vmcnt(0)
	ds_store_b32 v4, v22
	scratch_load_b32 v4, off, off offset:500 ; 4-byte Folded Reload
	s_waitcnt vmcnt(0)
	ds_store_b32 v4, v3
	scratch_load_b32 v3, off, off offset:504 ; 4-byte Folded Reload
	;; [unrolled: 3-line block ×4, first 2 shown]
	s_waitcnt vmcnt(0)
	ds_store_b32 v0, v2
	s_branch .LBB149_8
.LBB149_7:                              ;   in Loop: Header=BB149_8 Depth=2
                                        ; implicit-def: $sgpr14
                                        ; implicit-def: $sgpr1
	s_cbranch_execnz .LBB149_5
.LBB149_8:                              ;   Parent Loop BB149_6 Depth=1
                                        ; =>  This Loop Header: Depth=2
                                        ;       Child Loop BB149_10 Depth 3
                                        ;       Child Loop BB149_12 Depth 3
	s_lshr_b32 s15, s14, 1
	s_delay_alu instid0(SALU_CYCLE_1) | instskip(NEXT) | instid1(SALU_CYCLE_1)
	s_or_b32 s15, s15, s13
	s_cmp_lt_i32 s15, s11
	s_cbranch_scc0 .LBB149_7
; %bb.9:                                ;   in Loop: Header=BB149_8 Depth=2
	scratch_load_b32 v0, off, off offset:152 ; 4-byte Folded Reload
	s_or_b32 s16, s14, 1
	s_lshl_b32 s17, s14, 3
	s_mov_b32 s18, 0
	s_mov_b32 s19, 0
	s_lshl_b32 s15, s16, 3
	scratch_load_b64 v[19:20], off, off offset:156 ; 8-byte Folded Reload
	s_waitcnt vmcnt(1)
	v_lshl_add_u32 v0, s14, 5, v0
	s_delay_alu instid0(VALU_DEP_1) | instskip(NEXT) | instid1(VALU_DEP_1)
	v_lshrrev_b32_e32 v0, 3, v0
	v_add_nc_u32_e32 v12, s0, v0
	scratch_load_b32 v0, off, off offset:148 ; 4-byte Folded Reload
	s_waitcnt vmcnt(0)
	v_lshl_add_u32 v13, s14, 2, v0
	scratch_load_b32 v0, off, off offset:168 ; 4-byte Folded Reload
	s_waitcnt vmcnt(0)
	v_add_nc_u32_e32 v2, v12, v0
	scratch_load_b32 v0, off, off offset:176 ; 4-byte Folded Reload
	s_waitcnt vmcnt(0)
	v_add_nc_u32_e32 v4, v12, v0
	;; [unrolled: 3-line block ×7, first 2 shown]
	v_mad_i64_i32 v[0:1], null, v2, 36, v[19:20]
	v_mad_i64_i32 v[2:3], null, v4, 36, v[19:20]
	;; [unrolled: 1-line block ×5, first 2 shown]
	v_mad_u64_u32 v[10:11], null, v13, 36, s[2:3]
	scratch_load_b32 v13, off, off offset:224 ; 4-byte Folded Reload
	s_waitcnt vmcnt(0)
	v_add_nc_u32_e32 v18, v12, v13
	v_mad_i64_i32 v[12:13], null, v14, 36, v[19:20]
	v_mad_i64_i32 v[14:15], null, v16, 36, v[19:20]
	s_delay_alu instid0(VALU_DEP_3)
	v_mad_i64_i32 v[16:17], null, v18, 36, v[19:20]
	s_clause 0x8
	global_load_b32 v10, v[10:11], off
	global_load_b32 v2, v[2:3], off offset:4
	global_load_b32 v3, v[4:5], off offset:4
	;; [unrolled: 1-line block ×8, first 2 shown]
	s_clause 0x2
	scratch_load_b32 v192, off, off offset:236
	scratch_load_b32 v247, off, off offset:232
	;; [unrolled: 1-line block ×3, first 2 shown]
	s_waitcnt vmcnt(11)
	v_cvt_f32_f16_e32 v1, v10
	s_waitcnt vmcnt(0)
	ds_store_b32 v9, v2
	scratch_load_b32 v2, off, off offset:188 ; 4-byte Folded Reload
	s_waitcnt vmcnt(0)
	ds_store_b32 v2, v3
	scratch_load_b32 v2, off, off offset:196 ; 4-byte Folded Reload
	;; [unrolled: 3-line block ×8, first 2 shown]
	s_waitcnt vmcnt(0)
	ds_store_b32 v0, v1
	s_waitcnt lgkmcnt(0)
	s_waitcnt_vscnt null, 0x0
	s_barrier
	buffer_gl0_inv
.LBB149_10:                             ;   Parent Loop BB149_6 Depth=1
                                        ;     Parent Loop BB149_8 Depth=2
                                        ; =>    This Inner Loop Header: Depth=3
	s_add_i32 s20, s1, s19
	v_mov_b32_e32 v96, v53
	s_and_b32 s21, s20, 0x3ffffff8
	s_lshr_b32 s22, s20, 4
	s_lshl_b32 s21, s21, 2
	s_lshl_b32 s20, s22, 2
	s_waitcnt vmcnt(5)
	v_dual_mov_b32 v245, v72 :: v_dual_add_nc_u32 v4, s21, v60
	s_waitcnt vmcnt(2)
	v_dual_mov_b32 v230, v81 :: v_dual_add_nc_u32 v183, s21, v63
	v_dual_mov_b32 v133, v87 :: v_dual_add_nc_u32 v6, s20, v61
	ds_load_2addr_b32 v[0:1], v4 offset1:1
	ds_load_2addr_b32 v[2:3], v4 offset0:2 offset1:3
	ds_load_2addr_b32 v[31:32], v4 offset0:4 offset1:5
	;; [unrolled: 1-line block ×3, first 2 shown]
	v_add_nc_u32_e32 v12, s21, v76
	v_add_nc_u32_e32 v184, s21, v90
	s_lshl_b32 s21, s22, 3
	v_mov_b32_e32 v90, v89
	v_dual_mov_b32 v92, v88 :: v_dual_mov_b32 v225, v78
	v_mov_b32_e32 v227, v79
	v_add_lshl_u32 v182, v62, s21, 2
	v_add_lshl_u32 v181, v84, s21, 2
	v_mov_b32_e32 v85, v56
	v_dual_mov_b32 v71, v28 :: v_dual_mov_b32 v240, v74
	v_mov_b32_e32 v74, v30
	v_mov_b32_e32 v88, v86
	v_dual_mov_b32 v244, v75 :: v_dual_mov_b32 v75, v49
	s_waitcnt lgkmcnt(3)
	v_ashrrev_i32_e32 v5, s19, v0
	v_ashrrev_i32_e32 v4, s19, v1
	s_waitcnt lgkmcnt(2)
	v_ashrrev_i32_e32 v1, s19, v2
	v_ashrrev_i32_e32 v0, s19, v3
	ds_load_2addr_b32 v[2:3], v183 offset0:2 offset1:3
	ds_load_b32 v194, v6
	ds_load_2addr_b32 v[6:7], v183 offset1:1
	v_bfe_u32 v72, v5, 24, 2
	v_dual_mov_b32 v236, v73 :: v_dual_and_b32 v5, 0x3030303, v5
	v_dual_mov_b32 v73, v29 :: v_dual_mov_b32 v76, v50
	v_mov_b32_e32 v84, v52
	s_waitcnt lgkmcnt(2)
	v_ashrrev_i32_e32 v10, s19, v2
	v_ashrrev_i32_e32 v11, s19, v3
	s_waitcnt lgkmcnt(0)
	v_ashrrev_i32_e32 v8, s19, v6
	v_ashrrev_i32_e32 v9, s19, v7
	ds_load_2addr_b32 v[2:3], v12 offset1:1
	ds_load_2addr_b32 v[6:7], v12 offset0:2 offset1:3
	ds_load_2addr_b32 v[41:42], v12 offset0:4 offset1:5
	;; [unrolled: 1-line block ×3, first 2 shown]
	s_waitcnt lgkmcnt(3)
	v_ashrrev_i32_e32 v12, s19, v2
	s_waitcnt lgkmcnt(2)
	v_ashrrev_i32_e32 v14, s19, v6
	v_add_nc_u32_e32 v6, s20, v77
	v_ashrrev_i32_e32 v13, s19, v3
	v_ashrrev_i32_e32 v15, s19, v7
	ds_load_2addr_b32 v[2:3], v184 offset0:2 offset1:3
	ds_load_b32 v195, v6
	ds_load_2addr_b32 v[6:7], v184 offset1:1
	v_mov_b32_e32 v77, v51
	s_waitcnt lgkmcnt(2)
	v_ashrrev_i32_e32 v18, s19, v2
	v_add_lshl_u32 v2, v59, s21, 2
	v_ashrrev_i32_e32 v19, s19, v3
	s_waitcnt lgkmcnt(0)
	v_ashrrev_i32_e32 v16, s19, v6
	v_ashrrev_i32_e32 v17, s19, v7
	v_add_nc_u32_e32 v3, 0x4200, v2
	v_add_nc_u32_e32 v6, 0x4208, v2
	;; [unrolled: 1-line block ×4, first 2 shown]
	ds_load_2addr_b32 v[2:3], v3 offset1:1
	ds_load_2addr_b32 v[6:7], v6 offset1:1
	;; [unrolled: 1-line block ×4, first 2 shown]
	s_waitcnt lgkmcnt(3)
	v_ashrrev_i32_e32 v20, s18, v2
	v_add_nc_u32_e32 v2, 0x4200, v182
	s_waitcnt lgkmcnt(2)
	v_ashrrev_i32_e32 v22, s18, v6
	v_add_nc_u32_e32 v6, 0x4208, v182
	v_ashrrev_i32_e32 v21, s18, v3
	v_ashrrev_i32_e32 v23, s18, v7
	ds_load_2addr_b32 v[2:3], v2 offset1:1
	ds_load_2addr_b32 v[6:7], v6 offset1:1
	ds_load_2addr_b32 v[47:48], v183 offset0:6 offset1:7
	v_lshlrev_b32_e32 v20, 2, v20
	s_waitcnt lgkmcnt(4)
	v_ashrrev_i32_e32 v45, s18, v45
	v_ashrrev_i32_e32 v46, s18, v46
	s_waitcnt lgkmcnt(3)
	v_ashrrev_i32_e32 v44, s18, v44
	v_and_b32_e32 v20, 0x4040404, v20
	s_delay_alu instid0(VALU_DEP_1) | instskip(SKIP_2) | instid1(VALU_DEP_3)
	v_lshrrev_b32_e32 v81, 24, v20
	v_lshrrev_b32_e32 v87, 16, v20
	v_sub_nc_u16 v203, v5, v20
	v_sub_nc_u16 v72, v72, v81
	v_lshrrev_b32_e32 v81, 16, v5
	s_waitcnt lgkmcnt(2)
	v_ashrrev_i32_e32 v24, s18, v2
	s_waitcnt vmcnt(1)
	v_add_lshl_u32 v2, v68, s21, 2
	v_ashrrev_i32_e32 v25, s18, v3
	s_waitcnt lgkmcnt(1)
	v_ashrrev_i32_e32 v26, s18, v6
	v_sub_nc_u16 v202, v81, v87
	v_lshrrev_b16 v81, 8, v5
	v_add_nc_u32_e32 v35, 0x4210, v2
	v_lshrrev_b16 v5, 8, v20
	v_lshlrev_b32_e32 v20, 2, v21
	v_bfe_u32 v21, v4, 24, 2
	v_and_b32_e32 v4, 0x3030303, v4
	v_add_nc_u32_e32 v3, 0x4200, v2
	v_sub_nc_u16 v5, v81, v5
	v_and_b32_e32 v20, 0x4040404, v20
	v_add_nc_u32_e32 v6, 0x4208, v2
	v_ashrrev_i32_e32 v27, s18, v7
	v_add_nc_u32_e32 v36, 0x4218, v2
	ds_load_2addr_b32 v[2:3], v3 offset1:1
	ds_load_2addr_b32 v[6:7], v6 offset1:1
	;; [unrolled: 1-line block ×4, first 2 shown]
	v_lshrrev_b32_e32 v81, 24, v20
	v_lshrrev_b32_e32 v87, 16, v20
	v_sub_nc_u16 v205, v4, v20
	v_lshlrev_b16 v5, 8, v5
	s_and_b32 s21, s17, -16
	v_sub_nc_u16 v21, v21, v81
	v_lshrrev_b32_e32 v81, 16, v4
	s_waitcnt lgkmcnt(4)
	v_ashrrev_i32_e32 v47, s19, v47
	v_ashrrev_i32_e32 v48, s19, v48
	s_add_i32 s17, s17, 2
	v_sub_nc_u16 v204, v81, v87
	v_lshrrev_b16 v81, 8, v4
	v_lshrrev_b16 v4, 8, v20
	v_lshlrev_b32_e32 v20, 2, v22
	v_bfe_u32 v22, v1, 24, 2
	v_and_b32_e32 v1, 0x3030303, v1
	s_waitcnt lgkmcnt(3)
	v_ashrrev_i32_e32 v55, s18, v2
	v_sub_nc_u16 v4, v81, v4
	v_and_b32_e32 v20, 0x4040404, v20
	v_ashrrev_i32_e32 v67, s18, v3
	s_waitcnt lgkmcnt(2)
	v_ashrrev_i32_e32 v69, s18, v6
	v_add_nc_u32_e32 v2, 0x4200, v181
	v_add_nc_u32_e32 v6, 0x4208, v181
	v_lshrrev_b32_e32 v81, 24, v20
	v_lshrrev_b32_e32 v87, 16, v20
	v_sub_nc_u16 v199, v1, v20
	v_ashrrev_i32_e32 v70, s18, v7
	ds_load_2addr_b32 v[2:3], v2 offset1:1
	ds_load_2addr_b32 v[6:7], v6 offset1:1
	ds_load_2addr_b32 v[189:190], v184 offset0:6 offset1:7
	v_sub_nc_u16 v22, v22, v81
	v_lshrrev_b32_e32 v81, 16, v1
	v_lshlrev_b16 v4, 8, v4
	s_delay_alu instid0(VALU_DEP_2)
	v_sub_nc_u16 v198, v81, v87
	v_lshrrev_b16 v81, 8, v1
	v_lshrrev_b16 v1, 8, v20
	v_lshlrev_b32_e32 v20, 2, v23
	v_bfe_u32 v23, v0, 24, 2
	v_and_b32_e32 v0, 0x3030303, v0
	s_delay_alu instid0(VALU_DEP_4) | instskip(NEXT) | instid1(VALU_DEP_4)
	v_sub_nc_u16 v1, v81, v1
	v_and_b32_e32 v20, 0x4040404, v20
	s_waitcnt lgkmcnt(2)
	v_ashrrev_i32_e32 v2, s18, v2
	v_ashrrev_i32_e32 v3, s18, v3
	s_delay_alu instid0(VALU_DEP_3)
	v_lshrrev_b32_e32 v81, 24, v20
	v_lshrrev_b32_e32 v87, 16, v20
	v_sub_nc_u16 v197, v0, v20
	v_lshlrev_b32_e32 v2, 2, v2
	v_lshlrev_b32_e32 v3, 2, v3
	v_sub_nc_u16 v23, v23, v81
	v_lshrrev_b32_e32 v81, 16, v0
	s_waitcnt lgkmcnt(1)
	v_ashrrev_i32_e32 v6, s18, v6
	v_and_b32_e32 v2, 0x4040404, v2
	v_and_b32_e32 v3, 0x4040404, v3
	v_ashrrev_i32_e32 v7, s18, v7
	v_sub_nc_u16 v196, v81, v87
	v_lshrrev_b16 v81, 8, v0
	v_lshrrev_b16 v0, 8, v20
	v_lshlrev_b32_e32 v20, 2, v24
	v_bfe_u32 v24, v8, 24, 2
	v_and_b32_e32 v8, 0x3030303, v8
	v_lshlrev_b32_e32 v6, 2, v6
	v_sub_nc_u16 v0, v81, v0
	v_and_b32_e32 v20, 0x4040404, v20
	v_lshlrev_b32_e32 v7, 2, v7
	v_lshlrev_b16 v1, 8, v1
	v_and_b32_e32 v6, 0x4040404, v6
	v_lshlrev_b16 v0, 8, v0
	v_lshrrev_b32_e32 v81, 24, v20
	v_lshrrev_b32_e32 v87, 16, v20
	v_sub_nc_u16 v211, v8, v20
	v_and_b32_e32 v7, 0x4040404, v7
	s_delay_alu instid0(VALU_DEP_4) | instskip(SKIP_1) | instid1(VALU_DEP_1)
	v_sub_nc_u16 v24, v24, v81
	v_lshrrev_b32_e32 v81, 16, v8
	v_sub_nc_u16 v210, v81, v87
	v_lshrrev_b16 v81, 8, v8
	v_lshrrev_b16 v8, 8, v20
	v_lshlrev_b32_e32 v20, 2, v25
	v_bfe_u32 v25, v9, 24, 2
	v_and_b32_e32 v9, 0x3030303, v9
	s_delay_alu instid0(VALU_DEP_4) | instskip(NEXT) | instid1(VALU_DEP_4)
	v_sub_nc_u16 v8, v81, v8
	v_and_b32_e32 v20, 0x4040404, v20
	s_delay_alu instid0(VALU_DEP_1) | instskip(SKIP_2) | instid1(VALU_DEP_3)
	v_lshrrev_b32_e32 v81, 24, v20
	v_lshrrev_b32_e32 v87, 16, v20
	v_sub_nc_u16 v213, v9, v20
	v_sub_nc_u16 v25, v25, v81
	v_lshrrev_b32_e32 v81, 16, v9
	s_delay_alu instid0(VALU_DEP_1)
	v_sub_nc_u16 v212, v81, v87
	v_lshrrev_b16 v81, 8, v9
	v_lshrrev_b16 v9, 8, v20
	v_lshlrev_b32_e32 v20, 2, v26
	v_bfe_u32 v26, v10, 24, 2
	v_and_b32_e32 v10, 0x3030303, v10
	s_delay_alu instid0(VALU_DEP_4) | instskip(NEXT) | instid1(VALU_DEP_4)
	v_sub_nc_u16 v9, v81, v9
	v_and_b32_e32 v20, 0x4040404, v20
	s_delay_alu instid0(VALU_DEP_1) | instskip(SKIP_2) | instid1(VALU_DEP_3)
	v_lshrrev_b32_e32 v81, 24, v20
	v_lshrrev_b32_e32 v87, 16, v20
	v_sub_nc_u16 v207, v10, v20
	v_sub_nc_u16 v26, v26, v81
	v_lshrrev_b32_e32 v81, 16, v10
	s_delay_alu instid0(VALU_DEP_1)
	;; [unrolled: 16-line block ×7, first 2 shown]
	v_sub_nc_u16 v208, v81, v87
	v_lshrrev_b16 v81, 8, v15
	v_lshrrev_b16 v15, 8, v20
	v_bfe_u32 v20, v16, 24, 2
	v_and_b32_e32 v16, 0x3030303, v16
	v_lshrrev_b32_e32 v87, 16, v2
	s_delay_alu instid0(VALU_DEP_4) | instskip(SKIP_1) | instid1(VALU_DEP_4)
	v_sub_nc_u16 v15, v81, v15
	v_lshrrev_b32_e32 v81, 24, v2
	v_sub_nc_u16 v228, v16, v2
	v_lshrrev_b16 v2, 8, v2
	s_delay_alu instid0(VALU_DEP_3) | instskip(SKIP_1) | instid1(VALU_DEP_1)
	v_sub_nc_u16 v20, v20, v81
	v_lshrrev_b32_e32 v81, 16, v16
	v_sub_nc_u16 v226, v81, v87
	v_lshrrev_b16 v81, 8, v16
	v_bfe_u32 v16, v17, 24, 2
	v_and_b32_e32 v17, 0x3030303, v17
	v_lshrrev_b32_e32 v87, 16, v3
	s_delay_alu instid0(VALU_DEP_4) | instskip(SKIP_1) | instid1(VALU_DEP_4)
	v_sub_nc_u16 v2, v81, v2
	v_lshrrev_b32_e32 v81, 24, v3
	v_sub_nc_u16 v233, v17, v3
	v_lshrrev_b16 v3, 8, v3
	s_delay_alu instid0(VALU_DEP_3) | instskip(SKIP_1) | instid1(VALU_DEP_1)
	v_sub_nc_u16 v16, v16, v81
	v_lshrrev_b32_e32 v81, 16, v17
	v_sub_nc_u16 v232, v81, v87
	;; [unrolled: 13-line block ×4, first 2 shown]
	v_lshrrev_b16 v81, 8, v19
	v_lshlrev_b16 v19, 8, v72
	v_and_b32_e32 v72, 0xff, v202
	s_delay_alu instid0(VALU_DEP_3) | instskip(NEXT) | instid1(VALU_DEP_2)
	v_sub_nc_u16 v7, v81, v7
	v_or_b32_e32 v59, v72, v19
	v_and_b32_e32 v19, 0xff, v203
	s_delay_alu instid0(VALU_DEP_1)
	v_or_b32_e32 v60, v19, v5
	v_lshlrev_b16 v5, 8, v21
	v_and_b32_e32 v19, 0xff, v204
	scratch_store_b32 off, v60, off offset:112 ; 4-byte Folded Spill
	v_or_b32_e32 v248, v19, v5
	v_and_b32_e32 v5, 0xff, v205
	s_delay_alu instid0(VALU_DEP_1) | instskip(SKIP_2) | instid1(VALU_DEP_1)
	v_or_b32_e32 v251, v5, v4
	v_lshlrev_b16 v4, 8, v22
	v_and_b32_e32 v5, 0xff, v198
	v_or_b32_e32 v19, v5, v4
	v_and_b32_e32 v4, 0xff, v199
	s_delay_alu instid0(VALU_DEP_1)
	v_or_b32_e32 v21, v4, v1
	v_lshlrev_b16 v1, 8, v23
	v_and_b32_e32 v4, 0xff, v196
	scratch_store_b32 off, v21, off offset:80 ; 4-byte Folded Spill
	v_or_b32_e32 v4, v4, v1
	v_and_b32_e32 v1, 0xff, v197
	s_delay_alu instid0(VALU_DEP_1)
	v_or_b32_e32 v5, v1, v0
	v_lshlrev_b16 v0, 8, v24
	v_and_b32_e32 v1, 0xff, v210
	scratch_store_b32 off, v4, off offset:52 ; 4-byte Folded Spill
	v_or_b32_e32 v255, v1, v0
	v_lshlrev_b16 v0, 8, v8
	v_and_b32_e32 v1, 0xff, v211
	s_delay_alu instid0(VALU_DEP_1) | instskip(SKIP_2) | instid1(VALU_DEP_1)
	v_or_b32_e32 v243, v1, v0
	v_lshlrev_b16 v0, 8, v25
	v_and_b32_e32 v1, 0xff, v212
	v_or_b32_e32 v242, v1, v0
	v_lshlrev_b16 v0, 8, v9
	v_and_b32_e32 v1, 0xff, v213
	s_delay_alu instid0(VALU_DEP_1) | instskip(SKIP_2) | instid1(VALU_DEP_1)
	v_or_b32_e32 v238, v1, v0
	v_lshlrev_b16 v0, 8, v26
	v_and_b32_e32 v1, 0xff, v206
	;; [unrolled: 7-line block ×3, first 2 shown]
	v_or_b32_e32 v8, v1, v0
	v_lshlrev_b16 v0, 8, v11
	v_and_b32_e32 v1, 0xff, v201
	scratch_store_b32 off, v5, off offset:56 ; 4-byte Folded Spill
	v_or_b32_e32 v9, v1, v0
	scratch_store_b32 off, v8, off offset:60 ; 4-byte Folded Spill
	v_lshlrev_b16 v0, 8, v55
	v_and_b32_e32 v1, 0xff, v218
	v_mov_b32_e32 v55, v82
	s_delay_alu instid0(VALU_DEP_2) | instskip(SKIP_2) | instid1(VALU_DEP_1)
	v_or_b32_e32 v234, v1, v0
	v_lshlrev_b16 v0, 8, v12
	v_and_b32_e32 v1, 0xff, v219
	v_or_b32_e32 v231, v1, v0
	v_lshlrev_b16 v0, 8, v67
	v_and_b32_e32 v1, 0xff, v220
	v_mov_b32_e32 v67, v229
	v_mov_b32_e32 v229, v83
	s_delay_alu instid0(VALU_DEP_3) | instskip(SKIP_2) | instid1(VALU_DEP_1)
	v_or_b32_e32 v87, v1, v0
	v_lshlrev_b16 v0, 8, v13
	v_and_b32_e32 v1, 0xff, v221
	v_or_b32_e32 v81, v1, v0
	v_lshlrev_b16 v0, 8, v69
	v_and_b32_e32 v1, 0xff, v214
	s_delay_alu instid0(VALU_DEP_1)
	v_or_b32_e32 v12, v1, v0
	v_lshlrev_b16 v0, 8, v14
	v_and_b32_e32 v1, 0xff, v215
	scratch_store_b32 off, v23, off offset:96 ; 4-byte Folded Spill
	v_or_b32_e32 v13, v1, v0
	scratch_store_b32 off, v12, off offset:100 ; 4-byte Folded Spill
	v_lshlrev_b16 v0, 8, v70
	v_and_b32_e32 v1, 0xff, v208
	s_clause 0x1
	scratch_store_b32 off, v59, off offset:108
	scratch_store_b32 off, v13, off offset:104
	v_or_b32_e32 v10, v1, v0
	v_lshlrev_b16 v0, 8, v15
	v_and_b32_e32 v1, 0xff, v209
	scratch_store_b32 off, v9, off offset:64 ; 4-byte Folded Spill
	v_or_b32_e32 v11, v1, v0
	scratch_store_b32 off, v10, off offset:68 ; 4-byte Folded Spill
	v_lshlrev_b16 v0, 8, v20
	v_and_b32_e32 v1, 0xff, v226
	s_clause 0x1
	scratch_store_b32 off, v19, off offset:76
	scratch_store_b32 off, v11, off offset:72
	v_or_b32_e32 v94, v1, v0
	v_lshlrev_b16 v0, 8, v2
	v_and_b32_e32 v1, 0xff, v228
	s_delay_alu instid0(VALU_DEP_1) | instskip(SKIP_2) | instid1(VALU_DEP_1)
	v_or_b32_e32 v89, v1, v0
	v_lshlrev_b16 v0, 8, v16
	v_and_b32_e32 v1, 0xff, v232
	v_or_b32_e32 v99, v1, v0
	v_lshlrev_b16 v0, 8, v3
	v_and_b32_e32 v1, 0xff, v233
	s_delay_alu instid0(VALU_DEP_1) | instskip(SKIP_2) | instid1(VALU_DEP_1)
	v_or_b32_e32 v98, v1, v0
	v_lshlrev_b16 v0, 8, v17
	v_and_b32_e32 v1, 0xff, v222
	;; [unrolled: 7-line block ×3, first 2 shown]
	v_or_b32_e32 v2, v1, v0
	v_lshlrev_b16 v0, 8, v7
	v_and_b32_e32 v1, 0xff, v217
	s_delay_alu instid0(VALU_DEP_1)
	v_or_b32_e32 v3, v1, v0
	v_perm_b32 v0, v60, v203, 0xc0c0500
	v_perm_b32 v1, v59, v202, 0x5000c0c
	s_clause 0x2
	scratch_store_b32 off, v2, off offset:84
	scratch_store_b32 off, v22, off offset:92
	scratch_store_b32 off, v3, off offset:88
	v_or_b32_e32 v72, v1, v0
	v_perm_b32 v0, v251, v205, 0xc0c0500
	v_perm_b32 v1, v248, v204, 0x5000c0c
	s_delay_alu instid0(VALU_DEP_1) | instskip(SKIP_2) | instid1(VALU_DEP_1)
	v_or_b32_e32 v113, v1, v0
	v_perm_b32 v0, v21, v199, 0xc0c0500
	v_perm_b32 v1, v19, v198, 0x5000c0c
	v_or_b32_e32 v138, v1, v0
	v_perm_b32 v0, v5, v197, 0xc0c0500
	v_perm_b32 v1, v4, v196, 0x5000c0c
	s_delay_alu instid0(VALU_DEP_1) | instskip(SKIP_2) | instid1(VALU_DEP_1)
	v_or_b32_e32 v180, v1, v0
	v_perm_b32 v0, v243, v211, 0xc0c0500
	v_perm_b32 v1, v255, v210, 0x5000c0c
	;; [unrolled: 7-line block ×4, first 2 shown]
	v_or_b32_e32 v97, v1, v0
	v_perm_b32 v0, v81, v221, 0xc0c0500
	v_perm_b32 v1, v87, v220, 0x5000c0c
	;; [unrolled: 1-line block ×4, first 2 shown]
	s_delay_alu instid0(VALU_DEP_3) | instskip(SKIP_2) | instid1(VALU_DEP_1)
	v_or_b32_e32 v102, v1, v0
	v_perm_b32 v0, v13, v215, 0xc0c0500
	v_perm_b32 v1, v12, v214, 0x5000c0c
	v_or_b32_e32 v107, v1, v0
	v_perm_b32 v0, v11, v209, 0xc0c0500
	v_perm_b32 v1, v10, v208, 0x5000c0c
	s_delay_alu instid0(VALU_DEP_1) | instskip(SKIP_4) | instid1(VALU_DEP_3)
	v_or_b32_e32 v109, v1, v0
	v_perm_b32 v0, v89, v228, 0xc0c0500
	v_perm_b32 v1, v94, v226, 0x5000c0c
	;; [unrolled: 1-line block ×4, first 2 shown]
	v_or_b32_e32 v111, v1, v0
	v_perm_b32 v0, v98, v233, 0xc0c0500
	v_perm_b32 v1, v99, v232, 0x5000c0c
	;; [unrolled: 1-line block ×4, first 2 shown]
	s_delay_alu instid0(VALU_DEP_3) | instskip(SKIP_2) | instid1(VALU_DEP_1)
	v_or_b32_e32 v112, v1, v0
	v_perm_b32 v0, v253, v223, 0xc0c0500
	v_perm_b32 v1, v252, v222, 0x5000c0c
	v_or_b32_e32 v115, v1, v0
	v_perm_b32 v0, v3, v217, 0xc0c0500
	v_perm_b32 v1, v2, v216, 0x5000c0c
	s_delay_alu instid0(VALU_DEP_1)
	v_or_b32_e32 v116, v1, v0
	ds_load_b128 v[4:7], v192 offset:1024
	ds_load_b128 v[0:3], v192 offset:1040
	s_waitcnt lgkmcnt(1)
	v_dot4_i32_iu8 v8, v4, v72, 0 neg_lo:[1,1,0]
	v_dot4_i32_iu8 v9, v4, v80, 0 neg_lo:[1,1,0]
	v_dot4_i32_iu8 v10, v4, v97, 0 neg_lo:[1,1,0]
	v_dot4_i32_iu8 v4, v4, v111, 0 neg_lo:[1,1,0]
	s_delay_alu instid0(VALU_DEP_4) | instskip(NEXT) | instid1(VALU_DEP_4)
	v_dot4_i32_iu8 v8, v5, v113, v8 neg_lo:[1,1,0]
	v_dot4_i32_iu8 v9, v5, v82, v9 neg_lo:[1,1,0]
	s_delay_alu instid0(VALU_DEP_4) | instskip(NEXT) | instid1(VALU_DEP_4)
	v_dot4_i32_iu8 v10, v5, v102, v10 neg_lo:[1,1,0]
	v_dot4_i32_iu8 v4, v5, v112, v4 neg_lo:[1,1,0]
	s_delay_alu instid0(VALU_DEP_4) | instskip(NEXT) | instid1(VALU_DEP_4)
	v_dot4_i32_iu8 v5, v6, v138, v8 neg_lo:[1,1,0]
	v_dot4_i32_iu8 v8, v6, v86, v9 neg_lo:[1,1,0]
	s_delay_alu instid0(VALU_DEP_4) | instskip(NEXT) | instid1(VALU_DEP_4)
	v_dot4_i32_iu8 v9, v6, v107, v10 neg_lo:[1,1,0]
	v_dot4_i32_iu8 v4, v6, v115, v4 neg_lo:[1,1,0]
	s_delay_alu instid0(VALU_DEP_4) | instskip(NEXT) | instid1(VALU_DEP_4)
	v_dot4_i32_iu8 v108, v7, v180, v5 neg_lo:[1,1,0]
	v_dot4_i32_iu8 v250, v7, v91, v8 neg_lo:[1,1,0]
	s_delay_alu instid0(VALU_DEP_4) | instskip(NEXT) | instid1(VALU_DEP_4)
	v_dot4_i32_iu8 v241, v7, v109, v9 neg_lo:[1,1,0]
	v_dot4_i32_iu8 v237, v7, v116, v4 neg_lo:[1,1,0]
	ds_load_b128 v[8:11], v192 offset:2048
	ds_load_b128 v[4:7], v192 offset:2064
	s_waitcnt lgkmcnt(1)
	v_dot4_i32_iu8 v12, v8, v72, 0 neg_lo:[1,1,0]
	v_dot4_i32_iu8 v13, v8, v80, 0 neg_lo:[1,1,0]
	v_dot4_i32_iu8 v14, v8, v97, 0 neg_lo:[1,1,0]
	v_dot4_i32_iu8 v8, v8, v111, 0 neg_lo:[1,1,0]
	s_delay_alu instid0(VALU_DEP_4) | instskip(NEXT) | instid1(VALU_DEP_4)
	v_dot4_i32_iu8 v12, v9, v113, v12 neg_lo:[1,1,0]
	v_dot4_i32_iu8 v13, v9, v82, v13 neg_lo:[1,1,0]
	s_delay_alu instid0(VALU_DEP_4) | instskip(NEXT) | instid1(VALU_DEP_4)
	v_dot4_i32_iu8 v14, v9, v102, v14 neg_lo:[1,1,0]
	v_dot4_i32_iu8 v8, v9, v112, v8 neg_lo:[1,1,0]
	s_delay_alu instid0(VALU_DEP_4) | instskip(NEXT) | instid1(VALU_DEP_4)
	v_dot4_i32_iu8 v9, v10, v138, v12 neg_lo:[1,1,0]
	v_dot4_i32_iu8 v12, v10, v86, v13 neg_lo:[1,1,0]
	s_delay_alu instid0(VALU_DEP_4) | instskip(NEXT) | instid1(VALU_DEP_4)
	v_dot4_i32_iu8 v13, v10, v107, v14 neg_lo:[1,1,0]
	v_dot4_i32_iu8 v8, v10, v115, v8 neg_lo:[1,1,0]
	s_delay_alu instid0(VALU_DEP_4) | instskip(NEXT) | instid1(VALU_DEP_4)
	v_dot4_i32_iu8 v95, v11, v180, v9 neg_lo:[1,1,0]
	v_dot4_i32_iu8 v110, v11, v91, v12 neg_lo:[1,1,0]
	s_delay_alu instid0(VALU_DEP_4) | instskip(NEXT) | instid1(VALU_DEP_4)
	v_dot4_i32_iu8 v249, v11, v109, v13 neg_lo:[1,1,0]
	v_dot4_i32_iu8 v239, v11, v116, v8 neg_lo:[1,1,0]
	;; [unrolled: 25-line block ×6, first 2 shown]
	ds_load_b128 v[185:188], v192 offset:7168
	ds_load_b128 v[24:27], v192 offset:7184
	s_waitcnt lgkmcnt(1)
	v_dot4_i32_iu8 v80, v185, v80, 0 neg_lo:[1,1,0]
	v_dot4_i32_iu8 v72, v185, v72, 0 neg_lo:[1,1,0]
	s_delay_alu instid0(VALU_DEP_2) | instskip(SKIP_1) | instid1(VALU_DEP_3)
	v_dot4_i32_iu8 v80, v186, v82, v80 neg_lo:[1,1,0]
	v_dot4_i32_iu8 v82, v185, v97, 0 neg_lo:[1,1,0]
	;; [unrolled: 1-line block ×4, first 2 shown]
	v_ashrrev_i32_e32 v111, s19, v39
	v_dot4_i32_iu8 v80, v187, v86, v80 neg_lo:[1,1,0]
	v_dot4_i32_iu8 v82, v186, v102, v82 neg_lo:[1,1,0]
	;; [unrolled: 1-line block ×4, first 2 shown]
	v_ashrrev_i32_e32 v112, s19, v40
	v_ashrrev_i32_e32 v185, s18, v43
	v_dot4_i32_iu8 v82, v187, v107, v82 neg_lo:[1,1,0]
	v_dot4_i32_iu8 v180, v188, v180, v72 neg_lo:[1,1,0]
	;; [unrolled: 1-line block ×3, first 2 shown]
	v_ashrrev_i32_e32 v80, s19, v31
	v_dot4_i32_iu8 v86, v187, v115, v97 neg_lo:[1,1,0]
	v_dot4_i32_iu8 v138, v188, v109, v82 neg_lo:[1,1,0]
	v_ashrrev_i32_e32 v82, s19, v32
	ds_load_2addr_b32 v[31:32], v183 offset0:4 offset1:5
	v_ashrrev_i32_e32 v91, s19, v34
	v_dot4_i32_iu8 v113, v188, v116, v86 neg_lo:[1,1,0]
	v_ashrrev_i32_e32 v86, s19, v33
	s_waitcnt vmcnt(0)
	v_add_nc_u32_e32 v33, s19, v66
	v_add_nc_u32_e32 v34, 0x4218, v182
	v_ashrrev_i32_e32 v107, s19, v41
	v_ashrrev_i32_e32 v109, s19, v42
	;; [unrolled: 1-line block ×6, first 2 shown]
	s_waitcnt lgkmcnt(0)
	v_ashrrev_i32_e32 v97, s19, v31
	v_ashrrev_i32_e32 v102, s19, v32
	ds_load_2addr_b32 v[31:32], v184 offset0:4 offset1:5
	v_ashrrev_i32_e32 v184, s19, v190
	v_ashrrev_i32_e32 v190, s18, v36
	v_add_nc_u32_e32 v36, 0x4218, v181
	s_waitcnt lgkmcnt(0)
	v_ashrrev_i32_e32 v115, s19, v31
	scratch_load_b32 v31, off, off offset:124 ; 4-byte Folded Reload
	v_ashrrev_i32_e32 v116, s19, v32
	v_add_nc_u32_e32 v32, 0x4210, v182
	s_add_i32 s19, s19, 2
	s_waitcnt vmcnt(0)
	v_add3_u32 v31, v31, s21, v33
	ds_load_u16 v31, v31 offset:34560
	ds_load_2addr_b32 v[39:40], v32 offset1:1
	ds_load_2addr_b32 v[41:42], v34 offset1:1
	scratch_load_b32 v32, off, off offset:116 ; 4-byte Folded Reload
	v_add_nc_u32_e32 v34, 0x4210, v181
	s_waitcnt lgkmcnt(1)
	v_ashrrev_i32_e32 v182, s18, v39
	s_waitcnt lgkmcnt(0)
	v_ashrrev_i32_e32 v186, s18, v42
	v_ashrrev_i32_e32 v40, s18, v40
	;; [unrolled: 1-line block ×3, first 2 shown]
	s_delay_alu instid0(VALU_DEP_2) | instskip(NEXT) | instid1(VALU_DEP_1)
	v_lshlrev_b32_e32 v40, 2, v40
	v_and_b32_e32 v40, 0x4040404, v40
	s_waitcnt vmcnt(0)
	v_add3_u32 v32, v32, s21, v33
	ds_load_u16 v32, v32 offset:36608
	ds_load_2addr_b32 v[34:35], v34 offset1:1
	ds_load_2addr_b32 v[36:37], v36 offset1:1
	s_waitcnt lgkmcnt(1)
	v_ashrrev_i32_e32 v181, s18, v34
	v_lshlrev_b32_e32 v34, 2, v45
	v_ashrrev_i32_e32 v117, s18, v35
	s_waitcnt lgkmcnt(0)
	v_ashrrev_i32_e32 v121, s18, v36
	v_bfe_u32 v35, v80, 24, 2
	v_ashrrev_i32_e32 v123, s18, v37
	v_and_b32_e32 v34, 0x4040404, v34
	v_lshlrev_b32_e32 v181, 2, v181
	v_lshlrev_b32_e32 v117, 2, v117
	;; [unrolled: 1-line block ×4, first 2 shown]
	v_lshrrev_b32_e32 v36, 24, v34
	v_lshrrev_b32_e32 v37, 16, v34
	v_and_b32_e32 v181, 0x4040404, v181
	v_and_b32_e32 v117, 0x4040404, v117
	;; [unrolled: 1-line block ×3, first 2 shown]
	v_sub_nc_u16 v124, v35, v36
	v_and_b32_e32 v35, 0x3030303, v80
	v_lshrrev_b32_e32 v142, 24, v181
	v_lshrrev_b32_e32 v143, 16, v181
	v_lshrrev_b32_e32 v144, 24, v117
	v_lshrrev_b32_e32 v145, 16, v117
	v_lshrrev_b32_e32 v36, 16, v35
	v_sub_nc_u16 v39, v35, v34
	v_lshrrev_b16 v34, 8, v34
	v_lshrrev_b32_e32 v146, 24, v121
	v_lshrrev_b32_e32 v147, 16, v121
	v_sub_nc_u16 v38, v36, v37
	v_lshrrev_b16 v36, 8, v35
	v_bfe_u32 v35, v82, 24, 2
	v_and_b32_e32 v123, 0x4040404, v123
	v_lshlrev_b16 v124, 8, v124
	s_add_i32 s18, s18, 1
	v_sub_nc_u16 v80, v36, v34
	v_lshlrev_b32_e32 v34, 2, v46
	v_lshrrev_b32_e32 v148, 24, v123
	v_lshrrev_b32_e32 v149, 16, v123
	s_delay_alu instid0(VALU_DEP_4) | instskip(NEXT) | instid1(VALU_DEP_4)
	v_lshlrev_b16 v80, 8, v80
	v_and_b32_e32 v34, 0x4040404, v34
	s_delay_alu instid0(VALU_DEP_1) | instskip(SKIP_1) | instid1(VALU_DEP_2)
	v_lshrrev_b32_e32 v36, 24, v34
	v_lshrrev_b32_e32 v37, 16, v34
	v_sub_nc_u16 v46, v35, v36
	v_and_b32_e32 v35, 0x3030303, v82
	s_delay_alu instid0(VALU_DEP_2) | instskip(NEXT) | instid1(VALU_DEP_2)
	v_lshlrev_b16 v46, 8, v46
	v_lshrrev_b32_e32 v36, 16, v35
	v_sub_nc_u16 v43, v35, v34
	v_lshrrev_b16 v34, 8, v34
	s_delay_alu instid0(VALU_DEP_3) | instskip(SKIP_2) | instid1(VALU_DEP_2)
	v_sub_nc_u16 v42, v36, v37
	v_lshrrev_b16 v36, 8, v35
	v_bfe_u32 v35, v86, 24, 2
	v_sub_nc_u16 v82, v36, v34
	v_lshlrev_b32_e32 v34, 2, v185
	s_delay_alu instid0(VALU_DEP_2) | instskip(NEXT) | instid1(VALU_DEP_2)
	v_lshlrev_b16 v82, 8, v82
	v_and_b32_e32 v34, 0x4040404, v34
	s_delay_alu instid0(VALU_DEP_1) | instskip(SKIP_1) | instid1(VALU_DEP_2)
	v_lshrrev_b32_e32 v36, 24, v34
	v_lshrrev_b32_e32 v37, 16, v34
	v_sub_nc_u16 v185, v35, v36
	v_and_b32_e32 v35, 0x3030303, v86
	s_delay_alu instid0(VALU_DEP_2) | instskip(NEXT) | instid1(VALU_DEP_2)
	v_lshlrev_b16 v185, 8, v185
	v_lshrrev_b32_e32 v36, 16, v35
	v_lshrrev_b16 v45, 8, v35
	s_delay_alu instid0(VALU_DEP_2) | instskip(SKIP_2) | instid1(VALU_DEP_1)
	v_sub_nc_u16 v36, v36, v37
	v_sub_nc_u16 v37, v35, v34
	v_lshrrev_b16 v34, 8, v34
	v_sub_nc_u16 v86, v45, v34
	v_lshlrev_b32_e32 v34, 2, v44
	s_delay_alu instid0(VALU_DEP_2) | instskip(NEXT) | instid1(VALU_DEP_2)
	v_lshlrev_b16 v86, 8, v86
	v_and_b32_e32 v44, 0x4040404, v34
	v_bfe_u32 v34, v91, 24, 2
	s_delay_alu instid0(VALU_DEP_2) | instskip(SKIP_1) | instid1(VALU_DEP_2)
	v_lshrrev_b32_e32 v35, 24, v44
	v_lshrrev_b32_e32 v45, 16, v44
	v_sub_nc_u16 v125, v34, v35
	v_and_b32_e32 v35, 0x3030303, v91
	s_delay_alu instid0(VALU_DEP_2) | instskip(NEXT) | instid1(VALU_DEP_2)
	v_lshlrev_b16 v125, 8, v125
	v_lshrrev_b32_e32 v34, 16, v35
	s_delay_alu instid0(VALU_DEP_1) | instskip(SKIP_3) | instid1(VALU_DEP_1)
	v_sub_nc_u16 v34, v34, v45
	v_lshrrev_b16 v45, 8, v35
	v_sub_nc_u16 v35, v35, v44
	v_lshrrev_b16 v44, 8, v44
	v_sub_nc_u16 v91, v45, v44
	v_lshlrev_b32_e32 v44, 2, v182
	v_bfe_u32 v45, v97, 24, 2
	s_delay_alu instid0(VALU_DEP_3) | instskip(NEXT) | instid1(VALU_DEP_3)
	v_lshlrev_b16 v91, 8, v91
	v_and_b32_e32 v44, 0x4040404, v44
	s_delay_alu instid0(VALU_DEP_1) | instskip(SKIP_1) | instid1(VALU_DEP_2)
	v_lshrrev_b32_e32 v182, 24, v44
	v_lshrrev_b32_e32 v126, 16, v44
	v_sub_nc_u16 v182, v45, v182
	v_and_b32_e32 v45, 0x3030303, v97
	s_delay_alu instid0(VALU_DEP_2) | instskip(NEXT) | instid1(VALU_DEP_2)
	v_lshlrev_b16 v182, 8, v182
	v_lshrrev_b32_e32 v97, 16, v45
	v_sub_nc_u16 v135, v45, v44
	v_lshrrev_b16 v44, 8, v44
	s_delay_alu instid0(VALU_DEP_3) | instskip(SKIP_2) | instid1(VALU_DEP_2)
	v_sub_nc_u16 v97, v97, v126
	v_lshrrev_b16 v126, 8, v45
	v_lshrrev_b32_e32 v45, 24, v40
	v_sub_nc_u16 v126, v126, v44
	v_bfe_u32 v44, v102, 24, 2
	s_delay_alu instid0(VALU_DEP_2) | instskip(NEXT) | instid1(VALU_DEP_2)
	v_lshlrev_b16 v126, 8, v126
	v_sub_nc_u16 v136, v44, v45
	v_and_b32_e32 v44, 0x3030303, v102
	v_lshrrev_b32_e32 v102, 16, v40
	s_delay_alu instid0(VALU_DEP_3) | instskip(NEXT) | instid1(VALU_DEP_3)
	v_lshlrev_b16 v136, 8, v136
	v_lshrrev_b32_e32 v45, 16, v44
	v_sub_nc_u16 v64, v44, v40
	v_lshrrev_b16 v40, 8, v40
	s_delay_alu instid0(VALU_DEP_3) | instskip(SKIP_1) | instid1(VALU_DEP_1)
	v_sub_nc_u16 v102, v45, v102
	v_lshrrev_b16 v45, 8, v44
	v_sub_nc_u16 v83, v45, v40
	v_lshlrev_b32_e32 v40, 2, v41
	v_bfe_u32 v41, v47, 24, 2
	s_delay_alu instid0(VALU_DEP_3) | instskip(NEXT) | instid1(VALU_DEP_3)
	v_lshlrev_b16 v83, 8, v83
	v_and_b32_e32 v40, 0x4040404, v40
	s_delay_alu instid0(VALU_DEP_1) | instskip(SKIP_1) | instid1(VALU_DEP_2)
	v_lshrrev_b32_e32 v44, 24, v40
	v_lshrrev_b32_e32 v45, 16, v40
	v_sub_nc_u16 v78, v41, v44
	v_and_b32_e32 v41, 0x3030303, v47
	s_delay_alu instid0(VALU_DEP_2) | instskip(NEXT) | instid1(VALU_DEP_2)
	v_lshlrev_b16 v78, 8, v78
	v_lshrrev_b32_e32 v44, 16, v41
	v_lshrrev_b16 v47, 8, v41
	s_delay_alu instid0(VALU_DEP_2) | instskip(SKIP_2) | instid1(VALU_DEP_1)
	v_sub_nc_u16 v44, v44, v45
	v_sub_nc_u16 v45, v41, v40
	v_lshrrev_b16 v40, 8, v40
	v_sub_nc_u16 v47, v47, v40
	v_lshlrev_b32_e32 v40, 2, v186
	s_delay_alu instid0(VALU_DEP_2) | instskip(NEXT) | instid1(VALU_DEP_2)
	v_lshlrev_b16 v47, 8, v47
	v_and_b32_e32 v186, 0x4040404, v40
	v_bfe_u32 v40, v48, 24, 2
	s_delay_alu instid0(VALU_DEP_2) | instskip(NEXT) | instid1(VALU_DEP_1)
	v_lshrrev_b32_e32 v41, 24, v186
	v_sub_nc_u16 v79, v40, v41
	v_and_b32_e32 v41, 0x3030303, v48
	v_lshrrev_b32_e32 v48, 16, v186
	s_delay_alu instid0(VALU_DEP_3) | instskip(NEXT) | instid1(VALU_DEP_3)
	v_lshlrev_b16 v79, 8, v79
	v_lshrrev_b32_e32 v40, 16, v41
	s_delay_alu instid0(VALU_DEP_1) | instskip(SKIP_3) | instid1(VALU_DEP_1)
	v_sub_nc_u16 v40, v40, v48
	v_lshrrev_b16 v48, 8, v41
	v_sub_nc_u16 v41, v41, v186
	v_lshrrev_b16 v186, 8, v186
	v_sub_nc_u16 v48, v48, v186
	v_lshlrev_b32_e32 v186, 2, v187
	v_bfe_u32 v187, v107, 24, 2
	v_and_b32_e32 v107, 0x3030303, v107
	s_delay_alu instid0(VALU_DEP_4) | instskip(NEXT) | instid1(VALU_DEP_4)
	v_lshlrev_b16 v48, 8, v48
	v_and_b32_e32 v186, 0x4040404, v186
	s_delay_alu instid0(VALU_DEP_1) | instskip(SKIP_1) | instid1(VALU_DEP_2)
	v_lshrrev_b32_e32 v30, 24, v186
	v_lshrrev_b32_e32 v130, 16, v186
	v_sub_nc_u16 v30, v187, v30
	v_lshrrev_b32_e32 v187, 16, v107
	s_delay_alu instid0(VALU_DEP_2) | instskip(NEXT) | instid1(VALU_DEP_2)
	v_lshlrev_b16 v30, 8, v30
	v_sub_nc_u16 v130, v187, v130
	v_lshrrev_b16 v187, 8, v107
	v_sub_nc_u16 v107, v107, v186
	v_lshrrev_b16 v186, 8, v186
	s_delay_alu instid0(VALU_DEP_1) | instskip(SKIP_3) | instid1(VALU_DEP_4)
	v_sub_nc_u16 v186, v187, v186
	v_lshlrev_b32_e32 v187, 2, v188
	v_bfe_u32 v188, v109, 24, 2
	v_and_b32_e32 v109, 0x3030303, v109
	v_lshlrev_b16 v186, 8, v186
	s_delay_alu instid0(VALU_DEP_4) | instskip(NEXT) | instid1(VALU_DEP_1)
	v_and_b32_e32 v187, 0x4040404, v187
	v_lshrrev_b32_e32 v131, 24, v187
	v_lshrrev_b32_e32 v132, 16, v187
	s_delay_alu instid0(VALU_DEP_2) | instskip(SKIP_1) | instid1(VALU_DEP_2)
	v_sub_nc_u16 v131, v188, v131
	v_lshrrev_b32_e32 v188, 16, v109
	v_lshlrev_b16 v131, 8, v131
	s_delay_alu instid0(VALU_DEP_2) | instskip(SKIP_3) | instid1(VALU_DEP_1)
	v_sub_nc_u16 v132, v188, v132
	v_lshrrev_b16 v188, 8, v109
	v_sub_nc_u16 v109, v109, v187
	v_lshrrev_b16 v187, 8, v187
	v_sub_nc_u16 v187, v188, v187
	v_lshlrev_b32_e32 v188, 2, v189
	v_bfe_u32 v189, v111, 24, 2
	v_and_b32_e32 v111, 0x3030303, v111
	s_delay_alu instid0(VALU_DEP_4) | instskip(NEXT) | instid1(VALU_DEP_4)
	v_lshlrev_b16 v187, 8, v187
	v_and_b32_e32 v188, 0x4040404, v188
	s_delay_alu instid0(VALU_DEP_1) | instskip(SKIP_1) | instid1(VALU_DEP_2)
	v_lshrrev_b32_e32 v56, 24, v188
	v_lshrrev_b32_e32 v139, 16, v188
	v_sub_nc_u16 v56, v189, v56
	v_lshrrev_b32_e32 v189, 16, v111
	s_delay_alu instid0(VALU_DEP_2) | instskip(NEXT) | instid1(VALU_DEP_2)
	v_lshlrev_b16 v56, 8, v56
	v_sub_nc_u16 v139, v189, v139
	v_lshrrev_b16 v189, 8, v111
	v_sub_nc_u16 v111, v111, v188
	v_lshrrev_b16 v188, 8, v188
	s_delay_alu instid0(VALU_DEP_1) | instskip(SKIP_3) | instid1(VALU_DEP_4)
	v_sub_nc_u16 v188, v189, v188
	v_lshlrev_b32_e32 v189, 2, v190
	v_bfe_u32 v190, v112, 24, 2
	v_and_b32_e32 v112, 0x3030303, v112
	v_lshlrev_b16 v188, 8, v188
	s_delay_alu instid0(VALU_DEP_4) | instskip(NEXT) | instid1(VALU_DEP_1)
	v_and_b32_e32 v189, 0x4040404, v189
	v_lshrrev_b32_e32 v140, 24, v189
	v_lshrrev_b32_e32 v141, 16, v189
	s_delay_alu instid0(VALU_DEP_2) | instskip(SKIP_1) | instid1(VALU_DEP_2)
	v_sub_nc_u16 v140, v190, v140
	v_lshrrev_b32_e32 v190, 16, v112
	v_lshlrev_b16 v140, 8, v140
	s_delay_alu instid0(VALU_DEP_2) | instskip(SKIP_3) | instid1(VALU_DEP_1)
	v_sub_nc_u16 v141, v190, v141
	v_lshrrev_b16 v190, 8, v112
	v_sub_nc_u16 v112, v112, v189
	v_lshrrev_b16 v189, 8, v189
	v_sub_nc_u16 v189, v190, v189
	v_bfe_u32 v190, v115, 24, 2
	v_and_b32_e32 v115, 0x3030303, v115
	s_delay_alu instid0(VALU_DEP_3) | instskip(NEXT) | instid1(VALU_DEP_3)
	v_lshlrev_b16 v189, 8, v189
	v_sub_nc_u16 v142, v190, v142
	s_delay_alu instid0(VALU_DEP_3) | instskip(NEXT) | instid1(VALU_DEP_2)
	v_lshrrev_b32_e32 v190, 16, v115
	v_lshlrev_b16 v142, 8, v142
	s_delay_alu instid0(VALU_DEP_2) | instskip(SKIP_3) | instid1(VALU_DEP_1)
	v_sub_nc_u16 v143, v190, v143
	v_lshrrev_b16 v190, 8, v115
	v_sub_nc_u16 v115, v115, v181
	v_lshrrev_b16 v181, 8, v181
	v_sub_nc_u16 v181, v190, v181
	v_bfe_u32 v190, v116, 24, 2
	v_and_b32_e32 v116, 0x3030303, v116
	s_delay_alu instid0(VALU_DEP_3) | instskip(NEXT) | instid1(VALU_DEP_3)
	v_lshlrev_b16 v181, 8, v181
	v_sub_nc_u16 v144, v190, v144
	s_delay_alu instid0(VALU_DEP_3) | instskip(NEXT) | instid1(VALU_DEP_2)
	;; [unrolled: 14-line block ×4, first 2 shown]
	v_lshrrev_b32_e32 v190, 16, v184
	v_lshlrev_b16 v148, 8, v148
	s_delay_alu instid0(VALU_DEP_2) | instskip(SKIP_3) | instid1(VALU_DEP_1)
	v_sub_nc_u16 v149, v190, v149
	v_lshrrev_b16 v190, 8, v184
	v_sub_nc_u16 v184, v184, v123
	v_lshrrev_b16 v123, 8, v123
	v_sub_nc_u16 v123, v190, v123
	v_and_b32_e32 v190, 0xff, v38
	s_delay_alu instid0(VALU_DEP_2) | instskip(NEXT) | instid1(VALU_DEP_2)
	v_lshlrev_b16 v123, 8, v123
	v_or_b32_e32 v124, v190, v124
	v_and_b32_e32 v190, 0xff, v39
	s_delay_alu instid0(VALU_DEP_2) | instskip(NEXT) | instid1(VALU_DEP_2)
	v_perm_b32 v150, v124, v38, 0x5000c0c
	v_or_b32_e32 v80, v190, v80
	v_and_b32_e32 v190, 0xff, v42
	s_delay_alu instid0(VALU_DEP_1) | instskip(SKIP_1) | instid1(VALU_DEP_2)
	v_or_b32_e32 v46, v190, v46
	v_and_b32_e32 v190, 0xff, v43
	v_perm_b32 v151, v46, v42, 0x5000c0c
	s_delay_alu instid0(VALU_DEP_2) | instskip(SKIP_1) | instid1(VALU_DEP_1)
	v_or_b32_e32 v82, v190, v82
	v_and_b32_e32 v190, 0xff, v36
	v_or_b32_e32 v185, v190, v185
	v_and_b32_e32 v190, 0xff, v37
	s_delay_alu instid0(VALU_DEP_2) | instskip(NEXT) | instid1(VALU_DEP_2)
	v_perm_b32 v152, v185, v36, 0x5000c0c
	v_or_b32_e32 v86, v190, v86
	v_and_b32_e32 v190, 0xff, v34
	s_delay_alu instid0(VALU_DEP_1) | instskip(SKIP_1) | instid1(VALU_DEP_2)
	v_or_b32_e32 v125, v190, v125
	v_and_b32_e32 v190, 0xff, v35
	v_perm_b32 v153, v125, v34, 0x5000c0c
	s_delay_alu instid0(VALU_DEP_2) | instskip(SKIP_1) | instid1(VALU_DEP_1)
	v_or_b32_e32 v91, v190, v91
	v_and_b32_e32 v190, 0xff, v97
	;; [unrolled: 13-line block ×4, first 2 shown]
	v_or_b32_e32 v30, v190, v30
	v_and_b32_e32 v190, 0xff, v107
	s_delay_alu instid0(VALU_DEP_2) | instskip(NEXT) | instid1(VALU_DEP_2)
	v_perm_b32 v191, v30, v130, 0x5000c0c
	v_or_b32_e32 v186, v190, v186
	v_and_b32_e32 v190, 0xff, v132
	v_perm_b32 v30, v107, v30, 0x4010c0c
	s_delay_alu instid0(VALU_DEP_2) | instskip(SKIP_1) | instid1(VALU_DEP_2)
	v_or_b32_e32 v131, v190, v131
	v_and_b32_e32 v190, 0xff, v109
	v_perm_b32 v28, v131, v132, 0x5000c0c
	s_delay_alu instid0(VALU_DEP_2) | instskip(SKIP_1) | instid1(VALU_DEP_1)
	v_or_b32_e32 v187, v190, v187
	v_and_b32_e32 v190, 0xff, v139
	v_or_b32_e32 v56, v190, v56
	v_and_b32_e32 v190, 0xff, v111
	s_delay_alu instid0(VALU_DEP_1) | instskip(SKIP_1) | instid1(VALU_DEP_2)
	v_or_b32_e32 v188, v190, v188
	v_and_b32_e32 v190, 0xff, v141
	v_perm_b32 v29, v188, v111, 0xc0c0500
	s_delay_alu instid0(VALU_DEP_2) | instskip(SKIP_1) | instid1(VALU_DEP_2)
	v_or_b32_e32 v140, v190, v140
	v_and_b32_e32 v190, 0xff, v112
	v_perm_b32 v170, v140, v141, 0x5000c0c
	s_delay_alu instid0(VALU_DEP_2) | instskip(SKIP_1) | instid1(VALU_DEP_1)
	v_or_b32_e32 v189, v190, v189
	v_and_b32_e32 v190, 0xff, v143
	v_or_b32_e32 v142, v190, v142
	v_and_b32_e32 v190, 0xff, v115
	s_delay_alu instid0(VALU_DEP_2) | instskip(NEXT) | instid1(VALU_DEP_2)
	v_perm_b32 v171, v142, v143, 0x5000c0c
	v_or_b32_e32 v181, v190, v181
	v_and_b32_e32 v190, 0xff, v145
	s_delay_alu instid0(VALU_DEP_1) | instskip(SKIP_1) | instid1(VALU_DEP_2)
	v_or_b32_e32 v144, v190, v144
	v_and_b32_e32 v190, 0xff, v116
	v_perm_b32 v172, v144, v145, 0x5000c0c
	s_delay_alu instid0(VALU_DEP_2) | instskip(SKIP_1) | instid1(VALU_DEP_1)
	v_or_b32_e32 v117, v190, v117
	v_and_b32_e32 v190, 0xff, v147
	v_or_b32_e32 v146, v190, v146
	v_and_b32_e32 v190, 0xff, v183
	s_delay_alu instid0(VALU_DEP_2) | instskip(NEXT) | instid1(VALU_DEP_2)
	v_perm_b32 v173, v146, v147, 0x5000c0c
	v_or_b32_e32 v121, v190, v121
	v_and_b32_e32 v190, 0xff, v149
	s_delay_alu instid0(VALU_DEP_1) | instskip(SKIP_1) | instid1(VALU_DEP_2)
	v_or_b32_e32 v148, v190, v148
	v_and_b32_e32 v190, 0xff, v184
	v_perm_b32 v175, v148, v149, 0x5000c0c
	s_delay_alu instid0(VALU_DEP_2) | instskip(SKIP_1) | instid1(VALU_DEP_1)
	v_or_b32_e32 v123, v190, v123
	v_perm_b32 v190, v80, v39, 0xc0c0500
	v_or_b32_e32 v150, v150, v190
	v_perm_b32 v190, v82, v43, 0xc0c0500
	s_delay_alu instid0(VALU_DEP_1) | instskip(SKIP_1) | instid1(VALU_DEP_1)
	v_or_b32_e32 v151, v151, v190
	v_perm_b32 v190, v86, v37, 0xc0c0500
	v_or_b32_e32 v152, v152, v190
	v_perm_b32 v190, v91, v35, 0xc0c0500
	s_delay_alu instid0(VALU_DEP_1) | instskip(SKIP_1) | instid1(VALU_DEP_1)
	v_or_b32_e32 v153, v153, v190
	v_perm_b32 v190, v126, v135, 0xc0c0500
	v_or_b32_e32 v154, v154, v190
	v_perm_b32 v190, v83, v64, 0xc0c0500
	s_delay_alu instid0(VALU_DEP_2) | instskip(NEXT) | instid1(VALU_DEP_2)
	v_dot4_i32_iu8 v176, v0, v154, 0 neg_lo:[1,1,0]
	v_or_b32_e32 v155, v155, v190
	v_perm_b32 v190, v47, v45, 0xc0c0500
	s_delay_alu instid0(VALU_DEP_2) | instskip(NEXT) | instid1(VALU_DEP_2)
	v_dot4_i32_iu8 v176, v1, v155, v176 neg_lo:[1,1,0]
	v_or_b32_e32 v169, v169, v190
	v_perm_b32 v190, v48, v41, 0xc0c0500
	s_delay_alu instid0(VALU_DEP_2) | instskip(NEXT) | instid1(VALU_DEP_2)
	v_dot4_i32_iu8 v176, v2, v169, v176 neg_lo:[1,1,0]
	v_or_b32_e32 v174, v174, v190
	v_perm_b32 v190, v186, v107, 0xc0c0500
	s_delay_alu instid0(VALU_DEP_2) | instskip(NEXT) | instid1(VALU_DEP_2)
	v_dot4_i32_iu8 v176, v3, v174, v176 neg_lo:[1,1,0]
	v_or_b32_e32 v190, v191, v190
	v_perm_b32 v191, v187, v109, 0xc0c0500
	s_delay_alu instid0(VALU_DEP_2) | instskip(NEXT) | instid1(VALU_DEP_2)
	v_dot4_i32_iu8 v177, v0, v190, 0 neg_lo:[1,1,0]
	v_or_b32_e32 v28, v28, v191
	v_perm_b32 v191, v56, v139, 0x5000c0c
	s_delay_alu instid0(VALU_DEP_2) | instskip(NEXT) | instid1(VALU_DEP_2)
	v_dot4_i32_iu8 v177, v1, v28, v177 neg_lo:[1,1,0]
	v_or_b32_e32 v29, v191, v29
	v_perm_b32 v191, v189, v112, 0xc0c0500
	s_delay_alu instid0(VALU_DEP_2) | instskip(NEXT) | instid1(VALU_DEP_2)
	v_dot4_i32_iu8 v177, v2, v29, v177 neg_lo:[1,1,0]
	v_or_b32_e32 v170, v170, v191
	v_perm_b32 v191, v181, v115, 0xc0c0500
	s_delay_alu instid0(VALU_DEP_2) | instskip(NEXT) | instid1(VALU_DEP_2)
	v_dot4_i32_iu8 v177, v3, v170, v177 neg_lo:[1,1,0]
	v_or_b32_e32 v171, v171, v191
	v_perm_b32 v191, v117, v116, 0xc0c0500
	s_delay_alu instid0(VALU_DEP_1) | instskip(SKIP_1) | instid1(VALU_DEP_1)
	v_or_b32_e32 v172, v172, v191
	v_perm_b32 v191, v121, v183, 0xc0c0500
	v_or_b32_e32 v173, v173, v191
	v_perm_b32 v191, v123, v184, 0xc0c0500
	s_delay_alu instid0(VALU_DEP_1) | instskip(SKIP_2) | instid1(VALU_DEP_2)
	v_or_b32_e32 v175, v175, v191
	v_dot4_i32_iu8 v191, v0, v150, 0 neg_lo:[1,1,0]
	v_dot4_i32_iu8 v0, v0, v171, 0 neg_lo:[1,1,0]
	;; [unrolled: 1-line block ×3, first 2 shown]
	s_delay_alu instid0(VALU_DEP_2) | instskip(NEXT) | instid1(VALU_DEP_2)
	v_dot4_i32_iu8 v0, v1, v172, v0 neg_lo:[1,1,0]
	v_dot4_i32_iu8 v1, v2, v152, v191 neg_lo:[1,1,0]
	s_delay_alu instid0(VALU_DEP_2) | instskip(SKIP_1) | instid1(VALU_DEP_3)
	v_dot4_i32_iu8 v0, v2, v173, v0 neg_lo:[1,1,0]
	v_dot4_i32_iu8 v2, v4, v190, 0 neg_lo:[1,1,0]
	;; [unrolled: 1-line block ×3, first 2 shown]
	s_delay_alu instid0(VALU_DEP_3) | instskip(SKIP_4) | instid1(VALU_DEP_4)
	v_dot4_i32_iu8 v178, v3, v175, v0 neg_lo:[1,1,0]
	v_dot4_i32_iu8 v0, v4, v150, 0 neg_lo:[1,1,0]
	;; [unrolled: 1-line block ×6, first 2 shown]
	s_delay_alu instid0(VALU_DEP_4) | instskip(NEXT) | instid1(VALU_DEP_4)
	v_dot4_i32_iu8 v1, v5, v155, v1 neg_lo:[1,1,0]
	v_dot4_i32_iu8 v3, v5, v172, v3 neg_lo:[1,1,0]
	s_delay_alu instid0(VALU_DEP_4) | instskip(NEXT) | instid1(VALU_DEP_4)
	v_dot4_i32_iu8 v2, v6, v29, v2 neg_lo:[1,1,0]
	v_dot4_i32_iu8 v0, v6, v152, v0 neg_lo:[1,1,0]
	;; [unrolled: 3-line block ×3, first 2 shown]
	s_delay_alu instid0(VALU_DEP_4)
	v_dot4_i32_iu8 v158, v7, v170, v2 neg_lo:[1,1,0]
	v_dot4_i32_iu8 v2, v8, v190, 0 neg_lo:[1,1,0]
	v_dot4_i32_iu8 v156, v7, v153, v0 neg_lo:[1,1,0]
	v_dot4_i32_iu8 v157, v7, v174, v1 neg_lo:[1,1,0]
	v_dot4_i32_iu8 v159, v7, v175, v3 neg_lo:[1,1,0]
	v_dot4_i32_iu8 v0, v8, v150, 0 neg_lo:[1,1,0]
	v_dot4_i32_iu8 v1, v8, v154, 0 neg_lo:[1,1,0]
	v_dot4_i32_iu8 v3, v8, v171, 0 neg_lo:[1,1,0]
	v_dot4_i32_iu8 v2, v9, v28, v2 neg_lo:[1,1,0]
	s_delay_alu instid0(VALU_DEP_4) | instskip(NEXT) | instid1(VALU_DEP_4)
	v_dot4_i32_iu8 v0, v9, v151, v0 neg_lo:[1,1,0]
	v_dot4_i32_iu8 v1, v9, v155, v1 neg_lo:[1,1,0]
	s_delay_alu instid0(VALU_DEP_4) | instskip(NEXT) | instid1(VALU_DEP_4)
	v_dot4_i32_iu8 v3, v9, v172, v3 neg_lo:[1,1,0]
	v_dot4_i32_iu8 v2, v10, v29, v2 neg_lo:[1,1,0]
	s_delay_alu instid0(VALU_DEP_4) | instskip(NEXT) | instid1(VALU_DEP_4)
	v_dot4_i32_iu8 v0, v10, v152, v0 neg_lo:[1,1,0]
	v_dot4_i32_iu8 v1, v10, v169, v1 neg_lo:[1,1,0]
	s_delay_alu instid0(VALU_DEP_4) | instskip(NEXT) | instid1(VALU_DEP_4)
	v_dot4_i32_iu8 v3, v10, v173, v3 neg_lo:[1,1,0]
	v_dot4_i32_iu8 v161, v11, v170, v2 neg_lo:[1,1,0]
	v_dot4_i32_iu8 v2, v12, v190, 0 neg_lo:[1,1,0]
	v_dot4_i32_iu8 v8, v11, v153, v0 neg_lo:[1,1,0]
	v_dot4_i32_iu8 v160, v11, v174, v1 neg_lo:[1,1,0]
	v_dot4_i32_iu8 v162, v11, v175, v3 neg_lo:[1,1,0]
	v_dot4_i32_iu8 v0, v12, v150, 0 neg_lo:[1,1,0]
	v_dot4_i32_iu8 v1, v12, v154, 0 neg_lo:[1,1,0]
	v_dot4_i32_iu8 v3, v12, v171, 0 neg_lo:[1,1,0]
	v_dot4_i32_iu8 v2, v13, v28, v2 neg_lo:[1,1,0]
	s_delay_alu instid0(VALU_DEP_4) | instskip(NEXT) | instid1(VALU_DEP_4)
	v_dot4_i32_iu8 v0, v13, v151, v0 neg_lo:[1,1,0]
	v_dot4_i32_iu8 v1, v13, v155, v1 neg_lo:[1,1,0]
	s_delay_alu instid0(VALU_DEP_4) | instskip(NEXT) | instid1(VALU_DEP_4)
	v_dot4_i32_iu8 v3, v13, v172, v3 neg_lo:[1,1,0]
	v_dot4_i32_iu8 v2, v14, v29, v2 neg_lo:[1,1,0]
	s_delay_alu instid0(VALU_DEP_4) | instskip(NEXT) | instid1(VALU_DEP_4)
	v_dot4_i32_iu8 v0, v14, v152, v0 neg_lo:[1,1,0]
	v_dot4_i32_iu8 v1, v14, v169, v1 neg_lo:[1,1,0]
	s_delay_alu instid0(VALU_DEP_4) | instskip(NEXT) | instid1(VALU_DEP_4)
	v_dot4_i32_iu8 v3, v14, v173, v3 neg_lo:[1,1,0]
	;; [unrolled: 20-line block ×4, first 2 shown]
	v_dot4_i32_iu8 v168, v23, v170, v2 neg_lo:[1,1,0]
	v_dot4_i32_iu8 v2, v24, v190, 0 neg_lo:[1,1,0]
	;; [unrolled: 1-line block ×9, first 2 shown]
	v_perm_b32 v22, v210, v243, 0xc0c0401
	v_dot4_i32_iu8 v0, v25, v151, v0 neg_lo:[1,1,0]
	v_dot4_i32_iu8 v1, v25, v155, v1 neg_lo:[1,1,0]
	;; [unrolled: 1-line block ×4, first 2 shown]
	v_perm_b32 v23, v211, v255, 0x4010c0c
	v_dot4_i32_iu8 v0, v26, v152, v0 neg_lo:[1,1,0]
	v_dot4_i32_iu8 v1, v26, v169, v1 neg_lo:[1,1,0]
	;; [unrolled: 1-line block ×4, first 2 shown]
	v_perm_b32 v24, v212, v238, 0xc0c0401
	v_dot4_i32_iu8 v12, v27, v153, v0 neg_lo:[1,1,0]
	v_dot4_i32_iu8 v18, v27, v174, v1 neg_lo:[1,1,0]
	;; [unrolled: 1-line block ×3, first 2 shown]
	ds_load_b128 v[0:3], v192
	ds_load_b128 v[4:7], v192 offset:16
	s_clause 0x1
	scratch_load_b32 v15, off, off
	scratch_load_b32 v19, off, off offset:4
	v_perm_b32 v25, v213, v242, 0x4010c0c
	v_perm_b32 v27, v218, v231, 0xc0c0401
	v_add_nc_u32_e32 v192, 32, v192
	s_waitcnt lgkmcnt(1)
	v_perm_b32 v13, v0, v0, 0x30201
	v_perm_b32 v14, v1, v1, 0x30201
	s_clause 0x1
	scratch_load_b32 v0, off, off offset:128
	scratch_load_b32 v1, off, off offset:120
	s_waitcnt lgkmcnt(0)
	v_perm_b32 v4, v4, v4, 0x30201
	v_perm_b32 v5, v5, v5, 0x30201
	;; [unrolled: 1-line block ×6, first 2 shown]
	s_waitcnt vmcnt(3)
	v_add_nc_u32_e32 v15, s20, v15
	s_waitcnt vmcnt(2)
	v_add_nc_u32_e32 v19, s20, v19
	s_add_i32 s20, s1, s19
	s_delay_alu instid0(SALU_CYCLE_1)
	s_cmp_lt_u32 s20, s15
	ds_load_b32 v15, v15
	s_waitcnt vmcnt(1)
	v_add3_u32 v0, v0, s21, v33
	s_waitcnt vmcnt(0)
	v_add3_u32 v1, v1, s21, v33
	ds_load_b32 v19, v19
	ds_load_u16 v20, v0 offset:33536
	ds_load_u16 v21, v1 offset:35584
	ds_load_2addr_b32 v[0:1], v247 offset1:32
	v_perm_b32 v33, v219, v234, 0x4010c0c
	s_waitcnt lgkmcnt(0)
	v_mul_f32_e32 v29, v0, v194
	v_mul_f32_e32 v150, v0, v15
	v_mul_f32_e32 v151, v0, v195
	v_dual_mul_f32 v152, v0, v19 :: v_dual_mul_f32 v153, v194, v1
	v_mul_f32_e32 v154, v15, v1
	v_mul_f32_e32 v155, v195, v1
	v_mul_f32_e32 v169, v19, v1
	ds_load_2addr_b32 v[0:1], v247 offset0:64 offset1:96
	s_waitcnt lgkmcnt(0)
	v_mul_f32_e32 v170, v194, v0
	v_mul_f32_e32 v171, v15, v0
	v_mul_f32_e32 v172, v195, v0
	v_dual_mul_f32 v173, v19, v0 :: v_dual_mul_f32 v174, v194, v1
	v_mul_f32_e32 v175, v15, v1
	v_mul_f32_e32 v190, v195, v1
	v_mul_f32_e32 v50, v19, v1
	ds_load_2addr_b32 v[0:1], v247 offset0:128 offset1:160
	s_waitcnt lgkmcnt(0)
	v_mul_f32_e32 v51, v194, v0
	v_mul_f32_e32 v52, v15, v0
	v_mul_f32_e32 v53, v195, v0
	v_dual_mul_f32 v54, v19, v0 :: v_dual_mul_f32 v57, v194, v1
	v_mul_f32_e32 v58, v15, v1
	v_mul_f32_e32 v59, v195, v1
	v_mul_f32_e32 v60, v19, v1
	ds_load_2addr_b32 v[0:1], v247 offset0:192 offset1:224
	v_add_nc_u32_e32 v247, 4, v247
	s_waitcnt lgkmcnt(0)
	v_mul_f32_e32 v61, v194, v0
	v_mul_f32_e32 v194, v194, v1
	;; [unrolled: 1-line block ×8, first 2 shown]
	s_clause 0x1
	scratch_load_b32 v0, off, off offset:112
	scratch_load_b32 v1, off, off offset:108
	v_perm_b32 v15, v204, v251, 0xc0c0401
	v_perm_b32 v19, v205, v248, 0x4010c0c
	s_waitcnt vmcnt(1)
	v_perm_b32 v0, v202, v0, 0xc0c0401
	s_waitcnt vmcnt(0)
	v_perm_b32 v1, v203, v1, 0x4010c0c
	s_delay_alu instid0(VALU_DEP_1)
	v_or_b32_e32 v0, v1, v0
	v_or_b32_e32 v1, v19, v15
	;; [unrolled: 1-line block ×8, first 2 shown]
	v_dot4_i32_iu8 v0, v0, v13, 0 neg_lo:[1,1,0]
	v_dot4_i32_iu8 v15, v15, v13, 0 neg_lo:[1,1,0]
	;; [unrolled: 1-line block ×4, first 2 shown]
	v_perm_b32 v24, v97, v126, 0xc0c0401
	v_dot4_i32_iu8 v0, v1, v14, v0 neg_lo:[1,1,0]
	v_dot4_i32_iu8 v1, v19, v14, v15 neg_lo:[1,1,0]
	;; [unrolled: 1-line block ×4, first 2 shown]
	v_perm_b32 v14, v38, v80, 0xc0c0401
	v_perm_b32 v19, v39, v124, 0x4010c0c
	;; [unrolled: 1-line block ×14, first 2 shown]
	v_or_b32_e32 v14, v19, v14
	v_or_b32_e32 v19, v23, v22
	;; [unrolled: 1-line block ×8, first 2 shown]
	v_dot4_i32_iu8 v14, v14, v4, 0 neg_lo:[1,1,0]
	v_dot4_i32_iu8 v22, v22, v4, 0 neg_lo:[1,1,0]
	;; [unrolled: 1-line block ×4, first 2 shown]
	scratch_load_b32 v27, off, off offset:104 ; 4-byte Folded Reload
	v_dot4_i32_iu8 v14, v19, v5, v14 neg_lo:[1,1,0]
	v_dot4_i32_iu8 v19, v23, v5, v22 neg_lo:[1,1,0]
	;; [unrolled: 1-line block ×4, first 2 shown]
	s_clause 0x4
	scratch_load_b32 v30, off, off offset:100
	scratch_load_b32 v5, off, off offset:80
	;; [unrolled: 1-line block ×5, first 2 shown]
	v_perm_b32 v33, v222, v253, 0xc0c0401
	v_perm_b32 v38, v223, v252, 0x4010c0c
	v_mov_b32_e32 v89, v90
	scratch_load_b32 v90, off, off offset:48 ; 4-byte Folded Reload
	v_mov_b32_e32 v87, v133
	v_dual_mov_b32 v83, v229 :: v_dual_mov_b32 v82, v55
	v_mov_b32_e32 v81, v230
	v_mov_b32_e32 v229, v67
	s_waitcnt vmcnt(6)
	v_perm_b32 v27, v214, v27, 0xc0c0401
	s_waitcnt vmcnt(5)
	v_perm_b32 v30, v215, v30, 0x4010c0c
	;; [unrolled: 2-line block ×6, first 2 shown]
	s_delay_alu instid0(VALU_DEP_2) | instskip(NEXT) | instid1(VALU_DEP_2)
	v_or_b32_e32 v5, v23, v5
	v_or_b32_e32 v23, v25, v24
	;; [unrolled: 1-line block ×4, first 2 shown]
	v_perm_b32 v27, v111, v56, 0x4010c0c
	v_dot4_i32_iu8 v0, v5, v2, v0 neg_lo:[1,1,0]
	v_dot4_i32_iu8 v1, v23, v2, v1 neg_lo:[1,1,0]
	;; [unrolled: 1-line block ×4, first 2 shown]
	v_perm_b32 v13, v36, v86, 0xc0c0401
	v_perm_b32 v15, v37, v185, 0x4010c0c
	;; [unrolled: 1-line block ×7, first 2 shown]
	v_or_b32_e32 v13, v15, v13
	v_or_b32_e32 v15, v24, v23
	;; [unrolled: 1-line block ×3, first 2 shown]
	scratch_load_b32 v25, off, off offset:68 ; 4-byte Folded Reload
	v_or_b32_e32 v24, v33, v30
	v_dot4_i32_iu8 v13, v13, v6, v14 neg_lo:[1,1,0]
	v_dot4_i32_iu8 v14, v15, v6, v19 neg_lo:[1,1,0]
	;; [unrolled: 1-line block ×3, first 2 shown]
	scratch_load_b32 v22, off, off offset:64 ; 4-byte Folded Reload
	v_dot4_i32_iu8 v4, v24, v6, v4 neg_lo:[1,1,0]
	s_clause 0x5
	scratch_load_b32 v6, off, off offset:56
	scratch_load_b32 v23, off, off offset:60
	;; [unrolled: 1-line block ×6, first 2 shown]
	v_bfe_i32 v37, v32, 0, 8
	v_mov_b32_e32 v56, v85
	v_mov_b32_e32 v86, v88
	;; [unrolled: 1-line block ×4, first 2 shown]
	s_waitcnt vmcnt(7)
	v_perm_b32 v25, v209, v25, 0x4010c0c
	s_waitcnt vmcnt(6)
	v_perm_b32 v22, v200, v22, 0xc0c0401
	;; [unrolled: 2-line block ×8, first 2 shown]
	v_or_b32_e32 v6, v19, v6
	v_or_b32_e32 v19, v23, v22
	;; [unrolled: 1-line block ×3, first 2 shown]
	s_delay_alu instid0(VALU_DEP_4)
	v_or_b32_e32 v23, v30, v27
	v_perm_b32 v24, v149, v123, 0xc0c0401
	v_dot4_i32_iu8 v0, v6, v3, v0 neg_lo:[1,1,0]
	v_dot4_i32_iu8 v19, v19, v3, v1 neg_lo:[1,1,0]
	;; [unrolled: 1-line block ×4, first 2 shown]
	v_perm_b32 v1, v34, v91, 0xc0c0401
	v_perm_b32 v2, v35, v125, 0x4010c0c
	;; [unrolled: 1-line block ×6, first 2 shown]
	v_or_b32_e32 v1, v2, v1
	v_perm_b32 v25, v184, v148, 0x4010c0c
	v_or_b32_e32 v2, v5, v3
	v_mov_b32_e32 v79, v227
	v_or_b32_e32 v3, v23, v6
	v_dot4_i32_iu8 v6, v1, v7, v13 neg_lo:[1,1,0]
	v_lshrrev_b16 v1, 8, v20
	v_dot4_i32_iu8 v13, v2, v7, v14 neg_lo:[1,1,0]
	v_bfe_i32 v14, v20, 0, 8
	v_dot4_i32_iu8 v23, v3, v7, v15 neg_lo:[1,1,0]
	v_or_b32_e32 v5, v25, v24
	v_bfe_i32 v15, v1, 0, 8
	v_bfe_i32 v20, v31, 0, 8
	v_mul_lo_u32 v0, v0, v14
	v_bfe_i32 v25, v21, 0, 8
	v_dot4_i32_iu8 v30, v5, v7, v4 neg_lo:[1,1,0]
	s_delay_alu instid0(VALU_DEP_3) | instskip(SKIP_1) | instid1(VALU_DEP_1)
	v_mad_u64_u32 v[1:2], null, v6, v15, v[0:1]
	v_mul_lo_u32 v0, v108, v14
	v_mad_u64_u32 v[2:3], null, v191, v15, v[0:1]
	v_mul_lo_u32 v0, v95, v14
	s_delay_alu instid0(VALU_DEP_1) | instskip(SKIP_1) | instid1(VALU_DEP_1)
	v_mad_u64_u32 v[3:4], null, v156, v15, v[0:1]
	v_mul_lo_u32 v0, v105, v14
	v_mad_u64_u32 v[4:5], null, v8, v15, v[0:1]
	v_mul_lo_u32 v0, v134, v14
	s_delay_alu instid0(VALU_DEP_1) | instskip(SKIP_1) | instid1(VALU_DEP_1)
	;; [unrolled: 5-line block ×3, first 2 shown]
	v_mad_u64_u32 v[7:8], null, v11, v15, v[0:1]
	v_mul_lo_u32 v0, v180, v14
	v_mad_u64_u32 v[8:9], null, v12, v15, v[0:1]
	v_lshrrev_b16 v0, 8, v31
	s_delay_alu instid0(VALU_DEP_1) | instskip(SKIP_1) | instid1(VALU_DEP_1)
	v_bfe_i32 v24, v0, 0, 8
	v_mul_lo_u32 v0, v19, v20
	v_mad_u64_u32 v[9:10], null, v13, v24, v[0:1]
	v_mul_lo_u32 v0, v250, v20
	s_delay_alu instid0(VALU_DEP_1) | instskip(SKIP_1) | instid1(VALU_DEP_1)
	v_mad_u64_u32 v[10:11], null, v176, v24, v[0:1]
	v_mul_lo_u32 v0, v110, v20
	v_mad_u64_u32 v[11:12], null, v157, v24, v[0:1]
	v_mul_lo_u32 v0, v93, v20
	s_delay_alu instid0(VALU_DEP_1) | instskip(SKIP_1) | instid1(VALU_DEP_1)
	v_mad_u64_u32 v[12:13], null, v160, v24, v[0:1]
	;; [unrolled: 5-line block ×3, first 2 shown]
	v_mul_lo_u32 v0, v69, v20
	v_mad_u64_u32 v[15:16], null, v17, v24, v[0:1]
	v_mul_lo_u32 v0, v72, v20
	v_mov_b32_e32 v72, v245
	s_delay_alu instid0(VALU_DEP_2) | instskip(SKIP_1) | instid1(VALU_DEP_1)
	v_mad_u64_u32 v[16:17], null, v18, v24, v[0:1]
	v_lshrrev_b16 v0, 8, v21
	v_bfe_i32 v31, v0, 0, 8
	v_mul_lo_u32 v0, v22, v25
	s_delay_alu instid0(VALU_DEP_1) | instskip(SKIP_1) | instid1(VALU_DEP_1)
	v_mad_u64_u32 v[17:18], null, v23, v31, v[0:1]
	v_mul_lo_u32 v0, v241, v25
	v_mad_u64_u32 v[18:19], null, v177, v31, v[0:1]
	v_mul_lo_u32 v0, v249, v25
	s_delay_alu instid0(VALU_DEP_1) | instskip(SKIP_1) | instid1(VALU_DEP_1)
	v_mad_u64_u32 v[19:20], null, v158, v31, v[0:1]
	v_mul_lo_u32 v0, v118, v25
	v_mad_u64_u32 v[20:21], null, v161, v31, v[0:1]
	;; [unrolled: 5-line block ×4, first 2 shown]
	v_lshrrev_b16 v0, 8, v32
	s_delay_alu instid0(VALU_DEP_1) | instskip(SKIP_1) | instid1(VALU_DEP_1)
	v_bfe_i32 v38, v0, 0, 8
	v_mul_lo_u32 v0, v27, v37
	v_mad_u64_u32 v[25:26], null, v30, v38, v[0:1]
	v_mul_lo_u32 v0, v237, v37
	v_mov_b32_e32 v30, v74
	v_mov_b32_e32 v74, v240
	s_delay_alu instid0(VALU_DEP_3) | instskip(SKIP_1) | instid1(VALU_DEP_1)
	v_mad_u64_u32 v[26:27], null, v178, v38, v[0:1]
	v_mul_lo_u32 v0, v239, v37
	v_mad_u64_u32 v[31:32], null, v159, v38, v[0:1]
	v_mul_lo_u32 v0, v246, v37
	s_delay_alu instid0(VALU_DEP_1) | instskip(SKIP_1) | instid1(VALU_DEP_1)
	v_mad_u64_u32 v[32:33], null, v162, v38, v[0:1]
	v_mul_lo_u32 v0, v254, v37
	v_mad_u64_u32 v[33:34], null, v165, v38, v[0:1]
	v_mul_lo_u32 v0, v106, v37
	s_delay_alu instid0(VALU_DEP_1) | instskip(SKIP_1) | instid1(VALU_DEP_1)
	v_mad_u64_u32 v[34:35], null, v167, v38, v[0:1]
	v_mul_lo_u32 v0, v101, v37
	v_mad_u64_u32 v[35:36], null, v49, v38, v[0:1]
	v_mul_lo_u32 v0, v113, v37
	v_mov_b32_e32 v49, v75
	v_mov_b32_e32 v75, v244
	s_delay_alu instid0(VALU_DEP_3) | instskip(SKIP_2) | instid1(VALU_DEP_2)
	v_mad_u64_u32 v[36:37], null, v28, v38, v[0:1]
	v_cvt_f32_i32_e32 v0, v1
	v_mov_b32_e32 v28, v71
	v_fmac_f32_e32 v56, v29, v0
	v_cvt_f32_i32_e32 v0, v9
	v_mov_b32_e32 v29, v73
	v_mov_b32_e32 v73, v236
	s_delay_alu instid0(VALU_DEP_3) | instskip(SKIP_1) | instid1(VALU_DEP_1)
	v_fmac_f32_e32 v75, v150, v0
	v_cvt_f32_i32_e32 v0, v17
	v_fmac_f32_e32 v89, v151, v0
	v_cvt_f32_i32_e32 v0, v25
	s_delay_alu instid0(VALU_DEP_1) | instskip(SKIP_1) | instid1(VALU_DEP_1)
	v_fmac_f32_e32 v74, v152, v0
	v_cvt_f32_i32_e32 v0, v2
	v_fmac_f32_e32 v88, v153, v0
	v_cvt_f32_i32_e32 v0, v10
	s_delay_alu instid0(VALU_DEP_1) | instskip(SKIP_1) | instid1(VALU_DEP_1)
	v_fmac_f32_e32 v87, v154, v0
	v_cvt_f32_i32_e32 v0, v18
	v_fmac_f32_e32 v73, v155, v0
	v_cvt_f32_i32_e32 v0, v26
	s_delay_alu instid0(VALU_DEP_1) | instskip(SKIP_1) | instid1(VALU_DEP_1)
	v_fmac_f32_e32 v86, v169, v0
	v_cvt_f32_i32_e32 v0, v3
	v_fmac_f32_e32 v235, v170, v0
	v_cvt_f32_i32_e32 v0, v11
	s_delay_alu instid0(VALU_DEP_1) | instskip(SKIP_1) | instid1(VALU_DEP_1)
	v_fmac_f32_e32 v83, v171, v0
	v_cvt_f32_i32_e32 v0, v19
	v_fmac_f32_e32 v82, v172, v0
	v_cvt_f32_i32_e32 v0, v31
	s_delay_alu instid0(VALU_DEP_1) | instskip(SKIP_1) | instid1(VALU_DEP_1)
	v_fmac_f32_e32 v81, v173, v0
	v_cvt_f32_i32_e32 v0, v4
	v_fmac_f32_e32 v229, v174, v0
	v_cvt_f32_i32_e32 v0, v12
	s_delay_alu instid0(VALU_DEP_1) | instskip(SKIP_1) | instid1(VALU_DEP_1)
	v_fmac_f32_e32 v79, v175, v0
	v_cvt_f32_i32_e32 v0, v20
	v_fmac_f32_e32 v78, v190, v0
	v_cvt_f32_i32_e32 v0, v32
	s_delay_alu instid0(VALU_DEP_1)
	v_fmac_f32_e32 v224, v50, v0
	v_cvt_f32_i32_e32 v0, v5
	v_mov_b32_e32 v50, v76
	scratch_load_b32 v76, off, off offset:36 ; 4-byte Folded Reload
	v_fmac_f32_e32 v193, v51, v0
	v_cvt_f32_i32_e32 v0, v13
	v_mov_b32_e32 v51, v77
	scratch_load_b32 v77, off, off offset:40 ; 4-byte Folded Reload
	;; [unrolled: 4-line block ×3, first 2 shown]
	v_fmac_f32_e32 v72, v53, v0
	v_cvt_f32_i32_e32 v0, v33
	v_mov_b32_e32 v53, v96
	s_delay_alu instid0(VALU_DEP_2) | instskip(SKIP_1) | instid1(VALU_DEP_1)
	v_fmac_f32_e32 v127, v54, v0
	v_cvt_f32_i32_e32 v0, v6
	v_fmac_f32_e32 v122, v57, v0
	v_cvt_f32_i32_e32 v0, v14
	s_delay_alu instid0(VALU_DEP_1) | instskip(SKIP_1) | instid1(VALU_DEP_1)
	v_fmac_f32_e32 v120, v58, v0
	v_cvt_f32_i32_e32 v0, v22
	v_fmac_f32_e32 v119, v59, v0
	v_cvt_f32_i32_e32 v0, v34
	scratch_load_b32 v59, off, off offset:12 ; 4-byte Folded Reload
	v_fmac_f32_e32 v114, v60, v0
	scratch_load_b32 v60, off, off offset:16 ; 4-byte Folded Reload
	v_cvt_f32_i32_e32 v0, v7
	s_delay_alu instid0(VALU_DEP_1) | instskip(SKIP_2) | instid1(VALU_DEP_1)
	v_fmac_f32_e32 v53, v61, v0
	scratch_load_b32 v61, off, off offset:20 ; 4-byte Folded Reload
	v_cvt_f32_i32_e32 v0, v15
	v_fmac_f32_e32 v52, v62, v0
	scratch_load_b32 v62, off, off offset:24 ; 4-byte Folded Reload
	v_cvt_f32_i32_e32 v0, v23
	s_delay_alu instid0(VALU_DEP_1) | instskip(SKIP_1) | instid1(VALU_DEP_1)
	v_fmac_f32_e32 v51, v65, v0
	v_cvt_f32_i32_e32 v0, v35
	v_fmac_f32_e32 v50, v66, v0
	v_cvt_f32_i32_e32 v0, v8
	s_delay_alu instid0(VALU_DEP_1) | instskip(SKIP_1) | instid1(VALU_DEP_1)
	v_fmac_f32_e32 v49, v194, v0
	v_cvt_f32_i32_e32 v0, v16
	v_fmac_f32_e32 v30, v63, v0
	scratch_load_b32 v63, off, off offset:28 ; 4-byte Folded Reload
	v_cvt_f32_i32_e32 v0, v24
	s_delay_alu instid0(VALU_DEP_1) | instskip(SKIP_1) | instid1(VALU_DEP_1)
	v_fmac_f32_e32 v29, v195, v0
	v_cvt_f32_i32_e32 v0, v36
	v_fmac_f32_e32 v28, v68, v0
	s_clause 0x1
	scratch_load_b32 v68, off, off offset:32
	scratch_load_b32 v66, off, off offset:8
	s_cbranch_scc1 .LBB149_10
; %bb.11:                               ;   in Loop: Header=BB149_8 Depth=2
	scratch_load_b32 v0, off, off offset:152 ; 4-byte Folded Reload
	s_waitcnt vmcnt(0)
	s_waitcnt_vscnt null, 0x0
	s_barrier
	buffer_gl0_inv
	s_add_i32 s14, s14, 2
	s_mov_b32 s17, 4
	s_lshl_b32 s18, s14, 3
	scratch_load_b64 v[19:20], off, off offset:156 ; 8-byte Folded Reload
	v_lshl_add_u32 v0, s16, 5, v0
	s_delay_alu instid0(VALU_DEP_1) | instskip(NEXT) | instid1(VALU_DEP_1)
	v_lshrrev_b32_e32 v0, 3, v0
	v_add_nc_u32_e32 v12, s0, v0
	scratch_load_b32 v0, off, off offset:148 ; 4-byte Folded Reload
	s_waitcnt vmcnt(0)
	v_lshl_add_u32 v13, s16, 2, v0
	scratch_load_b32 v0, off, off offset:168 ; 4-byte Folded Reload
	s_mov_b32 s16, 0
	s_waitcnt vmcnt(0)
	v_add_nc_u32_e32 v2, v12, v0
	scratch_load_b32 v0, off, off offset:176 ; 4-byte Folded Reload
	s_waitcnt vmcnt(0)
	v_add_nc_u32_e32 v4, v12, v0
	scratch_load_b32 v0, off, off offset:184 ; 4-byte Folded Reload
	;; [unrolled: 3-line block ×4, first 2 shown]
	s_waitcnt vmcnt(0)
	v_add_nc_u32_e32 v10, v12, v0
	v_mad_i64_i32 v[0:1], null, v2, 36, v[19:20]
	v_mad_i64_i32 v[2:3], null, v4, 36, v[19:20]
	;; [unrolled: 1-line block ×5, first 2 shown]
	scratch_load_b32 v10, off, off offset:208 ; 4-byte Folded Reload
	s_waitcnt vmcnt(0)
	v_add_nc_u32_e32 v14, v12, v10
	scratch_load_b32 v10, off, off offset:216 ; 4-byte Folded Reload
	s_waitcnt vmcnt(0)
	v_add_nc_u32_e32 v16, v12, v10
	v_mad_u64_u32 v[10:11], null, v13, 36, s[2:3]
	scratch_load_b32 v13, off, off offset:224 ; 4-byte Folded Reload
	s_waitcnt vmcnt(0)
	v_add_nc_u32_e32 v18, v12, v13
	v_mad_i64_i32 v[12:13], null, v14, 36, v[19:20]
	v_mad_i64_i32 v[14:15], null, v16, 36, v[19:20]
	s_delay_alu instid0(VALU_DEP_3)
	v_mad_i64_i32 v[16:17], null, v18, 36, v[19:20]
	s_clause 0x8
	global_load_b32 v10, v[10:11], off
	global_load_b32 v2, v[2:3], off offset:4
	global_load_b32 v3, v[4:5], off offset:4
	;; [unrolled: 1-line block ×8, first 2 shown]
	s_clause 0x2
	scratch_load_b32 v192, off, off offset:236
	scratch_load_b32 v236, off, off offset:232
	scratch_load_b32 v9, off, off offset:180
	s_waitcnt vmcnt(11)
	v_cvt_f32_f16_e32 v1, v10
	s_waitcnt vmcnt(0)
	ds_store_b32 v9, v2
	scratch_load_b32 v2, off, off offset:188 ; 4-byte Folded Reload
	s_waitcnt vmcnt(0)
	ds_store_b32 v2, v3
	scratch_load_b32 v2, off, off offset:196 ; 4-byte Folded Reload
	;; [unrolled: 3-line block ×8, first 2 shown]
	s_waitcnt vmcnt(0)
	ds_store_b32 v0, v1
	s_waitcnt lgkmcnt(0)
	s_barrier
	buffer_gl0_inv
.LBB149_12:                             ;   Parent Loop BB149_6 Depth=1
                                        ;     Parent Loop BB149_8 Depth=2
                                        ; =>    This Inner Loop Header: Depth=3
	s_add_i32 s20, s1, s16
	s_clause 0x5
	scratch_store_b32 off, v28, off offset:72
	scratch_store_b32 off, v127, off offset:68
	;; [unrolled: 1-line block ×6, first 2 shown]
	s_add_i32 s20, s20, 8
	v_mov_b32_e32 v137, v224
	s_and_b32 s19, s20, 0x3ffffff8
	s_lshr_b32 s21, s20, 4
	s_lshl_b32 s19, s19, 2
	s_lshl_b32 s20, s21, 2
	v_add_nc_u32_e32 v4, s19, v60
	v_dual_mov_b32 v110, v50 :: v_dual_add_nc_u32 v183, s19, v63
	v_dual_mov_b32 v127, v49 :: v_dual_add_nc_u32 v6, s20, v61
	ds_load_2addr_b32 v[0:1], v4 offset1:1
	ds_load_2addr_b32 v[2:3], v4 offset0:2 offset1:3
	ds_load_2addr_b32 v[31:32], v4 offset0:4 offset1:5
	;; [unrolled: 1-line block ×3, first 2 shown]
	v_dual_mov_b32 v99, v73 :: v_dual_add_nc_u32 v12, s19, v76
	v_dual_mov_b32 v73, v81 :: v_dual_add_nc_u32 v184, s19, v90
	s_lshl_b32 s19, s21, 3
	v_mov_b32_e32 v100, v235
	v_add_lshl_u32 v182, v62, s19, 2
	v_add_lshl_u32 v181, v84, s19, 2
	v_dual_mov_b32 v71, v89 :: v_dual_mov_b32 v108, v51
	v_mov_b32_e32 v106, v52
	v_mov_b32_e32 v85, v56
	;; [unrolled: 1-line block ×6, first 2 shown]
	s_waitcnt lgkmcnt(3)
	v_ashrrev_i32_e32 v5, s16, v0
	v_ashrrev_i32_e32 v4, s16, v1
	s_waitcnt lgkmcnt(2)
	v_ashrrev_i32_e32 v1, s16, v2
	v_ashrrev_i32_e32 v0, s16, v3
	ds_load_2addr_b32 v[2:3], v183 offset0:2 offset1:3
	ds_load_b32 v194, v6
	ds_load_2addr_b32 v[6:7], v183 offset1:1
	v_bfe_u32 v50, v5, 24, 2
	v_dual_mov_b32 v96, v53 :: v_dual_and_b32 v5, 0x3030303, v5
	v_mov_b32_e32 v235, v86
	v_mov_b32_e32 v230, v82
	;; [unrolled: 1-line block ×3, first 2 shown]
	s_waitcnt lgkmcnt(2)
	v_ashrrev_i32_e32 v10, s16, v2
	v_ashrrev_i32_e32 v11, s16, v3
	s_waitcnt lgkmcnt(0)
	v_ashrrev_i32_e32 v8, s16, v6
	v_ashrrev_i32_e32 v9, s16, v7
	ds_load_2addr_b32 v[2:3], v12 offset1:1
	ds_load_2addr_b32 v[6:7], v12 offset0:2 offset1:3
	ds_load_2addr_b32 v[41:42], v12 offset0:4 offset1:5
	;; [unrolled: 1-line block ×3, first 2 shown]
	s_waitcnt lgkmcnt(3)
	v_ashrrev_i32_e32 v12, s16, v2
	s_waitcnt lgkmcnt(2)
	v_ashrrev_i32_e32 v14, s16, v6
	v_add_nc_u32_e32 v6, s20, v77
	v_ashrrev_i32_e32 v13, s16, v3
	v_ashrrev_i32_e32 v15, s16, v7
	ds_load_2addr_b32 v[2:3], v184 offset0:2 offset1:3
	ds_load_b32 v195, v6
	ds_load_2addr_b32 v[6:7], v184 offset1:1
	s_waitcnt lgkmcnt(2)
	v_ashrrev_i32_e32 v18, s16, v2
	v_add_lshl_u32 v2, v59, s19, 2
	v_ashrrev_i32_e32 v19, s16, v3
	s_waitcnt lgkmcnt(0)
	v_ashrrev_i32_e32 v16, s16, v6
	v_ashrrev_i32_e32 v17, s16, v7
	v_add_nc_u32_e32 v3, 0x4200, v2
	v_add_nc_u32_e32 v6, 0x4208, v2
	;; [unrolled: 1-line block ×4, first 2 shown]
	ds_load_2addr_b32 v[2:3], v3 offset1:1
	ds_load_2addr_b32 v[6:7], v6 offset1:1
	;; [unrolled: 1-line block ×4, first 2 shown]
	s_waitcnt lgkmcnt(3)
	v_ashrrev_i32_e32 v20, s17, v2
	v_ashrrev_i32_e32 v21, s17, v3
	s_waitcnt lgkmcnt(2)
	v_ashrrev_i32_e32 v22, s17, v6
	v_add_nc_u32_e32 v2, 0x4200, v182
	v_add_nc_u32_e32 v6, 0x4208, v182
	v_lshlrev_b32_e32 v20, 2, v20
	v_ashrrev_i32_e32 v23, s17, v7
	ds_load_2addr_b32 v[2:3], v2 offset1:1
	ds_load_2addr_b32 v[6:7], v6 offset1:1
	ds_load_2addr_b32 v[47:48], v183 offset0:6 offset1:7
	s_waitcnt lgkmcnt(4)
	v_ashrrev_i32_e32 v45, s17, v45
	v_and_b32_e32 v20, 0x4040404, v20
	v_ashrrev_i32_e32 v46, s17, v46
	s_waitcnt lgkmcnt(3)
	v_ashrrev_i32_e32 v44, s17, v44
	s_delay_alu instid0(VALU_DEP_3) | instskip(SKIP_2) | instid1(VALU_DEP_3)
	v_lshrrev_b32_e32 v51, 24, v20
	v_lshrrev_b32_e32 v52, 16, v20
	v_sub_nc_u16 v203, v5, v20
	v_sub_nc_u16 v50, v50, v51
	v_lshrrev_b32_e32 v51, 16, v5
	s_delay_alu instid0(VALU_DEP_1)
	v_sub_nc_u16 v202, v51, v52
	v_lshrrev_b16 v51, 8, v5
	v_lshrrev_b16 v5, 8, v20
	v_lshlrev_b32_e32 v20, 2, v21
	v_bfe_u32 v21, v4, 24, 2
	v_and_b32_e32 v4, 0x3030303, v4
	s_waitcnt lgkmcnt(2)
	v_ashrrev_i32_e32 v24, s17, v2
	v_sub_nc_u16 v5, v51, v5
	v_and_b32_e32 v20, 0x4040404, v20
	v_ashrrev_i32_e32 v25, s17, v3
	s_waitcnt lgkmcnt(1)
	v_ashrrev_i32_e32 v26, s17, v6
	v_add_lshl_u32 v2, v68, s19, 2
	v_ashrrev_i32_e32 v27, s17, v7
	v_lshrrev_b32_e32 v51, 24, v20
	v_lshrrev_b32_e32 v52, 16, v20
	v_sub_nc_u16 v205, v4, v20
	v_add_nc_u32_e32 v3, 0x4200, v2
	v_add_nc_u32_e32 v6, 0x4208, v2
	v_sub_nc_u16 v21, v21, v51
	v_lshrrev_b32_e32 v51, 16, v4
	v_add_nc_u32_e32 v28, 0x4210, v2
	v_add_nc_u32_e32 v29, 0x4218, v2
	ds_load_2addr_b32 v[2:3], v3 offset1:1
	ds_load_2addr_b32 v[6:7], v6 offset1:1
	;; [unrolled: 1-line block ×4, first 2 shown]
	v_sub_nc_u16 v204, v51, v52
	v_lshrrev_b16 v51, 8, v4
	v_lshrrev_b16 v4, 8, v20
	v_lshlrev_b32_e32 v20, 2, v22
	v_bfe_u32 v22, v1, 24, 2
	v_and_b32_e32 v1, 0x3030303, v1
	v_lshlrev_b16 v5, 8, v5
	v_sub_nc_u16 v4, v51, v4
	v_and_b32_e32 v20, 0x4040404, v20
	s_and_b32 s19, s15, -16
	s_waitcnt lgkmcnt(4)
	v_ashrrev_i32_e32 v47, s16, v47
	v_ashrrev_i32_e32 v48, s16, v48
	v_lshlrev_b16 v4, 8, v4
	v_lshrrev_b32_e32 v51, 24, v20
	v_lshrrev_b32_e32 v52, 16, v20
	v_sub_nc_u16 v199, v1, v20
	s_waitcnt lgkmcnt(3)
	v_ashrrev_i32_e32 v28, s17, v2
	v_ashrrev_i32_e32 v29, s17, v3
	v_sub_nc_u16 v22, v22, v51
	v_lshrrev_b32_e32 v51, 16, v1
	s_waitcnt lgkmcnt(2)
	v_ashrrev_i32_e32 v30, s17, v6
	v_add_nc_u32_e32 v2, 0x4200, v181
	v_add_nc_u32_e32 v6, 0x4208, v181
	v_ashrrev_i32_e32 v49, s17, v7
	v_sub_nc_u16 v198, v51, v52
	v_lshrrev_b16 v51, 8, v1
	v_lshrrev_b16 v1, 8, v20
	v_lshlrev_b32_e32 v20, 2, v23
	v_bfe_u32 v23, v0, 24, 2
	v_and_b32_e32 v0, 0x3030303, v0
	ds_load_2addr_b32 v[2:3], v2 offset1:1
	ds_load_2addr_b32 v[6:7], v6 offset1:1
	ds_load_2addr_b32 v[189:190], v184 offset0:6 offset1:7
	v_sub_nc_u16 v1, v51, v1
	v_and_b32_e32 v20, 0x4040404, v20
	s_waitcnt lgkmcnt(3)
	v_ashrrev_i32_e32 v68, s17, v36
	v_add_nc_u32_e32 v36, 0x4218, v181
	s_add_i32 s15, s15, 2
	v_lshlrev_b16 v1, 8, v1
	v_lshrrev_b32_e32 v51, 24, v20
	v_lshrrev_b32_e32 v52, 16, v20
	v_sub_nc_u16 v197, v0, v20
	v_lshlrev_b32_e32 v68, 2, v68
	s_delay_alu instid0(VALU_DEP_4) | instskip(SKIP_1) | instid1(VALU_DEP_3)
	v_sub_nc_u16 v23, v23, v51
	v_lshrrev_b32_e32 v51, 16, v0
	v_and_b32_e32 v68, 0x4040404, v68
	s_delay_alu instid0(VALU_DEP_2)
	v_sub_nc_u16 v196, v51, v52
	v_lshrrev_b16 v51, 8, v0
	v_lshrrev_b16 v0, 8, v20
	v_lshlrev_b32_e32 v20, 2, v24
	v_bfe_u32 v24, v8, 24, 2
	v_and_b32_e32 v8, 0x3030303, v8
	s_waitcnt lgkmcnt(2)
	v_ashrrev_i32_e32 v2, s17, v2
	v_sub_nc_u16 v0, v51, v0
	v_and_b32_e32 v20, 0x4040404, v20
	v_ashrrev_i32_e32 v3, s17, v3
	s_waitcnt lgkmcnt(1)
	v_ashrrev_i32_e32 v6, s17, v6
	v_lshlrev_b32_e32 v2, 2, v2
	v_ashrrev_i32_e32 v7, s17, v7
	v_lshrrev_b32_e32 v51, 24, v20
	v_lshrrev_b32_e32 v52, 16, v20
	v_sub_nc_u16 v211, v8, v20
	v_and_b32_e32 v2, 0x4040404, v2
	v_lshlrev_b32_e32 v3, 2, v3
	v_sub_nc_u16 v24, v24, v51
	v_lshrrev_b32_e32 v51, 16, v8
	v_lshlrev_b32_e32 v6, 2, v6
	v_lshlrev_b32_e32 v7, 2, v7
	v_and_b32_e32 v3, 0x4040404, v3
	v_lshlrev_b16 v0, 8, v0
	v_sub_nc_u16 v210, v51, v52
	v_lshrrev_b16 v51, 8, v8
	v_lshrrev_b16 v8, 8, v20
	v_lshlrev_b32_e32 v20, 2, v25
	v_bfe_u32 v25, v9, 24, 2
	v_and_b32_e32 v9, 0x3030303, v9
	v_and_b32_e32 v6, 0x4040404, v6
	v_sub_nc_u16 v8, v51, v8
	v_and_b32_e32 v20, 0x4040404, v20
	v_and_b32_e32 v7, 0x4040404, v7
	v_lshrrev_b32_e32 v125, 24, v68
	v_lshrrev_b32_e32 v126, 16, v68
	s_delay_alu instid0(VALU_DEP_4) | instskip(SKIP_2) | instid1(VALU_DEP_3)
	v_lshrrev_b32_e32 v51, 24, v20
	v_lshrrev_b32_e32 v52, 16, v20
	v_sub_nc_u16 v213, v9, v20
	v_sub_nc_u16 v25, v25, v51
	v_lshrrev_b32_e32 v51, 16, v9
	s_delay_alu instid0(VALU_DEP_1)
	v_sub_nc_u16 v212, v51, v52
	v_lshrrev_b16 v51, 8, v9
	v_lshrrev_b16 v9, 8, v20
	v_lshlrev_b32_e32 v20, 2, v26
	v_bfe_u32 v26, v10, 24, 2
	v_and_b32_e32 v10, 0x3030303, v10
	s_delay_alu instid0(VALU_DEP_4) | instskip(NEXT) | instid1(VALU_DEP_4)
	v_sub_nc_u16 v9, v51, v9
	v_and_b32_e32 v20, 0x4040404, v20
	s_delay_alu instid0(VALU_DEP_1) | instskip(SKIP_2) | instid1(VALU_DEP_3)
	v_lshrrev_b32_e32 v51, 24, v20
	v_lshrrev_b32_e32 v52, 16, v20
	v_sub_nc_u16 v207, v10, v20
	v_sub_nc_u16 v26, v26, v51
	v_lshrrev_b32_e32 v51, 16, v10
	s_delay_alu instid0(VALU_DEP_1)
	v_sub_nc_u16 v206, v51, v52
	v_lshrrev_b16 v51, 8, v10
	v_lshrrev_b16 v10, 8, v20
	v_lshlrev_b32_e32 v20, 2, v27
	v_bfe_u32 v27, v11, 24, 2
	v_and_b32_e32 v11, 0x3030303, v11
	s_delay_alu instid0(VALU_DEP_4) | instskip(NEXT) | instid1(VALU_DEP_4)
	v_sub_nc_u16 v10, v51, v10
	v_and_b32_e32 v20, 0x4040404, v20
	s_delay_alu instid0(VALU_DEP_1) | instskip(SKIP_2) | instid1(VALU_DEP_3)
	;; [unrolled: 16-line block ×6, first 2 shown]
	v_lshrrev_b32_e32 v51, 24, v20
	v_lshrrev_b32_e32 v52, 16, v20
	v_sub_nc_u16 v209, v15, v20
	v_sub_nc_u16 v49, v49, v51
	v_lshrrev_b32_e32 v51, 16, v15
	s_delay_alu instid0(VALU_DEP_1)
	v_sub_nc_u16 v208, v51, v52
	v_lshrrev_b16 v51, 8, v15
	v_lshrrev_b16 v15, 8, v20
	v_bfe_u32 v20, v16, 24, 2
	v_and_b32_e32 v16, 0x3030303, v16
	v_lshrrev_b32_e32 v52, 16, v2
	s_delay_alu instid0(VALU_DEP_4) | instskip(SKIP_1) | instid1(VALU_DEP_4)
	v_sub_nc_u16 v15, v51, v15
	v_lshrrev_b32_e32 v51, 24, v2
	v_sub_nc_u16 v228, v16, v2
	v_lshrrev_b16 v2, 8, v2
	s_delay_alu instid0(VALU_DEP_3) | instskip(SKIP_1) | instid1(VALU_DEP_1)
	v_sub_nc_u16 v20, v20, v51
	v_lshrrev_b32_e32 v51, 16, v16
	v_sub_nc_u16 v226, v51, v52
	v_lshrrev_b16 v51, 8, v16
	v_bfe_u32 v16, v17, 24, 2
	v_and_b32_e32 v17, 0x3030303, v17
	v_lshrrev_b32_e32 v52, 16, v3
	s_delay_alu instid0(VALU_DEP_4) | instskip(SKIP_1) | instid1(VALU_DEP_4)
	v_sub_nc_u16 v2, v51, v2
	v_lshrrev_b32_e32 v51, 24, v3
	v_sub_nc_u16 v233, v17, v3
	v_lshrrev_b16 v3, 8, v3
	s_delay_alu instid0(VALU_DEP_3) | instskip(SKIP_1) | instid1(VALU_DEP_1)
	v_sub_nc_u16 v16, v16, v51
	v_lshrrev_b32_e32 v51, 16, v17
	v_sub_nc_u16 v232, v51, v52
	;; [unrolled: 13-line block ×4, first 2 shown]
	v_lshrrev_b16 v51, 8, v19
	v_lshlrev_b16 v19, 8, v50
	v_and_b32_e32 v50, 0xff, v202
	s_delay_alu instid0(VALU_DEP_3) | instskip(NEXT) | instid1(VALU_DEP_2)
	v_sub_nc_u16 v7, v51, v7
	v_or_b32_e32 v245, v50, v19
	v_and_b32_e32 v19, 0xff, v203
	s_delay_alu instid0(VALU_DEP_1) | instskip(SKIP_2) | instid1(VALU_DEP_1)
	v_or_b32_e32 v247, v19, v5
	v_lshlrev_b16 v5, 8, v21
	v_and_b32_e32 v19, 0xff, v204
	v_or_b32_e32 v248, v19, v5
	v_and_b32_e32 v5, 0xff, v205
	s_delay_alu instid0(VALU_DEP_1) | instskip(SKIP_2) | instid1(VALU_DEP_1)
	v_or_b32_e32 v251, v5, v4
	v_lshlrev_b16 v4, 8, v22
	v_and_b32_e32 v5, 0xff, v198
	v_or_b32_e32 v19, v5, v4
	v_and_b32_e32 v4, 0xff, v199
	s_delay_alu instid0(VALU_DEP_1)
	v_or_b32_e32 v21, v4, v1
	v_lshlrev_b16 v1, 8, v23
	v_and_b32_e32 v4, 0xff, v196
	scratch_store_b32 off, v21, off offset:104 ; 4-byte Folded Spill
	v_or_b32_e32 v4, v4, v1
	v_and_b32_e32 v1, 0xff, v197
	s_delay_alu instid0(VALU_DEP_1)
	v_or_b32_e32 v5, v1, v0
	v_lshlrev_b16 v0, 8, v24
	v_and_b32_e32 v1, 0xff, v210
	scratch_store_b32 off, v4, off offset:76 ; 4-byte Folded Spill
	v_or_b32_e32 v238, v1, v0
	v_lshlrev_b16 v0, 8, v8
	v_and_b32_e32 v1, 0xff, v211
	s_delay_alu instid0(VALU_DEP_1) | instskip(SKIP_2) | instid1(VALU_DEP_1)
	v_or_b32_e32 v227, v1, v0
	v_lshlrev_b16 v0, 8, v25
	v_and_b32_e32 v1, 0xff, v212
	v_or_b32_e32 v231, v1, v0
	v_lshlrev_b16 v0, 8, v9
	v_and_b32_e32 v1, 0xff, v213
	s_delay_alu instid0(VALU_DEP_1) | instskip(SKIP_2) | instid1(VALU_DEP_1)
	v_or_b32_e32 v225, v1, v0
	v_lshlrev_b16 v0, 8, v26
	v_and_b32_e32 v1, 0xff, v206
	v_or_b32_e32 v22, v1, v0
	v_lshlrev_b16 v0, 8, v10
	v_and_b32_e32 v1, 0xff, v207
	s_delay_alu instid0(VALU_DEP_1)
	v_or_b32_e32 v23, v1, v0
	v_lshlrev_b16 v0, 8, v27
	v_and_b32_e32 v1, 0xff, v200
	s_clause 0x1
	scratch_store_b32 off, v22, off offset:108
	scratch_store_b32 off, v23, off offset:112
	v_or_b32_e32 v8, v1, v0
	v_lshlrev_b16 v0, 8, v11
	v_and_b32_e32 v1, 0xff, v201
	scratch_store_b32 off, v5, off offset:80 ; 4-byte Folded Spill
	v_or_b32_e32 v9, v1, v0
	scratch_store_b32 off, v8, off offset:84 ; 4-byte Folded Spill
	v_lshlrev_b16 v0, 8, v28
	v_and_b32_e32 v1, 0xff, v218
	s_delay_alu instid0(VALU_DEP_1) | instskip(SKIP_2) | instid1(VALU_DEP_1)
	v_or_b32_e32 v224, v1, v0
	v_lshlrev_b16 v0, 8, v12
	v_and_b32_e32 v1, 0xff, v219
	v_or_b32_e32 v94, v1, v0
	v_lshlrev_b16 v0, 8, v29
	v_and_b32_e32 v1, 0xff, v220
	s_delay_alu instid0(VALU_DEP_1) | instskip(SKIP_2) | instid1(VALU_DEP_1)
	v_or_b32_e32 v81, v1, v0
	v_lshlrev_b16 v0, 8, v13
	v_and_b32_e32 v1, 0xff, v221
	v_or_b32_e32 v55, v1, v0
	;; [unrolled: 7-line block ×3, first 2 shown]
	v_lshlrev_b16 v0, 8, v49
	v_and_b32_e32 v1, 0xff, v208
	s_delay_alu instid0(VALU_DEP_1)
	v_or_b32_e32 v10, v1, v0
	v_lshlrev_b16 v0, 8, v15
	v_and_b32_e32 v1, 0xff, v209
	scratch_store_b32 off, v9, off offset:88 ; 4-byte Folded Spill
	v_or_b32_e32 v11, v1, v0
	scratch_store_b32 off, v10, off offset:92 ; 4-byte Folded Spill
	v_lshlrev_b16 v0, 8, v20
	v_and_b32_e32 v1, 0xff, v226
	s_clause 0x1
	scratch_store_b32 off, v19, off offset:100
	scratch_store_b32 off, v11, off offset:96
	v_or_b32_e32 v89, v1, v0
	v_lshlrev_b16 v0, 8, v2
	v_and_b32_e32 v1, 0xff, v228
	s_delay_alu instid0(VALU_DEP_1) | instskip(SKIP_2) | instid1(VALU_DEP_1)
	v_or_b32_e32 v87, v1, v0
	v_lshlrev_b16 v0, 8, v16
	v_and_b32_e32 v1, 0xff, v232
	v_or_b32_e32 v98, v1, v0
	v_lshlrev_b16 v0, 8, v3
	v_and_b32_e32 v1, 0xff, v233
	s_delay_alu instid0(VALU_DEP_1) | instskip(SKIP_2) | instid1(VALU_DEP_1)
	v_or_b32_e32 v118, v1, v0
	v_lshlrev_b16 v0, 8, v17
	v_and_b32_e32 v1, 0xff, v222
	v_or_b32_e32 v252, v1, v0
	v_lshlrev_b16 v0, 8, v6
	v_and_b32_e32 v1, 0xff, v223
	s_delay_alu instid0(VALU_DEP_1) | instskip(SKIP_2) | instid1(VALU_DEP_1)
	v_or_b32_e32 v253, v1, v0
	v_lshlrev_b16 v0, 8, v18
	v_and_b32_e32 v1, 0xff, v216
	v_or_b32_e32 v240, v1, v0
	v_lshlrev_b16 v0, 8, v7
	v_and_b32_e32 v1, 0xff, v217
	s_delay_alu instid0(VALU_DEP_1) | instskip(SKIP_2) | instid1(VALU_DEP_1)
	v_or_b32_e32 v243, v1, v0
	v_perm_b32 v0, v247, v203, 0xc0c0500
	v_perm_b32 v1, v245, v202, 0x5000c0c
	v_or_b32_e32 v28, v1, v0
	v_perm_b32 v0, v251, v205, 0xc0c0500
	v_perm_b32 v1, v248, v204, 0x5000c0c
	s_delay_alu instid0(VALU_DEP_1) | instskip(SKIP_2) | instid1(VALU_DEP_1)
	v_or_b32_e32 v29, v1, v0
	v_perm_b32 v0, v21, v199, 0xc0c0500
	v_perm_b32 v1, v19, v198, 0x5000c0c
	v_or_b32_e32 v30, v1, v0
	v_perm_b32 v0, v5, v197, 0xc0c0500
	v_perm_b32 v1, v4, v196, 0x5000c0c
	;; [unrolled: 7-line block ×5, first 2 shown]
	v_perm_b32 v55, v220, v55, 0xc0c0401
	v_perm_b32 v81, v221, v81, 0x4010c0c
	s_delay_alu instid0(VALU_DEP_3) | instskip(SKIP_2) | instid1(VALU_DEP_1)
	v_or_b32_e32 v56, v1, v0
	v_perm_b32 v0, v244, v215, 0xc0c0500
	v_perm_b32 v1, v242, v214, 0x5000c0c
	v_or_b32_e32 v57, v1, v0
	v_perm_b32 v0, v11, v209, 0xc0c0500
	v_perm_b32 v1, v10, v208, 0x5000c0c
	s_delay_alu instid0(VALU_DEP_1) | instskip(SKIP_4) | instid1(VALU_DEP_3)
	v_or_b32_e32 v58, v1, v0
	v_perm_b32 v0, v87, v228, 0xc0c0500
	v_perm_b32 v1, v89, v226, 0x5000c0c
	;; [unrolled: 1-line block ×4, first 2 shown]
	v_or_b32_e32 v59, v1, v0
	v_perm_b32 v0, v118, v233, 0xc0c0500
	v_perm_b32 v1, v98, v232, 0x5000c0c
	;; [unrolled: 1-line block ×3, first 2 shown]
	s_delay_alu instid0(VALU_DEP_2) | instskip(SKIP_2) | instid1(VALU_DEP_1)
	v_or_b32_e32 v60, v1, v0
	v_perm_b32 v0, v253, v223, 0xc0c0500
	v_perm_b32 v1, v252, v222, 0x5000c0c
	v_or_b32_e32 v61, v1, v0
	v_perm_b32 v0, v243, v217, 0xc0c0500
	v_perm_b32 v1, v240, v216, 0x5000c0c
	s_delay_alu instid0(VALU_DEP_1)
	v_or_b32_e32 v62, v1, v0
	ds_load_b128 v[4:7], v192 offset:1024
	ds_load_b128 v[0:3], v192 offset:1040
	s_waitcnt lgkmcnt(1)
	v_dot4_i32_iu8 v8, v4, v28, 0 neg_lo:[1,1,0]
	v_dot4_i32_iu8 v9, v4, v50, 0 neg_lo:[1,1,0]
	v_dot4_i32_iu8 v10, v4, v54, 0 neg_lo:[1,1,0]
	v_dot4_i32_iu8 v4, v4, v59, 0 neg_lo:[1,1,0]
	s_delay_alu instid0(VALU_DEP_4) | instskip(NEXT) | instid1(VALU_DEP_4)
	v_dot4_i32_iu8 v8, v5, v29, v8 neg_lo:[1,1,0]
	v_dot4_i32_iu8 v9, v5, v51, v9 neg_lo:[1,1,0]
	s_delay_alu instid0(VALU_DEP_4) | instskip(NEXT) | instid1(VALU_DEP_4)
	v_dot4_i32_iu8 v10, v5, v56, v10 neg_lo:[1,1,0]
	v_dot4_i32_iu8 v4, v5, v60, v4 neg_lo:[1,1,0]
	s_delay_alu instid0(VALU_DEP_4) | instskip(NEXT) | instid1(VALU_DEP_4)
	v_dot4_i32_iu8 v5, v6, v30, v8 neg_lo:[1,1,0]
	v_dot4_i32_iu8 v8, v6, v52, v9 neg_lo:[1,1,0]
	s_delay_alu instid0(VALU_DEP_4) | instskip(NEXT) | instid1(VALU_DEP_4)
	v_dot4_i32_iu8 v9, v6, v57, v10 neg_lo:[1,1,0]
	v_dot4_i32_iu8 v4, v6, v61, v4 neg_lo:[1,1,0]
	s_delay_alu instid0(VALU_DEP_4) | instskip(NEXT) | instid1(VALU_DEP_4)
	v_dot4_i32_iu8 v76, v7, v49, v5 neg_lo:[1,1,0]
	v_dot4_i32_iu8 v250, v7, v53, v8 neg_lo:[1,1,0]
	s_delay_alu instid0(VALU_DEP_4) | instskip(NEXT) | instid1(VALU_DEP_4)
	v_dot4_i32_iu8 v241, v7, v58, v9 neg_lo:[1,1,0]
	v_dot4_i32_iu8 v237, v7, v62, v4 neg_lo:[1,1,0]
	ds_load_b128 v[8:11], v192 offset:2048
	ds_load_b128 v[4:7], v192 offset:2064
	s_waitcnt lgkmcnt(1)
	v_dot4_i32_iu8 v12, v8, v28, 0 neg_lo:[1,1,0]
	v_dot4_i32_iu8 v13, v8, v50, 0 neg_lo:[1,1,0]
	v_dot4_i32_iu8 v14, v8, v54, 0 neg_lo:[1,1,0]
	v_dot4_i32_iu8 v8, v8, v59, 0 neg_lo:[1,1,0]
	s_delay_alu instid0(VALU_DEP_4) | instskip(NEXT) | instid1(VALU_DEP_4)
	v_dot4_i32_iu8 v12, v9, v29, v12 neg_lo:[1,1,0]
	v_dot4_i32_iu8 v13, v9, v51, v13 neg_lo:[1,1,0]
	s_delay_alu instid0(VALU_DEP_4) | instskip(NEXT) | instid1(VALU_DEP_4)
	v_dot4_i32_iu8 v14, v9, v56, v14 neg_lo:[1,1,0]
	v_dot4_i32_iu8 v8, v9, v60, v8 neg_lo:[1,1,0]
	s_delay_alu instid0(VALU_DEP_4) | instskip(NEXT) | instid1(VALU_DEP_4)
	v_dot4_i32_iu8 v9, v10, v30, v12 neg_lo:[1,1,0]
	v_dot4_i32_iu8 v12, v10, v52, v13 neg_lo:[1,1,0]
	s_delay_alu instid0(VALU_DEP_4) | instskip(NEXT) | instid1(VALU_DEP_4)
	v_dot4_i32_iu8 v13, v10, v57, v14 neg_lo:[1,1,0]
	v_dot4_i32_iu8 v8, v10, v61, v8 neg_lo:[1,1,0]
	s_delay_alu instid0(VALU_DEP_4) | instskip(NEXT) | instid1(VALU_DEP_4)
	v_dot4_i32_iu8 v95, v11, v49, v9 neg_lo:[1,1,0]
	v_dot4_i32_iu8 v77, v11, v53, v12 neg_lo:[1,1,0]
	s_delay_alu instid0(VALU_DEP_4) | instskip(NEXT) | instid1(VALU_DEP_4)
	v_dot4_i32_iu8 v249, v11, v58, v13 neg_lo:[1,1,0]
	v_dot4_i32_iu8 v239, v11, v62, v8 neg_lo:[1,1,0]
	;; [unrolled: 25-line block ×5, first 2 shown]
	ds_load_b128 v[24:27], v192 offset:6144
	ds_load_b128 v[20:23], v192 offset:6160
	s_waitcnt lgkmcnt(1)
	v_dot4_i32_iu8 v63, v24, v28, 0 neg_lo:[1,1,0]
	v_dot4_i32_iu8 v64, v24, v50, 0 neg_lo:[1,1,0]
	;; [unrolled: 1-line block ×4, first 2 shown]
	s_delay_alu instid0(VALU_DEP_4) | instskip(NEXT) | instid1(VALU_DEP_4)
	v_dot4_i32_iu8 v63, v25, v29, v63 neg_lo:[1,1,0]
	v_dot4_i32_iu8 v64, v25, v51, v64 neg_lo:[1,1,0]
	s_delay_alu instid0(VALU_DEP_4) | instskip(NEXT) | instid1(VALU_DEP_4)
	v_dot4_i32_iu8 v65, v25, v56, v65 neg_lo:[1,1,0]
	v_dot4_i32_iu8 v24, v25, v60, v24 neg_lo:[1,1,0]
	;; [unrolled: 3-line block ×4, first 2 shown]
	v_ashrrev_i32_e32 v65, s17, v38
	v_dot4_i32_iu8 v179, v27, v49, v25 neg_lo:[1,1,0]
	v_dot4_i32_iu8 v69, v27, v53, v63 neg_lo:[1,1,0]
	;; [unrolled: 1-line block ×4, first 2 shown]
	ds_load_b128 v[185:188], v192 offset:7168
	ds_load_b128 v[24:27], v192 offset:7184
	v_ashrrev_i32_e32 v64, s17, v37
	v_lshlrev_b32_e32 v65, 2, v65
	s_delay_alu instid0(VALU_DEP_1) | instskip(NEXT) | instid1(VALU_DEP_1)
	v_and_b32_e32 v65, 0x4040404, v65
	v_lshrrev_b32_e32 v117, 24, v65
	v_lshrrev_b32_e32 v121, 16, v65
	s_waitcnt lgkmcnt(1)
	v_dot4_i32_iu8 v28, v185, v28, 0 neg_lo:[1,1,0]
	s_delay_alu instid0(VALU_DEP_1) | instskip(SKIP_3) | instid1(VALU_DEP_4)
	v_dot4_i32_iu8 v28, v186, v29, v28 neg_lo:[1,1,0]
	v_dot4_i32_iu8 v29, v185, v50, 0 neg_lo:[1,1,0]
	;; [unrolled: 1-line block ×3, first 2 shown]
	v_ashrrev_i32_e32 v54, s16, v39
	v_dot4_i32_iu8 v28, v187, v30, v28 neg_lo:[1,1,0]
	s_delay_alu instid0(VALU_DEP_4)
	v_dot4_i32_iu8 v29, v186, v51, v29 neg_lo:[1,1,0]
	v_dot4_i32_iu8 v51, v185, v59, 0 neg_lo:[1,1,0]
	;; [unrolled: 1-line block ×3, first 2 shown]
	v_ashrrev_i32_e32 v56, s16, v40
	v_dot4_i32_iu8 v180, v188, v49, v28 neg_lo:[1,1,0]
	v_dot4_i32_iu8 v29, v187, v52, v29 neg_lo:[1,1,0]
	v_ashrrev_i32_e32 v28, s16, v31
	v_dot4_i32_iu8 v51, v186, v60, v51 neg_lo:[1,1,0]
	v_dot4_i32_iu8 v30, v187, v57, v50 neg_lo:[1,1,0]
	v_ashrrev_i32_e32 v49, s16, v34
	v_dot4_i32_iu8 v72, v188, v53, v29 neg_lo:[1,1,0]
	v_ashrrev_i32_e32 v29, s16, v32
	ds_load_2addr_b32 v[31:32], v183 offset0:4 offset1:5
	v_dot4_i32_iu8 v50, v187, v61, v51 neg_lo:[1,1,0]
	v_dot4_i32_iu8 v138, v188, v58, v30 neg_lo:[1,1,0]
	v_ashrrev_i32_e32 v30, s16, v33
	v_add_nc_u32_e32 v33, s16, v66
	v_add_nc_u32_e32 v34, 0x4218, v182
	v_dot4_i32_iu8 v113, v188, v62, v50 neg_lo:[1,1,0]
	v_ashrrev_i32_e32 v52, s16, v41
	v_ashrrev_i32_e32 v53, s16, v42
	;; [unrolled: 1-line block ×6, first 2 shown]
	s_delay_alu instid0(VALU_DEP_4) | instskip(NEXT) | instid1(VALU_DEP_1)
	v_lshlrev_b32_e32 v66, 2, v66
	v_and_b32_e32 v66, 0x4040404, v66
	s_waitcnt lgkmcnt(0)
	v_ashrrev_i32_e32 v50, s16, v31
	v_ashrrev_i32_e32 v51, s16, v32
	ds_load_2addr_b32 v[31:32], v184 offset0:4 offset1:5
	v_lshrrev_b32_e32 v123, 24, v66
	v_lshrrev_b32_e32 v124, 16, v66
	s_waitcnt lgkmcnt(0)
	v_ashrrev_i32_e32 v57, s16, v31
	scratch_load_b32 v31, off, off offset:140 ; 4-byte Folded Reload
	v_ashrrev_i32_e32 v58, s16, v32
	v_add_nc_u32_e32 v32, 0x4210, v182
	s_add_i32 s16, s16, 2
	s_waitcnt vmcnt(0)
	v_add3_u32 v31, v31, s19, v33
	ds_load_u16 v31, v31
	ds_load_2addr_b32 v[39:40], v32 offset1:1
	ds_load_2addr_b32 v[41:42], v34 offset1:1
	scratch_load_b32 v32, off, off offset:132 ; 4-byte Folded Reload
	v_add_nc_u32_e32 v34, 0x4210, v181
	s_waitcnt lgkmcnt(1)
	v_ashrrev_i32_e32 v62, s17, v39
	s_waitcnt lgkmcnt(0)
	v_ashrrev_i32_e32 v63, s17, v42
	v_ashrrev_i32_e32 v40, s17, v40
	;; [unrolled: 1-line block ×3, first 2 shown]
	s_delay_alu instid0(VALU_DEP_2) | instskip(NEXT) | instid1(VALU_DEP_1)
	v_lshlrev_b32_e32 v40, 2, v40
	v_and_b32_e32 v40, 0x4040404, v40
	s_waitcnt vmcnt(0)
	v_add3_u32 v32, v32, s19, v33
	ds_load_u16 v32, v32
	ds_load_2addr_b32 v[34:35], v34 offset1:1
	ds_load_2addr_b32 v[36:37], v36 offset1:1
	s_waitcnt lgkmcnt(1)
	v_ashrrev_i32_e32 v78, s17, v34
	v_lshlrev_b32_e32 v34, 2, v45
	v_ashrrev_i32_e32 v79, s17, v35
	s_waitcnt lgkmcnt(0)
	v_ashrrev_i32_e32 v80, s17, v36
	v_bfe_u32 v35, v28, 24, 2
	v_and_b32_e32 v28, 0x3030303, v28
	v_and_b32_e32 v34, 0x4040404, v34
	v_ashrrev_i32_e32 v82, s17, v37
	v_lshlrev_b32_e32 v78, 2, v78
	v_lshlrev_b32_e32 v79, 2, v79
	v_lshlrev_b32_e32 v80, 2, v80
	v_lshrrev_b32_e32 v36, 24, v34
	v_sub_nc_u16 v39, v28, v34
	v_and_b32_e32 v78, 0x4040404, v78
	v_and_b32_e32 v79, 0x4040404, v79
	;; [unrolled: 1-line block ×3, first 2 shown]
	v_sub_nc_u16 v83, v35, v36
	v_lshrrev_b32_e32 v35, 16, v28
	v_lshrrev_b32_e32 v36, 16, v34
	;; [unrolled: 1-line block ×6, first 2 shown]
	v_sub_nc_u16 v38, v35, v36
	v_lshrrev_b16 v35, 8, v28
	v_lshrrev_b16 v28, 8, v34
	v_lshlrev_b32_e32 v34, 2, v46
	v_lshrrev_b32_e32 v136, 24, v80
	v_lshrrev_b32_e32 v139, 16, v80
	v_lshlrev_b32_e32 v82, 2, v82
	v_sub_nc_u16 v28, v35, v28
	v_and_b32_e32 v34, 0x4040404, v34
	v_bfe_u32 v35, v29, 24, 2
	v_and_b32_e32 v29, 0x3030303, v29
	v_and_b32_e32 v82, 0x4040404, v82
	v_lshlrev_b16 v83, 8, v83
	v_lshrrev_b32_e32 v36, 24, v34
	v_lshlrev_b16 v28, 8, v28
	v_sub_nc_u16 v43, v29, v34
	v_lshrrev_b32_e32 v140, 24, v82
	v_lshrrev_b32_e32 v141, 16, v82
	v_sub_nc_u16 v46, v35, v36
	v_lshrrev_b32_e32 v35, 16, v29
	v_lshrrev_b32_e32 v36, 16, v34
	s_add_i32 s17, s17, 1
	s_delay_alu instid0(VALU_DEP_3) | instskip(NEXT) | instid1(VALU_DEP_2)
	v_lshlrev_b16 v46, 8, v46
	v_sub_nc_u16 v42, v35, v36
	v_lshrrev_b16 v35, 8, v29
	v_lshrrev_b16 v29, 8, v34
	v_lshlrev_b32_e32 v34, 2, v61
	s_delay_alu instid0(VALU_DEP_2) | instskip(NEXT) | instid1(VALU_DEP_2)
	v_sub_nc_u16 v29, v35, v29
	v_and_b32_e32 v34, 0x4040404, v34
	v_bfe_u32 v35, v30, 24, 2
	v_and_b32_e32 v30, 0x3030303, v30
	s_delay_alu instid0(VALU_DEP_4) | instskip(NEXT) | instid1(VALU_DEP_4)
	v_lshlrev_b16 v29, 8, v29
	v_lshrrev_b32_e32 v36, 24, v34
	s_delay_alu instid0(VALU_DEP_3) | instskip(NEXT) | instid1(VALU_DEP_2)
	v_sub_nc_u16 v37, v30, v34
	v_sub_nc_u16 v61, v35, v36
	v_lshrrev_b32_e32 v35, 16, v30
	v_lshrrev_b32_e32 v36, 16, v34
	s_delay_alu instid0(VALU_DEP_3) | instskip(NEXT) | instid1(VALU_DEP_2)
	v_lshlrev_b16 v61, 8, v61
	v_sub_nc_u16 v36, v35, v36
	v_lshrrev_b16 v35, 8, v30
	v_lshrrev_b16 v30, 8, v34
	v_lshlrev_b32_e32 v34, 2, v44
	s_delay_alu instid0(VALU_DEP_2) | instskip(NEXT) | instid1(VALU_DEP_2)
	v_sub_nc_u16 v30, v35, v30
	v_and_b32_e32 v44, 0x4040404, v34
	v_bfe_u32 v34, v49, 24, 2
	s_delay_alu instid0(VALU_DEP_3) | instskip(NEXT) | instid1(VALU_DEP_3)
	v_lshlrev_b16 v30, 8, v30
	v_lshrrev_b32_e32 v35, 24, v44
	v_lshrrev_b32_e32 v45, 16, v44
	s_delay_alu instid0(VALU_DEP_2) | instskip(SKIP_1) | instid1(VALU_DEP_2)
	v_sub_nc_u16 v86, v34, v35
	v_and_b32_e32 v35, 0x3030303, v49
	v_lshlrev_b16 v86, 8, v86
	s_delay_alu instid0(VALU_DEP_2) | instskip(NEXT) | instid1(VALU_DEP_1)
	v_lshrrev_b32_e32 v34, 16, v35
	v_sub_nc_u16 v34, v34, v45
	v_lshrrev_b16 v45, 8, v35
	v_sub_nc_u16 v35, v35, v44
	v_lshrrev_b16 v44, 8, v44
	s_delay_alu instid0(VALU_DEP_1) | instskip(SKIP_2) | instid1(VALU_DEP_3)
	v_sub_nc_u16 v49, v45, v44
	v_lshlrev_b32_e32 v44, 2, v62
	v_bfe_u32 v45, v50, 24, 2
	v_lshlrev_b16 v49, 8, v49
	s_delay_alu instid0(VALU_DEP_3) | instskip(NEXT) | instid1(VALU_DEP_1)
	v_and_b32_e32 v44, 0x4040404, v44
	v_lshrrev_b32_e32 v62, 24, v44
	v_lshrrev_b32_e32 v91, 16, v44
	s_delay_alu instid0(VALU_DEP_2) | instskip(SKIP_1) | instid1(VALU_DEP_2)
	v_sub_nc_u16 v62, v45, v62
	v_and_b32_e32 v45, 0x3030303, v50
	v_lshlrev_b16 v62, 8, v62
	s_delay_alu instid0(VALU_DEP_2) | instskip(SKIP_2) | instid1(VALU_DEP_3)
	v_lshrrev_b32_e32 v50, 16, v45
	v_sub_nc_u16 v97, v45, v44
	v_lshrrev_b16 v44, 8, v44
	v_sub_nc_u16 v50, v50, v91
	v_lshrrev_b16 v91, 8, v45
	v_lshrrev_b32_e32 v45, 24, v40
	s_delay_alu instid0(VALU_DEP_2) | instskip(SKIP_1) | instid1(VALU_DEP_2)
	v_sub_nc_u16 v91, v91, v44
	v_bfe_u32 v44, v51, 24, 2
	v_lshlrev_b16 v91, 8, v91
	s_delay_alu instid0(VALU_DEP_2) | instskip(SKIP_2) | instid1(VALU_DEP_3)
	v_sub_nc_u16 v102, v44, v45
	v_and_b32_e32 v44, 0x3030303, v51
	v_lshrrev_b32_e32 v51, 16, v40
	v_lshlrev_b16 v102, 8, v102
	s_delay_alu instid0(VALU_DEP_3) | instskip(SKIP_2) | instid1(VALU_DEP_3)
	v_lshrrev_b32_e32 v45, 16, v44
	v_sub_nc_u16 v107, v44, v40
	v_lshrrev_b16 v40, 8, v40
	v_sub_nc_u16 v51, v45, v51
	v_lshrrev_b16 v45, 8, v44
	s_delay_alu instid0(VALU_DEP_1) | instskip(SKIP_2) | instid1(VALU_DEP_3)
	v_sub_nc_u16 v109, v45, v40
	v_lshlrev_b32_e32 v40, 2, v41
	v_bfe_u32 v41, v47, 24, 2
	v_lshlrev_b16 v109, 8, v109
	s_delay_alu instid0(VALU_DEP_3) | instskip(NEXT) | instid1(VALU_DEP_1)
	v_and_b32_e32 v40, 0x4040404, v40
	v_lshrrev_b32_e32 v44, 24, v40
	v_lshrrev_b32_e32 v45, 16, v40
	s_delay_alu instid0(VALU_DEP_2) | instskip(SKIP_1) | instid1(VALU_DEP_2)
	v_sub_nc_u16 v111, v41, v44
	v_and_b32_e32 v41, 0x3030303, v47
	v_lshlrev_b16 v111, 8, v111
	s_delay_alu instid0(VALU_DEP_2) | instskip(SKIP_1) | instid1(VALU_DEP_2)
	v_lshrrev_b32_e32 v44, 16, v41
	v_lshrrev_b16 v47, 8, v41
	v_sub_nc_u16 v44, v44, v45
	v_sub_nc_u16 v45, v41, v40
	v_lshrrev_b16 v40, 8, v40
	s_delay_alu instid0(VALU_DEP_1) | instskip(SKIP_1) | instid1(VALU_DEP_2)
	v_sub_nc_u16 v47, v47, v40
	v_lshlrev_b32_e32 v40, 2, v63
	v_lshlrev_b16 v47, 8, v47
	s_delay_alu instid0(VALU_DEP_2) | instskip(SKIP_1) | instid1(VALU_DEP_2)
	v_and_b32_e32 v63, 0x4040404, v40
	v_bfe_u32 v40, v48, 24, 2
	v_lshrrev_b32_e32 v41, 24, v63
	s_delay_alu instid0(VALU_DEP_1) | instskip(SKIP_2) | instid1(VALU_DEP_3)
	v_sub_nc_u16 v112, v40, v41
	v_and_b32_e32 v41, 0x3030303, v48
	v_lshrrev_b32_e32 v48, 16, v63
	v_lshlrev_b16 v112, 8, v112
	s_delay_alu instid0(VALU_DEP_3) | instskip(NEXT) | instid1(VALU_DEP_1)
	v_lshrrev_b32_e32 v40, 16, v41
	v_sub_nc_u16 v40, v40, v48
	v_lshrrev_b16 v48, 8, v41
	v_sub_nc_u16 v41, v41, v63
	v_lshrrev_b16 v63, 8, v63
	s_delay_alu instid0(VALU_DEP_1) | instskip(SKIP_3) | instid1(VALU_DEP_4)
	v_sub_nc_u16 v48, v48, v63
	v_lshlrev_b32_e32 v63, 2, v64
	v_bfe_u32 v64, v52, 24, 2
	v_and_b32_e32 v52, 0x3030303, v52
	v_lshlrev_b16 v48, 8, v48
	s_delay_alu instid0(VALU_DEP_4) | instskip(NEXT) | instid1(VALU_DEP_1)
	v_and_b32_e32 v63, 0x4040404, v63
	v_lshrrev_b32_e32 v115, 24, v63
	v_lshrrev_b32_e32 v116, 16, v63
	s_delay_alu instid0(VALU_DEP_2) | instskip(SKIP_1) | instid1(VALU_DEP_2)
	v_sub_nc_u16 v64, v64, v115
	v_lshrrev_b32_e32 v115, 16, v52
	v_lshlrev_b16 v64, 8, v64
	s_delay_alu instid0(VALU_DEP_2) | instskip(SKIP_3) | instid1(VALU_DEP_1)
	v_sub_nc_u16 v115, v115, v116
	v_lshrrev_b16 v116, 8, v52
	v_sub_nc_u16 v52, v52, v63
	v_lshrrev_b16 v63, 8, v63
	v_sub_nc_u16 v63, v116, v63
	v_bfe_u32 v116, v53, 24, 2
	v_and_b32_e32 v53, 0x3030303, v53
	s_delay_alu instid0(VALU_DEP_3) | instskip(NEXT) | instid1(VALU_DEP_3)
	v_lshlrev_b16 v63, 8, v63
	v_sub_nc_u16 v116, v116, v117
	s_delay_alu instid0(VALU_DEP_3) | instskip(NEXT) | instid1(VALU_DEP_2)
	v_lshrrev_b32_e32 v117, 16, v53
	v_lshlrev_b16 v116, 8, v116
	s_delay_alu instid0(VALU_DEP_2) | instskip(SKIP_3) | instid1(VALU_DEP_1)
	v_sub_nc_u16 v117, v117, v121
	v_lshrrev_b16 v121, 8, v53
	v_sub_nc_u16 v53, v53, v65
	v_lshrrev_b16 v65, 8, v65
	v_sub_nc_u16 v65, v121, v65
	v_bfe_u32 v121, v54, 24, 2
	v_and_b32_e32 v54, 0x3030303, v54
	s_delay_alu instid0(VALU_DEP_3) | instskip(NEXT) | instid1(VALU_DEP_3)
	v_lshlrev_b16 v65, 8, v65
	v_sub_nc_u16 v121, v121, v123
	s_delay_alu instid0(VALU_DEP_3) | instskip(NEXT) | instid1(VALU_DEP_2)
	;; [unrolled: 14-line block ×7, first 2 shown]
	v_lshrrev_b32_e32 v140, 16, v60
	v_lshlrev_b16 v139, 8, v139
	s_delay_alu instid0(VALU_DEP_2) | instskip(SKIP_3) | instid1(VALU_DEP_1)
	v_sub_nc_u16 v140, v140, v141
	v_lshrrev_b16 v141, 8, v60
	v_sub_nc_u16 v60, v60, v82
	v_lshrrev_b16 v82, 8, v82
	v_sub_nc_u16 v82, v141, v82
	v_and_b32_e32 v141, 0xff, v38
	s_delay_alu instid0(VALU_DEP_2) | instskip(NEXT) | instid1(VALU_DEP_2)
	v_lshlrev_b16 v82, 8, v82
	v_or_b32_e32 v83, v141, v83
	v_and_b32_e32 v141, 0xff, v39
	s_delay_alu instid0(VALU_DEP_2) | instskip(NEXT) | instid1(VALU_DEP_2)
	v_perm_b32 v142, v83, v38, 0x5000c0c
	v_or_b32_e32 v28, v141, v28
	v_and_b32_e32 v141, 0xff, v42
	s_delay_alu instid0(VALU_DEP_1) | instskip(SKIP_1) | instid1(VALU_DEP_2)
	v_or_b32_e32 v46, v141, v46
	v_and_b32_e32 v141, 0xff, v43
	v_perm_b32 v143, v46, v42, 0x5000c0c
	s_delay_alu instid0(VALU_DEP_2) | instskip(SKIP_1) | instid1(VALU_DEP_1)
	v_or_b32_e32 v29, v141, v29
	v_and_b32_e32 v141, 0xff, v36
	v_or_b32_e32 v61, v141, v61
	v_and_b32_e32 v141, 0xff, v37
	s_delay_alu instid0(VALU_DEP_2) | instskip(NEXT) | instid1(VALU_DEP_2)
	v_perm_b32 v144, v61, v36, 0x5000c0c
	v_or_b32_e32 v30, v141, v30
	v_and_b32_e32 v141, 0xff, v34
	s_delay_alu instid0(VALU_DEP_1) | instskip(SKIP_1) | instid1(VALU_DEP_2)
	v_or_b32_e32 v86, v141, v86
	v_and_b32_e32 v141, 0xff, v35
	v_perm_b32 v145, v86, v34, 0x5000c0c
	s_delay_alu instid0(VALU_DEP_2) | instskip(SKIP_1) | instid1(VALU_DEP_1)
	v_or_b32_e32 v49, v141, v49
	v_and_b32_e32 v141, 0xff, v50
	;; [unrolled: 13-line block ×7, first 2 shown]
	v_or_b32_e32 v135, v141, v135
	v_and_b32_e32 v141, 0xff, v59
	s_delay_alu instid0(VALU_DEP_2) | instskip(NEXT) | instid1(VALU_DEP_2)
	v_perm_b32 v156, v135, v136, 0x5000c0c
	v_or_b32_e32 v80, v141, v80
	v_and_b32_e32 v141, 0xff, v140
	s_delay_alu instid0(VALU_DEP_1) | instskip(SKIP_1) | instid1(VALU_DEP_2)
	v_or_b32_e32 v139, v141, v139
	v_and_b32_e32 v141, 0xff, v60
	v_perm_b32 v157, v139, v140, 0x5000c0c
	s_delay_alu instid0(VALU_DEP_2) | instskip(SKIP_1) | instid1(VALU_DEP_1)
	v_or_b32_e32 v82, v141, v82
	v_perm_b32 v141, v28, v39, 0xc0c0500
	v_or_b32_e32 v141, v142, v141
	v_perm_b32 v142, v29, v43, 0xc0c0500
	s_delay_alu instid0(VALU_DEP_1) | instskip(SKIP_1) | instid1(VALU_DEP_1)
	v_or_b32_e32 v142, v143, v142
	v_perm_b32 v143, v30, v37, 0xc0c0500
	v_or_b32_e32 v143, v144, v143
	v_perm_b32 v144, v49, v35, 0xc0c0500
	s_delay_alu instid0(VALU_DEP_1) | instskip(SKIP_1) | instid1(VALU_DEP_1)
	v_or_b32_e32 v144, v145, v144
	v_perm_b32 v145, v91, v97, 0xc0c0500
	v_or_b32_e32 v145, v146, v145
	v_perm_b32 v146, v109, v107, 0xc0c0500
	s_delay_alu instid0(VALU_DEP_2) | instskip(NEXT) | instid1(VALU_DEP_2)
	v_dot4_i32_iu8 v158, v0, v145, 0 neg_lo:[1,1,0]
	v_or_b32_e32 v146, v147, v146
	v_perm_b32 v147, v47, v45, 0xc0c0500
	s_delay_alu instid0(VALU_DEP_2) | instskip(NEXT) | instid1(VALU_DEP_2)
	v_dot4_i32_iu8 v158, v1, v146, v158 neg_lo:[1,1,0]
	v_or_b32_e32 v147, v148, v147
	v_perm_b32 v148, v48, v41, 0xc0c0500
	s_delay_alu instid0(VALU_DEP_1) | instskip(SKIP_1) | instid1(VALU_DEP_1)
	v_or_b32_e32 v148, v149, v148
	v_perm_b32 v149, v63, v52, 0xc0c0500
	v_or_b32_e32 v149, v150, v149
	v_perm_b32 v150, v65, v53, 0xc0c0500
	s_delay_alu instid0(VALU_DEP_2) | instskip(NEXT) | instid1(VALU_DEP_2)
	v_dot4_i32_iu8 v159, v0, v149, 0 neg_lo:[1,1,0]
	v_or_b32_e32 v150, v151, v150
	v_perm_b32 v151, v66, v54, 0xc0c0500
	s_delay_alu instid0(VALU_DEP_2) | instskip(NEXT) | instid1(VALU_DEP_2)
	v_dot4_i32_iu8 v159, v1, v150, v159 neg_lo:[1,1,0]
	v_or_b32_e32 v151, v152, v151
	v_perm_b32 v152, v68, v56, 0xc0c0500
	s_delay_alu instid0(VALU_DEP_1) | instskip(SKIP_1) | instid1(VALU_DEP_1)
	v_or_b32_e32 v152, v153, v152
	v_perm_b32 v153, v78, v57, 0xc0c0500
	v_or_b32_e32 v153, v154, v153
	v_perm_b32 v154, v79, v58, 0xc0c0500
	s_delay_alu instid0(VALU_DEP_1) | instskip(SKIP_1) | instid1(VALU_DEP_1)
	v_or_b32_e32 v154, v155, v154
	v_perm_b32 v155, v80, v59, 0xc0c0500
	v_or_b32_e32 v155, v156, v155
	v_perm_b32 v156, v82, v60, 0xc0c0500
	s_delay_alu instid0(VALU_DEP_1) | instskip(SKIP_2) | instid1(VALU_DEP_2)
	v_or_b32_e32 v156, v157, v156
	v_dot4_i32_iu8 v157, v0, v141, 0 neg_lo:[1,1,0]
	v_dot4_i32_iu8 v0, v0, v153, 0 neg_lo:[1,1,0]
	;; [unrolled: 1-line block ×3, first 2 shown]
	s_delay_alu instid0(VALU_DEP_2) | instskip(NEXT) | instid1(VALU_DEP_2)
	v_dot4_i32_iu8 v0, v1, v154, v0 neg_lo:[1,1,0]
	v_dot4_i32_iu8 v1, v2, v143, v157 neg_lo:[1,1,0]
	;; [unrolled: 1-line block ×4, first 2 shown]
	s_delay_alu instid0(VALU_DEP_4)
	v_dot4_i32_iu8 v0, v2, v155, v0 neg_lo:[1,1,0]
	v_dot4_i32_iu8 v2, v4, v149, 0 neg_lo:[1,1,0]
	v_dot4_i32_iu8 v159, v3, v144, v1 neg_lo:[1,1,0]
	v_dot4_i32_iu8 v157, v3, v148, v157 neg_lo:[1,1,0]
	v_dot4_i32_iu8 v158, v3, v152, v158 neg_lo:[1,1,0]
	v_dot4_i32_iu8 v160, v3, v156, v0 neg_lo:[1,1,0]
	v_dot4_i32_iu8 v0, v4, v141, 0 neg_lo:[1,1,0]
	v_dot4_i32_iu8 v1, v4, v145, 0 neg_lo:[1,1,0]
	v_dot4_i32_iu8 v3, v4, v153, 0 neg_lo:[1,1,0]
	v_dot4_i32_iu8 v2, v5, v150, v2 neg_lo:[1,1,0]
	s_delay_alu instid0(VALU_DEP_4) | instskip(NEXT) | instid1(VALU_DEP_4)
	v_dot4_i32_iu8 v0, v5, v142, v0 neg_lo:[1,1,0]
	v_dot4_i32_iu8 v1, v5, v146, v1 neg_lo:[1,1,0]
	s_delay_alu instid0(VALU_DEP_4) | instskip(NEXT) | instid1(VALU_DEP_4)
	v_dot4_i32_iu8 v3, v5, v154, v3 neg_lo:[1,1,0]
	v_dot4_i32_iu8 v2, v6, v151, v2 neg_lo:[1,1,0]
	s_delay_alu instid0(VALU_DEP_4) | instskip(NEXT) | instid1(VALU_DEP_4)
	v_dot4_i32_iu8 v0, v6, v143, v0 neg_lo:[1,1,0]
	v_dot4_i32_iu8 v1, v6, v147, v1 neg_lo:[1,1,0]
	s_delay_alu instid0(VALU_DEP_4) | instskip(NEXT) | instid1(VALU_DEP_4)
	v_dot4_i32_iu8 v3, v6, v155, v3 neg_lo:[1,1,0]
	v_dot4_i32_iu8 v163, v7, v152, v2 neg_lo:[1,1,0]
	v_dot4_i32_iu8 v2, v8, v149, 0 neg_lo:[1,1,0]
	v_dot4_i32_iu8 v161, v7, v144, v0 neg_lo:[1,1,0]
	v_dot4_i32_iu8 v162, v7, v148, v1 neg_lo:[1,1,0]
	v_dot4_i32_iu8 v164, v7, v156, v3 neg_lo:[1,1,0]
	v_dot4_i32_iu8 v0, v8, v141, 0 neg_lo:[1,1,0]
	v_dot4_i32_iu8 v1, v8, v145, 0 neg_lo:[1,1,0]
	v_dot4_i32_iu8 v3, v8, v153, 0 neg_lo:[1,1,0]
	v_dot4_i32_iu8 v2, v9, v150, v2 neg_lo:[1,1,0]
	s_delay_alu instid0(VALU_DEP_4) | instskip(NEXT) | instid1(VALU_DEP_4)
	v_dot4_i32_iu8 v0, v9, v142, v0 neg_lo:[1,1,0]
	v_dot4_i32_iu8 v1, v9, v146, v1 neg_lo:[1,1,0]
	s_delay_alu instid0(VALU_DEP_4) | instskip(NEXT) | instid1(VALU_DEP_4)
	v_dot4_i32_iu8 v3, v9, v154, v3 neg_lo:[1,1,0]
	v_dot4_i32_iu8 v2, v10, v151, v2 neg_lo:[1,1,0]
	s_delay_alu instid0(VALU_DEP_4) | instskip(NEXT) | instid1(VALU_DEP_4)
	v_dot4_i32_iu8 v0, v10, v143, v0 neg_lo:[1,1,0]
	v_dot4_i32_iu8 v1, v10, v147, v1 neg_lo:[1,1,0]
	s_delay_alu instid0(VALU_DEP_4) | instskip(NEXT) | instid1(VALU_DEP_4)
	;; [unrolled: 20-line block ×5, first 2 shown]
	v_dot4_i32_iu8 v3, v22, v155, v3 neg_lo:[1,1,0]
	v_dot4_i32_iu8 v173, v23, v152, v2 neg_lo:[1,1,0]
	;; [unrolled: 1-line block ×10, first 2 shown]
	v_perm_b32 v22, v210, v227, 0xc0c0401
	v_dot4_i32_iu8 v0, v25, v142, v0 neg_lo:[1,1,0]
	v_dot4_i32_iu8 v1, v25, v146, v1 neg_lo:[1,1,0]
	v_dot4_i32_iu8 v3, v25, v154, v3 neg_lo:[1,1,0]
	v_dot4_i32_iu8 v2, v26, v151, v2 neg_lo:[1,1,0]
	v_perm_b32 v23, v211, v238, 0x4010c0c
	v_dot4_i32_iu8 v0, v26, v143, v0 neg_lo:[1,1,0]
	v_dot4_i32_iu8 v1, v26, v147, v1 neg_lo:[1,1,0]
	;; [unrolled: 1-line block ×4, first 2 shown]
	v_perm_b32 v24, v212, v225, 0xc0c0401
	v_dot4_i32_iu8 v12, v27, v144, v0 neg_lo:[1,1,0]
	v_dot4_i32_iu8 v18, v27, v148, v1 neg_lo:[1,1,0]
	;; [unrolled: 1-line block ×3, first 2 shown]
	ds_load_b128 v[0:3], v192
	ds_load_b128 v[4:7], v192 offset:16
	s_clause 0x1
	scratch_load_b32 v15, off, off
	scratch_load_b32 v19, off, off offset:4
	v_perm_b32 v25, v213, v231, 0x4010c0c
	v_perm_b32 v27, v218, v94, 0xc0c0401
	v_perm_b32 v94, v232, v118, 0xc0c0401
	v_add_nc_u32_e32 v192, 32, v192
	s_waitcnt lgkmcnt(1)
	v_perm_b32 v13, v0, v0, 0x30201
	v_perm_b32 v14, v1, v1, 0x30201
	s_clause 0x1
	scratch_load_b32 v0, off, off offset:144
	scratch_load_b32 v1, off, off offset:136
	s_waitcnt lgkmcnt(0)
	v_perm_b32 v4, v4, v4, 0x30201
	v_perm_b32 v5, v5, v5, 0x30201
	;; [unrolled: 1-line block ×6, first 2 shown]
	s_waitcnt vmcnt(3)
	v_add_nc_u32_e32 v15, s20, v15
	s_waitcnt vmcnt(2)
	v_add_nc_u32_e32 v19, s20, v19
	ds_load_b32 v15, v15
	s_waitcnt vmcnt(1)
	v_add3_u32 v0, v0, s19, v33
	s_waitcnt vmcnt(0)
	v_add3_u32 v1, v1, s19, v33
	ds_load_b32 v19, v19
	ds_load_u16 v20, v0
	ds_load_u16 v21, v1
	ds_load_2addr_b32 v[0:1], v236 offset1:32
	v_perm_b32 v33, v219, v224, 0x4010c0c
	v_mov_b32_e32 v224, v137
	s_add_i32 s19, s1, s16
	s_delay_alu instid0(SALU_CYCLE_1) | instskip(NEXT) | instid1(SALU_CYCLE_1)
	s_add_i32 s19, s19, 8
	s_cmp_lt_u32 s19, s18
	s_waitcnt lgkmcnt(0)
	v_mul_f32_e32 v142, v0, v194
	v_mul_f32_e32 v143, v0, v15
	v_mul_f32_e32 v144, v0, v195
	v_dual_mul_f32 v145, v0, v19 :: v_dual_mul_f32 v146, v194, v1
	v_mul_f32_e32 v147, v15, v1
	v_mul_f32_e32 v148, v195, v1
	v_mul_f32_e32 v149, v19, v1
	ds_load_2addr_b32 v[0:1], v236 offset0:64 offset1:96
	s_waitcnt lgkmcnt(0)
	v_mul_f32_e32 v150, v194, v0
	v_mul_f32_e32 v151, v15, v0
	v_mul_f32_e32 v152, v195, v0
	v_dual_mul_f32 v153, v19, v0 :: v_dual_mul_f32 v154, v194, v1
	v_mul_f32_e32 v155, v15, v1
	v_mul_f32_e32 v156, v195, v1
	v_mul_f32_e32 v175, v19, v1
	ds_load_2addr_b32 v[0:1], v236 offset0:128 offset1:160
	s_waitcnt lgkmcnt(0)
	v_mul_f32_e32 v176, v194, v0
	v_mul_f32_e32 v177, v15, v0
	v_mul_f32_e32 v178, v195, v0
	v_dual_mul_f32 v181, v19, v0 :: v_dual_mul_f32 v182, v194, v1
	v_mul_f32_e32 v183, v15, v1
	v_mul_f32_e32 v184, v195, v1
	v_mul_f32_e32 v185, v19, v1
	ds_load_2addr_b32 v[0:1], v236 offset0:192 offset1:224
	v_add_nc_u32_e32 v236, 4, v236
	s_waitcnt lgkmcnt(0)
	v_mul_f32_e32 v186, v194, v0
	v_dual_mul_f32 v187, v194, v1 :: v_dual_mul_f32 v188, v15, v0
	v_mul_f32_e32 v189, v15, v1
	v_mul_f32_e32 v190, v195, v0
	;; [unrolled: 1-line block ×5, first 2 shown]
	v_perm_b32 v0, v202, v247, 0xc0c0401
	v_perm_b32 v1, v203, v245, 0x4010c0c
	;; [unrolled: 1-line block ×4, first 2 shown]
	s_delay_alu instid0(VALU_DEP_3) | instskip(NEXT) | instid1(VALU_DEP_2)
	v_or_b32_e32 v0, v1, v0
	v_or_b32_e32 v1, v19, v15
	;; [unrolled: 1-line block ×8, first 2 shown]
	v_dot4_i32_iu8 v0, v0, v13, 0 neg_lo:[1,1,0]
	v_dot4_i32_iu8 v15, v15, v13, 0 neg_lo:[1,1,0]
	;; [unrolled: 1-line block ×4, first 2 shown]
	v_perm_b32 v24, v50, v91, 0xc0c0401
	v_dot4_i32_iu8 v0, v1, v14, v0 neg_lo:[1,1,0]
	v_dot4_i32_iu8 v1, v19, v14, v15 neg_lo:[1,1,0]
	;; [unrolled: 1-line block ×4, first 2 shown]
	v_perm_b32 v14, v38, v28, 0xc0c0401
	v_perm_b32 v19, v39, v83, 0x4010c0c
	;; [unrolled: 1-line block ×15, first 2 shown]
	v_or_b32_e32 v14, v19, v14
	v_or_b32_e32 v19, v23, v22
	;; [unrolled: 1-line block ×8, first 2 shown]
	v_dot4_i32_iu8 v14, v14, v4, 0 neg_lo:[1,1,0]
	v_dot4_i32_iu8 v22, v22, v4, 0 neg_lo:[1,1,0]
	;; [unrolled: 1-line block ×4, first 2 shown]
	v_perm_b32 v27, v214, v244, 0xc0c0401
	v_dot4_i32_iu8 v14, v19, v5, v14 neg_lo:[1,1,0]
	v_dot4_i32_iu8 v19, v23, v5, v22 neg_lo:[1,1,0]
	;; [unrolled: 1-line block ×4, first 2 shown]
	s_clause 0x3
	scratch_load_b32 v5, off, off offset:104
	scratch_load_b32 v25, off, off offset:108
	;; [unrolled: 1-line block ×4, first 2 shown]
	v_perm_b32 v28, v215, v242, 0x4010c0c
	v_perm_b32 v29, v222, v253, 0xc0c0401
	v_perm_b32 v33, v223, v252, 0x4010c0c
	v_mov_b32_e32 v87, v84
	s_clause 0x2
	scratch_load_b32 v84, off, off offset:44
	scratch_load_b32 v62, off, off offset:24
	;; [unrolled: 1-line block ×3, first 2 shown]
	v_mov_b32_e32 v79, v193
	v_mov_b32_e32 v89, v71
	v_mov_b32_e32 v81, v73
	v_mov_b32_e32 v73, v99
	v_dual_mov_b32 v83, v234 :: v_dual_mov_b32 v78, v67
	v_dual_mov_b32 v53, v96 :: v_dual_mov_b32 v52, v106
	;; [unrolled: 1-line block ×3, first 2 shown]
	s_waitcnt vmcnt(6)
	v_perm_b32 v5, v198, v5, 0xc0c0401
	s_waitcnt vmcnt(5)
	v_perm_b32 v25, v207, v25, 0x4010c0c
	;; [unrolled: 2-line block ×4, first 2 shown]
	s_delay_alu instid0(VALU_DEP_2) | instskip(NEXT) | instid1(VALU_DEP_2)
	v_or_b32_e32 v5, v23, v5
	v_or_b32_e32 v23, v25, v24
	;; [unrolled: 1-line block ×4, first 2 shown]
	v_perm_b32 v27, v54, v121, 0x4010c0c
	v_dot4_i32_iu8 v0, v5, v2, v0 neg_lo:[1,1,0]
	v_dot4_i32_iu8 v1, v23, v2, v1 neg_lo:[1,1,0]
	;; [unrolled: 1-line block ×4, first 2 shown]
	v_perm_b32 v13, v36, v30, 0xc0c0401
	v_perm_b32 v15, v37, v61, 0x4010c0c
	;; [unrolled: 1-line block ×7, first 2 shown]
	v_or_b32_e32 v13, v15, v13
	v_or_b32_e32 v15, v24, v23
	;; [unrolled: 1-line block ×3, first 2 shown]
	scratch_load_b32 v25, off, off offset:92 ; 4-byte Folded Reload
	v_or_b32_e32 v24, v29, v28
	v_dot4_i32_iu8 v13, v13, v6, v14 neg_lo:[1,1,0]
	v_dot4_i32_iu8 v14, v15, v6, v19 neg_lo:[1,1,0]
	;; [unrolled: 1-line block ×3, first 2 shown]
	scratch_load_b32 v22, off, off offset:88 ; 4-byte Folded Reload
	v_dot4_i32_iu8 v4, v24, v6, v4 neg_lo:[1,1,0]
	s_clause 0x3
	scratch_load_b32 v6, off, off offset:80
	scratch_load_b32 v23, off, off offset:84
	;; [unrolled: 1-line block ×4, first 2 shown]
	v_perm_b32 v27, v216, v243, 0xc0c0401
	v_perm_b32 v28, v217, v240, 0x4010c0c
	s_clause 0x1
	scratch_load_b32 v66, off, off offset:8
	scratch_load_b32 v59, off, off offset:12
	s_waitcnt vmcnt(7)
	v_perm_b32 v25, v209, v25, 0x4010c0c
	s_waitcnt vmcnt(6)
	v_perm_b32 v22, v200, v22, 0xc0c0401
	;; [unrolled: 2-line block ×6, first 2 shown]
	s_delay_alu instid0(VALU_DEP_2) | instskip(SKIP_1) | instid1(VALU_DEP_3)
	v_or_b32_e32 v6, v19, v6
	v_or_b32_e32 v19, v23, v22
	;; [unrolled: 1-line block ×4, first 2 shown]
	v_perm_b32 v24, v140, v82, 0xc0c0401
	v_dot4_i32_iu8 v0, v6, v3, v0 neg_lo:[1,1,0]
	v_dot4_i32_iu8 v19, v19, v3, v1 neg_lo:[1,1,0]
	;; [unrolled: 1-line block ×4, first 2 shown]
	v_perm_b32 v1, v34, v49, 0xc0c0401
	v_perm_b32 v2, v35, v86, 0x4010c0c
	v_perm_b32 v3, v40, v48, 0xc0c0401
	v_perm_b32 v5, v41, v112, 0x4010c0c
	v_perm_b32 v6, v125, v68, 0xc0c0401
	v_perm_b32 v23, v56, v124, 0x4010c0c
	v_or_b32_e32 v1, v2, v1
	v_perm_b32 v25, v60, v139, 0x4010c0c
	scratch_load_b32 v60, off, off offset:16 ; 4-byte Folded Reload
	v_or_b32_e32 v2, v5, v3
	v_or_b32_e32 v3, v23, v6
	v_dot4_i32_iu8 v6, v1, v7, v13 neg_lo:[1,1,0]
	v_lshrrev_b16 v1, 8, v20
	v_or_b32_e32 v5, v25, v24
	v_dot4_i32_iu8 v13, v2, v7, v14 neg_lo:[1,1,0]
	v_bfe_i32 v14, v20, 0, 8
	v_dot4_i32_iu8 v23, v3, v7, v15 neg_lo:[1,1,0]
	v_bfe_i32 v15, v1, 0, 8
	;; [unrolled: 2-line block ×3, first 2 shown]
	v_mul_lo_u32 v0, v0, v14
	v_bfe_i32 v25, v21, 0, 8
	v_mov_b32_e32 v49, v127
	scratch_load_b32 v68, off, off offset:32 ; 4-byte Folded Reload
	v_mov_b32_e32 v56, v85
	v_dual_mov_b32 v86, v235 :: v_dual_mov_b32 v235, v100
	v_mov_b32_e32 v82, v230
	v_mad_u64_u32 v[1:2], null, v6, v15, v[0:1]
	v_mul_lo_u32 v0, v76, v14
	s_clause 0x1
	scratch_load_b32 v76, off, off offset:36
	scratch_load_b32 v61, off, off offset:20
	v_mad_u64_u32 v[2:3], null, v159, v15, v[0:1]
	v_mul_lo_u32 v0, v95, v14
	s_delay_alu instid0(VALU_DEP_1) | instskip(SKIP_1) | instid1(VALU_DEP_1)
	v_mad_u64_u32 v[3:4], null, v161, v15, v[0:1]
	v_mul_lo_u32 v0, v105, v14
	v_mad_u64_u32 v[4:5], null, v8, v15, v[0:1]
	v_mul_lo_u32 v0, v134, v14
	s_delay_alu instid0(VALU_DEP_1) | instskip(SKIP_1) | instid1(VALU_DEP_1)
	v_mad_u64_u32 v[5:6], null, v9, v15, v[0:1]
	v_mul_lo_u32 v0, v70, v14
	;; [unrolled: 5-line block ×3, first 2 shown]
	v_mad_u64_u32 v[8:9], null, v12, v15, v[0:1]
	v_lshrrev_b16 v0, 8, v31
	s_delay_alu instid0(VALU_DEP_1) | instskip(SKIP_1) | instid1(VALU_DEP_1)
	v_bfe_i32 v24, v0, 0, 8
	v_mul_lo_u32 v0, v19, v20
	v_mad_u64_u32 v[9:10], null, v13, v24, v[0:1]
	v_mul_lo_u32 v0, v250, v20
	s_delay_alu instid0(VALU_DEP_1) | instskip(SKIP_4) | instid1(VALU_DEP_1)
	v_mad_u64_u32 v[10:11], null, v157, v24, v[0:1]
	v_mul_lo_u32 v0, v77, v20
	scratch_load_b32 v77, off, off offset:40 ; 4-byte Folded Reload
	v_mad_u64_u32 v[11:12], null, v162, v24, v[0:1]
	v_mul_lo_u32 v0, v93, v20
	v_mad_u64_u32 v[12:13], null, v165, v24, v[0:1]
	v_mul_lo_u32 v0, v104, v20
	s_delay_alu instid0(VALU_DEP_1) | instskip(SKIP_1) | instid1(VALU_DEP_1)
	v_mad_u64_u32 v[13:14], null, v168, v24, v[0:1]
	v_mul_lo_u32 v0, v129, v20
	v_mad_u64_u32 v[14:15], null, v16, v24, v[0:1]
	v_mul_lo_u32 v0, v69, v20
	s_delay_alu instid0(VALU_DEP_1) | instskip(SKIP_2) | instid1(VALU_DEP_2)
	v_mad_u64_u32 v[15:16], null, v17, v24, v[0:1]
	v_mul_lo_u32 v0, v72, v20
	v_mov_b32_e32 v72, v133
	v_mad_u64_u32 v[16:17], null, v18, v24, v[0:1]
	v_lshrrev_b16 v0, 8, v21
	s_delay_alu instid0(VALU_DEP_1) | instskip(SKIP_1) | instid1(VALU_DEP_1)
	v_bfe_i32 v29, v0, 0, 8
	v_mul_lo_u32 v0, v22, v25
	v_mad_u64_u32 v[17:18], null, v23, v29, v[0:1]
	v_mul_lo_u32 v0, v241, v25
	s_delay_alu instid0(VALU_DEP_1) | instskip(SKIP_1) | instid1(VALU_DEP_1)
	v_mad_u64_u32 v[18:19], null, v158, v29, v[0:1]
	v_mul_lo_u32 v0, v249, v25
	v_mad_u64_u32 v[19:20], null, v163, v29, v[0:1]
	v_mul_lo_u32 v0, v255, v25
	s_delay_alu instid0(VALU_DEP_1) | instskip(SKIP_1) | instid1(VALU_DEP_1)
	v_mad_u64_u32 v[20:21], null, v166, v29, v[0:1]
	;; [unrolled: 5-line block ×3, first 2 shown]
	v_mul_lo_u32 v0, v128, v25
	v_mad_u64_u32 v[23:24], null, v173, v29, v[0:1]
	v_mul_lo_u32 v0, v138, v25
	s_delay_alu instid0(VALU_DEP_1) | instskip(SKIP_2) | instid1(VALU_DEP_2)
	v_mad_u64_u32 v[24:25], null, v26, v29, v[0:1]
	v_lshrrev_b16 v0, 8, v32
	v_bfe_i32 v29, v32, 0, 8
	v_bfe_i32 v30, v0, 0, 8
	s_delay_alu instid0(VALU_DEP_2) | instskip(NEXT) | instid1(VALU_DEP_1)
	v_mul_lo_u32 v0, v27, v29
	v_mad_u64_u32 v[25:26], null, v28, v30, v[0:1]
	v_mul_lo_u32 v0, v237, v29
	s_clause 0x1
	scratch_load_b32 v28, off, off offset:72
	scratch_load_b32 v127, off, off offset:68
	v_mad_u64_u32 v[26:27], null, v160, v30, v[0:1]
	v_mul_lo_u32 v0, v239, v29
	s_delay_alu instid0(VALU_DEP_1) | instskip(SKIP_1) | instid1(VALU_DEP_1)
	v_mad_u64_u32 v[31:32], null, v164, v30, v[0:1]
	v_mul_lo_u32 v0, v246, v29
	v_mad_u64_u32 v[32:33], null, v167, v30, v[0:1]
	v_mul_lo_u32 v0, v254, v29
	s_delay_alu instid0(VALU_DEP_1) | instskip(SKIP_4) | instid1(VALU_DEP_1)
	v_mad_u64_u32 v[33:34], null, v170, v30, v[0:1]
	v_mul_lo_u32 v0, v90, v29
	scratch_load_b32 v90, off, off offset:48 ; 4-byte Folded Reload
	v_mad_u64_u32 v[34:35], null, v172, v30, v[0:1]
	v_mul_lo_u32 v0, v101, v29
	v_mad_u64_u32 v[35:36], null, v174, v30, v[0:1]
	v_mul_lo_u32 v0, v113, v29
	s_clause 0x1
	scratch_load_b32 v29, off, off offset:56
	scratch_load_b32 v137, off, off offset:52
	v_mad_u64_u32 v[36:37], null, v141, v30, v[0:1]
	s_clause 0x1
	scratch_load_b32 v30, off, off offset:64
	scratch_load_b32 v193, off, off offset:60
	v_cvt_f32_i32_e32 v0, v1
	s_delay_alu instid0(VALU_DEP_1) | instskip(SKIP_1) | instid1(VALU_DEP_1)
	v_fmac_f32_e32 v56, v142, v0
	v_cvt_f32_i32_e32 v0, v9
	v_fmac_f32_e32 v75, v143, v0
	v_cvt_f32_i32_e32 v0, v17
	s_delay_alu instid0(VALU_DEP_1) | instskip(SKIP_1) | instid1(VALU_DEP_1)
	v_fmac_f32_e32 v89, v144, v0
	v_cvt_f32_i32_e32 v0, v25
	v_fmac_f32_e32 v74, v145, v0
	;; [unrolled: 5-line block ×8, first 2 shown]
	v_cvt_f32_i32_e32 v0, v5
	s_waitcnt vmcnt(0)
	s_delay_alu instid0(VALU_DEP_1) | instskip(SKIP_1) | instid1(VALU_DEP_1)
	v_fmac_f32_e32 v193, v176, v0
	v_cvt_f32_i32_e32 v0, v13
	v_fmac_f32_e32 v137, v177, v0
	v_cvt_f32_i32_e32 v0, v21
	s_delay_alu instid0(VALU_DEP_1) | instskip(SKIP_1) | instid1(VALU_DEP_1)
	v_fmac_f32_e32 v72, v178, v0
	v_cvt_f32_i32_e32 v0, v33
	v_fmac_f32_e32 v127, v181, v0
	v_cvt_f32_i32_e32 v0, v6
	;; [unrolled: 5-line block ×7, first 2 shown]
	s_delay_alu instid0(VALU_DEP_1) | instskip(SKIP_1) | instid1(VALU_DEP_1)
	v_fmac_f32_e32 v29, v191, v0
	v_cvt_f32_i32_e32 v0, v36
	v_fmac_f32_e32 v28, v195, v0
	s_cbranch_scc1 .LBB149_12
; %bb.13:                               ;   in Loop: Header=BB149_8 Depth=2
	s_waitcnt_vscnt null, 0x0
	s_barrier
	buffer_gl0_inv
	s_clause 0x9
	scratch_load_b32 v65, off, off
	scratch_load_b32 v91, off, off offset:4
	scratch_load_b32 v92, off, off offset:116
	;; [unrolled: 1-line block ×9, first 2 shown]
	s_add_i32 s1, s1, 16
	s_cmp_eq_u32 s14, 4
	s_cselect_b32 s15, -1, 0
	s_delay_alu instid0(SALU_CYCLE_1)
	s_and_b32 vcc_lo, exec_lo, s15
	s_cbranch_vccz .LBB149_8
	s_branch .LBB149_5
.LBB149_14:
	s_clause 0x2
	scratch_load_b32 v1, off, off offset:516
	scratch_load_b32 v0, off, off offset:152
	;; [unrolled: 1-line block ×3, first 2 shown]
.LBB149_15:
	s_mov_b32 s0, exec_lo
	s_waitcnt vmcnt(0)
	v_cmpx_gt_u32_e64 s4, v2
	s_cbranch_execz .LBB149_66
; %bb.16:
	v_add_nc_u32_e32 v0, s10, v0
	v_mul_lo_u32 v5, v2, s6
	s_delay_alu instid0(VALU_DEP_2)
	v_cmp_gt_u32_e32 vcc_lo, s6, v0
	s_and_saveexec_b32 s1, vcc_lo
	s_cbranch_execz .LBB149_18
; %bb.17:
	s_delay_alu instid0(VALU_DEP_2) | instskip(SKIP_1) | instid1(VALU_DEP_2)
	v_dual_mov_b32 v3, 0 :: v_dual_add_nc_u32 v2, v0, v5
	v_cvt_f16_f32_e32 v4, v56
	v_lshlrev_b64 v[2:3], 1, v[2:3]
	s_waitcnt lgkmcnt(0)
	s_delay_alu instid0(VALU_DEP_1) | instskip(NEXT) | instid1(VALU_DEP_1)
	v_add_co_u32 v2, s0, s8, v2
	v_add_co_ci_u32_e64 v3, s0, s9, v3, s0
	global_store_b16 v[2:3], v4, off
.LBB149_18:
	s_or_b32 exec_lo, exec_lo, s1
	v_add_nc_u32_e32 v2, 32, v0
	s_delay_alu instid0(VALU_DEP_1) | instskip(NEXT) | instid1(VALU_DEP_1)
	v_cmp_gt_u32_e64 s0, s6, v2
	s_and_saveexec_b32 s2, s0
	s_cbranch_execz .LBB149_20
; %bb.19:
	v_dual_mov_b32 v4, 0 :: v_dual_add_nc_u32 v3, v2, v5
	v_cvt_f16_f32_e32 v6, v75
	s_delay_alu instid0(VALU_DEP_2) | instskip(SKIP_1) | instid1(VALU_DEP_1)
	v_lshlrev_b64 v[3:4], 1, v[3:4]
	s_waitcnt lgkmcnt(0)
	v_add_co_u32 v3, s1, s8, v3
	s_delay_alu instid0(VALU_DEP_1)
	v_add_co_ci_u32_e64 v4, s1, s9, v4, s1
	global_store_b16 v[3:4], v6, off
.LBB149_20:
	s_or_b32 exec_lo, exec_lo, s2
	v_add_nc_u32_e32 v3, 64, v0
	s_delay_alu instid0(VALU_DEP_1) | instskip(NEXT) | instid1(VALU_DEP_1)
	v_cmp_gt_u32_e64 s1, s6, v3
	s_and_saveexec_b32 s3, s1
	s_cbranch_execz .LBB149_22
; %bb.21:
	v_dual_mov_b32 v7, 0 :: v_dual_add_nc_u32 v6, v3, v5
	v_cvt_f16_f32_e32 v4, v89
	s_delay_alu instid0(VALU_DEP_2) | instskip(SKIP_1) | instid1(VALU_DEP_1)
	v_lshlrev_b64 v[6:7], 1, v[6:7]
	s_waitcnt lgkmcnt(0)
	v_add_co_u32 v6, s2, s8, v6
	s_delay_alu instid0(VALU_DEP_1)
	v_add_co_ci_u32_e64 v7, s2, s9, v7, s2
	global_store_b16 v[6:7], v4, off
.LBB149_22:
	;; [unrolled: 17-line block ×3, first 2 shown]
	s_or_b32 exec_lo, exec_lo, s5
	v_add3_u32 v5, v1, s7, 8
	s_delay_alu instid0(VALU_DEP_1) | instskip(NEXT) | instid1(VALU_DEP_1)
	v_cmp_gt_u32_e64 s3, s4, v5
	s_and_b32 exec_lo, exec_lo, s3
	s_cbranch_execz .LBB149_66
; %bb.25:
	v_mul_lo_u32 v5, v5, s6
	s_and_saveexec_b32 s5, vcc_lo
	s_cbranch_execnz .LBB149_67
; %bb.26:
	s_or_b32 exec_lo, exec_lo, s5
	s_and_saveexec_b32 s5, s0
	s_cbranch_execnz .LBB149_68
.LBB149_27:
	s_or_b32 exec_lo, exec_lo, s5
	s_and_saveexec_b32 s5, s1
	s_cbranch_execnz .LBB149_69
.LBB149_28:
	s_or_b32 exec_lo, exec_lo, s5
	s_and_saveexec_b32 s5, s2
	s_cbranch_execz .LBB149_30
.LBB149_29:
	v_dual_mov_b32 v6, 0 :: v_dual_add_nc_u32 v5, v5, v4
	v_cvt_f16_f32_e32 v7, v86
	s_delay_alu instid0(VALU_DEP_2) | instskip(SKIP_1) | instid1(VALU_DEP_1)
	v_lshlrev_b64 v[5:6], 1, v[5:6]
	s_waitcnt lgkmcnt(0)
	v_add_co_u32 v5, s3, s8, v5
	s_delay_alu instid0(VALU_DEP_1)
	v_add_co_ci_u32_e64 v6, s3, s9, v6, s3
	global_store_b16 v[5:6], v7, off
.LBB149_30:
	s_or_b32 exec_lo, exec_lo, s5
	v_add3_u32 v5, v1, s7, 16
	s_delay_alu instid0(VALU_DEP_1) | instskip(NEXT) | instid1(VALU_DEP_1)
	v_cmp_gt_u32_e64 s3, s4, v5
	s_and_b32 exec_lo, exec_lo, s3
	s_cbranch_execz .LBB149_66
; %bb.31:
	v_mul_lo_u32 v5, v5, s6
	s_and_saveexec_b32 s5, vcc_lo
	s_cbranch_execnz .LBB149_70
; %bb.32:
	s_or_b32 exec_lo, exec_lo, s5
	s_and_saveexec_b32 s5, s0
	s_cbranch_execnz .LBB149_71
.LBB149_33:
	s_or_b32 exec_lo, exec_lo, s5
	s_and_saveexec_b32 s5, s1
	s_cbranch_execnz .LBB149_72
.LBB149_34:
	s_or_b32 exec_lo, exec_lo, s5
	s_and_saveexec_b32 s5, s2
	s_cbranch_execz .LBB149_36
.LBB149_35:
	v_dual_mov_b32 v6, 0 :: v_dual_add_nc_u32 v5, v5, v4
	v_cvt_f16_f32_e32 v7, v81
	s_delay_alu instid0(VALU_DEP_2) | instskip(SKIP_1) | instid1(VALU_DEP_1)
	v_lshlrev_b64 v[5:6], 1, v[5:6]
	s_waitcnt lgkmcnt(0)
	v_add_co_u32 v5, s3, s8, v5
	s_delay_alu instid0(VALU_DEP_1)
	v_add_co_ci_u32_e64 v6, s3, s9, v6, s3
	global_store_b16 v[5:6], v7, off
.LBB149_36:
	s_or_b32 exec_lo, exec_lo, s5
	v_add3_u32 v5, v1, s7, 24
	s_delay_alu instid0(VALU_DEP_1) | instskip(NEXT) | instid1(VALU_DEP_1)
	v_cmp_gt_u32_e64 s3, s4, v5
	s_and_b32 exec_lo, exec_lo, s3
	s_cbranch_execz .LBB149_66
; %bb.37:
	v_mul_lo_u32 v5, v5, s6
	s_and_saveexec_b32 s5, vcc_lo
	s_cbranch_execnz .LBB149_73
; %bb.38:
	s_or_b32 exec_lo, exec_lo, s5
	s_and_saveexec_b32 s5, s0
	s_cbranch_execnz .LBB149_74
.LBB149_39:
	s_or_b32 exec_lo, exec_lo, s5
	s_and_saveexec_b32 s5, s1
	s_cbranch_execnz .LBB149_75
.LBB149_40:
	s_or_b32 exec_lo, exec_lo, s5
	s_and_saveexec_b32 s5, s2
	s_cbranch_execz .LBB149_42
.LBB149_41:
	v_dual_mov_b32 v6, 0 :: v_dual_add_nc_u32 v5, v5, v4
	v_cvt_f16_f32_e64 v7, v224
	s_delay_alu instid0(VALU_DEP_2) | instskip(SKIP_1) | instid1(VALU_DEP_1)
	v_lshlrev_b64 v[5:6], 1, v[5:6]
	s_waitcnt lgkmcnt(0)
	v_add_co_u32 v5, s3, s8, v5
	s_delay_alu instid0(VALU_DEP_1)
	v_add_co_ci_u32_e64 v6, s3, s9, v6, s3
	global_store_b16 v[5:6], v7, off
.LBB149_42:
	s_or_b32 exec_lo, exec_lo, s5
	v_add3_u32 v5, v1, s7, 32
	s_delay_alu instid0(VALU_DEP_1) | instskip(NEXT) | instid1(VALU_DEP_1)
	v_cmp_gt_u32_e64 s3, s4, v5
	s_and_b32 exec_lo, exec_lo, s3
	s_cbranch_execz .LBB149_66
; %bb.43:
	v_mul_lo_u32 v5, v5, s6
	s_and_saveexec_b32 s5, vcc_lo
	s_cbranch_execnz .LBB149_76
; %bb.44:
	s_or_b32 exec_lo, exec_lo, s5
	s_and_saveexec_b32 s5, s0
	s_cbranch_execnz .LBB149_77
.LBB149_45:
	s_or_b32 exec_lo, exec_lo, s5
	s_and_saveexec_b32 s5, s1
	s_cbranch_execnz .LBB149_78
.LBB149_46:
	s_or_b32 exec_lo, exec_lo, s5
	s_and_saveexec_b32 s5, s2
	s_cbranch_execz .LBB149_48
.LBB149_47:
	v_dual_mov_b32 v6, 0 :: v_dual_add_nc_u32 v5, v5, v4
	v_cvt_f16_f32_e32 v7, v127
	s_delay_alu instid0(VALU_DEP_2) | instskip(SKIP_1) | instid1(VALU_DEP_1)
	v_lshlrev_b64 v[5:6], 1, v[5:6]
	s_waitcnt lgkmcnt(0)
	v_add_co_u32 v5, s3, s8, v5
	s_delay_alu instid0(VALU_DEP_1)
	v_add_co_ci_u32_e64 v6, s3, s9, v6, s3
	global_store_b16 v[5:6], v7, off
.LBB149_48:
	s_or_b32 exec_lo, exec_lo, s5
	v_add3_u32 v5, v1, s7, 40
	s_delay_alu instid0(VALU_DEP_1) | instskip(NEXT) | instid1(VALU_DEP_1)
	v_cmp_gt_u32_e64 s3, s4, v5
	s_and_b32 exec_lo, exec_lo, s3
	s_cbranch_execz .LBB149_66
; %bb.49:
	v_mul_lo_u32 v5, v5, s6
	s_and_saveexec_b32 s5, vcc_lo
	s_cbranch_execnz .LBB149_79
; %bb.50:
	s_or_b32 exec_lo, exec_lo, s5
	s_and_saveexec_b32 s5, s0
	s_cbranch_execnz .LBB149_80
.LBB149_51:
	s_or_b32 exec_lo, exec_lo, s5
	s_and_saveexec_b32 s5, s1
	s_cbranch_execnz .LBB149_81
.LBB149_52:
	s_or_b32 exec_lo, exec_lo, s5
	s_and_saveexec_b32 s5, s2
	s_cbranch_execz .LBB149_54
.LBB149_53:
	v_dual_mov_b32 v6, 0 :: v_dual_add_nc_u32 v5, v5, v4
	v_cvt_f16_f32_e32 v7, v114
	s_delay_alu instid0(VALU_DEP_2) | instskip(SKIP_1) | instid1(VALU_DEP_1)
	v_lshlrev_b64 v[5:6], 1, v[5:6]
	s_waitcnt lgkmcnt(0)
	v_add_co_u32 v5, s3, s8, v5
	s_delay_alu instid0(VALU_DEP_1)
	v_add_co_ci_u32_e64 v6, s3, s9, v6, s3
	global_store_b16 v[5:6], v7, off
.LBB149_54:
	s_or_b32 exec_lo, exec_lo, s5
	v_add3_u32 v5, v1, s7, 48
	s_delay_alu instid0(VALU_DEP_1) | instskip(NEXT) | instid1(VALU_DEP_1)
	v_cmp_gt_u32_e64 s3, s4, v5
	s_and_b32 exec_lo, exec_lo, s3
	s_cbranch_execz .LBB149_66
; %bb.55:
	v_mul_lo_u32 v5, v5, s6
	s_and_saveexec_b32 s5, vcc_lo
	s_cbranch_execnz .LBB149_82
; %bb.56:
	s_or_b32 exec_lo, exec_lo, s5
	s_and_saveexec_b32 s5, s0
	s_cbranch_execnz .LBB149_83
.LBB149_57:
	s_or_b32 exec_lo, exec_lo, s5
	s_and_saveexec_b32 s5, s1
	s_cbranch_execnz .LBB149_84
.LBB149_58:
	s_or_b32 exec_lo, exec_lo, s5
	s_and_saveexec_b32 s5, s2
	s_cbranch_execz .LBB149_60
.LBB149_59:
	v_dual_mov_b32 v6, 0 :: v_dual_add_nc_u32 v5, v5, v4
	v_cvt_f16_f32_e32 v7, v50
	s_delay_alu instid0(VALU_DEP_2) | instskip(SKIP_1) | instid1(VALU_DEP_1)
	v_lshlrev_b64 v[5:6], 1, v[5:6]
	s_waitcnt lgkmcnt(0)
	v_add_co_u32 v5, s3, s8, v5
	s_delay_alu instid0(VALU_DEP_1)
	v_add_co_ci_u32_e64 v6, s3, s9, v6, s3
	global_store_b16 v[5:6], v7, off
.LBB149_60:
	s_or_b32 exec_lo, exec_lo, s5
	v_add3_u32 v1, v1, s7, 56
	s_delay_alu instid0(VALU_DEP_1) | instskip(NEXT) | instid1(VALU_DEP_1)
	v_cmp_gt_u32_e64 s3, s4, v1
	s_and_b32 exec_lo, exec_lo, s3
	s_cbranch_execz .LBB149_66
; %bb.61:
	v_mul_lo_u32 v1, v1, s6
	s_and_saveexec_b32 s3, vcc_lo
	s_cbranch_execnz .LBB149_85
; %bb.62:
	s_or_b32 exec_lo, exec_lo, s3
	s_and_saveexec_b32 s3, s0
	s_cbranch_execnz .LBB149_86
.LBB149_63:
	s_or_b32 exec_lo, exec_lo, s3
	s_and_saveexec_b32 s0, s1
	s_cbranch_execnz .LBB149_87
.LBB149_64:
	s_or_b32 exec_lo, exec_lo, s0
	s_delay_alu instid0(SALU_CYCLE_1)
	s_and_b32 exec_lo, exec_lo, s2
	s_cbranch_execz .LBB149_66
.LBB149_65:
	v_dual_mov_b32 v1, 0 :: v_dual_add_nc_u32 v0, v1, v4
	v_cvt_f16_f32_e32 v2, v28
	s_delay_alu instid0(VALU_DEP_2) | instskip(SKIP_1) | instid1(VALU_DEP_1)
	v_lshlrev_b64 v[0:1], 1, v[0:1]
	s_waitcnt lgkmcnt(0)
	v_add_co_u32 v0, vcc_lo, s8, v0
	s_delay_alu instid0(VALU_DEP_2)
	v_add_co_ci_u32_e32 v1, vcc_lo, s9, v1, vcc_lo
	global_store_b16 v[0:1], v2, off
.LBB149_66:
	s_endpgm
.LBB149_67:
	s_delay_alu instid0(VALU_DEP_1) | instskip(SKIP_1) | instid1(VALU_DEP_2)
	v_dual_mov_b32 v7, 0 :: v_dual_add_nc_u32 v6, v5, v0
	v_cvt_f16_f32_e32 v8, v88
	v_lshlrev_b64 v[6:7], 1, v[6:7]
	s_waitcnt lgkmcnt(0)
	s_delay_alu instid0(VALU_DEP_1) | instskip(NEXT) | instid1(VALU_DEP_1)
	v_add_co_u32 v6, s3, s8, v6
	v_add_co_ci_u32_e64 v7, s3, s9, v7, s3
	global_store_b16 v[6:7], v8, off
	s_or_b32 exec_lo, exec_lo, s5
	s_and_saveexec_b32 s5, s0
	s_cbranch_execz .LBB149_27
.LBB149_68:
	s_delay_alu instid0(VALU_DEP_1) | instskip(SKIP_1) | instid1(VALU_DEP_2)
	v_dual_mov_b32 v7, 0 :: v_dual_add_nc_u32 v6, v5, v2
	v_cvt_f16_f32_e32 v8, v87
	v_lshlrev_b64 v[6:7], 1, v[6:7]
	s_waitcnt lgkmcnt(0)
	s_delay_alu instid0(VALU_DEP_1) | instskip(NEXT) | instid1(VALU_DEP_1)
	v_add_co_u32 v6, s3, s8, v6
	v_add_co_ci_u32_e64 v7, s3, s9, v7, s3
	global_store_b16 v[6:7], v8, off
	s_or_b32 exec_lo, exec_lo, s5
	s_and_saveexec_b32 s5, s1
	s_cbranch_execz .LBB149_28
.LBB149_69:
	v_dual_mov_b32 v7, 0 :: v_dual_add_nc_u32 v6, v5, v3
	v_cvt_f16_f32_e32 v8, v73
	s_delay_alu instid0(VALU_DEP_2) | instskip(SKIP_1) | instid1(VALU_DEP_1)
	v_lshlrev_b64 v[6:7], 1, v[6:7]
	s_waitcnt lgkmcnt(0)
	v_add_co_u32 v6, s3, s8, v6
	s_delay_alu instid0(VALU_DEP_1)
	v_add_co_ci_u32_e64 v7, s3, s9, v7, s3
	global_store_b16 v[6:7], v8, off
	s_or_b32 exec_lo, exec_lo, s5
	s_and_saveexec_b32 s5, s2
	s_cbranch_execnz .LBB149_29
	s_branch .LBB149_30
.LBB149_70:
	s_delay_alu instid0(VALU_DEP_1) | instskip(SKIP_1) | instid1(VALU_DEP_2)
	v_dual_mov_b32 v7, 0 :: v_dual_add_nc_u32 v6, v5, v0
	v_cvt_f16_f32_e64 v8, v235
	v_lshlrev_b64 v[6:7], 1, v[6:7]
	s_waitcnt lgkmcnt(0)
	s_delay_alu instid0(VALU_DEP_1) | instskip(NEXT) | instid1(VALU_DEP_1)
	v_add_co_u32 v6, s3, s8, v6
	v_add_co_ci_u32_e64 v7, s3, s9, v7, s3
	global_store_b16 v[6:7], v8, off
	s_or_b32 exec_lo, exec_lo, s5
	s_and_saveexec_b32 s5, s0
	s_cbranch_execz .LBB149_33
.LBB149_71:
	s_delay_alu instid0(VALU_DEP_1) | instskip(SKIP_1) | instid1(VALU_DEP_2)
	v_dual_mov_b32 v7, 0 :: v_dual_add_nc_u32 v6, v5, v2
	v_cvt_f16_f32_e32 v8, v83
	v_lshlrev_b64 v[6:7], 1, v[6:7]
	s_waitcnt lgkmcnt(0)
	s_delay_alu instid0(VALU_DEP_1) | instskip(NEXT) | instid1(VALU_DEP_1)
	v_add_co_u32 v6, s3, s8, v6
	v_add_co_ci_u32_e64 v7, s3, s9, v7, s3
	global_store_b16 v[6:7], v8, off
	s_or_b32 exec_lo, exec_lo, s5
	s_and_saveexec_b32 s5, s1
	s_cbranch_execz .LBB149_34
.LBB149_72:
	v_dual_mov_b32 v7, 0 :: v_dual_add_nc_u32 v6, v5, v3
	v_cvt_f16_f32_e32 v8, v82
	s_delay_alu instid0(VALU_DEP_2) | instskip(SKIP_1) | instid1(VALU_DEP_1)
	v_lshlrev_b64 v[6:7], 1, v[6:7]
	s_waitcnt lgkmcnt(0)
	v_add_co_u32 v6, s3, s8, v6
	s_delay_alu instid0(VALU_DEP_1)
	v_add_co_ci_u32_e64 v7, s3, s9, v7, s3
	global_store_b16 v[6:7], v8, off
	s_or_b32 exec_lo, exec_lo, s5
	s_and_saveexec_b32 s5, s2
	s_cbranch_execnz .LBB149_35
	s_branch .LBB149_36
.LBB149_73:
	s_delay_alu instid0(VALU_DEP_1) | instskip(SKIP_1) | instid1(VALU_DEP_2)
	v_dual_mov_b32 v7, 0 :: v_dual_add_nc_u32 v6, v5, v0
	v_cvt_f16_f32_e64 v8, v229
	v_lshlrev_b64 v[6:7], 1, v[6:7]
	s_waitcnt lgkmcnt(0)
	s_delay_alu instid0(VALU_DEP_1) | instskip(NEXT) | instid1(VALU_DEP_1)
	v_add_co_u32 v6, s3, s8, v6
	v_add_co_ci_u32_e64 v7, s3, s9, v7, s3
	global_store_b16 v[6:7], v8, off
	s_or_b32 exec_lo, exec_lo, s5
	s_and_saveexec_b32 s5, s0
	s_cbranch_execz .LBB149_39
.LBB149_74:
	s_delay_alu instid0(VALU_DEP_1) | instskip(SKIP_1) | instid1(VALU_DEP_2)
	v_dual_mov_b32 v7, 0 :: v_dual_add_nc_u32 v6, v5, v2
	v_cvt_f16_f32_e32 v8, v79
	v_lshlrev_b64 v[6:7], 1, v[6:7]
	s_waitcnt lgkmcnt(0)
	s_delay_alu instid0(VALU_DEP_1) | instskip(NEXT) | instid1(VALU_DEP_1)
	v_add_co_u32 v6, s3, s8, v6
	v_add_co_ci_u32_e64 v7, s3, s9, v7, s3
	global_store_b16 v[6:7], v8, off
	s_or_b32 exec_lo, exec_lo, s5
	s_and_saveexec_b32 s5, s1
	s_cbranch_execz .LBB149_40
.LBB149_75:
	v_dual_mov_b32 v7, 0 :: v_dual_add_nc_u32 v6, v5, v3
	v_cvt_f16_f32_e32 v8, v78
	s_delay_alu instid0(VALU_DEP_2) | instskip(SKIP_1) | instid1(VALU_DEP_1)
	v_lshlrev_b64 v[6:7], 1, v[6:7]
	s_waitcnt lgkmcnt(0)
	v_add_co_u32 v6, s3, s8, v6
	s_delay_alu instid0(VALU_DEP_1)
	v_add_co_ci_u32_e64 v7, s3, s9, v7, s3
	global_store_b16 v[6:7], v8, off
	s_or_b32 exec_lo, exec_lo, s5
	s_and_saveexec_b32 s5, s2
	s_cbranch_execnz .LBB149_41
	s_branch .LBB149_42
.LBB149_76:
	s_delay_alu instid0(VALU_DEP_1) | instskip(SKIP_1) | instid1(VALU_DEP_2)
	v_dual_mov_b32 v7, 0 :: v_dual_add_nc_u32 v6, v5, v0
	v_cvt_f16_f32_e64 v8, v193
	v_lshlrev_b64 v[6:7], 1, v[6:7]
	s_waitcnt lgkmcnt(0)
	s_delay_alu instid0(VALU_DEP_1) | instskip(NEXT) | instid1(VALU_DEP_1)
	v_add_co_u32 v6, s3, s8, v6
	v_add_co_ci_u32_e64 v7, s3, s9, v7, s3
	global_store_b16 v[6:7], v8, off
	s_or_b32 exec_lo, exec_lo, s5
	s_and_saveexec_b32 s5, s0
	s_cbranch_execz .LBB149_45
.LBB149_77:
	s_delay_alu instid0(VALU_DEP_1) | instskip(SKIP_1) | instid1(VALU_DEP_2)
	v_dual_mov_b32 v7, 0 :: v_dual_add_nc_u32 v6, v5, v2
	v_cvt_f16_f32_e64 v8, v137
	v_lshlrev_b64 v[6:7], 1, v[6:7]
	s_waitcnt lgkmcnt(0)
	s_delay_alu instid0(VALU_DEP_1) | instskip(NEXT) | instid1(VALU_DEP_1)
	v_add_co_u32 v6, s3, s8, v6
	v_add_co_ci_u32_e64 v7, s3, s9, v7, s3
	global_store_b16 v[6:7], v8, off
	s_or_b32 exec_lo, exec_lo, s5
	s_and_saveexec_b32 s5, s1
	s_cbranch_execz .LBB149_46
.LBB149_78:
	v_dual_mov_b32 v7, 0 :: v_dual_add_nc_u32 v6, v5, v3
	v_cvt_f16_f32_e32 v8, v72
	s_delay_alu instid0(VALU_DEP_2) | instskip(SKIP_1) | instid1(VALU_DEP_1)
	v_lshlrev_b64 v[6:7], 1, v[6:7]
	s_waitcnt lgkmcnt(0)
	v_add_co_u32 v6, s3, s8, v6
	s_delay_alu instid0(VALU_DEP_1)
	v_add_co_ci_u32_e64 v7, s3, s9, v7, s3
	global_store_b16 v[6:7], v8, off
	s_or_b32 exec_lo, exec_lo, s5
	s_and_saveexec_b32 s5, s2
	s_cbranch_execnz .LBB149_47
	s_branch .LBB149_48
.LBB149_79:
	s_delay_alu instid0(VALU_DEP_1) | instskip(SKIP_1) | instid1(VALU_DEP_2)
	v_dual_mov_b32 v7, 0 :: v_dual_add_nc_u32 v6, v5, v0
	v_cvt_f16_f32_e32 v8, v122
	v_lshlrev_b64 v[6:7], 1, v[6:7]
	s_waitcnt lgkmcnt(0)
	s_delay_alu instid0(VALU_DEP_1) | instskip(NEXT) | instid1(VALU_DEP_1)
	v_add_co_u32 v6, s3, s8, v6
	v_add_co_ci_u32_e64 v7, s3, s9, v7, s3
	global_store_b16 v[6:7], v8, off
	s_or_b32 exec_lo, exec_lo, s5
	s_and_saveexec_b32 s5, s0
	s_cbranch_execz .LBB149_51
.LBB149_80:
	s_delay_alu instid0(VALU_DEP_1) | instskip(SKIP_1) | instid1(VALU_DEP_2)
	v_dual_mov_b32 v7, 0 :: v_dual_add_nc_u32 v6, v5, v2
	v_cvt_f16_f32_e32 v8, v120
	v_lshlrev_b64 v[6:7], 1, v[6:7]
	s_waitcnt lgkmcnt(0)
	s_delay_alu instid0(VALU_DEP_1) | instskip(NEXT) | instid1(VALU_DEP_1)
	v_add_co_u32 v6, s3, s8, v6
	v_add_co_ci_u32_e64 v7, s3, s9, v7, s3
	global_store_b16 v[6:7], v8, off
	s_or_b32 exec_lo, exec_lo, s5
	s_and_saveexec_b32 s5, s1
	s_cbranch_execz .LBB149_52
.LBB149_81:
	v_dual_mov_b32 v7, 0 :: v_dual_add_nc_u32 v6, v5, v3
	v_cvt_f16_f32_e32 v8, v119
	s_delay_alu instid0(VALU_DEP_2) | instskip(SKIP_1) | instid1(VALU_DEP_1)
	v_lshlrev_b64 v[6:7], 1, v[6:7]
	s_waitcnt lgkmcnt(0)
	v_add_co_u32 v6, s3, s8, v6
	s_delay_alu instid0(VALU_DEP_1)
	v_add_co_ci_u32_e64 v7, s3, s9, v7, s3
	global_store_b16 v[6:7], v8, off
	s_or_b32 exec_lo, exec_lo, s5
	s_and_saveexec_b32 s5, s2
	s_cbranch_execnz .LBB149_53
	s_branch .LBB149_54
.LBB149_82:
	s_delay_alu instid0(VALU_DEP_1) | instskip(SKIP_1) | instid1(VALU_DEP_2)
	v_dual_mov_b32 v7, 0 :: v_dual_add_nc_u32 v6, v5, v0
	v_cvt_f16_f32_e32 v8, v53
	v_lshlrev_b64 v[6:7], 1, v[6:7]
	s_waitcnt lgkmcnt(0)
	s_delay_alu instid0(VALU_DEP_1) | instskip(NEXT) | instid1(VALU_DEP_1)
	v_add_co_u32 v6, s3, s8, v6
	v_add_co_ci_u32_e64 v7, s3, s9, v7, s3
	global_store_b16 v[6:7], v8, off
	s_or_b32 exec_lo, exec_lo, s5
	s_and_saveexec_b32 s5, s0
	s_cbranch_execz .LBB149_57
.LBB149_83:
	s_delay_alu instid0(VALU_DEP_1) | instskip(SKIP_1) | instid1(VALU_DEP_2)
	v_dual_mov_b32 v7, 0 :: v_dual_add_nc_u32 v6, v5, v2
	v_cvt_f16_f32_e32 v8, v52
	v_lshlrev_b64 v[6:7], 1, v[6:7]
	s_waitcnt lgkmcnt(0)
	s_delay_alu instid0(VALU_DEP_1) | instskip(NEXT) | instid1(VALU_DEP_1)
	v_add_co_u32 v6, s3, s8, v6
	v_add_co_ci_u32_e64 v7, s3, s9, v7, s3
	global_store_b16 v[6:7], v8, off
	s_or_b32 exec_lo, exec_lo, s5
	s_and_saveexec_b32 s5, s1
	s_cbranch_execz .LBB149_58
.LBB149_84:
	v_dual_mov_b32 v7, 0 :: v_dual_add_nc_u32 v6, v5, v3
	v_cvt_f16_f32_e32 v8, v51
	s_delay_alu instid0(VALU_DEP_2) | instskip(SKIP_1) | instid1(VALU_DEP_1)
	v_lshlrev_b64 v[6:7], 1, v[6:7]
	s_waitcnt lgkmcnt(0)
	v_add_co_u32 v6, s3, s8, v6
	s_delay_alu instid0(VALU_DEP_1)
	v_add_co_ci_u32_e64 v7, s3, s9, v7, s3
	global_store_b16 v[6:7], v8, off
	s_or_b32 exec_lo, exec_lo, s5
	s_and_saveexec_b32 s5, s2
	s_cbranch_execnz .LBB149_59
	s_branch .LBB149_60
.LBB149_85:
	s_delay_alu instid0(VALU_DEP_1) | instskip(SKIP_1) | instid1(VALU_DEP_2)
	v_dual_mov_b32 v6, 0 :: v_dual_add_nc_u32 v5, v1, v0
	v_cvt_f16_f32_e32 v0, v49
	v_lshlrev_b64 v[5:6], 1, v[5:6]
	s_waitcnt lgkmcnt(0)
	s_delay_alu instid0(VALU_DEP_1) | instskip(NEXT) | instid1(VALU_DEP_2)
	v_add_co_u32 v5, vcc_lo, s8, v5
	v_add_co_ci_u32_e32 v6, vcc_lo, s9, v6, vcc_lo
	global_store_b16 v[5:6], v0, off
	s_or_b32 exec_lo, exec_lo, s3
	s_and_saveexec_b32 s3, s0
	s_cbranch_execz .LBB149_63
.LBB149_86:
	s_delay_alu instid0(VALU_DEP_1) | instskip(SKIP_1) | instid1(VALU_DEP_2)
	v_dual_mov_b32 v6, 0 :: v_dual_add_nc_u32 v5, v1, v2
	v_cvt_f16_f32_e32 v0, v30
	v_lshlrev_b64 v[5:6], 1, v[5:6]
	s_waitcnt lgkmcnt(0)
	s_delay_alu instid0(VALU_DEP_1) | instskip(NEXT) | instid1(VALU_DEP_2)
	v_add_co_u32 v5, vcc_lo, s8, v5
	v_add_co_ci_u32_e32 v6, vcc_lo, s9, v6, vcc_lo
	global_store_b16 v[5:6], v0, off
	s_or_b32 exec_lo, exec_lo, s3
	s_and_saveexec_b32 s0, s1
	s_cbranch_execz .LBB149_64
.LBB149_87:
	v_dual_mov_b32 v3, 0 :: v_dual_add_nc_u32 v2, v1, v3
	v_cvt_f16_f32_e32 v0, v29
	s_delay_alu instid0(VALU_DEP_2) | instskip(SKIP_1) | instid1(VALU_DEP_1)
	v_lshlrev_b64 v[2:3], 1, v[2:3]
	s_waitcnt lgkmcnt(0)
	v_add_co_u32 v2, vcc_lo, s8, v2
	s_delay_alu instid0(VALU_DEP_2) | instskip(SKIP_2) | instid1(SALU_CYCLE_1)
	v_add_co_ci_u32_e32 v3, vcc_lo, s9, v3, vcc_lo
	global_store_b16 v[2:3], v0, off
	s_or_b32 exec_lo, exec_lo, s0
	s_and_b32 exec_lo, exec_lo, s2
	s_cbranch_execnz .LBB149_65
	s_branch .LBB149_66
	.section	.rodata,"a",@progbits
	.p2align	6, 0x0
	.amdhsa_kernel _ZL12mul_mat_q3_KIN3c104HalfELb0EEvPKvS3_PT_iiiii
		.amdhsa_group_segment_fixed_size 39840
		.amdhsa_private_segment_fixed_size 528
		.amdhsa_kernarg_size 44
		.amdhsa_user_sgpr_count 14
		.amdhsa_user_sgpr_dispatch_ptr 0
		.amdhsa_user_sgpr_queue_ptr 0
		.amdhsa_user_sgpr_kernarg_segment_ptr 1
		.amdhsa_user_sgpr_dispatch_id 0
		.amdhsa_user_sgpr_private_segment_size 0
		.amdhsa_wavefront_size32 1
		.amdhsa_uses_dynamic_stack 0
		.amdhsa_enable_private_segment 1
		.amdhsa_system_sgpr_workgroup_id_x 1
		.amdhsa_system_sgpr_workgroup_id_y 1
		.amdhsa_system_sgpr_workgroup_id_z 0
		.amdhsa_system_sgpr_workgroup_info 0
		.amdhsa_system_vgpr_workitem_id 1
		.amdhsa_next_free_vgpr 256
		.amdhsa_next_free_sgpr 23
		.amdhsa_reserve_vcc 1
		.amdhsa_float_round_mode_32 0
		.amdhsa_float_round_mode_16_64 0
		.amdhsa_float_denorm_mode_32 3
		.amdhsa_float_denorm_mode_16_64 3
		.amdhsa_dx10_clamp 1
		.amdhsa_ieee_mode 1
		.amdhsa_fp16_overflow 0
		.amdhsa_workgroup_processor_mode 1
		.amdhsa_memory_ordered 1
		.amdhsa_forward_progress 0
		.amdhsa_shared_vgpr_count 0
		.amdhsa_exception_fp_ieee_invalid_op 0
		.amdhsa_exception_fp_denorm_src 0
		.amdhsa_exception_fp_ieee_div_zero 0
		.amdhsa_exception_fp_ieee_overflow 0
		.amdhsa_exception_fp_ieee_underflow 0
		.amdhsa_exception_fp_ieee_inexact 0
		.amdhsa_exception_int_div_zero 0
	.end_amdhsa_kernel
	.section	.text._ZL12mul_mat_q3_KIN3c104HalfELb0EEvPKvS3_PT_iiiii,"axG",@progbits,_ZL12mul_mat_q3_KIN3c104HalfELb0EEvPKvS3_PT_iiiii,comdat
.Lfunc_end149:
	.size	_ZL12mul_mat_q3_KIN3c104HalfELb0EEvPKvS3_PT_iiiii, .Lfunc_end149-_ZL12mul_mat_q3_KIN3c104HalfELb0EEvPKvS3_PT_iiiii
                                        ; -- End function
	.section	.AMDGPU.csdata,"",@progbits
; Kernel info:
; codeLenInByte = 33536
; NumSgprs: 25
; NumVgprs: 256
; ScratchSize: 528
; MemoryBound: 0
; FloatMode: 240
; IeeeMode: 1
; LDSByteSize: 39840 bytes/workgroup (compile time only)
; SGPRBlocks: 3
; VGPRBlocks: 31
; NumSGPRsForWavesPerEU: 25
; NumVGPRsForWavesPerEU: 256
; Occupancy: 5
; WaveLimiterHint : 0
; COMPUTE_PGM_RSRC2:SCRATCH_EN: 1
; COMPUTE_PGM_RSRC2:USER_SGPR: 14
; COMPUTE_PGM_RSRC2:TRAP_HANDLER: 0
; COMPUTE_PGM_RSRC2:TGID_X_EN: 1
; COMPUTE_PGM_RSRC2:TGID_Y_EN: 1
; COMPUTE_PGM_RSRC2:TGID_Z_EN: 0
; COMPUTE_PGM_RSRC2:TIDIG_COMP_CNT: 1
	.section	.text._ZL12mul_mat_q3_KIN3c104HalfELb1EEvPKvS3_PT_iiiii,"axG",@progbits,_ZL12mul_mat_q3_KIN3c104HalfELb1EEvPKvS3_PT_iiiii,comdat
	.globl	_ZL12mul_mat_q3_KIN3c104HalfELb1EEvPKvS3_PT_iiiii ; -- Begin function _ZL12mul_mat_q3_KIN3c104HalfELb1EEvPKvS3_PT_iiiii
	.p2align	8
	.type	_ZL12mul_mat_q3_KIN3c104HalfELb1EEvPKvS3_PT_iiiii,@function
_ZL12mul_mat_q3_KIN3c104HalfELb1EEvPKvS3_PT_iiiii: ; @_ZL12mul_mat_q3_KIN3c104HalfELb1EEvPKvS3_PT_iiiii
; %bb.0:
	s_clause 0x1
	s_load_b128 s[4:7], s[0:1], 0x18
	s_load_b32 s10, s[0:1], 0x28
	v_bfe_u32 v1, v0, 10, 10
	s_lshl_b32 s11, s15, 6
	scratch_store_b32 off, v1, off offset:580 ; 4-byte Folded Spill
	v_and_b32_e32 v1, 0x3ff, v0
	scratch_store_b32 off, v1, off offset:152 ; 4-byte Folded Spill
	s_waitcnt lgkmcnt(0)
	s_cmpk_gt_i32 s4, 0xff
	s_cbranch_scc1 .LBB150_2
; %bb.1:
	v_bfe_u32 v1, v0, 10, 10
	v_and_b32_e32 v0, 0x3ff, v0
	s_mov_b32 s2, 0
	s_mov_b32 s3, 0
	s_delay_alu instid0(VALU_DEP_2)
	v_add_nc_u32_e32 v2, s11, v1
	s_branch .LBB150_3
.LBB150_2:
	s_mov_b32 s2, -1
                                        ; implicit-def: $sgpr3
                                        ; implicit-def: $vgpr1
                                        ; implicit-def: $vgpr0
                                        ; implicit-def: $vgpr2
.LBB150_3:
	s_load_b64 s[8:9], s[0:1], 0x10
	v_dual_mov_b32 v28, s3 :: v_dual_mov_b32 v117, s3
	v_dual_mov_b32 v121, s3 :: v_dual_mov_b32 v128, s3
	;; [unrolled: 1-line block ×15, first 2 shown]
	v_mov_b32_e32 v120, s3
	v_mov_b32_e32 v124, s3
	s_and_not1_b32 vcc_lo, exec_lo, s2
	s_lshl_b32 s12, s14, 7
	s_cbranch_vccnz .LBB150_15
; %bb.4:
	s_clause 0x1
	scratch_load_b32 v29, off, off offset:152
	scratch_load_b32 v28, off, off offset:580
	s_load_b128 s[0:3], s[0:1], 0x0
	s_ashr_i32 s13, s4, 31
	s_ashr_i32 s14, s7, 31
	s_lshr_b32 s13, s13, 24
	v_mov_b32_e32 v31, 0
	s_add_i32 s4, s4, s13
	s_lshr_b32 s13, s14, 27
	s_ashr_i32 s4, s4, 8
	s_add_i32 s7, s7, s13
	s_mul_i32 s13, s4, s12
	s_ashr_i32 s14, s7, 5
	s_mul_i32 s7, s13, 0x6e
	s_mul_hi_i32 s13, s13, 0x6e
	v_dual_mov_b32 v89, 0 :: v_dual_mov_b32 v124, 0
	v_dual_mov_b32 v229, 0 :: v_dual_mov_b32 v120, 0
	;; [unrolled: 1-line block ×3, first 2 shown]
	v_mov_b32_e32 v113, 0
	s_waitcnt lgkmcnt(0)
	s_add_u32 s7, s0, s7
	s_addc_u32 s13, s1, s13
	s_not_b32 s0, s12
	v_mov_b32_e32 v88, 0
	s_add_i32 s0, s0, s5
	s_add_i32 s1, s6, -1
	s_mov_b32 s5, 0
	v_dual_mov_b32 v85, 0 :: v_dual_mov_b32 v122, 0
	v_dual_mov_b32 v83, 0 :: v_dual_mov_b32 v136, 0
	;; [unrolled: 1-line block ×3, first 2 shown]
	v_mov_b32_e32 v119, 0
	v_mov_b32_e32 v109, 0
	;; [unrolled: 1-line block ×4, first 2 shown]
	v_dual_mov_b32 v121, 0 :: v_dual_mov_b32 v78, 0
	v_mov_b32_e32 v92, 0
	v_mov_b32_e32 v112, 0
	;; [unrolled: 1-line block ×7, first 2 shown]
	s_waitcnt vmcnt(1)
	v_lshlrev_b32_e32 v0, 2, v29
	s_waitcnt vmcnt(0)
	v_min_i32_e32 v2, s0, v28
	v_add_nc_u32_e32 v20, 8, v28
	v_and_b32_e32 v1, 15, v29
	v_add_nc_u32_e32 v21, 16, v28
	v_add_nc_u32_e32 v16, s11, v28
	v_mul_lo_u32 v5, v2, s4
	v_min_i32_e32 v3, s0, v20
	v_add_nc_u32_e32 v22, 24, v28
	v_min_i32_e32 v4, s0, v21
	v_add_nc_u32_e32 v23, 32, v28
	v_add_nc_u32_e32 v24, 40, v28
	;; [unrolled: 1-line block ×4, first 2 shown]
	s_clause 0x1
	scratch_store_b32 off, v5, off offset:248
	scratch_store_b32 off, v16, off offset:584
	v_mad_u64_u32 v[5:6], null, 0x84, v2, v[0:1]
	v_mul_lo_u32 v2, v3, s4
	v_lshlrev_b32_e32 v27, 4, v28
	v_lshrrev_b32_e32 v48, 1, v29
	v_lshrrev_b32_e32 v30, 4, v29
	v_cmp_lt_u32_e32 vcc_lo, 7, v1
	v_lshlrev_b32_e32 v32, 2, v1
	scratch_store_b64 off, v[5:6], off offset:252 ; 8-byte Folded Spill
	v_mad_u64_u32 v[5:6], null, 0x84, v3, v[0:1]
	scratch_store_b32 off, v2, off offset:260 ; 4-byte Folded Spill
	v_mul_lo_u32 v2, v4, s4
	v_min_i32_e32 v3, s0, v23
	v_add_nc_u32_e32 v11, 24, v16
	v_add_nc_u32_e32 v12, 32, v16
	;; [unrolled: 1-line block ×3, first 2 shown]
	scratch_store_b64 off, v[5:6], off offset:264 ; 8-byte Folded Spill
	v_mad_u64_u32 v[5:6], null, 0x84, v4, v[0:1]
	scratch_store_b32 off, v2, off offset:272 ; 4-byte Folded Spill
	v_min_i32_e32 v2, s0, v22
	v_add_nc_u32_e32 v15, 48, v16
	v_add_nc_u32_e32 v47, 56, v16
	v_and_b32_e32 v44, 7, v29
	v_lshl_add_u32 v70, v29, 4, v48
	v_mul_lo_u32 v4, v2, s4
	scratch_store_b64 off, v[5:6], off offset:276 ; 8-byte Folded Spill
	v_mul_u32_u24_e32 v73, 0x84, v29
	v_lshlrev_b32_e32 v33, 2, v44
	v_and_b32_e32 v100, 0xfc, v29
	scratch_store_b32 off, v4, off offset:284 ; 4-byte Folded Spill
	v_mad_u64_u32 v[4:5], null, 0x84, v2, v[0:1]
	v_mul_lo_u32 v2, v3, s4
	v_add_nc_u32_e32 v105, 0x8308, v100
	scratch_store_b64 off, v[4:5], off offset:288 ; 8-byte Folded Spill
	v_mad_u64_u32 v[4:5], null, 0x84, v3, v[0:1]
	scratch_store_b32 off, v2, off offset:296 ; 4-byte Folded Spill
	v_min_i32_e32 v2, s0, v24
	s_delay_alu instid0(VALU_DEP_1)
	v_mul_lo_u32 v3, v2, s4
	scratch_store_b64 off, v[4:5], off offset:300 ; 8-byte Folded Spill
	v_mad_u64_u32 v[4:5], null, 0x84, v2, v[0:1]
	v_min_i32_e32 v2, s0, v26
	scratch_store_b32 off, v3, off offset:308 ; 4-byte Folded Spill
	v_min_i32_e32 v3, s0, v25
	scratch_store_b64 off, v[4:5], off offset:312 ; 8-byte Folded Spill
	v_add_nc_u32_e32 v4, 64, v28
	v_mul_lo_u32 v5, v3, s4
	scratch_store_b32 off, v5, off offset:320 ; 4-byte Folded Spill
	v_mad_u64_u32 v[5:6], null, 0x84, v3, v[0:1]
	v_mul_lo_u32 v3, v2, s4
	scratch_store_b64 off, v[5:6], off offset:324 ; 8-byte Folded Spill
	v_mad_u64_u32 v[5:6], null, 0x84, v2, v[0:1]
	scratch_store_b32 off, v3, off offset:332 ; 4-byte Folded Spill
	v_min_i32_e32 v3, s0, v4
	v_add_nc_u32_e32 v4, 0x48, v28
	s_delay_alu instid0(VALU_DEP_2)
	v_mul_lo_u32 v2, v3, s4
	scratch_store_b64 off, v[5:6], off offset:336 ; 8-byte Folded Spill
	v_mad_u64_u32 v[6:7], null, 0x84, v3, v[0:1]
	v_add_nc_u32_e32 v5, v48, v27
	scratch_store_b32 off, v2, off offset:344 ; 4-byte Folded Spill
	v_min_i32_e32 v2, s0, v4
	v_add_nc_u32_e32 v4, 0x50, v28
	v_and_b32_e32 v5, 0x7f, v5
	s_delay_alu instid0(VALU_DEP_3)
	v_mul_lo_u32 v3, v2, s4
	scratch_store_b64 off, v[6:7], off offset:348 ; 8-byte Folded Spill
	v_mad_u64_u32 v[6:7], null, 0x84, v2, v[0:1]
	v_min_i32_e32 v5, s0, v5
	scratch_store_b32 off, v3, off offset:356 ; 4-byte Folded Spill
	v_min_i32_e32 v3, s0, v4
	v_add_nc_u32_e32 v4, 0x58, v28
	v_lshlrev_b32_e32 v50, 3, v5
	s_delay_alu instid0(VALU_DEP_3)
	v_mul_lo_u32 v2, v3, s4
	scratch_store_b64 off, v[6:7], off offset:360 ; 8-byte Folded Spill
	v_mad_u64_u32 v[6:7], null, 0x84, v3, v[0:1]
	scratch_store_b32 off, v2, off offset:368 ; 4-byte Folded Spill
	v_min_i32_e32 v2, s0, v4
	v_add_nc_u32_e32 v4, 0x60, v28
	s_delay_alu instid0(VALU_DEP_2)
	v_mul_lo_u32 v3, v2, s4
	scratch_store_b64 off, v[6:7], off offset:372 ; 8-byte Folded Spill
	v_mad_u64_u32 v[7:8], null, 0x84, v2, v[0:1]
	v_ashrrev_i32_e32 v6, 31, v5
	scratch_store_b32 off, v3, off offset:380 ; 4-byte Folded Spill
	v_min_i32_e32 v3, s0, v4
	v_add_nc_u32_e32 v4, 0x68, v28
	v_lshrrev_b32_e32 v6, 28, v6
	s_delay_alu instid0(VALU_DEP_3)
	v_mul_lo_u32 v2, v3, s4
	scratch_store_b64 off, v[7:8], off offset:384 ; 8-byte Folded Spill
	v_mad_u64_u32 v[7:8], null, 0x84, v3, v[0:1]
	v_add_nc_u32_e32 v6, v5, v6
	scratch_store_b32 off, v2, off offset:392 ; 4-byte Folded Spill
	v_min_i32_e32 v2, s0, v4
	v_add_nc_u32_e32 v4, 0x70, v28
	s_delay_alu instid0(VALU_DEP_2)
	v_mul_lo_u32 v3, v2, s4
	scratch_store_b64 off, v[7:8], off offset:396 ; 8-byte Folded Spill
	v_mad_u64_u32 v[7:8], null, 0x84, v2, v[0:1]
	scratch_store_b32 off, v3, off offset:404 ; 4-byte Folded Spill
	v_min_i32_e32 v3, s0, v4
	v_add_nc_u32_e32 v4, 0x78, v28
	s_delay_alu instid0(VALU_DEP_2)
	v_mul_lo_u32 v2, v3, s4
	scratch_store_b64 off, v[7:8], off offset:408 ; 8-byte Folded Spill
	v_mad_u64_u32 v[8:9], null, 0x84, v3, v[0:1]
	v_and_b32_e32 v7, 1, v29
	scratch_store_b32 off, v2, off offset:416 ; 4-byte Folded Spill
	v_min_i32_e32 v2, s0, v4
	v_ashrrev_i32_e32 v4, 4, v6
	v_lshl_add_u32 v6, v28, 1, v30
	scratch_store_b32 off, v7, off offset:420 ; 4-byte Folded Spill
	v_mul_lo_u32 v3, v2, s4
	scratch_store_b64 off, v[8:9], off offset:424 ; 8-byte Folded Spill
	v_mad_u64_u32 v[8:9], null, 0x84, v2, v[0:1]
	v_add_nc_u32_e32 v2, 16, v6
	v_cndmask_b32_e64 v1, 0, 1, vcc_lo
	v_add_nc_u32_e32 v10, 0x70, v6
	v_cmp_lt_u32_e32 vcc_lo, 3, v44
	scratch_store_b32 off, v3, off offset:432 ; 4-byte Folded Spill
	v_lshlrev_b32_e32 v3, 2, v4
	scratch_store_b64 off, v[8:9], off offset:436 ; 8-byte Folded Spill
	v_mul_lo_u32 v8, v5, s4
	v_lshlrev_b32_e32 v4, 2, v7
	v_min_i32_e32 v7, s0, v6
	v_min_i32_e32 v2, s0, v2
	;; [unrolled: 1-line block ×3, first 2 shown]
	v_and_b32_e32 v0, 28, v0
	v_add3_u32 v49, v3, v4, 0x9380
	v_add_nc_u32_e32 v4, 32, v6
	scratch_store_b32 off, v8, off offset:444 ; 4-byte Folded Spill
	v_mul_lo_u32 v5, v7, s4
	scratch_store_b32 off, v1, off offset:448 ; 4-byte Folded Spill
	v_lshrrev_b32_e32 v1, 31, v2
	v_lshrrev_b32_e32 v8, 31, v7
	v_min_i32_e32 v4, s0, v4
	v_lshlrev_b32_e32 v52, 6, v7
	v_lshlrev_b32_e32 v54, 6, v2
	v_add_lshl_u32 v1, v2, v1, 1
	v_add_lshl_u32 v3, v7, v8, 1
	v_add_nc_u32_e32 v7, 64, v6
	v_mul_lo_u32 v8, v2, s4
	scratch_store_b32 off, v5, off offset:456 ; 4-byte Folded Spill
	v_and_b32_e32 v1, -4, v1
	v_lshrrev_b32_e32 v5, 31, v4
	v_and_b32_e32 v3, -4, v3
	v_lshlrev_b32_e32 v56, 6, v4
	v_lshrrev_b32_e32 v18, 31, v45
	v_add3_u32 v53, v1, v32, 0x4200
	v_add_lshl_u32 v1, v4, v5, 1
	v_min_i32_e32 v5, s0, v7
	v_add_nc_u32_e32 v7, 0x50, v6
	v_add3_u32 v51, v3, v32, 0x4200
	v_add_nc_u32_e32 v3, 48, v6
	v_and_b32_e32 v1, -4, v1
	v_lshrrev_b32_e32 v2, 31, v5
	v_min_i32_e32 v17, s0, v7
	scratch_store_b32 off, v8, off offset:460 ; 4-byte Folded Spill
	v_min_i32_e32 v3, s0, v3
	v_add3_u32 v55, v1, v32, 0x4200
	v_add_lshl_u32 v1, v5, v2, 1
	v_lshrrev_b32_e32 v2, 31, v17
	v_lshlrev_b32_e32 v63, 6, v17
	v_lshrrev_b32_e32 v8, 31, v3
	v_lshlrev_b32_e32 v58, 6, v3
	v_and_b32_e32 v1, -4, v1
	v_add_lshl_u32 v2, v17, v2, 1
	v_lshlrev_b32_e32 v60, 6, v5
	v_add_lshl_u32 v7, v3, v8, 1
	v_mul_lo_u32 v8, v4, s4
	v_add3_u32 v59, v1, v32, 0x4200
	v_and_b32_e32 v1, -4, v2
	v_add_nc_u32_e32 v2, 0x60, v6
	v_mul_lo_u32 v4, v3, s4
	v_mul_lo_u32 v3, v5, s4
	v_and_b32_e32 v7, -4, v7
	v_add_nc_u32_e32 v5, 8, v16
	v_min_i32_e32 v19, s0, v2
	scratch_store_b32 off, v8, off offset:464 ; 4-byte Folded Spill
	v_add3_u32 v61, v1, v32, 0x4200
	v_add3_u32 v57, v7, v32, 0x4200
	s_clause 0x1
	scratch_store_b32 off, v4, off offset:468
	scratch_store_b32 off, v3, off offset:472
	v_lshrrev_b32_e32 v9, 31, v19
	v_mul_lo_u32 v3, v17, s4
	v_mul_lo_u32 v17, v19, s4
	v_add_nc_u32_e32 v7, 16, v16
	v_cvt_f64_i32_e32 v[1:2], s1
	v_add_lshl_u32 v13, v19, v9, 1
	v_cvt_f64_u32_e32 v[5:6], v5
	v_cvt_f64_u32_e32 v[9:10], v11
	;; [unrolled: 1-line block ×3, first 2 shown]
	s_clause 0x1
	scratch_store_b32 off, v3, off offset:476
	scratch_store_b32 off, v17, off offset:480
	v_cvt_f64_u32_e32 v[3:4], v16
	v_cvt_f64_u32_e32 v[11:12], v12
	v_and_b32_e32 v46, -4, v13
	v_cvt_f64_u32_e32 v[13:14], v14
	v_cvt_f64_u32_e32 v[15:16], v15
	v_add_lshl_u32 v62, v45, v18, 1
	v_cvt_f64_u32_e32 v[17:18], v47
	v_mul_lo_u32 v34, v45, s4
	v_add3_u32 v64, v46, v32, 0x4200
	v_lshrrev_b32_e32 v47, 3, v29
	v_and_b32_e32 v46, -4, v62
	v_lshlrev_b32_e32 v62, 6, v19
	v_and_b32_e32 v19, 3, v29
	s_clause 0x1
	scratch_store_b32 off, v34, off offset:484
	scratch_store_b32 off, v32, off offset:244
	v_add3_u32 v65, v46, v32, 0x4200
	v_lshlrev_b32_e32 v66, 6, v45
	v_add_nc_u16 v45, v19, -2
	v_cndmask_b32_e64 v32, 0, 1, vcc_lo
	v_cmp_gt_u32_e32 vcc_lo, 2, v19
	v_lshl_add_u32 v46, v28, 2, v47
	s_delay_alu instid0(VALU_DEP_4) | instskip(SKIP_1) | instid1(VALU_DEP_3)
	v_cndmask_b32_e32 v44, v45, v19, vcc_lo
	v_cmp_lt_u32_e32 vcc_lo, 1, v19
	v_min_i32_e32 v45, s0, v46
	v_add_nc_u32_e32 v68, 32, v46
	s_delay_alu instid0(VALU_DEP_4) | instskip(SKIP_1) | instid1(VALU_DEP_4)
	v_and_b32_e32 v44, 0xff, v44
	v_cndmask_b32_e64 v47, 0, 1, vcc_lo
	v_ashrrev_i32_e32 v69, 31, v45
	v_min_f64 v[5:6], v[5:6], v[1:2]
	v_min_f64 v[9:10], v[9:10], v[1:2]
	;; [unrolled: 1-line block ×3, first 2 shown]
	v_lshlrev_b32_e32 v71, 5, v45
	v_min_f64 v[3:4], v[3:4], v[1:2]
	v_min_f64 v[11:12], v[11:12], v[1:2]
	;; [unrolled: 1-line block ×5, first 2 shown]
	v_lshlrev_b32_e32 v17, 1, v19
	scratch_store_b32 off, v32, off offset:488 ; 4-byte Folded Spill
	v_lshlrev_b32_e32 v32, 2, v47
	v_min_i32_e32 v47, s0, v68
	scratch_store_b32 off, v32, off offset:492 ; 4-byte Folded Spill
	v_lshlrev_b32_e32 v32, 2, v44
	v_lshrrev_b32_e32 v44, 30, v69
	v_add_nc_u32_e32 v69, 64, v46
	v_ashrrev_i32_e32 v68, 31, v47
	v_add_nc_u32_e32 v46, 0x60, v46
	v_lshlrev_b32_e32 v72, 5, v47
	v_add_nc_u32_e32 v44, v45, v44
	v_min_i32_e32 v69, s0, v69
	v_lshrrev_b32_e32 v68, 30, v68
	s_delay_alu instid0(VALU_DEP_2) | instskip(NEXT) | instid1(VALU_DEP_1)
	v_ashrrev_i32_e32 v18, 31, v69
	v_lshrrev_b32_e32 v18, 30, v18
	v_cvt_i32_f64_e32 v5, v[5:6]
	v_mul_lo_u32 v6, v69, s4
	scratch_store_b32 off, v32, off offset:496 ; 4-byte Folded Spill
	v_mul_lo_u32 v32, v45, s4
	scratch_store_b32 off, v17, off offset:500 ; 4-byte Folded Spill
	v_cvt_i32_f64_e32 v3, v[3:4]
	v_and_b32_e32 v17, -4, v44
	v_min_i32_e32 v44, s0, v46
	v_add_nc_u32_e32 v46, v47, v68
	scratch_store_b32 off, v6, off offset:512 ; 4-byte Folded Spill
	v_lshrrev_b32_e32 v6, 2, v29
	scratch_store_b32 off, v32, off offset:504 ; 4-byte Folded Spill
	v_cvt_i32_f64_e32 v1, v[1:2]
	v_ashrrev_i32_e32 v68, 31, v44
	v_add_nc_u32_e32 v18, v69, v18
	v_cvt_i32_f64_e32 v7, v[7:8]
	v_lshl_add_u32 v6, v28, 3, v6
	v_mul_lo_u32 v32, v47, s4
	v_lshrrev_b32_e32 v45, 30, v68
	v_cvt_i32_f64_e32 v11, v[11:12]
	v_mul_lo_u32 v12, v44, s4
	v_and_b32_e32 v4, -4, v18
	v_and_b32_e32 v6, 63, v6
	v_add_nc_u32_e32 v18, v44, v45
	v_cvt_i32_f64_e32 v9, v[9:10]
	v_and_b32_e32 v46, -4, v46
	s_clause 0x2
	scratch_store_b32 off, v32, off offset:508
	scratch_store_b32 off, v12, off offset:516
	;; [unrolled: 1-line block ×3, first 2 shown]
	v_and_b32_e32 v8, -4, v18
	v_cvt_i32_f64_e32 v12, v[13:14]
	v_cvt_i32_f64_e32 v13, v[15:16]
	v_or_b32_e32 v2, s11, v6
	v_lshlrev_b32_e32 v16, 2, v19
	v_and_b32_e32 v15, 31, v29
	v_add_co_u32 v32, s0, s2, v0
	v_add3_u32 v17, v17, v33, 0x8300
	v_add3_u32 v68, v46, v33, 0x8300
	;; [unrolled: 1-line block ×4, first 2 shown]
	v_add_co_ci_u32_e64 v33, null, s3, 0, s0
	v_min_i32_e32 v0, s1, v2
	v_lshl_or_b32 v2, v6, 4, v16
	v_lshlrev_b32_e32 v15, 2, v15
	v_lshlrev_b32_e32 v18, 7, v28
	;; [unrolled: 1-line block ×3, first 2 shown]
	s_movk_i32 s0, 0x1080
	v_lshlrev_b32_e32 v14, 5, v44
	v_mul_lo_u32 v1, s14, v1
	scratch_store_b64 off, v[32:33], off offset:156 ; 8-byte Folded Spill
	v_mad_u64_u32 v[32:33], null, v0, s14, v[19:20]
	v_add_nc_u32_e32 v0, 0x97a0, v2
	v_mul_lo_u32 v2, s14, v3
	v_or_b32_e32 v6, v18, v15
	v_mul_lo_u32 v3, s14, v5
	s_clause 0x1
	scratch_store_b32 off, v1, off offset:224
	scratch_store_b32 off, v0, off offset:164
	v_lshl_or_b32 v0, v20, 7, v15
	v_add_nc_u32_e32 v1, 64, v29
	v_mad_u32_u24 v77, 0x84, v29, s0
	scratch_store_b32 off, v2, off offset:168 ; 4-byte Folded Spill
	v_add_nc_u32_e32 v2, 0x6300, v6
	v_add_nc_u32_e32 v0, 0x6300, v0
	v_lshlrev_b32_e32 v6, 2, v30
	v_lshrrev_b32_e32 v5, 1, v1
	s_movk_i32 s0, 0x2100
	scratch_store_b32 off, v2, off offset:172 ; 4-byte Folded Spill
	v_lshl_or_b32 v2, v21, 7, v15
	v_mad_u32_u24 v87, 0x84, v29, s0
	s_movk_i32 s0, 0x3180
	v_lshlrev_b32_e32 v69, 5, v29
	v_lshl_add_u32 v84, v1, 4, v5
	v_add_nc_u32_e32 v2, 0x6300, v2
	scratch_store_b32 off, v3, off offset:176 ; 4-byte Folded Spill
	v_mul_lo_u32 v3, s14, v7
	scratch_store_b32 off, v0, off offset:180 ; 4-byte Folded Spill
	v_lshl_or_b32 v0, v22, 7, v15
	v_lshlrev_b32_e32 v7, 3, v29
	v_mad_u32_u24 v95, 0x84, v29, s0
	v_and_b32_e32 v98, 0x1fc, v1
	v_mov_b32_e32 v46, 0
	v_add_nc_u32_e32 v0, 0x6300, v0
	scratch_store_b32 off, v3, off offset:184 ; 4-byte Folded Spill
	v_mul_lo_u32 v3, s14, v9
	scratch_store_b32 off, v2, off offset:188 ; 4-byte Folded Spill
	v_lshl_or_b32 v2, v23, 7, v15
	v_add3_u32 v74, v6, v7, 0x9380
	v_dual_mov_b32 v45, 0 :: v_dual_mov_b32 v28, 0
	v_add_nc_u32_e32 v102, 0x8b08, v98
	s_delay_alu instid0(VALU_DEP_4) | instskip(SKIP_4) | instid1(VALU_DEP_1)
	v_add_nc_u32_e32 v2, 0x6300, v2
	scratch_store_b32 off, v3, off offset:192 ; 4-byte Folded Spill
	v_mul_lo_u32 v3, s14, v11
	scratch_store_b32 off, v0, off offset:196 ; 4-byte Folded Spill
	v_lshl_or_b32 v0, v24, 7, v15
	v_add_nc_u32_e32 v0, 0x6300, v0
	scratch_store_b32 off, v3, off offset:200 ; 4-byte Folded Spill
	v_mul_lo_u32 v3, s14, v12
	scratch_store_b32 off, v2, off offset:204 ; 4-byte Folded Spill
	v_lshl_or_b32 v2, v25, 7, v15
	s_delay_alu instid0(VALU_DEP_1) | instskip(SKIP_4) | instid1(VALU_DEP_1)
	v_add_nc_u32_e32 v2, 0x6300, v2
	scratch_store_b32 off, v0, off offset:212 ; 4-byte Folded Spill
	v_mul_lo_u32 v0, s14, v13
	scratch_store_b32 off, v3, off offset:208 ; 4-byte Folded Spill
	v_add_nc_u32_e32 v3, 0x60, v29
	v_lshrrev_b32_e32 v11, 1, v3
	scratch_store_b32 off, v0, off offset:216 ; 4-byte Folded Spill
	v_lshl_or_b32 v0, v26, 7, v15
	v_and_b32_e32 v97, 0x1fc, v3
	v_lshl_add_u32 v91, v3, 4, v11
	s_delay_alu instid0(VALU_DEP_3)
	v_add_nc_u32_e32 v0, 0x6300, v0
	scratch_store_b32 off, v2, off offset:220 ; 4-byte Folded Spill
	v_add_nc_u32_e32 v2, 32, v29
	v_add_nc_u32_e32 v101, 0x8f08, v97
	scratch_store_b32 off, v0, off offset:228 ; 4-byte Folded Spill
	v_lshrrev_b32_e32 v0, 1, v2
	v_lshrrev_b32_e32 v9, 2, v2
	v_lshlrev_b32_e32 v7, 3, v2
	v_and_b32_e32 v99, 0x1fc, v2
	s_delay_alu instid0(VALU_DEP_4) | instskip(NEXT) | instid1(VALU_DEP_4)
	v_lshl_add_u32 v75, v2, 4, v0
	v_and_b32_e32 v6, 0x7c, v9
	v_lshrrev_b32_e32 v0, 2, v1
	s_delay_alu instid0(VALU_DEP_4) | instskip(NEXT) | instid1(VALU_DEP_3)
	v_add_nc_u32_e32 v103, 0x8708, v99
	v_add3_u32 v81, v7, v6, 0x9380
	s_delay_alu instid0(VALU_DEP_3) | instskip(SKIP_2) | instid1(VALU_DEP_2)
	v_and_b32_e32 v0, 0x7c, v0
	v_lshlrev_b32_e32 v7, 3, v1
	v_lshrrev_b32_e32 v6, 2, v3
	v_add3_u32 v90, v7, v0, 0x9380
	v_add_nc_u32_e32 v0, 0x97a0, v27
	scratch_store_b64 off, v[32:33], off offset:520 ; 8-byte Folded Spill
	v_and_b32_e32 v5, 0x7c, v6
	v_lshlrev_b32_e32 v6, 3, v3
	scratch_store_b32 off, v0, off offset:232 ; 4-byte Folded Spill
	v_add_nc_u32_e32 v0, 0x6300, v18
	v_add3_u32 v96, v6, v5, 0x9380
	scratch_store_b32 off, v0, off offset:236 ; 4-byte Folded Spill
	v_add_nc_u32_e32 v0, v49, v50
	s_clause 0x1
	scratch_store_b32 off, v30, off offset:240
	scratch_store_b32 off, v0, off offset:528
	v_add_nc_u32_e32 v0, v51, v52
	scratch_store_b32 off, v0, off offset:532 ; 4-byte Folded Spill
	v_add_nc_u32_e32 v0, v53, v54
	scratch_store_b32 off, v0, off offset:536 ; 4-byte Folded Spill
	;; [unrolled: 2-line block ×7, first 2 shown]
	v_dual_mov_b32 v65, 0 :: v_dual_add_nc_u32 v0, v65, v66
	scratch_store_b32 off, v0, off offset:560 ; 4-byte Folded Spill
	v_add_nc_u32_e32 v0, v17, v71
	scratch_store_b32 off, v0, off offset:564 ; 4-byte Folded Spill
	v_add_nc_u32_e32 v0, v68, v72
	;; [unrolled: 2-line block ×4, first 2 shown]
	s_clause 0x15
	scratch_store_b32 off, v0, off offset:576
	scratch_store_b32 off, v69, off offset:8
	;; [unrolled: 1-line block ×20, first 2 shown]
	scratch_store_b32 off, v81, off
	scratch_store_b32 off, v96, off offset:4
	s_branch .LBB150_6
.LBB150_5:                              ;   in Loop: Header=BB150_6 Depth=1
	s_add_i32 s5, s5, 2
	s_delay_alu instid0(SALU_CYCLE_1)
	s_cmp_ge_i32 s5, s4
	s_cbranch_scc1 .LBB150_14
.LBB150_6:                              ; =>This Loop Header: Depth=1
                                        ;     Child Loop BB150_8 Depth 2
                                        ;       Child Loop BB150_10 Depth 3
                                        ;       Child Loop BB150_12 Depth 3
	s_clause 0x4
	scratch_load_b32 v2, off, off offset:240
	scratch_load_b32 v4, off, off offset:248
	;; [unrolled: 1-line block ×5, first 2 shown]
	s_mul_i32 s0, s5, 0x6e
	s_mul_hi_u32 s1, s5, 0x6e
	s_add_u32 s0, s7, s0
	s_addc_u32 s1, s13, s1
	s_mov_b32 s14, 0
	s_clause 0x3
	scratch_load_b32 v6, off, off offset:260
	scratch_load_b32 v10, off, off offset:284
	;; [unrolled: 1-line block ×4, first 2 shown]
	s_waitcnt vmcnt(8)
	v_mad_u64_u32 v[0:1], null, 0x6e, v2, s[0:1]
	scratch_load_b32 v2, off, off offset:244 ; 4-byte Folded Reload
	s_waitcnt vmcnt(0)
	v_add_co_u32 v0, vcc_lo, v0, v2
	v_add_co_ci_u32_e32 v1, vcc_lo, 0, v1, vcc_lo
	s_delay_alu instid0(VALU_DEP_2) | instskip(NEXT) | instid1(VALU_DEP_2)
	v_add_co_u32 v0, vcc_lo, v0, 32
	v_add_co_ci_u32_e32 v1, vcc_lo, 0, v1, vcc_lo
	s_delay_alu instid0(VALU_DEP_1)
	v_mad_i64_i32 v[2:3], null, 0x6e, v4, v[0:1]
	v_mad_i64_i32 v[4:5], null, 0x6e, v6, v[0:1]
	;; [unrolled: 1-line block ×8, first 2 shown]
	s_clause 0x7
	global_load_b32 v57, v[2:3], off
	global_load_b32 v58, v[4:5], off
	;; [unrolled: 1-line block ×8, first 2 shown]
	s_clause 0xf
	scratch_load_b32 v4, off, off offset:344
	scratch_load_b32 v6, off, off offset:356
	;; [unrolled: 1-line block ×16, first 2 shown]
	s_waitcnt vmcnt(15)
	v_mad_i64_i32 v[2:3], null, 0x6e, v4, v[0:1]
	s_waitcnt vmcnt(14)
	v_mad_i64_i32 v[4:5], null, 0x6e, v6, v[0:1]
	;; [unrolled: 2-line block ×5, first 2 shown]
	s_waitcnt vmcnt(7)
	v_mad_u64_u32 v[12:13], null, 0x6e, v14, s[0:1]
	v_mad_i64_i32 v[14:15], null, 0x6e, v16, v[0:1]
	v_mad_i64_i32 v[16:17], null, 0x6e, v18, v[0:1]
	s_waitcnt vmcnt(4)
	v_mad_i64_i32 v[18:19], null, 0x6e, v20, s[0:1]
	scratch_load_b32 v20, off, off offset:452 ; 4-byte Folded Reload
	s_waitcnt vmcnt(0)
	v_add_co_u32 v12, vcc_lo, v12, v20
	v_mad_i64_i32 v[20:21], null, 0x6e, v22, v[0:1]
	scratch_load_b32 v22, off, off offset:420 ; 4-byte Folded Reload
	v_add_co_ci_u32_e32 v13, vcc_lo, 0, v13, vcc_lo
	s_delay_alu instid0(VALU_DEP_1)
	v_mad_i64_i32 v[47:48], null, 0x6e, v49, v[12:13]
	v_mad_i64_i32 v[49:50], null, 0x6e, v51, v[12:13]
	v_mad_i64_i32 v[51:52], null, 0x6e, v53, v[12:13]
	s_waitcnt vmcnt(0)
	v_mad_u64_u32 v[0:1], null, 0x6e, v22, v[18:19]
	scratch_load_b32 v22, off, off offset:456 ; 4-byte Folded Reload
	s_waitcnt vmcnt(0)
	v_mad_i64_i32 v[18:19], null, 0x6e, v22, v[12:13]
	v_mad_i64_i32 v[22:23], null, 0x6e, v24, v[12:13]
	;; [unrolled: 1-line block ×3, first 2 shown]
	v_mad_u64_u32 v[26:27], null, 0x6e, v30, s[0:1]
	scratch_load_b32 v30, off, off offset:480 ; 4-byte Folded Reload
	s_lshl_b32 s0, s5, 3
	s_mov_b32 s1, 0
	v_add_co_u32 v26, vcc_lo, 0x60, v26
	v_add_co_ci_u32_e32 v27, vcc_lo, 0, v27, vcc_lo
	s_waitcnt vmcnt(0)
	v_mad_i64_i32 v[53:54], null, 0x6e, v30, v[12:13]
	scratch_load_b32 v30, off, off offset:484 ; 4-byte Folded Reload
	s_waitcnt vmcnt(0)
	v_mad_i64_i32 v[55:56], null, 0x6e, v30, v[12:13]
	scratch_load_b32 v30, off, off offset:504 ; 4-byte Folded Reload
	s_waitcnt vmcnt(0)
	v_mad_i64_i32 v[12:13], null, 0x6e, v30, v[26:27]
	s_clause 0x8
	global_load_u16 v66, v[0:1], off offset:108
	global_load_b32 v79, v[18:19], off
	global_load_b32 v80, v[22:23], off
	global_load_b32 v82, v[24:25], off
	global_load_b32 v47, v[47:48], off
	global_load_b32 v48, v[49:50], off
	global_load_b32 v49, v[51:52], off
	global_load_b32 v50, v[53:54], off
	global_load_b32 v51, v[55:56], off
	s_clause 0x3
	scratch_load_b32 v30, off, off offset:496
	scratch_load_b32 v22, off, off offset:508
	;; [unrolled: 1-line block ×4, first 2 shown]
	s_waitcnt vmcnt(3)
	v_add_co_u32 v0, vcc_lo, v12, v30
	s_waitcnt vmcnt(2)
	v_mad_i64_i32 v[18:19], null, 0x6e, v22, v[26:27]
	s_waitcnt vmcnt(1)
	v_mad_i64_i32 v[22:23], null, 0x6e, v24, v[26:27]
	;; [unrolled: 2-line block ×3, first 2 shown]
	v_add_co_ci_u32_e32 v1, vcc_lo, 0, v13, vcc_lo
	s_clause 0xc
	global_load_b32 v26, v[2:3], off
	global_load_b32 v27, v[4:5], off
	;; [unrolled: 1-line block ×8, first 2 shown]
	global_load_b32 v14, v[24:25], off offset:8
	global_load_b32 v15, v[22:23], off offset:8
	;; [unrolled: 1-line block ×3, first 2 shown]
	global_load_b32 v17, v[0:1], off
	global_load_b32 v12, v[12:13], off offset:8
	v_add_co_u32 v0, vcc_lo, v18, v30
	v_add_co_ci_u32_e32 v1, vcc_lo, 0, v19, vcc_lo
	v_add_co_u32 v2, vcc_lo, v22, v30
	v_add_co_ci_u32_e32 v3, vcc_lo, 0, v23, vcc_lo
	;; [unrolled: 2-line block ×3, first 2 shown]
	s_clause 0x2
	global_load_b32 v0, v[0:1], off
	global_load_b32 v1, v[2:3], off
	;; [unrolled: 1-line block ×3, first 2 shown]
	s_clause 0x1
	scratch_load_b64 v[3:4], off, off offset:520
	scratch_load_b64 v[23:24], off, off offset:252
	s_waitcnt vmcnt(1)
	v_not_b32_e32 v4, v79
	v_not_b32_e32 v5, v80
	;; [unrolled: 1-line block ×8, first 2 shown]
	v_add_nc_u32_e32 v3, s0, v3
	s_waitcnt vmcnt(0)
	ds_store_b32 v23, v57
	scratch_load_b64 v[23:24], off, off offset:264 ; 8-byte Folded Reload
	scratch_store_b32 off, v3, off offset:148 ; 4-byte Folded Spill
	v_cvt_f32_f16_e32 v3, v66
	s_waitcnt vmcnt(0)
	ds_store_b32 v23, v58
	scratch_load_b64 v[23:24], off, off offset:276 ; 8-byte Folded Reload
	s_waitcnt vmcnt(0)
	ds_store_b32 v23, v59
	scratch_load_b64 v[23:24], off, off offset:288 ; 8-byte Folded Reload
	;; [unrolled: 3-line block ×11, first 2 shown]
	s_waitcnt vmcnt(0)
	ds_store_b32 v6, v8
	s_clause 0x1
	scratch_load_b64 v[6:7], off, off offset:408
	scratch_load_b32 v8, off, off offset:500
	s_waitcnt vmcnt(1)
	ds_store_b32 v6, v9
	scratch_load_b64 v[6:7], off, off offset:424 ; 8-byte Folded Reload
	s_waitcnt vmcnt(0)
	ds_store_b32 v6, v10
	s_clause 0x1
	scratch_load_b64 v[6:7], off, off offset:436
	scratch_load_b32 v7, off, off offset:492
	s_waitcnt vmcnt(1)
	ds_store_b32 v6, v11
	scratch_load_b32 v6, off, off offset:528 ; 4-byte Folded Reload
	s_waitcnt vmcnt(1)
	v_ashrrev_i32_e32 v0, v7, v0
	v_ashrrev_i32_e32 v1, v7, v1
	;; [unrolled: 1-line block ×3, first 2 shown]
	s_delay_alu instid0(VALU_DEP_3) | instskip(NEXT) | instid1(VALU_DEP_3)
	v_and_b32_e32 v0, 0xf0f0f0f, v0
	v_and_b32_e32 v1, 0xf0f0f0f, v1
	s_delay_alu instid0(VALU_DEP_3) | instskip(SKIP_4) | instid1(VALU_DEP_1)
	v_and_b32_e32 v2, 0xf0f0f0f, v2
	s_waitcnt vmcnt(0)
	ds_store_b32 v6, v3
	scratch_load_b32 v3, off, off offset:532 ; 4-byte Folded Reload
	v_ashrrev_i32_e32 v6, v8, v15
	v_lshlrev_b32_e32 v6, 4, v6
	s_delay_alu instid0(VALU_DEP_1) | instskip(NEXT) | instid1(VALU_DEP_1)
	v_and_or_b32 v1, 0x30303030, v6, v1
	v_and_b32_e32 v9, 0x3f00, v1
	s_waitcnt vmcnt(0)
	ds_store_b32 v3, v4
	scratch_load_b32 v3, off, off offset:536 ; 4-byte Folded Reload
	v_ashrrev_i32_e32 v4, v8, v12
	s_delay_alu instid0(VALU_DEP_1) | instskip(SKIP_4) | instid1(VALU_DEP_1)
	v_lshlrev_b32_e32 v4, 4, v4
	s_waitcnt vmcnt(0)
	ds_store_b32 v3, v5
	scratch_load_b32 v3, off, off offset:540 ; 4-byte Folded Reload
	v_ashrrev_i32_e32 v5, v8, v16
	v_lshlrev_b32_e32 v5, 4, v5
	s_delay_alu instid0(VALU_DEP_1) | instskip(NEXT) | instid1(VALU_DEP_1)
	v_and_or_b32 v0, 0x30303030, v5, v0
	v_lshrrev_b32_e32 v6, 16, v0
	s_waitcnt vmcnt(0)
	ds_store_b32 v3, v13
	scratch_load_b32 v3, off, off offset:544 ; 4-byte Folded Reload
	v_and_b32_e32 v13, 0x3f00, v6
	v_lshlrev_b16 v6, 8, v6
	s_delay_alu instid0(VALU_DEP_1)
	v_add_nc_u16 v6, v6, 0xe000
	s_waitcnt vmcnt(0)
	ds_store_b32 v3, v18
	scratch_load_b32 v3, off, off offset:548 ; 4-byte Folded Reload
	s_waitcnt vmcnt(0)
	ds_store_b32 v3, v19
	v_ashrrev_i32_e32 v3, v7, v17
	v_ashrrev_i32_e32 v7, v8, v14
	v_lshrrev_b32_e32 v8, 16, v1
	v_lshlrev_b16 v1, 8, v1
	s_delay_alu instid0(VALU_DEP_4) | instskip(NEXT) | instid1(VALU_DEP_4)
	v_and_b32_e32 v3, 0xf0f0f0f, v3
	v_lshlrev_b32_e32 v7, 4, v7
	s_delay_alu instid0(VALU_DEP_4)
	v_and_b32_e32 v14, 0x3f00, v8
	v_lshlrev_b16 v8, 8, v8
	v_add_nc_u16 v1, v1, 0xe000
	v_and_or_b32 v3, 0x30303030, v4, v3
	scratch_load_b32 v4, off, off offset:552 ; 4-byte Folded Reload
	v_and_or_b32 v2, 0x30303030, v7, v2
	v_add_nc_u16 v8, v8, 0xe000
	v_and_b32_e32 v7, 0x3f00, v0
	v_and_b32_e32 v5, 0x3f00, v3
	v_lshlrev_b16 v0, 8, v0
	v_lshrrev_b16 v1, 8, v1
	v_lshrrev_b32_e32 v10, 16, v2
	v_and_b32_e32 v11, 0x3f00, v2
	v_lshlrev_b16 v2, 8, v2
	v_add_nc_u16 v0, v0, 0xe000
	v_or_b32_e32 v1, v9, v1
	v_and_b32_e32 v15, 0x3f00, v10
	v_lshlrev_b16 v10, 8, v10
	v_add_nc_u16 v2, v2, 0xe000
	v_lshrrev_b16 v0, 8, v0
	v_add_nc_u16 v1, v1, 0xe000
	s_delay_alu instid0(VALU_DEP_4) | instskip(NEXT) | instid1(VALU_DEP_4)
	v_add_nc_u16 v10, v10, 0xe000
	v_lshrrev_b16 v2, 8, v2
	s_delay_alu instid0(VALU_DEP_4) | instskip(NEXT) | instid1(VALU_DEP_4)
	v_or_b32_e32 v0, v7, v0
	v_and_b32_e32 v1, 0xffff, v1
	s_delay_alu instid0(VALU_DEP_4) | instskip(NEXT) | instid1(VALU_DEP_4)
	v_lshrrev_b16 v7, 8, v10
	v_or_b32_e32 v2, v11, v2
	s_delay_alu instid0(VALU_DEP_4) | instskip(NEXT) | instid1(VALU_DEP_3)
	v_add_nc_u16 v0, v0, 0xe000
	v_or_b32_e32 v7, v15, v7
	s_delay_alu instid0(VALU_DEP_3) | instskip(NEXT) | instid1(VALU_DEP_3)
	v_add_nc_u16 v2, v2, 0xe000
	v_and_b32_e32 v0, 0xffff, v0
	s_delay_alu instid0(VALU_DEP_3) | instskip(NEXT) | instid1(VALU_DEP_3)
	v_add_nc_u16 v7, v7, 0xe000
	v_and_b32_e32 v2, 0xffff, v2
	s_delay_alu instid0(VALU_DEP_2) | instskip(NEXT) | instid1(VALU_DEP_1)
	v_lshlrev_b32_e32 v7, 16, v7
	v_or_b32_e32 v2, v2, v7
	s_waitcnt vmcnt(0)
	ds_store_b32 v4, v20
	v_lshrrev_b32_e32 v4, 16, v3
	v_lshlrev_b16 v3, 8, v3
	s_delay_alu instid0(VALU_DEP_2) | instskip(SKIP_1) | instid1(VALU_DEP_3)
	v_and_b32_e32 v12, 0x3f00, v4
	v_lshlrev_b16 v4, 8, v4
	v_add_nc_u16 v3, v3, 0xe000
	s_delay_alu instid0(VALU_DEP_2) | instskip(NEXT) | instid1(VALU_DEP_2)
	v_add_nc_u16 v4, v4, 0xe000
	v_lshrrev_b16 v3, 8, v3
	s_delay_alu instid0(VALU_DEP_2) | instskip(NEXT) | instid1(VALU_DEP_2)
	v_lshrrev_b16 v4, 8, v4
	v_or_b32_e32 v3, v5, v3
	v_lshrrev_b16 v5, 8, v6
	v_lshrrev_b16 v6, 8, v8
	scratch_load_b32 v8, off, off offset:556 ; 4-byte Folded Reload
	v_or_b32_e32 v4, v12, v4
	v_add_nc_u16 v3, v3, 0xe000
	v_or_b32_e32 v5, v13, v5
	v_or_b32_e32 v6, v14, v6
	s_delay_alu instid0(VALU_DEP_4) | instskip(NEXT) | instid1(VALU_DEP_4)
	v_add_nc_u16 v4, v4, 0xe000
	v_and_b32_e32 v3, 0xffff, v3
	s_delay_alu instid0(VALU_DEP_4) | instskip(NEXT) | instid1(VALU_DEP_4)
	v_add_nc_u16 v5, v5, 0xe000
	v_add_nc_u16 v6, v6, 0xe000
	s_delay_alu instid0(VALU_DEP_4) | instskip(NEXT) | instid1(VALU_DEP_3)
	v_lshlrev_b32_e32 v4, 16, v4
	v_lshlrev_b32_e32 v5, 16, v5
	s_delay_alu instid0(VALU_DEP_3) | instskip(NEXT) | instid1(VALU_DEP_3)
	v_lshlrev_b32_e32 v6, 16, v6
	v_or_b32_e32 v3, v3, v4
	scratch_load_b32 v4, off, off offset:560 ; 4-byte Folded Reload
	v_or_b32_e32 v0, v0, v5
	v_or_b32_e32 v1, v1, v6
	s_waitcnt vmcnt(1)
	ds_store_b32 v8, v21
	s_waitcnt vmcnt(0)
	ds_store_b32 v4, v22
	scratch_load_b32 v4, off, off offset:564 ; 4-byte Folded Reload
	s_waitcnt vmcnt(0)
	ds_store_b32 v4, v3
	scratch_load_b32 v3, off, off offset:568 ; 4-byte Folded Reload
	;; [unrolled: 3-line block ×4, first 2 shown]
	s_waitcnt vmcnt(0)
	ds_store_b32 v0, v2
	s_branch .LBB150_8
.LBB150_7:                              ;   in Loop: Header=BB150_8 Depth=2
                                        ; implicit-def: $sgpr14
                                        ; implicit-def: $sgpr1
	s_cbranch_execnz .LBB150_5
.LBB150_8:                              ;   Parent Loop BB150_6 Depth=1
                                        ; =>  This Loop Header: Depth=2
                                        ;       Child Loop BB150_10 Depth 3
                                        ;       Child Loop BB150_12 Depth 3
	s_lshr_b32 s15, s14, 1
	s_delay_alu instid0(SALU_CYCLE_1) | instskip(NEXT) | instid1(SALU_CYCLE_1)
	s_or_b32 s15, s15, s5
	s_cmp_lt_i32 s15, s4
	s_cbranch_scc0 .LBB150_7
; %bb.9:                                ;   in Loop: Header=BB150_8 Depth=2
	scratch_load_b32 v0, off, off offset:152 ; 4-byte Folded Reload
	s_or_b32 s16, s14, 1
	s_lshl_b32 s17, s14, 3
	s_mov_b32 s18, 0
	s_mov_b32 s19, 0
	s_lshl_b32 s15, s16, 3
	scratch_load_b64 v[19:20], off, off offset:156 ; 8-byte Folded Reload
	s_waitcnt vmcnt(1)
	v_lshl_add_u32 v0, s14, 5, v0
	s_delay_alu instid0(VALU_DEP_1) | instskip(NEXT) | instid1(VALU_DEP_1)
	v_lshrrev_b32_e32 v0, 3, v0
	v_add_nc_u32_e32 v12, s0, v0
	scratch_load_b32 v0, off, off offset:148 ; 4-byte Folded Reload
	s_waitcnt vmcnt(0)
	v_lshl_add_u32 v13, s14, 2, v0
	scratch_load_b32 v0, off, off offset:168 ; 4-byte Folded Reload
	s_waitcnt vmcnt(0)
	v_add_nc_u32_e32 v2, v12, v0
	scratch_load_b32 v0, off, off offset:176 ; 4-byte Folded Reload
	s_waitcnt vmcnt(0)
	v_add_nc_u32_e32 v4, v12, v0
	;; [unrolled: 3-line block ×7, first 2 shown]
	v_mad_i64_i32 v[0:1], null, v2, 36, v[19:20]
	v_mad_i64_i32 v[2:3], null, v4, 36, v[19:20]
	v_mad_i64_i32 v[4:5], null, v6, 36, v[19:20]
	v_mad_i64_i32 v[6:7], null, v8, 36, v[19:20]
	v_mad_i64_i32 v[8:9], null, v10, 36, v[19:20]
	v_mad_u64_u32 v[10:11], null, v13, 36, s[2:3]
	scratch_load_b32 v13, off, off offset:224 ; 4-byte Folded Reload
	s_waitcnt vmcnt(0)
	v_add_nc_u32_e32 v18, v12, v13
	v_mad_i64_i32 v[12:13], null, v14, 36, v[19:20]
	v_mad_i64_i32 v[14:15], null, v16, 36, v[19:20]
	s_delay_alu instid0(VALU_DEP_3)
	v_mad_i64_i32 v[16:17], null, v18, 36, v[19:20]
	s_clause 0x8
	global_load_b32 v10, v[10:11], off
	global_load_b32 v2, v[2:3], off offset:4
	global_load_b32 v3, v[4:5], off offset:4
	;; [unrolled: 1-line block ×8, first 2 shown]
	s_clause 0x2
	scratch_load_b32 v192, off, off offset:236
	scratch_load_b32 v245, off, off offset:232
	;; [unrolled: 1-line block ×3, first 2 shown]
	s_waitcnt vmcnt(11)
	v_cvt_f32_f16_e32 v1, v10
	s_waitcnt vmcnt(0)
	ds_store_b32 v9, v2
	scratch_load_b32 v2, off, off offset:188 ; 4-byte Folded Reload
	s_waitcnt vmcnt(0)
	ds_store_b32 v2, v3
	scratch_load_b32 v2, off, off offset:196 ; 4-byte Folded Reload
	;; [unrolled: 3-line block ×8, first 2 shown]
	s_waitcnt vmcnt(0)
	ds_store_b32 v0, v1
	s_waitcnt lgkmcnt(0)
	s_waitcnt_vscnt null, 0x0
	s_barrier
	buffer_gl0_inv
.LBB150_10:                             ;   Parent Loop BB150_6 Depth=1
                                        ;     Parent Loop BB150_8 Depth=2
                                        ; =>    This Inner Loop Header: Depth=3
	s_add_i32 s20, s1, s19
	scratch_store_b32 off, v85, off offset:52 ; 4-byte Folded Spill
	s_and_b32 s21, s20, 0x3ffffff8
	s_lshr_b32 s22, s20, 4
	s_lshl_b32 s21, s21, 2
	s_lshl_b32 s20, s22, 2
	s_waitcnt vmcnt(7)
	v_dual_mov_b32 v231, v83 :: v_dual_add_nc_u32 v4, s21, v73
	s_waitcnt vmcnt(4)
	v_dual_mov_b32 v243, v86 :: v_dual_add_nc_u32 v178, s21, v77
	v_dual_mov_b32 v105, v28 :: v_dual_add_nc_u32 v6, s20, v74
	ds_load_2addr_b32 v[0:1], v4 offset1:1
	ds_load_2addr_b32 v[2:3], v4 offset0:2 offset1:3
	ds_load_2addr_b32 v[47:48], v4 offset0:4 offset1:5
	;; [unrolled: 1-line block ×3, first 2 shown]
	s_waitcnt vmcnt(0)
	v_dual_mov_b32 v225, v46 :: v_dual_add_nc_u32 v12, s21, v87
	v_add_nc_u32_e32 v179, s21, v95
	s_lshl_b32 s21, s22, 3
	v_mov_b32_e32 v110, v31
	v_add_lshl_u32 v100, v75, s21, 2
	v_add_lshl_u32 v137, v91, s21, 2
	v_mov_b32_e32 v244, v94
	v_mov_b32_e32 v234, v93
	;; [unrolled: 1-line block ×4, first 2 shown]
	s_waitcnt lgkmcnt(3)
	v_ashrrev_i32_e32 v5, s19, v0
	v_ashrrev_i32_e32 v4, s19, v1
	s_waitcnt lgkmcnt(2)
	v_ashrrev_i32_e32 v1, s19, v2
	v_ashrrev_i32_e32 v0, s19, v3
	ds_load_2addr_b32 v[2:3], v178 offset0:2 offset1:3
	ds_load_b32 v194, v6
	ds_load_2addr_b32 v[6:7], v178 offset1:1
	v_bfe_u32 v83, v5, 24, 2
	v_and_b32_e32 v5, 0x3030303, v5
	s_waitcnt lgkmcnt(2)
	v_ashrrev_i32_e32 v10, s19, v2
	v_ashrrev_i32_e32 v11, s19, v3
	s_waitcnt lgkmcnt(0)
	v_ashrrev_i32_e32 v8, s19, v6
	v_ashrrev_i32_e32 v9, s19, v7
	ds_load_2addr_b32 v[2:3], v12 offset1:1
	ds_load_2addr_b32 v[6:7], v12 offset0:2 offset1:3
	ds_load_2addr_b32 v[57:58], v12 offset0:4 offset1:5
	;; [unrolled: 1-line block ×3, first 2 shown]
	s_waitcnt lgkmcnt(3)
	v_ashrrev_i32_e32 v12, s19, v2
	s_waitcnt lgkmcnt(2)
	v_ashrrev_i32_e32 v14, s19, v6
	v_add_nc_u32_e32 v6, s20, v90
	v_ashrrev_i32_e32 v13, s19, v3
	v_ashrrev_i32_e32 v15, s19, v7
	ds_load_2addr_b32 v[2:3], v179 offset0:2 offset1:3
	ds_load_b32 v195, v6
	ds_load_2addr_b32 v[6:7], v179 offset1:1
	s_waitcnt lgkmcnt(2)
	v_ashrrev_i32_e32 v18, s19, v2
	v_add_lshl_u32 v2, v70, s21, 2
	v_ashrrev_i32_e32 v19, s19, v3
	s_waitcnt lgkmcnt(0)
	v_ashrrev_i32_e32 v16, s19, v6
	v_ashrrev_i32_e32 v17, s19, v7
	v_add_nc_u32_e32 v3, 0x4200, v2
	v_add_nc_u32_e32 v6, 0x4208, v2
	;; [unrolled: 1-line block ×4, first 2 shown]
	ds_load_2addr_b32 v[2:3], v3 offset1:1
	ds_load_2addr_b32 v[6:7], v6 offset1:1
	;; [unrolled: 1-line block ×4, first 2 shown]
	s_waitcnt lgkmcnt(3)
	v_ashrrev_i32_e32 v20, s18, v2
	v_ashrrev_i32_e32 v21, s18, v3
	s_waitcnt lgkmcnt(2)
	v_ashrrev_i32_e32 v22, s18, v6
	v_add_nc_u32_e32 v2, 0x4200, v100
	v_add_nc_u32_e32 v6, 0x4208, v100
	v_lshlrev_b32_e32 v20, 2, v20
	v_ashrrev_i32_e32 v23, s18, v7
	ds_load_2addr_b32 v[2:3], v2 offset1:1
	ds_load_2addr_b32 v[6:7], v6 offset1:1
	ds_load_2addr_b32 v[63:64], v178 offset0:6 offset1:7
	s_waitcnt lgkmcnt(4)
	v_ashrrev_i32_e32 v61, s18, v61
	v_and_b32_e32 v20, 0x4040404, v20
	v_ashrrev_i32_e32 v62, s18, v62
	s_waitcnt lgkmcnt(3)
	v_ashrrev_i32_e32 v60, s18, v60
	s_delay_alu instid0(VALU_DEP_3) | instskip(SKIP_2) | instid1(VALU_DEP_3)
	v_lshrrev_b32_e32 v85, 24, v20
	v_lshrrev_b32_e32 v86, 16, v20
	v_sub_nc_u16 v203, v5, v20
	v_sub_nc_u16 v83, v83, v85
	v_lshrrev_b32_e32 v85, 16, v5
	s_delay_alu instid0(VALU_DEP_1)
	v_sub_nc_u16 v202, v85, v86
	v_lshrrev_b16 v85, 8, v5
	v_lshrrev_b16 v5, 8, v20
	v_lshlrev_b32_e32 v20, 2, v21
	v_bfe_u32 v21, v4, 24, 2
	v_and_b32_e32 v4, 0x3030303, v4
	s_waitcnt lgkmcnt(2)
	v_ashrrev_i32_e32 v24, s18, v2
	v_sub_nc_u16 v5, v85, v5
	v_and_b32_e32 v20, 0x4040404, v20
	v_ashrrev_i32_e32 v25, s18, v3
	s_waitcnt lgkmcnt(1)
	v_ashrrev_i32_e32 v26, s18, v6
	v_add_lshl_u32 v2, v84, s21, 2
	v_ashrrev_i32_e32 v27, s18, v7
	v_lshrrev_b32_e32 v85, 24, v20
	v_lshrrev_b32_e32 v86, 16, v20
	v_sub_nc_u16 v205, v4, v20
	v_add_nc_u32_e32 v3, 0x4200, v2
	v_add_nc_u32_e32 v6, 0x4208, v2
	v_sub_nc_u16 v21, v21, v85
	v_lshrrev_b32_e32 v85, 16, v4
	v_add_nc_u32_e32 v51, 0x4210, v2
	v_add_nc_u32_e32 v52, 0x4218, v2
	ds_load_2addr_b32 v[2:3], v3 offset1:1
	ds_load_2addr_b32 v[6:7], v6 offset1:1
	;; [unrolled: 1-line block ×4, first 2 shown]
	v_sub_nc_u16 v204, v85, v86
	v_lshrrev_b16 v85, 8, v4
	v_lshrrev_b16 v4, 8, v20
	v_lshlrev_b32_e32 v20, 2, v22
	v_bfe_u32 v22, v1, 24, 2
	v_and_b32_e32 v1, 0x3030303, v1
	v_lshlrev_b16 v5, 8, v5
	v_sub_nc_u16 v4, v85, v4
	v_and_b32_e32 v20, 0x4040404, v20
	s_and_b32 s21, s17, -16
	s_waitcnt lgkmcnt(4)
	v_ashrrev_i32_e32 v63, s19, v63
	v_ashrrev_i32_e32 v64, s19, v64
	v_lshlrev_b16 v4, 8, v4
	v_lshrrev_b32_e32 v85, 24, v20
	v_lshrrev_b32_e32 v86, 16, v20
	v_sub_nc_u16 v199, v1, v20
	s_waitcnt lgkmcnt(3)
	v_ashrrev_i32_e32 v66, s18, v2
	v_ashrrev_i32_e32 v79, s18, v3
	v_sub_nc_u16 v22, v22, v85
	v_lshrrev_b32_e32 v85, 16, v1
	s_waitcnt lgkmcnt(2)
	v_ashrrev_i32_e32 v80, s18, v6
	v_add_nc_u32_e32 v2, 0x4200, v137
	v_add_nc_u32_e32 v6, 0x4208, v137
	v_ashrrev_i32_e32 v82, s18, v7
	v_sub_nc_u16 v198, v85, v86
	v_lshrrev_b16 v85, 8, v1
	v_lshrrev_b16 v1, 8, v20
	v_lshlrev_b32_e32 v20, 2, v23
	v_bfe_u32 v23, v0, 24, 2
	v_and_b32_e32 v0, 0x3030303, v0
	ds_load_2addr_b32 v[2:3], v2 offset1:1
	ds_load_2addr_b32 v[6:7], v6 offset1:1
	ds_load_2addr_b32 v[184:185], v179 offset0:6 offset1:7
	v_sub_nc_u16 v1, v85, v1
	v_and_b32_e32 v20, 0x4040404, v20
	s_add_i32 s17, s17, 2
	s_delay_alu instid0(VALU_DEP_2) | instskip(NEXT) | instid1(VALU_DEP_2)
	v_lshlrev_b16 v1, 8, v1
	v_lshrrev_b32_e32 v85, 24, v20
	v_lshrrev_b32_e32 v86, 16, v20
	v_sub_nc_u16 v197, v0, v20
	s_delay_alu instid0(VALU_DEP_3) | instskip(SKIP_1) | instid1(VALU_DEP_1)
	v_sub_nc_u16 v23, v23, v85
	v_lshrrev_b32_e32 v85, 16, v0
	v_sub_nc_u16 v196, v85, v86
	v_lshrrev_b16 v85, 8, v0
	v_lshrrev_b16 v0, 8, v20
	v_lshlrev_b32_e32 v20, 2, v24
	v_bfe_u32 v24, v8, 24, 2
	v_and_b32_e32 v8, 0x3030303, v8
	s_waitcnt lgkmcnt(2)
	v_ashrrev_i32_e32 v2, s18, v2
	v_sub_nc_u16 v0, v85, v0
	v_and_b32_e32 v20, 0x4040404, v20
	v_ashrrev_i32_e32 v3, s18, v3
	s_waitcnt lgkmcnt(1)
	v_ashrrev_i32_e32 v6, s18, v6
	v_lshlrev_b32_e32 v2, 2, v2
	v_ashrrev_i32_e32 v7, s18, v7
	v_lshrrev_b32_e32 v85, 24, v20
	v_lshrrev_b32_e32 v86, 16, v20
	v_sub_nc_u16 v211, v8, v20
	v_and_b32_e32 v2, 0x4040404, v2
	v_lshlrev_b32_e32 v3, 2, v3
	v_sub_nc_u16 v24, v24, v85
	v_lshrrev_b32_e32 v85, 16, v8
	v_lshlrev_b32_e32 v6, 2, v6
	v_lshlrev_b32_e32 v7, 2, v7
	v_and_b32_e32 v3, 0x4040404, v3
	v_lshlrev_b16 v0, 8, v0
	v_sub_nc_u16 v210, v85, v86
	v_lshrrev_b16 v85, 8, v8
	v_lshrrev_b16 v8, 8, v20
	v_lshlrev_b32_e32 v20, 2, v25
	v_bfe_u32 v25, v9, 24, 2
	v_and_b32_e32 v9, 0x3030303, v9
	v_and_b32_e32 v6, 0x4040404, v6
	v_sub_nc_u16 v8, v85, v8
	v_and_b32_e32 v20, 0x4040404, v20
	v_and_b32_e32 v7, 0x4040404, v7
	s_delay_alu instid0(VALU_DEP_2) | instskip(SKIP_2) | instid1(VALU_DEP_3)
	v_lshrrev_b32_e32 v85, 24, v20
	v_lshrrev_b32_e32 v86, 16, v20
	v_sub_nc_u16 v213, v9, v20
	v_sub_nc_u16 v25, v25, v85
	v_lshrrev_b32_e32 v85, 16, v9
	s_delay_alu instid0(VALU_DEP_1)
	v_sub_nc_u16 v212, v85, v86
	v_lshrrev_b16 v85, 8, v9
	v_lshrrev_b16 v9, 8, v20
	v_lshlrev_b32_e32 v20, 2, v26
	v_bfe_u32 v26, v10, 24, 2
	v_and_b32_e32 v10, 0x3030303, v10
	s_delay_alu instid0(VALU_DEP_4) | instskip(NEXT) | instid1(VALU_DEP_4)
	v_sub_nc_u16 v9, v85, v9
	v_and_b32_e32 v20, 0x4040404, v20
	s_delay_alu instid0(VALU_DEP_1) | instskip(SKIP_2) | instid1(VALU_DEP_3)
	v_lshrrev_b32_e32 v85, 24, v20
	v_lshrrev_b32_e32 v86, 16, v20
	v_sub_nc_u16 v207, v10, v20
	v_sub_nc_u16 v26, v26, v85
	v_lshrrev_b32_e32 v85, 16, v10
	s_delay_alu instid0(VALU_DEP_1)
	v_sub_nc_u16 v206, v85, v86
	v_lshrrev_b16 v85, 8, v10
	v_lshrrev_b16 v10, 8, v20
	v_lshlrev_b32_e32 v20, 2, v27
	v_bfe_u32 v27, v11, 24, 2
	v_and_b32_e32 v11, 0x3030303, v11
	s_delay_alu instid0(VALU_DEP_4) | instskip(NEXT) | instid1(VALU_DEP_4)
	v_sub_nc_u16 v10, v85, v10
	v_and_b32_e32 v20, 0x4040404, v20
	s_delay_alu instid0(VALU_DEP_1) | instskip(SKIP_2) | instid1(VALU_DEP_3)
	;; [unrolled: 16-line block ×4, first 2 shown]
	v_lshrrev_b32_e32 v85, 24, v20
	v_lshrrev_b32_e32 v86, 16, v20
	v_sub_nc_u16 v221, v13, v20
	v_sub_nc_u16 v85, v79, v85
	v_lshrrev_b32_e32 v79, 16, v13
	s_delay_alu instid0(VALU_DEP_1) | instskip(SKIP_3) | instid1(VALU_DEP_2)
	v_sub_nc_u16 v220, v79, v86
	v_lshrrev_b16 v79, 8, v13
	v_lshrrev_b16 v13, 8, v20
	v_lshlrev_b32_e32 v20, 2, v80
	v_sub_nc_u16 v13, v79, v13
	s_delay_alu instid0(VALU_DEP_2) | instskip(SKIP_2) | instid1(VALU_DEP_3)
	v_and_b32_e32 v20, 0x4040404, v20
	v_bfe_u32 v79, v14, 24, 2
	v_and_b32_e32 v14, 0x3030303, v14
	v_lshrrev_b32_e32 v80, 24, v20
	s_delay_alu instid0(VALU_DEP_2) | instskip(NEXT) | instid1(VALU_DEP_2)
	v_sub_nc_u16 v215, v14, v20
	v_sub_nc_u16 v86, v79, v80
	v_lshrrev_b32_e32 v79, 16, v14
	v_lshrrev_b32_e32 v80, 16, v20
	s_delay_alu instid0(VALU_DEP_1) | instskip(SKIP_3) | instid1(VALU_DEP_2)
	v_sub_nc_u16 v214, v79, v80
	v_lshrrev_b16 v79, 8, v14
	v_lshrrev_b16 v14, 8, v20
	v_lshlrev_b32_e32 v20, 2, v82
	v_sub_nc_u16 v14, v79, v14
	s_delay_alu instid0(VALU_DEP_2) | instskip(SKIP_2) | instid1(VALU_DEP_3)
	v_and_b32_e32 v20, 0x4040404, v20
	v_bfe_u32 v79, v15, 24, 2
	v_and_b32_e32 v15, 0x3030303, v15
	v_lshrrev_b32_e32 v80, 24, v20
	s_delay_alu instid0(VALU_DEP_2) | instskip(NEXT) | instid1(VALU_DEP_2)
	v_sub_nc_u16 v209, v15, v20
	v_sub_nc_u16 v82, v79, v80
	v_lshrrev_b32_e32 v79, 16, v15
	v_lshrrev_b32_e32 v80, 16, v20
	s_delay_alu instid0(VALU_DEP_1)
	v_sub_nc_u16 v208, v79, v80
	v_lshrrev_b16 v79, 8, v15
	v_lshrrev_b16 v15, 8, v20
	v_bfe_u32 v20, v16, 24, 2
	v_and_b32_e32 v16, 0x3030303, v16
	v_lshrrev_b32_e32 v80, 16, v2
	s_delay_alu instid0(VALU_DEP_4) | instskip(SKIP_1) | instid1(VALU_DEP_4)
	v_sub_nc_u16 v15, v79, v15
	v_lshrrev_b32_e32 v79, 24, v2
	v_sub_nc_u16 v228, v16, v2
	v_lshrrev_b16 v2, 8, v2
	s_delay_alu instid0(VALU_DEP_3) | instskip(SKIP_1) | instid1(VALU_DEP_1)
	v_sub_nc_u16 v20, v20, v79
	v_lshrrev_b32_e32 v79, 16, v16
	v_sub_nc_u16 v226, v79, v80
	v_lshrrev_b16 v79, 8, v16
	v_bfe_u32 v16, v17, 24, 2
	v_and_b32_e32 v17, 0x3030303, v17
	v_lshrrev_b32_e32 v80, 16, v3
	s_delay_alu instid0(VALU_DEP_4) | instskip(SKIP_1) | instid1(VALU_DEP_4)
	v_sub_nc_u16 v2, v79, v2
	v_lshrrev_b32_e32 v79, 24, v3
	v_sub_nc_u16 v233, v17, v3
	v_lshrrev_b16 v3, 8, v3
	s_delay_alu instid0(VALU_DEP_3) | instskip(SKIP_1) | instid1(VALU_DEP_1)
	v_sub_nc_u16 v16, v16, v79
	v_lshrrev_b32_e32 v79, 16, v17
	v_sub_nc_u16 v232, v79, v80
	v_lshrrev_b16 v79, 8, v17
	v_bfe_u32 v17, v18, 24, 2
	v_and_b32_e32 v18, 0x3030303, v18
	v_lshrrev_b32_e32 v80, 16, v6
	s_delay_alu instid0(VALU_DEP_4) | instskip(SKIP_1) | instid1(VALU_DEP_4)
	v_sub_nc_u16 v3, v79, v3
	v_lshrrev_b32_e32 v79, 24, v6
	v_sub_nc_u16 v223, v18, v6
	v_lshrrev_b16 v6, 8, v6
	s_delay_alu instid0(VALU_DEP_3) | instskip(SKIP_1) | instid1(VALU_DEP_1)
	v_sub_nc_u16 v17, v17, v79
	v_lshrrev_b32_e32 v79, 16, v18
	v_sub_nc_u16 v222, v79, v80
	v_lshrrev_b16 v79, 8, v18
	v_bfe_u32 v18, v19, 24, 2
	v_and_b32_e32 v19, 0x3030303, v19
	v_lshrrev_b32_e32 v80, 16, v7
	s_delay_alu instid0(VALU_DEP_4) | instskip(SKIP_1) | instid1(VALU_DEP_4)
	v_sub_nc_u16 v6, v79, v6
	v_lshrrev_b32_e32 v79, 24, v7
	v_sub_nc_u16 v217, v19, v7
	v_lshrrev_b16 v7, 8, v7
	s_delay_alu instid0(VALU_DEP_3) | instskip(SKIP_1) | instid1(VALU_DEP_1)
	v_sub_nc_u16 v18, v18, v79
	v_lshrrev_b32_e32 v79, 16, v19
	v_sub_nc_u16 v216, v79, v80
	v_lshrrev_b16 v79, 8, v19
	v_lshlrev_b16 v19, 8, v83
	s_delay_alu instid0(VALU_DEP_2) | instskip(SKIP_1) | instid1(VALU_DEP_1)
	v_sub_nc_u16 v7, v79, v7
	v_and_b32_e32 v79, 0xff, v202
	v_or_b32_e32 v30, v79, v19
	v_and_b32_e32 v19, 0xff, v203
	s_delay_alu instid0(VALU_DEP_1) | instskip(SKIP_2) | instid1(VALU_DEP_1)
	v_or_b32_e32 v247, v19, v5
	v_lshlrev_b16 v5, 8, v21
	v_and_b32_e32 v19, 0xff, v204
	v_or_b32_e32 v248, v19, v5
	v_and_b32_e32 v5, 0xff, v205
	s_delay_alu instid0(VALU_DEP_1) | instskip(SKIP_2) | instid1(VALU_DEP_1)
	v_or_b32_e32 v251, v5, v4
	v_lshlrev_b16 v4, 8, v22
	v_and_b32_e32 v5, 0xff, v198
	v_or_b32_e32 v19, v5, v4
	v_and_b32_e32 v4, 0xff, v199
	s_delay_alu instid0(VALU_DEP_1)
	v_or_b32_e32 v21, v4, v1
	v_lshlrev_b16 v1, 8, v23
	v_and_b32_e32 v4, 0xff, v196
	scratch_store_b32 off, v21, off offset:84 ; 4-byte Folded Spill
	v_or_b32_e32 v4, v4, v1
	v_and_b32_e32 v1, 0xff, v197
	s_delay_alu instid0(VALU_DEP_1)
	v_or_b32_e32 v5, v1, v0
	v_lshlrev_b16 v0, 8, v24
	v_and_b32_e32 v1, 0xff, v210
	scratch_store_b32 off, v4, off offset:56 ; 4-byte Folded Spill
	v_or_b32_e32 v255, v1, v0
	v_lshlrev_b16 v0, 8, v8
	v_and_b32_e32 v1, 0xff, v211
	s_delay_alu instid0(VALU_DEP_1) | instskip(SKIP_2) | instid1(VALU_DEP_1)
	v_or_b32_e32 v240, v1, v0
	v_lshlrev_b16 v0, 8, v25
	v_and_b32_e32 v1, 0xff, v212
	v_or_b32_e32 v242, v1, v0
	v_lshlrev_b16 v0, 8, v9
	v_and_b32_e32 v1, 0xff, v213
	s_delay_alu instid0(VALU_DEP_1) | instskip(SKIP_2) | instid1(VALU_DEP_1)
	v_or_b32_e32 v238, v1, v0
	v_lshlrev_b16 v0, 8, v26
	v_and_b32_e32 v1, 0xff, v206
	;; [unrolled: 7-line block ×3, first 2 shown]
	v_or_b32_e32 v8, v1, v0
	v_lshlrev_b16 v0, 8, v11
	v_and_b32_e32 v1, 0xff, v201
	scratch_store_b32 off, v5, off offset:60 ; 4-byte Folded Spill
	v_or_b32_e32 v9, v1, v0
	scratch_store_b32 off, v8, off offset:64 ; 4-byte Folded Spill
	v_lshlrev_b16 v0, 8, v66
	v_dual_mov_b32 v66, v76 :: v_dual_and_b32 v1, 0xff, v218
	s_delay_alu instid0(VALU_DEP_1) | instskip(SKIP_2) | instid1(VALU_DEP_1)
	v_or_b32_e32 v236, v1, v0
	v_lshlrev_b16 v0, 8, v12
	v_and_b32_e32 v1, 0xff, v219
	v_or_b32_e32 v235, v1, v0
	v_lshlrev_b16 v0, 8, v85
	v_and_b32_e32 v1, 0xff, v220
	s_delay_alu instid0(VALU_DEP_1) | instskip(SKIP_2) | instid1(VALU_DEP_1)
	v_or_b32_e32 v80, v1, v0
	v_lshlrev_b16 v0, 8, v13
	v_and_b32_e32 v1, 0xff, v221
	v_or_b32_e32 v79, v1, v0
	v_lshlrev_b16 v0, 8, v86
	v_and_b32_e32 v1, 0xff, v214
	s_delay_alu instid0(VALU_DEP_1)
	v_or_b32_e32 v12, v1, v0
	v_lshlrev_b16 v0, 8, v14
	v_and_b32_e32 v1, 0xff, v215
	scratch_store_b32 off, v23, off offset:100 ; 4-byte Folded Spill
	v_or_b32_e32 v13, v1, v0
	scratch_store_b32 off, v12, off offset:104 ; 4-byte Folded Spill
	v_lshlrev_b16 v0, 8, v82
	v_dual_mov_b32 v82, v89 :: v_dual_and_b32 v1, 0xff, v208
	s_clause 0x1
	scratch_store_b32 off, v13, off offset:108
	scratch_store_b32 off, v30, off offset:112
	v_or_b32_e32 v10, v1, v0
	v_lshlrev_b16 v0, 8, v15
	v_and_b32_e32 v1, 0xff, v209
	scratch_store_b32 off, v9, off offset:68 ; 4-byte Folded Spill
	v_or_b32_e32 v11, v1, v0
	scratch_store_b32 off, v10, off offset:72 ; 4-byte Folded Spill
	v_lshlrev_b16 v0, 8, v20
	v_and_b32_e32 v1, 0xff, v226
	s_clause 0x1
	scratch_store_b32 off, v19, off offset:80
	scratch_store_b32 off, v11, off offset:76
	v_or_b32_e32 v89, v1, v0
	v_lshlrev_b16 v0, 8, v2
	v_and_b32_e32 v1, 0xff, v228
	s_delay_alu instid0(VALU_DEP_1) | instskip(SKIP_2) | instid1(VALU_DEP_1)
	v_or_b32_e32 v83, v1, v0
	v_lshlrev_b16 v0, 8, v16
	v_and_b32_e32 v1, 0xff, v232
	v_or_b32_e32 v94, v1, v0
	v_lshlrev_b16 v0, 8, v3
	v_and_b32_e32 v1, 0xff, v233
	s_delay_alu instid0(VALU_DEP_1) | instskip(SKIP_2) | instid1(VALU_DEP_1)
	v_or_b32_e32 v93, v1, v0
	v_lshlrev_b16 v0, 8, v17
	v_and_b32_e32 v1, 0xff, v222
	;; [unrolled: 7-line block ×3, first 2 shown]
	v_or_b32_e32 v2, v1, v0
	v_lshlrev_b16 v0, 8, v7
	v_and_b32_e32 v1, 0xff, v217
	s_delay_alu instid0(VALU_DEP_1)
	v_or_b32_e32 v3, v1, v0
	v_perm_b32 v0, v247, v203, 0xc0c0500
	v_perm_b32 v1, v30, v202, 0x5000c0c
	s_clause 0x2
	scratch_store_b32 off, v2, off offset:88
	scratch_store_b32 off, v22, off offset:96
	;; [unrolled: 1-line block ×3, first 2 shown]
	v_or_b32_e32 v111, v1, v0
	v_perm_b32 v0, v251, v205, 0xc0c0500
	v_perm_b32 v1, v248, v204, 0x5000c0c
	s_delay_alu instid0(VALU_DEP_1) | instskip(SKIP_2) | instid1(VALU_DEP_1)
	v_or_b32_e32 v125, v1, v0
	v_perm_b32 v0, v21, v199, 0xc0c0500
	v_perm_b32 v1, v19, v198, 0x5000c0c
	v_or_b32_e32 v133, v1, v0
	v_perm_b32 v0, v5, v197, 0xc0c0500
	v_perm_b32 v1, v4, v196, 0x5000c0c
	s_delay_alu instid0(VALU_DEP_1) | instskip(SKIP_2) | instid1(VALU_DEP_1)
	v_or_b32_e32 v135, v1, v0
	v_perm_b32 v0, v240, v211, 0xc0c0500
	v_perm_b32 v1, v255, v210, 0x5000c0c
	;; [unrolled: 7-line block ×4, first 2 shown]
	v_or_b32_e32 v190, v1, v0
	v_perm_b32 v0, v79, v221, 0xc0c0500
	v_perm_b32 v1, v80, v220, 0x5000c0c
	;; [unrolled: 1-line block ×4, first 2 shown]
	s_delay_alu instid0(VALU_DEP_3) | instskip(SKIP_2) | instid1(VALU_DEP_1)
	v_or_b32_e32 v76, v1, v0
	v_perm_b32 v0, v13, v215, 0xc0c0500
	v_perm_b32 v1, v12, v214, 0x5000c0c
	v_or_b32_e32 v107, v1, v0
	v_perm_b32 v0, v11, v209, 0xc0c0500
	v_perm_b32 v1, v10, v208, 0x5000c0c
	s_delay_alu instid0(VALU_DEP_1) | instskip(SKIP_4) | instid1(VALU_DEP_3)
	v_or_b32_e32 v78, v1, v0
	v_perm_b32 v0, v83, v228, 0xc0c0500
	v_perm_b32 v1, v89, v226, 0x5000c0c
	;; [unrolled: 1-line block ×4, first 2 shown]
	v_or_b32_e32 v28, v1, v0
	v_perm_b32 v0, v93, v233, 0xc0c0500
	v_perm_b32 v1, v94, v232, 0x5000c0c
	;; [unrolled: 1-line block ×4, first 2 shown]
	s_delay_alu instid0(VALU_DEP_3) | instskip(SKIP_2) | instid1(VALU_DEP_1)
	v_or_b32_e32 v29, v1, v0
	v_perm_b32 v0, v253, v223, 0xc0c0500
	v_perm_b32 v1, v252, v222, 0x5000c0c
	v_or_b32_e32 v30, v1, v0
	v_perm_b32 v0, v3, v217, 0xc0c0500
	v_perm_b32 v1, v2, v216, 0x5000c0c
	s_delay_alu instid0(VALU_DEP_1)
	v_or_b32_e32 v31, v1, v0
	ds_load_b128 v[4:7], v192 offset:1024
	ds_load_b128 v[0:3], v192 offset:1040
	s_waitcnt lgkmcnt(1)
	v_dot4_i32_iu8 v8, v4, v111, 0 neg_lo:[1,1,0]
	v_dot4_i32_iu8 v9, v4, v186, 0 neg_lo:[1,1,0]
	v_dot4_i32_iu8 v10, v4, v190, 0 neg_lo:[1,1,0]
	v_dot4_i32_iu8 v4, v4, v28, 0 neg_lo:[1,1,0]
	s_delay_alu instid0(VALU_DEP_4) | instskip(NEXT) | instid1(VALU_DEP_4)
	v_dot4_i32_iu8 v8, v5, v125, v8 neg_lo:[1,1,0]
	v_dot4_i32_iu8 v9, v5, v187, v9 neg_lo:[1,1,0]
	s_delay_alu instid0(VALU_DEP_4) | instskip(NEXT) | instid1(VALU_DEP_4)
	v_dot4_i32_iu8 v10, v5, v76, v10 neg_lo:[1,1,0]
	v_dot4_i32_iu8 v4, v5, v29, v4 neg_lo:[1,1,0]
	s_delay_alu instid0(VALU_DEP_4) | instskip(NEXT) | instid1(VALU_DEP_4)
	v_dot4_i32_iu8 v5, v6, v133, v8 neg_lo:[1,1,0]
	v_dot4_i32_iu8 v8, v6, v188, v9 neg_lo:[1,1,0]
	s_delay_alu instid0(VALU_DEP_4) | instskip(NEXT) | instid1(VALU_DEP_4)
	v_dot4_i32_iu8 v9, v6, v107, v10 neg_lo:[1,1,0]
	v_dot4_i32_iu8 v4, v6, v30, v4 neg_lo:[1,1,0]
	s_delay_alu instid0(VALU_DEP_4) | instskip(NEXT) | instid1(VALU_DEP_4)
	v_dot4_i32_iu8 v103, v7, v135, v5 neg_lo:[1,1,0]
	v_dot4_i32_iu8 v250, v7, v189, v8 neg_lo:[1,1,0]
	s_delay_alu instid0(VALU_DEP_4) | instskip(NEXT) | instid1(VALU_DEP_4)
	v_dot4_i32_iu8 v241, v7, v78, v9 neg_lo:[1,1,0]
	v_dot4_i32_iu8 v237, v7, v31, v4 neg_lo:[1,1,0]
	ds_load_b128 v[8:11], v192 offset:2048
	ds_load_b128 v[4:7], v192 offset:2064
	s_waitcnt lgkmcnt(1)
	v_dot4_i32_iu8 v12, v8, v111, 0 neg_lo:[1,1,0]
	v_dot4_i32_iu8 v13, v8, v186, 0 neg_lo:[1,1,0]
	v_dot4_i32_iu8 v14, v8, v190, 0 neg_lo:[1,1,0]
	v_dot4_i32_iu8 v8, v8, v28, 0 neg_lo:[1,1,0]
	s_delay_alu instid0(VALU_DEP_4) | instskip(NEXT) | instid1(VALU_DEP_4)
	v_dot4_i32_iu8 v12, v9, v125, v12 neg_lo:[1,1,0]
	v_dot4_i32_iu8 v13, v9, v187, v13 neg_lo:[1,1,0]
	s_delay_alu instid0(VALU_DEP_4) | instskip(NEXT) | instid1(VALU_DEP_4)
	v_dot4_i32_iu8 v14, v9, v76, v14 neg_lo:[1,1,0]
	v_dot4_i32_iu8 v8, v9, v29, v8 neg_lo:[1,1,0]
	s_delay_alu instid0(VALU_DEP_4) | instskip(NEXT) | instid1(VALU_DEP_4)
	v_dot4_i32_iu8 v9, v10, v133, v12 neg_lo:[1,1,0]
	v_dot4_i32_iu8 v12, v10, v188, v13 neg_lo:[1,1,0]
	s_delay_alu instid0(VALU_DEP_4) | instskip(NEXT) | instid1(VALU_DEP_4)
	v_dot4_i32_iu8 v13, v10, v107, v14 neg_lo:[1,1,0]
	v_dot4_i32_iu8 v8, v10, v30, v8 neg_lo:[1,1,0]
	s_delay_alu instid0(VALU_DEP_4) | instskip(NEXT) | instid1(VALU_DEP_4)
	v_dot4_i32_iu8 v85, v11, v135, v9 neg_lo:[1,1,0]
	v_dot4_i32_iu8 v106, v11, v189, v12 neg_lo:[1,1,0]
	s_delay_alu instid0(VALU_DEP_4) | instskip(NEXT) | instid1(VALU_DEP_4)
	v_dot4_i32_iu8 v249, v11, v78, v13 neg_lo:[1,1,0]
	v_dot4_i32_iu8 v239, v11, v31, v8 neg_lo:[1,1,0]
	;; [unrolled: 25-line block ×6, first 2 shown]
	ds_load_b128 v[180:183], v192 offset:7168
	ds_load_b128 v[24:27], v192 offset:7184
	s_waitcnt lgkmcnt(1)
	v_dot4_i32_iu8 v111, v180, v111, 0 neg_lo:[1,1,0]
	v_dot4_i32_iu8 v28, v180, v28, 0 neg_lo:[1,1,0]
	s_delay_alu instid0(VALU_DEP_2) | instskip(SKIP_1) | instid1(VALU_DEP_3)
	v_dot4_i32_iu8 v111, v181, v125, v111 neg_lo:[1,1,0]
	v_dot4_i32_iu8 v125, v180, v186, 0 neg_lo:[1,1,0]
	v_dot4_i32_iu8 v28, v181, v29, v28 neg_lo:[1,1,0]
	v_dot4_i32_iu8 v186, v180, v190, 0 neg_lo:[1,1,0]
	v_ashrrev_i32_e32 v180, s19, v55
	v_dot4_i32_iu8 v29, v182, v133, v111 neg_lo:[1,1,0]
	v_dot4_i32_iu8 v125, v181, v187, v125 neg_lo:[1,1,0]
	;; [unrolled: 1-line block ×4, first 2 shown]
	v_ashrrev_i32_e32 v30, s19, v49
	v_dot4_i32_iu8 v135, v183, v135, v29 neg_lo:[1,1,0]
	v_dot4_i32_iu8 v111, v182, v188, v125 neg_lo:[1,1,0]
	v_ashrrev_i32_e32 v29, s19, v48
	v_dot4_i32_iu8 v76, v182, v107, v76 neg_lo:[1,1,0]
	v_add_nc_u32_e32 v49, s19, v69
	v_ashrrev_i32_e32 v107, s19, v57
	v_dot4_i32_iu8 v133, v183, v189, v111 neg_lo:[1,1,0]
	v_dot4_i32_iu8 v111, v183, v31, v28 neg_lo:[1,1,0]
	v_ashrrev_i32_e32 v28, s19, v47
	ds_load_2addr_b32 v[47:48], v178 offset0:4 offset1:5
	v_dot4_i32_iu8 v125, v183, v78, v76 neg_lo:[1,1,0]
	v_ashrrev_i32_e32 v31, s19, v50
	v_add_nc_u32_e32 v50, 0x4218, v100
	v_ashrrev_i32_e32 v178, s19, v58
	v_ashrrev_i32_e32 v181, s19, v56
	;; [unrolled: 1-line block ×3, first 2 shown]
	v_add_nc_u32_e32 v52, 0x4218, v137
	v_ashrrev_i32_e32 v187, s18, v53
	v_ashrrev_i32_e32 v189, s18, v51
	;; [unrolled: 1-line block ×6, first 2 shown]
	s_waitcnt lgkmcnt(0)
	v_ashrrev_i32_e32 v76, s19, v47
	v_ashrrev_i32_e32 v78, s19, v48
	ds_load_2addr_b32 v[47:48], v179 offset0:4 offset1:5
	s_waitcnt lgkmcnt(0)
	v_ashrrev_i32_e32 v179, s19, v47
	scratch_load_b32 v47, off, off offset:124 ; 4-byte Folded Reload
	v_ashrrev_i32_e32 v182, s19, v48
	v_add_nc_u32_e32 v48, 0x4210, v100
	s_add_i32 s19, s19, 2
	s_waitcnt vmcnt(0)
	v_add3_u32 v47, v47, s21, v49
	ds_load_u16 v47, v47 offset:34560
	ds_load_2addr_b32 v[55:56], v48 offset1:1
	ds_load_2addr_b32 v[57:58], v50 offset1:1
	scratch_load_b32 v48, off, off offset:116 ; 4-byte Folded Reload
	v_add_nc_u32_e32 v50, 0x4210, v137
	s_waitcnt lgkmcnt(1)
	v_ashrrev_i32_e32 v100, s18, v55
	s_waitcnt lgkmcnt(0)
	v_ashrrev_i32_e32 v186, s18, v58
	v_ashrrev_i32_e32 v56, s18, v56
	v_ashrrev_i32_e32 v57, s18, v57
	s_delay_alu instid0(VALU_DEP_2) | instskip(NEXT) | instid1(VALU_DEP_1)
	v_lshlrev_b32_e32 v56, 2, v56
	v_and_b32_e32 v56, 0x4040404, v56
	s_waitcnt vmcnt(0)
	v_add3_u32 v48, v48, s21, v49
	ds_load_u16 v48, v48 offset:36608
	ds_load_2addr_b32 v[50:51], v50 offset1:1
	ds_load_2addr_b32 v[52:53], v52 offset1:1
	s_waitcnt lgkmcnt(1)
	v_ashrrev_i32_e32 v137, s18, v50
	v_lshlrev_b32_e32 v50, 2, v61
	v_ashrrev_i32_e32 v32, s18, v51
	s_waitcnt lgkmcnt(0)
	v_ashrrev_i32_e32 v33, s18, v52
	v_bfe_u32 v51, v28, 24, 2
	v_and_b32_e32 v28, 0x3030303, v28
	v_and_b32_e32 v50, 0x4040404, v50
	v_ashrrev_i32_e32 v34, s18, v53
	v_lshlrev_b32_e32 v137, 2, v137
	v_lshlrev_b32_e32 v32, 2, v32
	;; [unrolled: 1-line block ×3, first 2 shown]
	v_lshrrev_b32_e32 v52, 24, v50
	v_sub_nc_u16 v55, v28, v50
	v_and_b32_e32 v137, 0x4040404, v137
	v_and_b32_e32 v32, 0x4040404, v32
	;; [unrolled: 1-line block ×3, first 2 shown]
	v_sub_nc_u16 v35, v51, v52
	v_lshrrev_b32_e32 v51, 16, v28
	v_lshrrev_b32_e32 v52, 16, v50
	;; [unrolled: 1-line block ×6, first 2 shown]
	v_sub_nc_u16 v54, v51, v52
	v_lshrrev_b16 v51, 8, v28
	v_lshrrev_b16 v28, 8, v50
	v_lshlrev_b32_e32 v50, 2, v62
	v_lshrrev_b32_e32 v145, 24, v33
	v_lshrrev_b32_e32 v146, 16, v33
	v_lshlrev_b32_e32 v34, 2, v34
	v_sub_nc_u16 v28, v51, v28
	v_and_b32_e32 v50, 0x4040404, v50
	v_bfe_u32 v51, v29, 24, 2
	v_and_b32_e32 v29, 0x3030303, v29
	v_and_b32_e32 v34, 0x4040404, v34
	v_lshlrev_b16 v35, 8, v35
	v_lshrrev_b32_e32 v52, 24, v50
	v_lshlrev_b16 v28, 8, v28
	v_sub_nc_u16 v59, v29, v50
	v_lshrrev_b32_e32 v147, 24, v34
	v_lshrrev_b32_e32 v148, 16, v34
	v_sub_nc_u16 v62, v51, v52
	v_lshrrev_b32_e32 v51, 16, v29
	v_lshrrev_b32_e32 v52, 16, v50
	s_add_i32 s18, s18, 1
	s_delay_alu instid0(VALU_DEP_3) | instskip(NEXT) | instid1(VALU_DEP_2)
	v_lshlrev_b16 v62, 8, v62
	v_sub_nc_u16 v58, v51, v52
	v_lshrrev_b16 v51, 8, v29
	v_lshrrev_b16 v29, 8, v50
	v_lshlrev_b32_e32 v50, 2, v185
	s_delay_alu instid0(VALU_DEP_2) | instskip(NEXT) | instid1(VALU_DEP_2)
	v_sub_nc_u16 v29, v51, v29
	v_and_b32_e32 v50, 0x4040404, v50
	v_bfe_u32 v51, v30, 24, 2
	v_and_b32_e32 v30, 0x3030303, v30
	s_delay_alu instid0(VALU_DEP_4) | instskip(NEXT) | instid1(VALU_DEP_4)
	v_lshlrev_b16 v29, 8, v29
	v_lshrrev_b32_e32 v52, 24, v50
	s_delay_alu instid0(VALU_DEP_3) | instskip(NEXT) | instid1(VALU_DEP_2)
	v_sub_nc_u16 v53, v30, v50
	v_sub_nc_u16 v185, v51, v52
	v_lshrrev_b32_e32 v51, 16, v30
	v_lshrrev_b32_e32 v52, 16, v50
	s_delay_alu instid0(VALU_DEP_3) | instskip(NEXT) | instid1(VALU_DEP_2)
	v_lshlrev_b16 v185, 8, v185
	v_sub_nc_u16 v52, v51, v52
	v_lshrrev_b16 v51, 8, v30
	v_lshrrev_b16 v30, 8, v50
	v_lshlrev_b32_e32 v50, 2, v60
	s_delay_alu instid0(VALU_DEP_2) | instskip(NEXT) | instid1(VALU_DEP_2)
	v_sub_nc_u16 v30, v51, v30
	v_and_b32_e32 v60, 0x4040404, v50
	v_bfe_u32 v50, v31, 24, 2
	v_and_b32_e32 v31, 0x3030303, v31
	s_delay_alu instid0(VALU_DEP_4) | instskip(NEXT) | instid1(VALU_DEP_4)
	v_lshlrev_b16 v30, 8, v30
	v_lshrrev_b32_e32 v51, 24, v60
	s_delay_alu instid0(VALU_DEP_3) | instskip(NEXT) | instid1(VALU_DEP_2)
	v_lshrrev_b16 v61, 8, v31
	v_sub_nc_u16 v36, v50, v51
	v_lshrrev_b32_e32 v50, 16, v31
	v_lshrrev_b32_e32 v51, 16, v60
	s_delay_alu instid0(VALU_DEP_3) | instskip(NEXT) | instid1(VALU_DEP_2)
	v_lshlrev_b16 v36, 8, v36
	v_sub_nc_u16 v50, v50, v51
	v_sub_nc_u16 v51, v31, v60
	v_lshrrev_b16 v31, 8, v60
	v_lshlrev_b32_e32 v60, 2, v100
	s_delay_alu instid0(VALU_DEP_2) | instskip(NEXT) | instid1(VALU_DEP_2)
	v_sub_nc_u16 v31, v61, v31
	v_and_b32_e32 v60, 0x4040404, v60
	v_bfe_u32 v61, v76, 24, 2
	s_delay_alu instid0(VALU_DEP_3) | instskip(NEXT) | instid1(VALU_DEP_3)
	v_lshlrev_b16 v31, 8, v31
	v_lshrrev_b32_e32 v100, 24, v60
	v_lshrrev_b32_e32 v37, 16, v60
	s_delay_alu instid0(VALU_DEP_2) | instskip(SKIP_1) | instid1(VALU_DEP_2)
	v_sub_nc_u16 v100, v61, v100
	v_and_b32_e32 v61, 0x3030303, v76
	v_lshlrev_b16 v100, 8, v100
	s_delay_alu instid0(VALU_DEP_2) | instskip(SKIP_2) | instid1(VALU_DEP_3)
	v_lshrrev_b32_e32 v76, 16, v61
	v_sub_nc_u16 v38, v61, v60
	v_lshrrev_b16 v60, 8, v60
	v_sub_nc_u16 v37, v76, v37
	v_lshrrev_b16 v76, 8, v61
	v_lshrrev_b32_e32 v61, 24, v56
	s_delay_alu instid0(VALU_DEP_2) | instskip(SKIP_1) | instid1(VALU_DEP_2)
	v_sub_nc_u16 v76, v76, v60
	v_bfe_u32 v60, v78, 24, 2
	v_lshlrev_b16 v76, 8, v76
	s_delay_alu instid0(VALU_DEP_2) | instskip(SKIP_2) | instid1(VALU_DEP_3)
	v_sub_nc_u16 v39, v60, v61
	v_and_b32_e32 v60, 0x3030303, v78
	v_lshrrev_b32_e32 v78, 16, v56
	v_lshlrev_b16 v39, 8, v39
	s_delay_alu instid0(VALU_DEP_3) | instskip(SKIP_2) | instid1(VALU_DEP_3)
	v_lshrrev_b32_e32 v61, 16, v60
	v_sub_nc_u16 v40, v60, v56
	v_lshrrev_b16 v56, 8, v56
	v_sub_nc_u16 v78, v61, v78
	v_lshrrev_b16 v61, 8, v60
	s_delay_alu instid0(VALU_DEP_1) | instskip(SKIP_2) | instid1(VALU_DEP_3)
	v_sub_nc_u16 v41, v61, v56
	v_lshlrev_b32_e32 v56, 2, v57
	v_bfe_u32 v57, v63, 24, 2
	v_lshlrev_b16 v41, 8, v41
	s_delay_alu instid0(VALU_DEP_3) | instskip(NEXT) | instid1(VALU_DEP_1)
	v_and_b32_e32 v56, 0x4040404, v56
	v_lshrrev_b32_e32 v60, 24, v56
	v_lshrrev_b32_e32 v61, 16, v56
	s_delay_alu instid0(VALU_DEP_2) | instskip(SKIP_1) | instid1(VALU_DEP_2)
	v_sub_nc_u16 v42, v57, v60
	v_and_b32_e32 v57, 0x3030303, v63
	v_lshlrev_b16 v42, 8, v42
	s_delay_alu instid0(VALU_DEP_2) | instskip(SKIP_1) | instid1(VALU_DEP_2)
	v_lshrrev_b32_e32 v60, 16, v57
	v_lshrrev_b16 v63, 8, v57
	v_sub_nc_u16 v60, v60, v61
	v_sub_nc_u16 v61, v57, v56
	v_lshrrev_b16 v56, 8, v56
	s_delay_alu instid0(VALU_DEP_1) | instskip(SKIP_1) | instid1(VALU_DEP_2)
	v_sub_nc_u16 v63, v63, v56
	v_lshlrev_b32_e32 v56, 2, v186
	v_lshlrev_b16 v63, 8, v63
	s_delay_alu instid0(VALU_DEP_2) | instskip(SKIP_1) | instid1(VALU_DEP_2)
	v_and_b32_e32 v186, 0x4040404, v56
	v_bfe_u32 v56, v64, 24, 2
	v_lshrrev_b32_e32 v57, 24, v186
	s_delay_alu instid0(VALU_DEP_1) | instskip(SKIP_2) | instid1(VALU_DEP_3)
	v_sub_nc_u16 v43, v56, v57
	v_and_b32_e32 v57, 0x3030303, v64
	v_lshrrev_b32_e32 v64, 16, v186
	v_lshlrev_b16 v43, 8, v43
	s_delay_alu instid0(VALU_DEP_3) | instskip(NEXT) | instid1(VALU_DEP_1)
	v_lshrrev_b32_e32 v56, 16, v57
	v_sub_nc_u16 v56, v56, v64
	v_lshrrev_b16 v64, 8, v57
	v_sub_nc_u16 v57, v57, v186
	v_lshrrev_b16 v186, 8, v186
	s_delay_alu instid0(VALU_DEP_1) | instskip(SKIP_3) | instid1(VALU_DEP_4)
	v_sub_nc_u16 v64, v64, v186
	v_lshlrev_b32_e32 v186, 2, v187
	v_bfe_u32 v187, v107, 24, 2
	v_and_b32_e32 v107, 0x3030303, v107
	v_lshlrev_b16 v64, 8, v64
	s_delay_alu instid0(VALU_DEP_4) | instskip(NEXT) | instid1(VALU_DEP_1)
	v_and_b32_e32 v186, 0x4040404, v186
	v_lshrrev_b32_e32 v46, 24, v186
	v_lshrrev_b32_e32 v129, 16, v186
	s_delay_alu instid0(VALU_DEP_2) | instskip(SKIP_1) | instid1(VALU_DEP_2)
	v_sub_nc_u16 v46, v187, v46
	v_lshrrev_b32_e32 v187, 16, v107
	v_lshlrev_b16 v46, 8, v46
	s_delay_alu instid0(VALU_DEP_2) | instskip(SKIP_3) | instid1(VALU_DEP_1)
	v_sub_nc_u16 v129, v187, v129
	v_lshrrev_b16 v187, 8, v107
	v_sub_nc_u16 v107, v107, v186
	v_lshrrev_b16 v186, 8, v186
	v_sub_nc_u16 v186, v187, v186
	v_lshlrev_b32_e32 v187, 2, v188
	v_bfe_u32 v188, v178, 24, 2
	v_and_b32_e32 v178, 0x3030303, v178
	s_delay_alu instid0(VALU_DEP_4) | instskip(NEXT) | instid1(VALU_DEP_4)
	v_lshlrev_b16 v186, 8, v186
	v_and_b32_e32 v187, 0x4040404, v187
	s_delay_alu instid0(VALU_DEP_1) | instskip(SKIP_1) | instid1(VALU_DEP_2)
	v_lshrrev_b32_e32 v130, 24, v187
	v_lshrrev_b32_e32 v131, 16, v187
	v_sub_nc_u16 v130, v188, v130
	v_lshrrev_b32_e32 v188, 16, v178
	s_delay_alu instid0(VALU_DEP_2) | instskip(NEXT) | instid1(VALU_DEP_2)
	v_lshlrev_b16 v130, 8, v130
	v_sub_nc_u16 v131, v188, v131
	v_lshrrev_b16 v188, 8, v178
	v_sub_nc_u16 v178, v178, v187
	v_lshrrev_b16 v187, 8, v187
	s_delay_alu instid0(VALU_DEP_1) | instskip(SKIP_3) | instid1(VALU_DEP_4)
	v_sub_nc_u16 v187, v188, v187
	v_lshlrev_b32_e32 v188, 2, v189
	v_bfe_u32 v189, v180, 24, 2
	v_and_b32_e32 v180, 0x3030303, v180
	v_lshlrev_b16 v187, 8, v187
	s_delay_alu instid0(VALU_DEP_4) | instskip(NEXT) | instid1(VALU_DEP_1)
	v_and_b32_e32 v188, 0x4040404, v188
	v_lshrrev_b32_e32 v67, 24, v188
	v_lshrrev_b32_e32 v138, 16, v188
	s_delay_alu instid0(VALU_DEP_2) | instskip(SKIP_1) | instid1(VALU_DEP_2)
	v_sub_nc_u16 v67, v189, v67
	v_lshrrev_b32_e32 v189, 16, v180
	v_lshlrev_b16 v67, 8, v67
	s_delay_alu instid0(VALU_DEP_2) | instskip(SKIP_3) | instid1(VALU_DEP_1)
	v_sub_nc_u16 v138, v189, v138
	v_lshrrev_b16 v189, 8, v180
	v_sub_nc_u16 v180, v180, v188
	v_lshrrev_b16 v188, 8, v188
	v_sub_nc_u16 v188, v189, v188
	v_lshlrev_b32_e32 v189, 2, v190
	v_bfe_u32 v190, v181, 24, 2
	v_and_b32_e32 v181, 0x3030303, v181
	s_delay_alu instid0(VALU_DEP_4) | instskip(NEXT) | instid1(VALU_DEP_4)
	v_lshlrev_b16 v188, 8, v188
	v_and_b32_e32 v189, 0x4040404, v189
	s_delay_alu instid0(VALU_DEP_1) | instskip(SKIP_1) | instid1(VALU_DEP_2)
	v_lshrrev_b32_e32 v139, 24, v189
	v_lshrrev_b32_e32 v140, 16, v189
	v_sub_nc_u16 v139, v190, v139
	v_lshrrev_b32_e32 v190, 16, v181
	s_delay_alu instid0(VALU_DEP_2) | instskip(NEXT) | instid1(VALU_DEP_2)
	v_lshlrev_b16 v139, 8, v139
	v_sub_nc_u16 v140, v190, v140
	v_lshrrev_b16 v190, 8, v181
	v_sub_nc_u16 v181, v181, v189
	v_lshrrev_b16 v189, 8, v189
	s_delay_alu instid0(VALU_DEP_1) | instskip(SKIP_2) | instid1(VALU_DEP_3)
	v_sub_nc_u16 v189, v190, v189
	v_bfe_u32 v190, v179, 24, 2
	v_and_b32_e32 v179, 0x3030303, v179
	v_lshlrev_b16 v189, 8, v189
	s_delay_alu instid0(VALU_DEP_3) | instskip(NEXT) | instid1(VALU_DEP_3)
	v_sub_nc_u16 v141, v190, v141
	v_lshrrev_b32_e32 v190, 16, v179
	s_delay_alu instid0(VALU_DEP_2) | instskip(NEXT) | instid1(VALU_DEP_2)
	v_lshlrev_b16 v141, 8, v141
	v_sub_nc_u16 v142, v190, v142
	v_lshrrev_b16 v190, 8, v179
	v_sub_nc_u16 v179, v179, v137
	v_lshrrev_b16 v137, 8, v137
	s_delay_alu instid0(VALU_DEP_1) | instskip(SKIP_2) | instid1(VALU_DEP_3)
	v_sub_nc_u16 v137, v190, v137
	v_bfe_u32 v190, v182, 24, 2
	v_and_b32_e32 v182, 0x3030303, v182
	v_lshlrev_b16 v137, 8, v137
	s_delay_alu instid0(VALU_DEP_3) | instskip(NEXT) | instid1(VALU_DEP_3)
	;; [unrolled: 14-line block ×4, first 2 shown]
	v_sub_nc_u16 v147, v190, v147
	v_lshrrev_b32_e32 v190, 16, v184
	s_delay_alu instid0(VALU_DEP_2) | instskip(NEXT) | instid1(VALU_DEP_2)
	v_lshlrev_b16 v147, 8, v147
	v_sub_nc_u16 v148, v190, v148
	v_lshrrev_b16 v190, 8, v184
	v_sub_nc_u16 v184, v184, v34
	v_lshrrev_b16 v34, 8, v34
	s_delay_alu instid0(VALU_DEP_1) | instskip(SKIP_1) | instid1(VALU_DEP_2)
	v_sub_nc_u16 v34, v190, v34
	v_and_b32_e32 v190, 0xff, v54
	v_lshlrev_b16 v34, 8, v34
	s_delay_alu instid0(VALU_DEP_2) | instskip(SKIP_1) | instid1(VALU_DEP_2)
	v_or_b32_e32 v35, v190, v35
	v_and_b32_e32 v190, 0xff, v55
	v_perm_b32 v149, v35, v54, 0x5000c0c
	s_delay_alu instid0(VALU_DEP_2) | instskip(SKIP_1) | instid1(VALU_DEP_1)
	v_or_b32_e32 v28, v190, v28
	v_and_b32_e32 v190, 0xff, v58
	v_or_b32_e32 v62, v190, v62
	v_and_b32_e32 v190, 0xff, v59
	s_delay_alu instid0(VALU_DEP_2) | instskip(NEXT) | instid1(VALU_DEP_2)
	v_perm_b32 v150, v62, v58, 0x5000c0c
	v_or_b32_e32 v29, v190, v29
	v_and_b32_e32 v190, 0xff, v52
	s_delay_alu instid0(VALU_DEP_1) | instskip(SKIP_1) | instid1(VALU_DEP_2)
	v_or_b32_e32 v185, v190, v185
	v_and_b32_e32 v190, 0xff, v53
	v_perm_b32 v151, v185, v52, 0x5000c0c
	s_delay_alu instid0(VALU_DEP_2) | instskip(SKIP_1) | instid1(VALU_DEP_1)
	v_or_b32_e32 v30, v190, v30
	v_and_b32_e32 v190, 0xff, v50
	v_or_b32_e32 v36, v190, v36
	v_and_b32_e32 v190, 0xff, v51
	s_delay_alu instid0(VALU_DEP_2) | instskip(NEXT) | instid1(VALU_DEP_2)
	v_perm_b32 v152, v36, v50, 0x5000c0c
	v_or_b32_e32 v31, v190, v31
	v_and_b32_e32 v190, 0xff, v37
	s_delay_alu instid0(VALU_DEP_1) | instskip(SKIP_1) | instid1(VALU_DEP_2)
	;; [unrolled: 13-line block ×4, first 2 shown]
	v_or_b32_e32 v46, v190, v46
	v_and_b32_e32 v190, 0xff, v107
	v_perm_b32 v191, v46, v129, 0x5000c0c
	s_delay_alu instid0(VALU_DEP_2) | instskip(SKIP_1) | instid1(VALU_DEP_1)
	v_or_b32_e32 v186, v190, v186
	v_and_b32_e32 v190, 0xff, v131
	v_or_b32_e32 v130, v190, v130
	v_and_b32_e32 v190, 0xff, v178
	s_delay_alu instid0(VALU_DEP_2) | instskip(NEXT) | instid1(VALU_DEP_2)
	v_perm_b32 v44, v130, v131, 0x5000c0c
	v_or_b32_e32 v187, v190, v187
	v_and_b32_e32 v190, 0xff, v138
	s_delay_alu instid0(VALU_DEP_1) | instskip(SKIP_1) | instid1(VALU_DEP_1)
	v_or_b32_e32 v67, v190, v67
	v_and_b32_e32 v190, 0xff, v180
	v_or_b32_e32 v188, v190, v188
	v_and_b32_e32 v190, 0xff, v140
	s_delay_alu instid0(VALU_DEP_2) | instskip(NEXT) | instid1(VALU_DEP_2)
	v_perm_b32 v45, v188, v180, 0xc0c0500
	v_or_b32_e32 v139, v190, v139
	v_and_b32_e32 v190, 0xff, v181
	s_delay_alu instid0(VALU_DEP_2) | instskip(NEXT) | instid1(VALU_DEP_2)
	v_perm_b32 v169, v139, v140, 0x5000c0c
	v_or_b32_e32 v189, v190, v189
	v_and_b32_e32 v190, 0xff, v142
	s_delay_alu instid0(VALU_DEP_1) | instskip(SKIP_1) | instid1(VALU_DEP_2)
	v_or_b32_e32 v141, v190, v141
	v_and_b32_e32 v190, 0xff, v179
	v_perm_b32 v170, v141, v142, 0x5000c0c
	s_delay_alu instid0(VALU_DEP_2) | instskip(SKIP_1) | instid1(VALU_DEP_1)
	v_or_b32_e32 v137, v190, v137
	v_and_b32_e32 v190, 0xff, v144
	v_or_b32_e32 v143, v190, v143
	v_and_b32_e32 v190, 0xff, v182
	s_delay_alu instid0(VALU_DEP_2) | instskip(NEXT) | instid1(VALU_DEP_2)
	v_perm_b32 v171, v143, v144, 0x5000c0c
	v_or_b32_e32 v32, v190, v32
	v_and_b32_e32 v190, 0xff, v146
	s_delay_alu instid0(VALU_DEP_1) | instskip(SKIP_1) | instid1(VALU_DEP_2)
	v_or_b32_e32 v145, v190, v145
	v_and_b32_e32 v190, 0xff, v183
	v_perm_b32 v172, v145, v146, 0x5000c0c
	s_delay_alu instid0(VALU_DEP_2) | instskip(SKIP_1) | instid1(VALU_DEP_1)
	v_or_b32_e32 v33, v190, v33
	v_and_b32_e32 v190, 0xff, v148
	v_or_b32_e32 v147, v190, v147
	v_and_b32_e32 v190, 0xff, v184
	s_delay_alu instid0(VALU_DEP_2) | instskip(NEXT) | instid1(VALU_DEP_2)
	v_perm_b32 v174, v147, v148, 0x5000c0c
	v_or_b32_e32 v34, v190, v34
	v_perm_b32 v190, v28, v55, 0xc0c0500
	s_delay_alu instid0(VALU_DEP_1) | instskip(SKIP_1) | instid1(VALU_DEP_1)
	v_or_b32_e32 v149, v149, v190
	v_perm_b32 v190, v29, v59, 0xc0c0500
	v_or_b32_e32 v150, v150, v190
	v_perm_b32 v190, v30, v53, 0xc0c0500
	s_delay_alu instid0(VALU_DEP_1) | instskip(SKIP_1) | instid1(VALU_DEP_1)
	v_or_b32_e32 v151, v151, v190
	v_perm_b32 v190, v31, v51, 0xc0c0500
	v_or_b32_e32 v152, v152, v190
	v_perm_b32 v190, v76, v38, 0xc0c0500
	s_delay_alu instid0(VALU_DEP_1) | instskip(SKIP_1) | instid1(VALU_DEP_2)
	v_or_b32_e32 v153, v153, v190
	v_perm_b32 v190, v41, v40, 0xc0c0500
	v_dot4_i32_iu8 v175, v0, v153, 0 neg_lo:[1,1,0]
	s_delay_alu instid0(VALU_DEP_2) | instskip(SKIP_1) | instid1(VALU_DEP_2)
	v_or_b32_e32 v154, v154, v190
	v_perm_b32 v190, v63, v61, 0xc0c0500
	v_dot4_i32_iu8 v175, v1, v154, v175 neg_lo:[1,1,0]
	s_delay_alu instid0(VALU_DEP_2) | instskip(SKIP_1) | instid1(VALU_DEP_2)
	;; [unrolled: 4-line block ×7, first 2 shown]
	v_or_b32_e32 v169, v169, v191
	v_perm_b32 v191, v137, v179, 0xc0c0500
	v_dot4_i32_iu8 v176, v3, v169, v176 neg_lo:[1,1,0]
	s_delay_alu instid0(VALU_DEP_2) | instskip(SKIP_2) | instid1(VALU_DEP_2)
	v_or_b32_e32 v170, v170, v191
	v_perm_b32 v191, v32, v182, 0xc0c0500
	v_perm_b32 v32, v144, v32, 0xc0c0401
	v_or_b32_e32 v171, v171, v191
	v_perm_b32 v191, v33, v183, 0xc0c0500
	s_delay_alu instid0(VALU_DEP_1) | instskip(SKIP_1) | instid1(VALU_DEP_1)
	v_or_b32_e32 v172, v172, v191
	v_perm_b32 v191, v34, v184, 0xc0c0500
	v_or_b32_e32 v174, v174, v191
	v_dot4_i32_iu8 v191, v0, v149, 0 neg_lo:[1,1,0]
	v_dot4_i32_iu8 v0, v0, v170, 0 neg_lo:[1,1,0]
	s_delay_alu instid0(VALU_DEP_2) | instskip(NEXT) | instid1(VALU_DEP_2)
	v_dot4_i32_iu8 v191, v1, v150, v191 neg_lo:[1,1,0]
	v_dot4_i32_iu8 v0, v1, v171, v0 neg_lo:[1,1,0]
	s_delay_alu instid0(VALU_DEP_2) | instskip(NEXT) | instid1(VALU_DEP_2)
	v_dot4_i32_iu8 v1, v2, v151, v191 neg_lo:[1,1,0]
	v_dot4_i32_iu8 v0, v2, v172, v0 neg_lo:[1,1,0]
	;; [unrolled: 1-line block ×3, first 2 shown]
	s_delay_alu instid0(VALU_DEP_3) | instskip(NEXT) | instid1(VALU_DEP_3)
	v_dot4_i32_iu8 v191, v3, v152, v1 neg_lo:[1,1,0]
	v_dot4_i32_iu8 v177, v3, v174, v0 neg_lo:[1,1,0]
	v_dot4_i32_iu8 v0, v4, v149, 0 neg_lo:[1,1,0]
	v_dot4_i32_iu8 v1, v4, v153, 0 neg_lo:[1,1,0]
	v_dot4_i32_iu8 v3, v4, v170, 0 neg_lo:[1,1,0]
	v_dot4_i32_iu8 v2, v5, v44, v2 neg_lo:[1,1,0]
	s_delay_alu instid0(VALU_DEP_4) | instskip(NEXT) | instid1(VALU_DEP_4)
	v_dot4_i32_iu8 v0, v5, v150, v0 neg_lo:[1,1,0]
	v_dot4_i32_iu8 v1, v5, v154, v1 neg_lo:[1,1,0]
	s_delay_alu instid0(VALU_DEP_4) | instskip(NEXT) | instid1(VALU_DEP_4)
	v_dot4_i32_iu8 v3, v5, v171, v3 neg_lo:[1,1,0]
	v_dot4_i32_iu8 v2, v6, v45, v2 neg_lo:[1,1,0]
	s_delay_alu instid0(VALU_DEP_4) | instskip(NEXT) | instid1(VALU_DEP_4)
	v_dot4_i32_iu8 v0, v6, v151, v0 neg_lo:[1,1,0]
	v_dot4_i32_iu8 v1, v6, v168, v1 neg_lo:[1,1,0]
	s_delay_alu instid0(VALU_DEP_4) | instskip(NEXT) | instid1(VALU_DEP_4)
	v_dot4_i32_iu8 v3, v6, v172, v3 neg_lo:[1,1,0]
	v_dot4_i32_iu8 v157, v7, v169, v2 neg_lo:[1,1,0]
	v_dot4_i32_iu8 v2, v8, v190, 0 neg_lo:[1,1,0]
	v_dot4_i32_iu8 v155, v7, v152, v0 neg_lo:[1,1,0]
	v_dot4_i32_iu8 v156, v7, v173, v1 neg_lo:[1,1,0]
	v_dot4_i32_iu8 v158, v7, v174, v3 neg_lo:[1,1,0]
	v_dot4_i32_iu8 v0, v8, v149, 0 neg_lo:[1,1,0]
	v_dot4_i32_iu8 v1, v8, v153, 0 neg_lo:[1,1,0]
	v_dot4_i32_iu8 v3, v8, v170, 0 neg_lo:[1,1,0]
	v_dot4_i32_iu8 v2, v9, v44, v2 neg_lo:[1,1,0]
	s_delay_alu instid0(VALU_DEP_4) | instskip(NEXT) | instid1(VALU_DEP_4)
	v_dot4_i32_iu8 v0, v9, v150, v0 neg_lo:[1,1,0]
	v_dot4_i32_iu8 v1, v9, v154, v1 neg_lo:[1,1,0]
	s_delay_alu instid0(VALU_DEP_4) | instskip(NEXT) | instid1(VALU_DEP_4)
	v_dot4_i32_iu8 v3, v9, v171, v3 neg_lo:[1,1,0]
	v_dot4_i32_iu8 v2, v10, v45, v2 neg_lo:[1,1,0]
	s_delay_alu instid0(VALU_DEP_4) | instskip(NEXT) | instid1(VALU_DEP_4)
	v_dot4_i32_iu8 v0, v10, v151, v0 neg_lo:[1,1,0]
	v_dot4_i32_iu8 v1, v10, v168, v1 neg_lo:[1,1,0]
	s_delay_alu instid0(VALU_DEP_4) | instskip(NEXT) | instid1(VALU_DEP_4)
	v_dot4_i32_iu8 v3, v10, v172, v3 neg_lo:[1,1,0]
	v_dot4_i32_iu8 v160, v11, v169, v2 neg_lo:[1,1,0]
	v_dot4_i32_iu8 v2, v12, v190, 0 neg_lo:[1,1,0]
	v_dot4_i32_iu8 v8, v11, v152, v0 neg_lo:[1,1,0]
	;; [unrolled: 20-line block ×5, first 2 shown]
	v_dot4_i32_iu8 v17, v23, v173, v1 neg_lo:[1,1,0]
	v_dot4_i32_iu8 v227, v23, v174, v3 neg_lo:[1,1,0]
	;; [unrolled: 1-line block ×6, first 2 shown]
	v_perm_b32 v22, v210, v240, 0xc0c0401
	v_dot4_i32_iu8 v0, v25, v150, v0 neg_lo:[1,1,0]
	v_dot4_i32_iu8 v1, v25, v154, v1 neg_lo:[1,1,0]
	;; [unrolled: 1-line block ×4, first 2 shown]
	v_perm_b32 v23, v211, v255, 0x4010c0c
	v_dot4_i32_iu8 v0, v26, v151, v0 neg_lo:[1,1,0]
	v_dot4_i32_iu8 v1, v26, v168, v1 neg_lo:[1,1,0]
	v_dot4_i32_iu8 v3, v26, v172, v3 neg_lo:[1,1,0]
	v_dot4_i32_iu8 v26, v27, v169, v2 neg_lo:[1,1,0]
	v_perm_b32 v24, v212, v238, 0xc0c0401
	v_dot4_i32_iu8 v12, v27, v152, v0 neg_lo:[1,1,0]
	v_dot4_i32_iu8 v18, v27, v173, v1 neg_lo:[1,1,0]
	;; [unrolled: 1-line block ×3, first 2 shown]
	ds_load_b128 v[0:3], v192
	ds_load_b128 v[4:7], v192 offset:16
	s_clause 0x1
	scratch_load_b32 v15, off, off
	scratch_load_b32 v19, off, off offset:4
	v_perm_b32 v25, v213, v242, 0x4010c0c
	v_perm_b32 v27, v218, v235, 0xc0c0401
	v_add_nc_u32_e32 v192, 32, v192
	s_waitcnt lgkmcnt(1)
	v_perm_b32 v13, v0, v0, 0x30201
	v_perm_b32 v14, v1, v1, 0x30201
	s_clause 0x1
	scratch_load_b32 v0, off, off offset:128
	scratch_load_b32 v1, off, off offset:120
	s_waitcnt lgkmcnt(0)
	v_perm_b32 v4, v4, v4, 0x30201
	v_perm_b32 v5, v5, v5, 0x30201
	;; [unrolled: 1-line block ×6, first 2 shown]
	s_waitcnt vmcnt(3)
	v_add_nc_u32_e32 v15, s20, v15
	s_waitcnt vmcnt(2)
	v_add_nc_u32_e32 v19, s20, v19
	s_add_i32 s20, s1, s19
	s_delay_alu instid0(SALU_CYCLE_1)
	s_cmp_lt_u32 s20, s15
	ds_load_b32 v15, v15
	s_waitcnt vmcnt(1)
	v_add3_u32 v0, v0, s21, v49
	s_waitcnt vmcnt(0)
	v_add3_u32 v1, v1, s21, v49
	ds_load_b32 v19, v19
	ds_load_u16 v20, v0 offset:33536
	ds_load_u16 v21, v1 offset:35584
	ds_load_2addr_b32 v[0:1], v245 offset1:32
	v_perm_b32 v49, v219, v236, 0x4010c0c
	s_waitcnt lgkmcnt(0)
	v_mul_f32_e32 v45, v0, v194
	v_mul_f32_e32 v149, v0, v15
	v_mul_f32_e32 v150, v0, v195
	v_dual_mul_f32 v151, v0, v19 :: v_dual_mul_f32 v152, v194, v1
	v_mul_f32_e32 v153, v15, v1
	v_mul_f32_e32 v154, v195, v1
	v_mul_f32_e32 v168, v19, v1
	ds_load_2addr_b32 v[0:1], v245 offset0:64 offset1:96
	s_waitcnt lgkmcnt(0)
	v_mul_f32_e32 v169, v194, v0
	v_mul_f32_e32 v170, v15, v0
	v_mul_f32_e32 v171, v195, v0
	v_dual_mul_f32 v172, v19, v0 :: v_dual_mul_f32 v173, v194, v1
	v_mul_f32_e32 v174, v15, v1
	v_mul_f32_e32 v190, v195, v1
	v_mul_f32_e32 v68, v19, v1
	ds_load_2addr_b32 v[0:1], v245 offset0:128 offset1:160
	;; [unrolled: 9-line block ×3, first 2 shown]
	v_add_nc_u32_e32 v245, 4, v245
	s_waitcnt lgkmcnt(0)
	v_mul_f32_e32 v81, v194, v0
	v_mul_f32_e32 v194, v194, v1
	;; [unrolled: 1-line block ×6, first 2 shown]
	scratch_load_b32 v1, off, off offset:112 ; 4-byte Folded Reload
	v_mul_f32_e32 v84, v15, v0
	v_mul_f32_e32 v91, v19, v0
	v_perm_b32 v0, v202, v247, 0xc0c0401
	v_perm_b32 v15, v204, v251, 0xc0c0401
	;; [unrolled: 1-line block ×3, first 2 shown]
	s_waitcnt vmcnt(0)
	v_perm_b32 v1, v203, v1, 0x4010c0c
	s_delay_alu instid0(VALU_DEP_1) | instskip(NEXT) | instid1(VALU_DEP_3)
	v_or_b32_e32 v0, v1, v0
	v_or_b32_e32 v1, v19, v15
	;; [unrolled: 1-line block ×8, first 2 shown]
	v_dot4_i32_iu8 v0, v0, v13, 0 neg_lo:[1,1,0]
	v_dot4_i32_iu8 v15, v15, v13, 0 neg_lo:[1,1,0]
	;; [unrolled: 1-line block ×4, first 2 shown]
	v_perm_b32 v24, v37, v76, 0xc0c0401
	v_dot4_i32_iu8 v0, v1, v14, v0 neg_lo:[1,1,0]
	v_dot4_i32_iu8 v1, v19, v14, v15 neg_lo:[1,1,0]
	;; [unrolled: 1-line block ×4, first 2 shown]
	v_perm_b32 v14, v54, v28, 0xc0c0401
	v_perm_b32 v19, v55, v35, 0x4010c0c
	v_perm_b32 v22, v58, v29, 0xc0c0401
	v_perm_b32 v23, v59, v62, 0x4010c0c
	v_perm_b32 v25, v38, v100, 0x4010c0c
	v_perm_b32 v27, v78, v41, 0xc0c0401
	v_perm_b32 v28, v40, v39, 0x4010c0c
	v_perm_b32 v29, v129, v186, 0xc0c0401
	v_perm_b32 v35, v107, v46, 0x4010c0c
	v_perm_b32 v39, v142, v137, 0xc0c0401
	v_perm_b32 v40, v179, v141, 0x4010c0c
	v_perm_b32 v37, v131, v187, 0xc0c0401
	v_perm_b32 v38, v178, v130, 0x4010c0c
	v_perm_b32 v41, v182, v143, 0x4010c0c
	v_or_b32_e32 v14, v19, v14
	v_or_b32_e32 v19, v23, v22
	v_or_b32_e32 v22, v25, v24
	v_or_b32_e32 v23, v28, v27
	v_or_b32_e32 v24, v35, v29
	v_or_b32_e32 v27, v40, v39
	v_or_b32_e32 v25, v38, v37
	v_or_b32_e32 v28, v41, v32
	v_dot4_i32_iu8 v14, v14, v4, 0 neg_lo:[1,1,0]
	v_dot4_i32_iu8 v22, v22, v4, 0 neg_lo:[1,1,0]
	;; [unrolled: 1-line block ×4, first 2 shown]
	scratch_load_b32 v27, off, off offset:108 ; 4-byte Folded Reload
	v_dot4_i32_iu8 v14, v19, v5, v14 neg_lo:[1,1,0]
	v_dot4_i32_iu8 v19, v23, v5, v22 neg_lo:[1,1,0]
	;; [unrolled: 1-line block ×4, first 2 shown]
	s_clause 0x4
	scratch_load_b32 v28, off, off offset:104
	scratch_load_b32 v5, off, off offset:84
	;; [unrolled: 1-line block ×5, first 2 shown]
	v_perm_b32 v29, v222, v253, 0xc0c0401
	v_perm_b32 v32, v223, v252, 0x4010c0c
	v_dual_mov_b32 v94, v244 :: v_dual_mov_b32 v93, v234
	v_mov_b32_e32 v89, v82
	v_dual_mov_b32 v83, v231 :: v_dual_mov_b32 v78, v230
	v_mov_b32_e32 v76, v66
	v_mov_b32_e32 v46, v225
	s_waitcnt vmcnt(5)
	v_perm_b32 v27, v214, v27, 0xc0c0401
	s_waitcnt vmcnt(4)
	v_perm_b32 v28, v215, v28, 0x4010c0c
	s_waitcnt vmcnt(3)
	v_perm_b32 v5, v198, v5, 0xc0c0401
	s_waitcnt vmcnt(2)
	v_perm_b32 v25, v207, v25, 0x4010c0c
	s_waitcnt vmcnt(1)
	v_perm_b32 v23, v199, v23, 0x4010c0c
	s_waitcnt vmcnt(0)
	v_perm_b32 v24, v206, v24, 0xc0c0401
	s_delay_alu instid0(VALU_DEP_2) | instskip(NEXT) | instid1(VALU_DEP_2)
	v_or_b32_e32 v5, v23, v5
	v_or_b32_e32 v23, v25, v24
	;; [unrolled: 1-line block ×4, first 2 shown]
	v_perm_b32 v27, v180, v67, 0x4010c0c
	v_dot4_i32_iu8 v0, v5, v2, v0 neg_lo:[1,1,0]
	v_dot4_i32_iu8 v1, v23, v2, v1 neg_lo:[1,1,0]
	;; [unrolled: 1-line block ×4, first 2 shown]
	v_perm_b32 v13, v52, v30, 0xc0c0401
	v_perm_b32 v15, v53, v185, 0x4010c0c
	;; [unrolled: 1-line block ×7, first 2 shown]
	v_or_b32_e32 v13, v15, v13
	v_or_b32_e32 v15, v24, v23
	;; [unrolled: 1-line block ×3, first 2 shown]
	scratch_load_b32 v27, off, off offset:92 ; 4-byte Folded Reload
	v_or_b32_e32 v24, v29, v28
	scratch_load_b32 v28, off, off offset:88 ; 4-byte Folded Reload
	v_dot4_i32_iu8 v13, v13, v6, v14 neg_lo:[1,1,0]
	v_dot4_i32_iu8 v14, v15, v6, v19 neg_lo:[1,1,0]
	;; [unrolled: 1-line block ×4, first 2 shown]
	s_clause 0x5
	scratch_load_b32 v6, off, off offset:60
	scratch_load_b32 v22, off, off offset:68
	;; [unrolled: 1-line block ×6, first 2 shown]
	s_waitcnt vmcnt(7)
	v_perm_b32 v27, v216, v27, 0xc0c0401
	s_waitcnt vmcnt(6)
	v_perm_b32 v28, v217, v28, 0x4010c0c
	;; [unrolled: 2-line block ×8, first 2 shown]
	s_delay_alu instid0(VALU_DEP_2) | instskip(SKIP_1) | instid1(VALU_DEP_3)
	v_or_b32_e32 v6, v19, v6
	v_or_b32_e32 v19, v23, v22
	;; [unrolled: 1-line block ×4, first 2 shown]
	v_perm_b32 v24, v148, v34, 0xc0c0401
	v_dot4_i32_iu8 v0, v6, v3, v0 neg_lo:[1,1,0]
	v_dot4_i32_iu8 v19, v19, v3, v1 neg_lo:[1,1,0]
	v_dot4_i32_iu8 v22, v22, v3, v5 neg_lo:[1,1,0]
	v_dot4_i32_iu8 v27, v23, v3, v2 neg_lo:[1,1,0]
	v_perm_b32 v1, v50, v31, 0xc0c0401
	v_perm_b32 v2, v51, v36, 0x4010c0c
	;; [unrolled: 1-line block ×6, first 2 shown]
	v_or_b32_e32 v1, v2, v1
	v_perm_b32 v25, v184, v147, 0x4010c0c
	v_or_b32_e32 v2, v5, v3
	v_mov_b32_e32 v31, v110
	v_or_b32_e32 v3, v23, v6
	v_dot4_i32_iu8 v6, v1, v7, v13 neg_lo:[1,1,0]
	v_lshrrev_b16 v1, 8, v20
	v_dot4_i32_iu8 v13, v2, v7, v14 neg_lo:[1,1,0]
	v_bfe_i32 v14, v20, 0, 8
	v_dot4_i32_iu8 v23, v3, v7, v15 neg_lo:[1,1,0]
	v_or_b32_e32 v5, v25, v24
	v_bfe_i32 v15, v1, 0, 8
	v_bfe_i32 v20, v47, 0, 8
	v_mul_lo_u32 v0, v0, v14
	v_bfe_i32 v25, v21, 0, 8
	v_dot4_i32_iu8 v28, v5, v7, v4 neg_lo:[1,1,0]
	s_delay_alu instid0(VALU_DEP_3) | instskip(SKIP_1) | instid1(VALU_DEP_1)
	v_mad_u64_u32 v[1:2], null, v6, v15, v[0:1]
	v_mul_lo_u32 v0, v103, v14
	v_mad_u64_u32 v[2:3], null, v191, v15, v[0:1]
	v_mul_lo_u32 v0, v85, v14
	scratch_load_b32 v85, off, off offset:52 ; 4-byte Folded Reload
	v_mad_u64_u32 v[3:4], null, v155, v15, v[0:1]
	v_mul_lo_u32 v0, v102, v14
	s_delay_alu instid0(VALU_DEP_1) | instskip(SKIP_1) | instid1(VALU_DEP_1)
	v_mad_u64_u32 v[4:5], null, v8, v15, v[0:1]
	v_mul_lo_u32 v0, v116, v14
	v_mad_u64_u32 v[5:6], null, v9, v15, v[0:1]
	v_mul_lo_u32 v0, v127, v14
	s_delay_alu instid0(VALU_DEP_1) | instskip(SKIP_1) | instid1(VALU_DEP_1)
	v_mad_u64_u32 v[6:7], null, v10, v15, v[0:1]
	v_mul_lo_u32 v0, v134, v14
	v_mad_u64_u32 v[7:8], null, v11, v15, v[0:1]
	v_mul_lo_u32 v0, v135, v14
	s_delay_alu instid0(VALU_DEP_1) | instskip(SKIP_1) | instid1(VALU_DEP_1)
	v_mad_u64_u32 v[8:9], null, v12, v15, v[0:1]
	v_lshrrev_b16 v0, 8, v47
	v_bfe_i32 v24, v0, 0, 8
	v_mul_lo_u32 v0, v19, v20
	s_delay_alu instid0(VALU_DEP_1) | instskip(SKIP_1) | instid1(VALU_DEP_1)
	v_mad_u64_u32 v[9:10], null, v13, v24, v[0:1]
	v_mul_lo_u32 v0, v250, v20
	v_mad_u64_u32 v[10:11], null, v175, v24, v[0:1]
	v_mul_lo_u32 v0, v106, v20
	s_delay_alu instid0(VALU_DEP_1) | instskip(SKIP_2) | instid1(VALU_DEP_2)
	v_mad_u64_u32 v[11:12], null, v156, v24, v[0:1]
	v_mul_lo_u32 v0, v86, v20
	v_mov_b32_e32 v86, v243
	v_mad_u64_u32 v[12:13], null, v159, v24, v[0:1]
	v_mul_lo_u32 v0, v99, v20
	s_delay_alu instid0(VALU_DEP_1) | instskip(SKIP_1) | instid1(VALU_DEP_1)
	v_mad_u64_u32 v[13:14], null, v162, v24, v[0:1]
	v_mul_lo_u32 v0, v115, v20
	v_mad_u64_u32 v[14:15], null, v16, v24, v[0:1]
	v_mul_lo_u32 v0, v126, v20
	s_delay_alu instid0(VALU_DEP_1) | instskip(SKIP_1) | instid1(VALU_DEP_1)
	v_mad_u64_u32 v[15:16], null, v17, v24, v[0:1]
	v_mul_lo_u32 v0, v133, v20
	v_mad_u64_u32 v[16:17], null, v18, v24, v[0:1]
	v_lshrrev_b16 v0, 8, v21
	s_delay_alu instid0(VALU_DEP_1) | instskip(SKIP_1) | instid1(VALU_DEP_1)
	v_bfe_i32 v29, v0, 0, 8
	v_mul_lo_u32 v0, v22, v25
	v_mad_u64_u32 v[17:18], null, v23, v29, v[0:1]
	v_mul_lo_u32 v0, v241, v25
	s_delay_alu instid0(VALU_DEP_1) | instskip(SKIP_1) | instid1(VALU_DEP_1)
	v_mad_u64_u32 v[18:19], null, v176, v29, v[0:1]
	v_mul_lo_u32 v0, v249, v25
	v_mad_u64_u32 v[19:20], null, v157, v29, v[0:1]
	v_mul_lo_u32 v0, v104, v25
	s_delay_alu instid0(VALU_DEP_1) | instskip(SKIP_4) | instid1(VALU_DEP_1)
	v_mad_u64_u32 v[20:21], null, v160, v29, v[0:1]
	v_mul_lo_u32 v0, v95, v25
	scratch_load_b32 v95, off, off offset:48 ; 4-byte Folded Reload
	v_mad_u64_u32 v[21:22], null, v163, v29, v[0:1]
	v_mul_lo_u32 v0, v98, v25
	v_mad_u64_u32 v[22:23], null, v165, v29, v[0:1]
	v_mul_lo_u32 v0, v114, v25
	s_delay_alu instid0(VALU_DEP_1) | instskip(SKIP_1) | instid1(VALU_DEP_1)
	v_mad_u64_u32 v[23:24], null, v167, v29, v[0:1]
	v_mul_lo_u32 v0, v125, v25
	v_mad_u64_u32 v[24:25], null, v26, v29, v[0:1]
	v_lshrrev_b16 v0, 8, v48
	v_bfe_i32 v29, v48, 0, 8
	s_delay_alu instid0(VALU_DEP_2) | instskip(NEXT) | instid1(VALU_DEP_2)
	v_bfe_i32 v30, v0, 0, 8
	v_mul_lo_u32 v0, v27, v29
	s_delay_alu instid0(VALU_DEP_1) | instskip(SKIP_2) | instid1(VALU_DEP_2)
	v_mad_u64_u32 v[25:26], null, v28, v30, v[0:1]
	v_mul_lo_u32 v0, v237, v29
	v_mov_b32_e32 v28, v105
	v_mad_u64_u32 v[26:27], null, v177, v30, v[0:1]
	v_mul_lo_u32 v0, v239, v29
	s_delay_alu instid0(VALU_DEP_1) | instskip(SKIP_1) | instid1(VALU_DEP_1)
	v_mad_u64_u32 v[47:48], null, v158, v30, v[0:1]
	v_mul_lo_u32 v0, v246, v29
	v_mad_u64_u32 v[48:49], null, v161, v30, v[0:1]
	v_mul_lo_u32 v0, v254, v29
	s_delay_alu instid0(VALU_DEP_1) | instskip(SKIP_1) | instid1(VALU_DEP_1)
	v_mad_u64_u32 v[49:50], null, v164, v30, v[0:1]
	v_mul_lo_u32 v0, v101, v29
	;; [unrolled: 5-line block ×3, first 2 shown]
	v_mad_u64_u32 v[52:53], null, v44, v30, v[0:1]
	v_cvt_f32_i32_e32 v0, v1
	s_delay_alu instid0(VALU_DEP_1) | instskip(SKIP_1) | instid1(VALU_DEP_1)
	v_fmac_f32_e32 v31, v45, v0
	v_cvt_f32_i32_e32 v0, v9
	v_dual_mov_b32 v45, v224 :: v_dual_fmac_f32 v94, v149, v0
	v_cvt_f32_i32_e32 v0, v17
	s_delay_alu instid0(VALU_DEP_1) | instskip(SKIP_1) | instid1(VALU_DEP_1)
	v_fmac_f32_e32 v93, v150, v0
	v_cvt_f32_i32_e32 v0, v25
	v_fmac_f32_e32 v92, v151, v0
	v_cvt_f32_i32_e32 v0, v2
	s_delay_alu instid0(VALU_DEP_1) | instskip(SKIP_1) | instid1(VALU_DEP_1)
	v_fmac_f32_e32 v89, v152, v0
	v_cvt_f32_i32_e32 v0, v10
	v_fmac_f32_e32 v88, v153, v0
	;; [unrolled: 5-line block ×3, first 2 shown]
	v_cvt_f32_i32_e32 v0, v3
	s_waitcnt vmcnt(1)
	s_delay_alu instid0(VALU_DEP_1) | instskip(SKIP_1) | instid1(VALU_DEP_1)
	v_fmac_f32_e32 v85, v169, v0
	v_cvt_f32_i32_e32 v0, v11
	v_fmac_f32_e32 v83, v170, v0
	v_cvt_f32_i32_e32 v0, v19
	s_delay_alu instid0(VALU_DEP_1) | instskip(SKIP_1) | instid1(VALU_DEP_1)
	v_fmac_f32_e32 v78, v171, v0
	v_cvt_f32_i32_e32 v0, v47
	v_fmac_f32_e32 v76, v172, v0
	v_cvt_f32_i32_e32 v0, v4
	;; [unrolled: 5-line block ×4, first 2 shown]
	s_delay_alu instid0(VALU_DEP_1)
	v_fmac_f32_e32 v193, v69, v0
	v_cvt_f32_i32_e32 v0, v13
	scratch_load_b32 v69, off, off offset:8 ; 4-byte Folded Reload
	v_fmac_f32_e32 v136, v70, v0
	scratch_load_b32 v70, off, off offset:12 ; 4-byte Folded Reload
	v_cvt_f32_i32_e32 v0, v21
	s_delay_alu instid0(VALU_DEP_1) | instskip(SKIP_1) | instid1(VALU_DEP_1)
	v_fmac_f32_e32 v132, v71, v0
	v_cvt_f32_i32_e32 v0, v49
	v_fmac_f32_e32 v128, v72, v0
	v_cvt_f32_i32_e32 v0, v6
	s_delay_alu instid0(VALU_DEP_1) | instskip(SKIP_2) | instid1(VALU_DEP_1)
	v_fmac_f32_e32 v124, v73, v0
	scratch_load_b32 v73, off, off offset:16 ; 4-byte Folded Reload
	v_cvt_f32_i32_e32 v0, v14
	v_fmac_f32_e32 v123, v74, v0
	scratch_load_b32 v74, off, off offset:20 ; 4-byte Folded Reload
	v_cvt_f32_i32_e32 v0, v22
	s_delay_alu instid0(VALU_DEP_1) | instskip(SKIP_2) | instid1(VALU_DEP_1)
	v_fmac_f32_e32 v122, v75, v0
	scratch_load_b32 v75, off, off offset:24 ; 4-byte Folded Reload
	v_cvt_f32_i32_e32 v0, v50
	v_fmac_f32_e32 v121, v77, v0
	scratch_load_b32 v77, off, off offset:28 ; 4-byte Folded Reload
	v_cvt_f32_i32_e32 v0, v7
	s_delay_alu instid0(VALU_DEP_1) | instskip(SKIP_1) | instid1(VALU_DEP_1)
	v_fmac_f32_e32 v120, v81, v0
	v_cvt_f32_i32_e32 v0, v15
	v_fmac_f32_e32 v119, v84, v0
	scratch_load_b32 v84, off, off offset:32 ; 4-byte Folded Reload
	v_cvt_f32_i32_e32 v0, v23
	s_delay_alu instid0(VALU_DEP_1)
	v_fmac_f32_e32 v118, v90, v0
	v_cvt_f32_i32_e32 v0, v51
	scratch_load_b32 v90, off, off offset:40 ; 4-byte Folded Reload
	v_fmac_f32_e32 v117, v91, v0
	scratch_load_b32 v91, off, off offset:44 ; 4-byte Folded Reload
	v_cvt_f32_i32_e32 v0, v8
	s_delay_alu instid0(VALU_DEP_1) | instskip(SKIP_1) | instid1(VALU_DEP_1)
	v_fmac_f32_e32 v113, v194, v0
	v_cvt_f32_i32_e32 v0, v16
	v_fmac_f32_e32 v109, v87, v0
	scratch_load_b32 v87, off, off offset:36 ; 4-byte Folded Reload
	v_cvt_f32_i32_e32 v0, v24
	s_delay_alu instid0(VALU_DEP_1) | instskip(SKIP_1) | instid1(VALU_DEP_1)
	v_fmac_f32_e32 v112, v195, v0
	v_cvt_f32_i32_e32 v0, v52
	v_fmac_f32_e32 v28, v96, v0
	s_cbranch_scc1 .LBB150_10
; %bb.11:                               ;   in Loop: Header=BB150_8 Depth=2
	scratch_load_b32 v0, off, off offset:152 ; 4-byte Folded Reload
	s_waitcnt vmcnt(0)
	s_waitcnt_vscnt null, 0x0
	s_barrier
	buffer_gl0_inv
	s_add_i32 s14, s14, 2
	s_mov_b32 s17, 4
	s_lshl_b32 s18, s14, 3
	scratch_load_b64 v[19:20], off, off offset:156 ; 8-byte Folded Reload
	v_lshl_add_u32 v0, s16, 5, v0
	s_delay_alu instid0(VALU_DEP_1) | instskip(NEXT) | instid1(VALU_DEP_1)
	v_lshrrev_b32_e32 v0, 3, v0
	v_add_nc_u32_e32 v12, s0, v0
	scratch_load_b32 v0, off, off offset:148 ; 4-byte Folded Reload
	s_waitcnt vmcnt(0)
	v_lshl_add_u32 v13, s16, 2, v0
	scratch_load_b32 v0, off, off offset:168 ; 4-byte Folded Reload
	s_mov_b32 s16, 0
	s_waitcnt vmcnt(0)
	v_add_nc_u32_e32 v2, v12, v0
	scratch_load_b32 v0, off, off offset:176 ; 4-byte Folded Reload
	s_waitcnt vmcnt(0)
	v_add_nc_u32_e32 v4, v12, v0
	scratch_load_b32 v0, off, off offset:184 ; 4-byte Folded Reload
	;; [unrolled: 3-line block ×4, first 2 shown]
	s_waitcnt vmcnt(0)
	v_add_nc_u32_e32 v10, v12, v0
	v_mad_i64_i32 v[0:1], null, v2, 36, v[19:20]
	v_mad_i64_i32 v[2:3], null, v4, 36, v[19:20]
	;; [unrolled: 1-line block ×5, first 2 shown]
	scratch_load_b32 v10, off, off offset:208 ; 4-byte Folded Reload
	s_waitcnt vmcnt(0)
	v_add_nc_u32_e32 v14, v12, v10
	scratch_load_b32 v10, off, off offset:216 ; 4-byte Folded Reload
	s_waitcnt vmcnt(0)
	v_add_nc_u32_e32 v16, v12, v10
	v_mad_u64_u32 v[10:11], null, v13, 36, s[2:3]
	scratch_load_b32 v13, off, off offset:224 ; 4-byte Folded Reload
	s_waitcnt vmcnt(0)
	v_add_nc_u32_e32 v18, v12, v13
	v_mad_i64_i32 v[12:13], null, v14, 36, v[19:20]
	v_mad_i64_i32 v[14:15], null, v16, 36, v[19:20]
	s_delay_alu instid0(VALU_DEP_3)
	v_mad_i64_i32 v[16:17], null, v18, 36, v[19:20]
	s_clause 0x8
	global_load_b32 v10, v[10:11], off
	global_load_b32 v2, v[2:3], off offset:4
	global_load_b32 v3, v[4:5], off offset:4
	;; [unrolled: 1-line block ×8, first 2 shown]
	s_clause 0x2
	scratch_load_b32 v192, off, off offset:236
	scratch_load_b32 v242, off, off offset:232
	;; [unrolled: 1-line block ×3, first 2 shown]
	s_waitcnt vmcnt(11)
	v_cvt_f32_f16_e32 v1, v10
	s_waitcnt vmcnt(0)
	ds_store_b32 v9, v2
	scratch_load_b32 v2, off, off offset:188 ; 4-byte Folded Reload
	s_waitcnt vmcnt(0)
	ds_store_b32 v2, v3
	scratch_load_b32 v2, off, off offset:196 ; 4-byte Folded Reload
	;; [unrolled: 3-line block ×8, first 2 shown]
	s_waitcnt vmcnt(0)
	ds_store_b32 v0, v1
	s_waitcnt lgkmcnt(0)
	s_barrier
	buffer_gl0_inv
.LBB150_12:                             ;   Parent Loop BB150_6 Depth=1
                                        ;     Parent Loop BB150_8 Depth=2
                                        ; =>    This Inner Loop Header: Depth=3
	s_add_i32 s20, s1, s16
	s_clause 0x3
	scratch_store_b32 off, v28, off offset:64
	scratch_store_b32 off, v109, off offset:60
	;; [unrolled: 1-line block ×4, first 2 shown]
	s_add_i32 s20, s20, 8
	v_mov_b32_e32 v234, v94
	s_and_b32 s19, s20, 0x3ffffff8
	s_lshr_b32 s21, s20, 4
	s_lshl_b32 s19, s19, 2
	s_lshl_b32 s20, s21, 2
	v_dual_mov_b32 v109, v83 :: v_dual_add_nc_u32 v4, s19, v73
	v_add_nc_u32_e32 v178, s19, v77
	v_add_nc_u32_e32 v6, s20, v74
	v_dual_mov_b32 v224, v31 :: v_dual_add_nc_u32 v179, s19, v95
	ds_load_2addr_b32 v[0:1], v4 offset1:1
	ds_load_2addr_b32 v[2:3], v4 offset0:2 offset1:3
	ds_load_2addr_b32 v[47:48], v4 offset0:4 offset1:5
	;; [unrolled: 1-line block ×3, first 2 shown]
	v_dual_mov_b32 v95, v93 :: v_dual_add_nc_u32 v12, s19, v87
	v_mov_b32_e32 v94, v92
	v_mov_b32_e32 v92, v88
	;; [unrolled: 1-line block ×3, first 2 shown]
	v_dual_mov_b32 v86, v85 :: v_dual_mov_b32 v85, v46
	s_lshl_b32 s19, s21, 3
	v_mov_b32_e32 v82, v193
	v_mov_b32_e32 v193, v45
	v_add_lshl_u32 v100, v75, s19, 2
	v_add_lshl_u32 v137, v91, s19, 2
	v_mov_b32_e32 v225, v65
	v_mov_b32_e32 v104, v89
	v_dual_mov_b32 v230, v76 :: v_dual_mov_b32 v231, v78
	s_waitcnt lgkmcnt(3)
	v_ashrrev_i32_e32 v5, s16, v0
	v_ashrrev_i32_e32 v4, s16, v1
	s_waitcnt lgkmcnt(2)
	v_ashrrev_i32_e32 v1, s16, v2
	v_ashrrev_i32_e32 v0, s16, v3
	ds_load_2addr_b32 v[2:3], v178 offset0:2 offset1:3
	ds_load_b32 v194, v6
	ds_load_2addr_b32 v[6:7], v178 offset1:1
	v_bfe_u32 v32, v5, 24, 2
	v_and_b32_e32 v5, 0x3030303, v5
	s_waitcnt lgkmcnt(2)
	v_ashrrev_i32_e32 v10, s16, v2
	v_ashrrev_i32_e32 v11, s16, v3
	s_waitcnt lgkmcnt(0)
	v_ashrrev_i32_e32 v8, s16, v6
	v_ashrrev_i32_e32 v9, s16, v7
	ds_load_2addr_b32 v[2:3], v12 offset1:1
	ds_load_2addr_b32 v[6:7], v12 offset0:2 offset1:3
	ds_load_2addr_b32 v[57:58], v12 offset0:4 offset1:5
	;; [unrolled: 1-line block ×3, first 2 shown]
	s_waitcnt lgkmcnt(3)
	v_ashrrev_i32_e32 v12, s16, v2
	s_waitcnt lgkmcnt(2)
	v_ashrrev_i32_e32 v14, s16, v6
	v_add_nc_u32_e32 v6, s20, v90
	v_ashrrev_i32_e32 v13, s16, v3
	v_ashrrev_i32_e32 v15, s16, v7
	ds_load_2addr_b32 v[2:3], v179 offset0:2 offset1:3
	ds_load_b32 v195, v6
	ds_load_2addr_b32 v[6:7], v179 offset1:1
	s_waitcnt lgkmcnt(2)
	v_ashrrev_i32_e32 v18, s16, v2
	v_add_lshl_u32 v2, v70, s19, 2
	v_ashrrev_i32_e32 v19, s16, v3
	s_waitcnt lgkmcnt(0)
	v_ashrrev_i32_e32 v16, s16, v6
	v_ashrrev_i32_e32 v17, s16, v7
	v_add_nc_u32_e32 v3, 0x4200, v2
	v_add_nc_u32_e32 v6, 0x4208, v2
	;; [unrolled: 1-line block ×4, first 2 shown]
	ds_load_2addr_b32 v[2:3], v3 offset1:1
	ds_load_2addr_b32 v[6:7], v6 offset1:1
	;; [unrolled: 1-line block ×4, first 2 shown]
	s_waitcnt lgkmcnt(3)
	v_ashrrev_i32_e32 v20, s17, v2
	v_ashrrev_i32_e32 v21, s17, v3
	s_waitcnt lgkmcnt(2)
	v_ashrrev_i32_e32 v22, s17, v6
	v_add_nc_u32_e32 v2, 0x4200, v100
	v_add_nc_u32_e32 v6, 0x4208, v100
	v_lshlrev_b32_e32 v20, 2, v20
	v_ashrrev_i32_e32 v23, s17, v7
	ds_load_2addr_b32 v[2:3], v2 offset1:1
	ds_load_2addr_b32 v[6:7], v6 offset1:1
	ds_load_2addr_b32 v[63:64], v178 offset0:6 offset1:7
	s_waitcnt lgkmcnt(3)
	v_ashrrev_i32_e32 v60, s17, v60
	v_and_b32_e32 v20, 0x4040404, v20
	s_delay_alu instid0(VALU_DEP_1) | instskip(SKIP_2) | instid1(VALU_DEP_3)
	v_lshrrev_b32_e32 v33, 24, v20
	v_lshrrev_b32_e32 v34, 16, v20
	v_sub_nc_u16 v203, v5, v20
	v_sub_nc_u16 v32, v32, v33
	v_lshrrev_b32_e32 v33, 16, v5
	s_delay_alu instid0(VALU_DEP_1)
	v_sub_nc_u16 v202, v33, v34
	v_lshrrev_b16 v33, 8, v5
	v_lshrrev_b16 v5, 8, v20
	v_lshlrev_b32_e32 v20, 2, v21
	v_bfe_u32 v21, v4, 24, 2
	v_and_b32_e32 v4, 0x3030303, v4
	s_waitcnt lgkmcnt(2)
	v_ashrrev_i32_e32 v24, s17, v2
	v_sub_nc_u16 v5, v33, v5
	v_and_b32_e32 v20, 0x4040404, v20
	v_ashrrev_i32_e32 v25, s17, v3
	s_waitcnt lgkmcnt(1)
	v_ashrrev_i32_e32 v26, s17, v6
	v_add_lshl_u32 v2, v84, s19, 2
	v_ashrrev_i32_e32 v27, s17, v7
	v_lshrrev_b32_e32 v33, 24, v20
	v_lshrrev_b32_e32 v34, 16, v20
	v_sub_nc_u16 v205, v4, v20
	v_add_nc_u32_e32 v3, 0x4200, v2
	v_add_nc_u32_e32 v6, 0x4208, v2
	v_sub_nc_u16 v21, v21, v33
	v_lshrrev_b32_e32 v33, 16, v4
	v_add_nc_u32_e32 v28, 0x4210, v2
	v_add_nc_u32_e32 v29, 0x4218, v2
	ds_load_2addr_b32 v[2:3], v3 offset1:1
	ds_load_2addr_b32 v[6:7], v6 offset1:1
	;; [unrolled: 1-line block ×4, first 2 shown]
	v_sub_nc_u16 v204, v33, v34
	v_lshrrev_b16 v33, 8, v4
	v_lshrrev_b16 v4, 8, v20
	v_lshlrev_b32_e32 v20, 2, v22
	v_bfe_u32 v22, v1, 24, 2
	v_and_b32_e32 v1, 0x3030303, v1
	v_lshlrev_b16 v5, 8, v5
	v_sub_nc_u16 v4, v33, v4
	v_and_b32_e32 v20, 0x4040404, v20
	s_and_b32 s19, s15, -16
	s_add_i32 s15, s15, 2
	s_delay_alu instid0(VALU_DEP_2) | instskip(NEXT) | instid1(VALU_DEP_2)
	v_lshlrev_b16 v4, 8, v4
	v_lshrrev_b32_e32 v33, 24, v20
	v_lshrrev_b32_e32 v34, 16, v20
	v_sub_nc_u16 v199, v1, v20
	s_waitcnt lgkmcnt(3)
	v_ashrrev_i32_e32 v28, s17, v2
	v_ashrrev_i32_e32 v29, s17, v3
	v_sub_nc_u16 v22, v22, v33
	v_lshrrev_b32_e32 v33, 16, v1
	s_waitcnt lgkmcnt(2)
	v_ashrrev_i32_e32 v30, s17, v6
	v_add_nc_u32_e32 v2, 0x4200, v137
	v_add_nc_u32_e32 v6, 0x4208, v137
	v_ashrrev_i32_e32 v31, s17, v7
	v_sub_nc_u16 v198, v33, v34
	v_lshrrev_b16 v33, 8, v1
	v_lshrrev_b16 v1, 8, v20
	v_lshlrev_b32_e32 v20, 2, v23
	v_bfe_u32 v23, v0, 24, 2
	v_and_b32_e32 v0, 0x3030303, v0
	ds_load_2addr_b32 v[2:3], v2 offset1:1
	ds_load_2addr_b32 v[6:7], v6 offset1:1
	ds_load_2addr_b32 v[184:185], v179 offset0:6 offset1:7
	v_sub_nc_u16 v1, v33, v1
	v_and_b32_e32 v20, 0x4040404, v20
	s_waitcnt lgkmcnt(3)
	v_ashrrev_i32_e32 v67, s17, v52
	v_add_nc_u32_e32 v52, 0x4218, v137
	v_ashrrev_i32_e32 v65, s17, v51
	v_lshlrev_b16 v1, 8, v1
	v_lshrrev_b32_e32 v33, 24, v20
	v_lshrrev_b32_e32 v34, 16, v20
	v_sub_nc_u16 v197, v0, v20
	v_lshlrev_b32_e32 v65, 2, v65
	v_lshlrev_b32_e32 v67, 2, v67
	v_sub_nc_u16 v23, v23, v33
	v_lshrrev_b32_e32 v33, 16, v0
	s_delay_alu instid0(VALU_DEP_4) | instskip(NEXT) | instid1(VALU_DEP_4)
	v_and_b32_e32 v65, 0x4040404, v65
	v_and_b32_e32 v67, 0x4040404, v67
	s_delay_alu instid0(VALU_DEP_3)
	v_sub_nc_u16 v196, v33, v34
	v_lshrrev_b16 v33, 8, v0
	v_lshrrev_b16 v0, 8, v20
	v_lshlrev_b32_e32 v20, 2, v24
	v_bfe_u32 v24, v8, 24, 2
	v_and_b32_e32 v8, 0x3030303, v8
	s_waitcnt lgkmcnt(2)
	v_ashrrev_i32_e32 v2, s17, v2
	v_sub_nc_u16 v0, v33, v0
	v_and_b32_e32 v20, 0x4040404, v20
	v_ashrrev_i32_e32 v3, s17, v3
	s_waitcnt lgkmcnt(1)
	v_ashrrev_i32_e32 v6, s17, v6
	v_lshlrev_b32_e32 v2, 2, v2
	v_ashrrev_i32_e32 v7, s17, v7
	v_lshrrev_b32_e32 v33, 24, v20
	v_lshrrev_b32_e32 v34, 16, v20
	v_sub_nc_u16 v211, v8, v20
	v_and_b32_e32 v2, 0x4040404, v2
	v_lshlrev_b32_e32 v3, 2, v3
	v_sub_nc_u16 v24, v24, v33
	v_lshrrev_b32_e32 v33, 16, v8
	v_lshlrev_b32_e32 v6, 2, v6
	v_lshlrev_b32_e32 v7, 2, v7
	v_and_b32_e32 v3, 0x4040404, v3
	v_lshlrev_b16 v0, 8, v0
	v_sub_nc_u16 v210, v33, v34
	v_lshrrev_b16 v33, 8, v8
	v_lshrrev_b16 v8, 8, v20
	v_lshlrev_b32_e32 v20, 2, v25
	v_bfe_u32 v25, v9, 24, 2
	v_and_b32_e32 v9, 0x3030303, v9
	v_and_b32_e32 v6, 0x4040404, v6
	v_sub_nc_u16 v8, v33, v8
	v_and_b32_e32 v20, 0x4040404, v20
	v_and_b32_e32 v7, 0x4040404, v7
	v_lshrrev_b32_e32 v107, 16, v65
	v_lshrrev_b32_e32 v129, 24, v67
	;; [unrolled: 1-line block ×5, first 2 shown]
	v_sub_nc_u16 v213, v9, v20
	s_delay_alu instid0(VALU_DEP_3) | instskip(SKIP_1) | instid1(VALU_DEP_1)
	v_sub_nc_u16 v25, v25, v33
	v_lshrrev_b32_e32 v33, 16, v9
	v_sub_nc_u16 v212, v33, v34
	v_lshrrev_b16 v33, 8, v9
	v_lshrrev_b16 v9, 8, v20
	v_lshlrev_b32_e32 v20, 2, v26
	v_bfe_u32 v26, v10, 24, 2
	v_and_b32_e32 v10, 0x3030303, v10
	s_delay_alu instid0(VALU_DEP_4) | instskip(NEXT) | instid1(VALU_DEP_4)
	v_sub_nc_u16 v9, v33, v9
	v_and_b32_e32 v20, 0x4040404, v20
	s_delay_alu instid0(VALU_DEP_1) | instskip(SKIP_2) | instid1(VALU_DEP_3)
	v_lshrrev_b32_e32 v33, 24, v20
	v_lshrrev_b32_e32 v34, 16, v20
	v_sub_nc_u16 v207, v10, v20
	v_sub_nc_u16 v26, v26, v33
	v_lshrrev_b32_e32 v33, 16, v10
	s_delay_alu instid0(VALU_DEP_1)
	v_sub_nc_u16 v206, v33, v34
	v_lshrrev_b16 v33, 8, v10
	v_lshrrev_b16 v10, 8, v20
	v_lshlrev_b32_e32 v20, 2, v27
	v_bfe_u32 v27, v11, 24, 2
	v_and_b32_e32 v11, 0x3030303, v11
	s_delay_alu instid0(VALU_DEP_4) | instskip(NEXT) | instid1(VALU_DEP_4)
	v_sub_nc_u16 v10, v33, v10
	v_and_b32_e32 v20, 0x4040404, v20
	s_delay_alu instid0(VALU_DEP_1) | instskip(SKIP_2) | instid1(VALU_DEP_3)
	v_lshrrev_b32_e32 v33, 24, v20
	v_lshrrev_b32_e32 v34, 16, v20
	v_sub_nc_u16 v201, v11, v20
	v_sub_nc_u16 v27, v27, v33
	v_lshrrev_b32_e32 v33, 16, v11
	s_delay_alu instid0(VALU_DEP_1)
	;; [unrolled: 16-line block ×6, first 2 shown]
	v_sub_nc_u16 v208, v33, v34
	v_lshrrev_b16 v33, 8, v15
	v_lshrrev_b16 v15, 8, v20
	v_bfe_u32 v20, v16, 24, 2
	v_and_b32_e32 v16, 0x3030303, v16
	v_lshrrev_b32_e32 v34, 16, v2
	s_delay_alu instid0(VALU_DEP_4) | instskip(SKIP_1) | instid1(VALU_DEP_4)
	v_sub_nc_u16 v15, v33, v15
	v_lshrrev_b32_e32 v33, 24, v2
	v_sub_nc_u16 v228, v16, v2
	v_lshrrev_b16 v2, 8, v2
	s_delay_alu instid0(VALU_DEP_3) | instskip(SKIP_1) | instid1(VALU_DEP_1)
	v_sub_nc_u16 v20, v20, v33
	v_lshrrev_b32_e32 v33, 16, v16
	v_sub_nc_u16 v226, v33, v34
	v_lshrrev_b16 v33, 8, v16
	v_bfe_u32 v16, v17, 24, 2
	v_and_b32_e32 v17, 0x3030303, v17
	v_lshrrev_b32_e32 v34, 16, v3
	s_delay_alu instid0(VALU_DEP_4) | instskip(SKIP_1) | instid1(VALU_DEP_4)
	v_sub_nc_u16 v2, v33, v2
	v_lshrrev_b32_e32 v33, 24, v3
	v_sub_nc_u16 v233, v17, v3
	v_lshrrev_b16 v3, 8, v3
	s_delay_alu instid0(VALU_DEP_3) | instskip(SKIP_1) | instid1(VALU_DEP_1)
	v_sub_nc_u16 v16, v16, v33
	v_lshrrev_b32_e32 v33, 16, v17
	v_sub_nc_u16 v232, v33, v34
	;; [unrolled: 13-line block ×4, first 2 shown]
	v_lshrrev_b16 v33, 8, v19
	v_lshlrev_b16 v19, 8, v32
	v_and_b32_e32 v32, 0xff, v202
	s_delay_alu instid0(VALU_DEP_3) | instskip(NEXT) | instid1(VALU_DEP_2)
	v_sub_nc_u16 v7, v33, v7
	v_or_b32_e32 v245, v32, v19
	v_and_b32_e32 v19, 0xff, v203
	s_delay_alu instid0(VALU_DEP_1) | instskip(SKIP_2) | instid1(VALU_DEP_1)
	v_or_b32_e32 v247, v19, v5
	v_lshlrev_b16 v5, 8, v21
	v_and_b32_e32 v19, 0xff, v204
	v_or_b32_e32 v248, v19, v5
	v_and_b32_e32 v5, 0xff, v205
	s_delay_alu instid0(VALU_DEP_1) | instskip(SKIP_2) | instid1(VALU_DEP_1)
	v_or_b32_e32 v251, v5, v4
	v_lshlrev_b16 v4, 8, v22
	v_and_b32_e32 v5, 0xff, v198
	v_or_b32_e32 v19, v5, v4
	v_and_b32_e32 v4, 0xff, v199
	s_delay_alu instid0(VALU_DEP_1)
	v_or_b32_e32 v21, v4, v1
	v_lshlrev_b16 v1, 8, v23
	v_and_b32_e32 v4, 0xff, v196
	scratch_store_b32 off, v21, off offset:96 ; 4-byte Folded Spill
	v_or_b32_e32 v4, v4, v1
	v_and_b32_e32 v1, 0xff, v197
	s_delay_alu instid0(VALU_DEP_1)
	v_or_b32_e32 v5, v1, v0
	v_lshlrev_b16 v0, 8, v24
	v_and_b32_e32 v1, 0xff, v210
	scratch_store_b32 off, v4, off offset:68 ; 4-byte Folded Spill
	v_or_b32_e32 v240, v1, v0
	v_lshlrev_b16 v0, 8, v8
	v_and_b32_e32 v1, 0xff, v211
	s_delay_alu instid0(VALU_DEP_1) | instskip(SKIP_2) | instid1(VALU_DEP_1)
	v_or_b32_e32 v238, v1, v0
	v_lshlrev_b16 v0, 8, v25
	v_and_b32_e32 v1, 0xff, v212
	v_or_b32_e32 v236, v1, v0
	v_lshlrev_b16 v0, 8, v9
	v_and_b32_e32 v1, 0xff, v213
	s_delay_alu instid0(VALU_DEP_1) | instskip(SKIP_2) | instid1(VALU_DEP_1)
	v_or_b32_e32 v235, v1, v0
	v_lshlrev_b16 v0, 8, v26
	v_and_b32_e32 v1, 0xff, v206
	;; [unrolled: 7-line block ×3, first 2 shown]
	v_or_b32_e32 v8, v1, v0
	v_lshlrev_b16 v0, 8, v11
	v_and_b32_e32 v1, 0xff, v201
	scratch_store_b32 off, v5, off offset:72 ; 4-byte Folded Spill
	v_or_b32_e32 v9, v1, v0
	scratch_store_b32 off, v8, off offset:76 ; 4-byte Folded Spill
	v_lshlrev_b16 v0, 8, v28
	v_and_b32_e32 v1, 0xff, v218
	s_delay_alu instid0(VALU_DEP_1) | instskip(SKIP_2) | instid1(VALU_DEP_1)
	v_or_b32_e32 v227, v1, v0
	v_lshlrev_b16 v0, 8, v12
	v_and_b32_e32 v1, 0xff, v219
	v_or_b32_e32 v89, v1, v0
	v_lshlrev_b16 v0, 8, v29
	v_and_b32_e32 v1, 0xff, v220
	s_delay_alu instid0(VALU_DEP_1) | instskip(SKIP_2) | instid1(VALU_DEP_1)
	v_or_b32_e32 v79, v1, v0
	v_lshlrev_b16 v0, 8, v13
	v_and_b32_e32 v1, 0xff, v221
	v_or_b32_e32 v66, v1, v0
	v_lshlrev_b16 v0, 8, v30
	v_and_b32_e32 v1, 0xff, v214
	s_delay_alu instid0(VALU_DEP_1)
	v_or_b32_e32 v12, v1, v0
	v_lshlrev_b16 v0, 8, v14
	v_and_b32_e32 v1, 0xff, v215
	s_clause 0x1
	scratch_store_b32 off, v23, off offset:108
	scratch_store_b32 off, v12, off offset:112
	v_or_b32_e32 v244, v1, v0
	v_lshlrev_b16 v0, 8, v31
	v_and_b32_e32 v1, 0xff, v208
	s_delay_alu instid0(VALU_DEP_1)
	v_or_b32_e32 v10, v1, v0
	v_lshlrev_b16 v0, 8, v15
	v_and_b32_e32 v1, 0xff, v209
	scratch_store_b32 off, v9, off offset:80 ; 4-byte Folded Spill
	v_or_b32_e32 v11, v1, v0
	scratch_store_b32 off, v10, off offset:84 ; 4-byte Folded Spill
	v_lshlrev_b16 v0, 8, v20
	v_and_b32_e32 v1, 0xff, v226
	s_clause 0x1
	scratch_store_b32 off, v19, off offset:92
	scratch_store_b32 off, v11, off offset:88
	v_or_b32_e32 v83, v1, v0
	v_lshlrev_b16 v0, 8, v2
	v_and_b32_e32 v1, 0xff, v228
	s_delay_alu instid0(VALU_DEP_1) | instskip(SKIP_2) | instid1(VALU_DEP_1)
	v_or_b32_e32 v80, v1, v0
	v_lshlrev_b16 v0, 8, v16
	v_and_b32_e32 v1, 0xff, v232
	v_or_b32_e32 v93, v1, v0
	v_lshlrev_b16 v0, 8, v3
	v_and_b32_e32 v1, 0xff, v233
	s_delay_alu instid0(VALU_DEP_1) | instskip(SKIP_2) | instid1(VALU_DEP_1)
	v_or_b32_e32 v112, v1, v0
	v_lshlrev_b16 v0, 8, v17
	v_and_b32_e32 v1, 0xff, v222
	;; [unrolled: 7-line block ×3, first 2 shown]
	v_or_b32_e32 v2, v1, v0
	v_lshlrev_b16 v0, 8, v7
	v_and_b32_e32 v1, 0xff, v217
	s_clause 0x1
	scratch_store_b32 off, v22, off offset:104
	scratch_store_b32 off, v2, off offset:100
	v_or_b32_e32 v243, v1, v0
	v_perm_b32 v0, v247, v203, 0xc0c0500
	v_perm_b32 v1, v245, v202, 0x5000c0c
	s_delay_alu instid0(VALU_DEP_1) | instskip(SKIP_2) | instid1(VALU_DEP_1)
	v_or_b32_e32 v28, v1, v0
	v_perm_b32 v0, v251, v205, 0xc0c0500
	v_perm_b32 v1, v248, v204, 0x5000c0c
	v_or_b32_e32 v29, v1, v0
	v_perm_b32 v0, v21, v199, 0xc0c0500
	v_perm_b32 v1, v19, v198, 0x5000c0c
	s_delay_alu instid0(VALU_DEP_1) | instskip(SKIP_2) | instid1(VALU_DEP_1)
	v_or_b32_e32 v30, v1, v0
	v_perm_b32 v0, v5, v197, 0xc0c0500
	v_perm_b32 v1, v4, v196, 0x5000c0c
	v_or_b32_e32 v31, v1, v0
	v_perm_b32 v0, v238, v211, 0xc0c0500
	v_perm_b32 v1, v240, v210, 0x5000c0c
	s_delay_alu instid0(VALU_DEP_1) | instskip(SKIP_2) | instid1(VALU_DEP_1)
	v_or_b32_e32 v32, v1, v0
	v_perm_b32 v0, v235, v213, 0xc0c0500
	v_perm_b32 v1, v236, v212, 0x5000c0c
	v_or_b32_e32 v33, v1, v0
	v_perm_b32 v0, v23, v207, 0xc0c0500
	v_perm_b32 v1, v22, v206, 0x5000c0c
	s_delay_alu instid0(VALU_DEP_1) | instskip(SKIP_2) | instid1(VALU_DEP_1)
	v_or_b32_e32 v34, v1, v0
	v_perm_b32 v0, v9, v201, 0xc0c0500
	v_perm_b32 v1, v8, v200, 0x5000c0c
	v_or_b32_e32 v35, v1, v0
	v_perm_b32 v0, v89, v219, 0xc0c0500
	v_perm_b32 v1, v227, v218, 0x5000c0c
	s_delay_alu instid0(VALU_DEP_1) | instskip(SKIP_4) | instid1(VALU_DEP_3)
	v_or_b32_e32 v36, v1, v0
	v_perm_b32 v0, v66, v221, 0xc0c0500
	v_perm_b32 v1, v79, v220, 0x5000c0c
	;; [unrolled: 1-line block ×4, first 2 shown]
	v_or_b32_e32 v37, v1, v0
	v_perm_b32 v0, v244, v215, 0xc0c0500
	v_perm_b32 v1, v12, v214, 0x5000c0c
	s_delay_alu instid0(VALU_DEP_1) | instskip(SKIP_2) | instid1(VALU_DEP_1)
	v_or_b32_e32 v38, v1, v0
	v_perm_b32 v0, v11, v209, 0xc0c0500
	v_perm_b32 v1, v10, v208, 0x5000c0c
	v_or_b32_e32 v39, v1, v0
	v_perm_b32 v0, v80, v228, 0xc0c0500
	v_perm_b32 v1, v83, v226, 0x5000c0c
	;; [unrolled: 1-line block ×4, first 2 shown]
	s_delay_alu instid0(VALU_DEP_3) | instskip(SKIP_3) | instid1(VALU_DEP_2)
	v_or_b32_e32 v40, v1, v0
	v_perm_b32 v0, v112, v233, 0xc0c0500
	v_perm_b32 v1, v93, v232, 0x5000c0c
	;; [unrolled: 1-line block ×3, first 2 shown]
	v_or_b32_e32 v41, v1, v0
	v_perm_b32 v0, v253, v223, 0xc0c0500
	v_perm_b32 v1, v252, v222, 0x5000c0c
	s_delay_alu instid0(VALU_DEP_1) | instskip(SKIP_2) | instid1(VALU_DEP_1)
	v_or_b32_e32 v42, v1, v0
	v_perm_b32 v0, v243, v217, 0xc0c0500
	v_perm_b32 v1, v2, v216, 0x5000c0c
	v_or_b32_e32 v43, v1, v0
	ds_load_b128 v[4:7], v192 offset:1024
	ds_load_b128 v[0:3], v192 offset:1040
	s_waitcnt lgkmcnt(1)
	v_dot4_i32_iu8 v8, v4, v28, 0 neg_lo:[1,1,0]
	v_dot4_i32_iu8 v9, v4, v32, 0 neg_lo:[1,1,0]
	v_dot4_i32_iu8 v10, v4, v36, 0 neg_lo:[1,1,0]
	v_dot4_i32_iu8 v4, v4, v40, 0 neg_lo:[1,1,0]
	s_delay_alu instid0(VALU_DEP_4) | instskip(NEXT) | instid1(VALU_DEP_4)
	v_dot4_i32_iu8 v8, v5, v29, v8 neg_lo:[1,1,0]
	v_dot4_i32_iu8 v9, v5, v33, v9 neg_lo:[1,1,0]
	s_delay_alu instid0(VALU_DEP_4) | instskip(NEXT) | instid1(VALU_DEP_4)
	v_dot4_i32_iu8 v10, v5, v37, v10 neg_lo:[1,1,0]
	v_dot4_i32_iu8 v4, v5, v41, v4 neg_lo:[1,1,0]
	s_delay_alu instid0(VALU_DEP_4) | instskip(NEXT) | instid1(VALU_DEP_4)
	v_dot4_i32_iu8 v5, v6, v30, v8 neg_lo:[1,1,0]
	v_dot4_i32_iu8 v8, v6, v34, v9 neg_lo:[1,1,0]
	s_delay_alu instid0(VALU_DEP_4) | instskip(NEXT) | instid1(VALU_DEP_4)
	v_dot4_i32_iu8 v9, v6, v38, v10 neg_lo:[1,1,0]
	v_dot4_i32_iu8 v4, v6, v42, v4 neg_lo:[1,1,0]
	s_delay_alu instid0(VALU_DEP_4) | instskip(NEXT) | instid1(VALU_DEP_4)
	v_dot4_i32_iu8 v108, v7, v31, v5 neg_lo:[1,1,0]
	v_dot4_i32_iu8 v250, v7, v35, v8 neg_lo:[1,1,0]
	s_delay_alu instid0(VALU_DEP_4) | instskip(NEXT) | instid1(VALU_DEP_4)
	v_dot4_i32_iu8 v241, v7, v39, v9 neg_lo:[1,1,0]
	v_dot4_i32_iu8 v237, v7, v43, v4 neg_lo:[1,1,0]
	ds_load_b128 v[8:11], v192 offset:2048
	ds_load_b128 v[4:7], v192 offset:2064
	s_waitcnt lgkmcnt(1)
	v_dot4_i32_iu8 v12, v8, v28, 0 neg_lo:[1,1,0]
	v_dot4_i32_iu8 v13, v8, v32, 0 neg_lo:[1,1,0]
	v_dot4_i32_iu8 v14, v8, v36, 0 neg_lo:[1,1,0]
	v_dot4_i32_iu8 v8, v8, v40, 0 neg_lo:[1,1,0]
	s_delay_alu instid0(VALU_DEP_4) | instskip(NEXT) | instid1(VALU_DEP_4)
	v_dot4_i32_iu8 v12, v9, v29, v12 neg_lo:[1,1,0]
	v_dot4_i32_iu8 v13, v9, v33, v13 neg_lo:[1,1,0]
	s_delay_alu instid0(VALU_DEP_4) | instskip(NEXT) | instid1(VALU_DEP_4)
	v_dot4_i32_iu8 v14, v9, v37, v14 neg_lo:[1,1,0]
	v_dot4_i32_iu8 v8, v9, v41, v8 neg_lo:[1,1,0]
	s_delay_alu instid0(VALU_DEP_4) | instskip(NEXT) | instid1(VALU_DEP_4)
	v_dot4_i32_iu8 v9, v10, v30, v12 neg_lo:[1,1,0]
	v_dot4_i32_iu8 v12, v10, v34, v13 neg_lo:[1,1,0]
	s_delay_alu instid0(VALU_DEP_4) | instskip(NEXT) | instid1(VALU_DEP_4)
	v_dot4_i32_iu8 v13, v10, v38, v14 neg_lo:[1,1,0]
	v_dot4_i32_iu8 v8, v10, v42, v8 neg_lo:[1,1,0]
	s_delay_alu instid0(VALU_DEP_4) | instskip(NEXT) | instid1(VALU_DEP_4)
	v_dot4_i32_iu8 v101, v11, v31, v9 neg_lo:[1,1,0]
	v_dot4_i32_iu8 v110, v11, v35, v12 neg_lo:[1,1,0]
	s_delay_alu instid0(VALU_DEP_4) | instskip(NEXT) | instid1(VALU_DEP_4)
	v_dot4_i32_iu8 v249, v11, v39, v13 neg_lo:[1,1,0]
	v_dot4_i32_iu8 v239, v11, v43, v8 neg_lo:[1,1,0]
	ds_load_b128 v[12:15], v192 offset:3072
	ds_load_b128 v[8:11], v192 offset:3088
	s_waitcnt lgkmcnt(1)
	v_dot4_i32_iu8 v16, v12, v28, 0 neg_lo:[1,1,0]
	v_dot4_i32_iu8 v17, v12, v32, 0 neg_lo:[1,1,0]
	v_dot4_i32_iu8 v18, v12, v36, 0 neg_lo:[1,1,0]
	v_dot4_i32_iu8 v12, v12, v40, 0 neg_lo:[1,1,0]
	s_delay_alu instid0(VALU_DEP_4) | instskip(NEXT) | instid1(VALU_DEP_4)
	v_dot4_i32_iu8 v16, v13, v29, v16 neg_lo:[1,1,0]
	v_dot4_i32_iu8 v17, v13, v33, v17 neg_lo:[1,1,0]
	s_delay_alu instid0(VALU_DEP_4) | instskip(NEXT) | instid1(VALU_DEP_4)
	v_dot4_i32_iu8 v18, v13, v37, v18 neg_lo:[1,1,0]
	v_dot4_i32_iu8 v12, v13, v41, v12 neg_lo:[1,1,0]
	s_delay_alu instid0(VALU_DEP_4) | instskip(NEXT) | instid1(VALU_DEP_4)
	v_dot4_i32_iu8 v13, v14, v30, v16 neg_lo:[1,1,0]
	v_dot4_i32_iu8 v16, v14, v34, v17 neg_lo:[1,1,0]
	s_delay_alu instid0(VALU_DEP_4) | instskip(NEXT) | instid1(VALU_DEP_4)
	v_dot4_i32_iu8 v17, v14, v38, v18 neg_lo:[1,1,0]
	v_dot4_i32_iu8 v12, v14, v42, v12 neg_lo:[1,1,0]
	s_delay_alu instid0(VALU_DEP_4) | instskip(NEXT) | instid1(VALU_DEP_4)
	v_dot4_i32_iu8 v102, v15, v31, v13 neg_lo:[1,1,0]
	v_dot4_i32_iu8 v103, v15, v35, v16 neg_lo:[1,1,0]
	s_delay_alu instid0(VALU_DEP_4) | instskip(NEXT) | instid1(VALU_DEP_4)
	v_dot4_i32_iu8 v255, v15, v39, v17 neg_lo:[1,1,0]
	v_dot4_i32_iu8 v246, v15, v43, v12 neg_lo:[1,1,0]
	ds_load_b128 v[16:19], v192 offset:4096
	ds_load_b128 v[12:15], v192 offset:4112
	s_waitcnt lgkmcnt(1)
	v_dot4_i32_iu8 v20, v16, v28, 0 neg_lo:[1,1,0]
	v_dot4_i32_iu8 v21, v16, v32, 0 neg_lo:[1,1,0]
	v_dot4_i32_iu8 v22, v16, v36, 0 neg_lo:[1,1,0]
	v_dot4_i32_iu8 v16, v16, v40, 0 neg_lo:[1,1,0]
	s_delay_alu instid0(VALU_DEP_4) | instskip(NEXT) | instid1(VALU_DEP_4)
	v_dot4_i32_iu8 v20, v17, v29, v20 neg_lo:[1,1,0]
	v_dot4_i32_iu8 v21, v17, v33, v21 neg_lo:[1,1,0]
	s_delay_alu instid0(VALU_DEP_4) | instskip(NEXT) | instid1(VALU_DEP_4)
	v_dot4_i32_iu8 v22, v17, v37, v22 neg_lo:[1,1,0]
	v_dot4_i32_iu8 v16, v17, v41, v16 neg_lo:[1,1,0]
	s_delay_alu instid0(VALU_DEP_4) | instskip(NEXT) | instid1(VALU_DEP_4)
	v_dot4_i32_iu8 v17, v18, v30, v20 neg_lo:[1,1,0]
	v_dot4_i32_iu8 v20, v18, v34, v21 neg_lo:[1,1,0]
	s_delay_alu instid0(VALU_DEP_4) | instskip(NEXT) | instid1(VALU_DEP_4)
	v_dot4_i32_iu8 v21, v18, v38, v22 neg_lo:[1,1,0]
	v_dot4_i32_iu8 v16, v18, v42, v16 neg_lo:[1,1,0]
	s_delay_alu instid0(VALU_DEP_4) | instskip(NEXT) | instid1(VALU_DEP_4)
	v_dot4_i32_iu8 v116, v19, v31, v17 neg_lo:[1,1,0]
	v_dot4_i32_iu8 v99, v19, v35, v20 neg_lo:[1,1,0]
	s_delay_alu instid0(VALU_DEP_4) | instskip(NEXT) | instid1(VALU_DEP_4)
	v_dot4_i32_iu8 v105, v19, v39, v21 neg_lo:[1,1,0]
	v_dot4_i32_iu8 v254, v19, v43, v16 neg_lo:[1,1,0]
	ds_load_b128 v[20:23], v192 offset:5120
	ds_load_b128 v[16:19], v192 offset:5136
	s_waitcnt lgkmcnt(1)
	v_dot4_i32_iu8 v24, v20, v28, 0 neg_lo:[1,1,0]
	v_dot4_i32_iu8 v25, v20, v32, 0 neg_lo:[1,1,0]
	v_dot4_i32_iu8 v26, v20, v36, 0 neg_lo:[1,1,0]
	v_dot4_i32_iu8 v20, v20, v40, 0 neg_lo:[1,1,0]
	s_delay_alu instid0(VALU_DEP_4) | instskip(NEXT) | instid1(VALU_DEP_4)
	v_dot4_i32_iu8 v24, v21, v29, v24 neg_lo:[1,1,0]
	v_dot4_i32_iu8 v25, v21, v33, v25 neg_lo:[1,1,0]
	s_delay_alu instid0(VALU_DEP_4) | instskip(NEXT) | instid1(VALU_DEP_4)
	v_dot4_i32_iu8 v26, v21, v37, v26 neg_lo:[1,1,0]
	v_dot4_i32_iu8 v20, v21, v41, v20 neg_lo:[1,1,0]
	s_delay_alu instid0(VALU_DEP_4) | instskip(NEXT) | instid1(VALU_DEP_4)
	v_dot4_i32_iu8 v21, v22, v30, v24 neg_lo:[1,1,0]
	v_dot4_i32_iu8 v24, v22, v34, v25 neg_lo:[1,1,0]
	s_delay_alu instid0(VALU_DEP_4) | instskip(NEXT) | instid1(VALU_DEP_4)
	v_dot4_i32_iu8 v25, v22, v38, v26 neg_lo:[1,1,0]
	v_dot4_i32_iu8 v20, v22, v42, v20 neg_lo:[1,1,0]
	s_delay_alu instid0(VALU_DEP_4) | instskip(NEXT) | instid1(VALU_DEP_4)
	v_dot4_i32_iu8 v127, v23, v31, v21 neg_lo:[1,1,0]
	v_dot4_i32_iu8 v115, v23, v35, v24 neg_lo:[1,1,0]
	s_delay_alu instid0(VALU_DEP_4) | instskip(NEXT) | instid1(VALU_DEP_4)
	v_dot4_i32_iu8 v98, v23, v39, v25 neg_lo:[1,1,0]
	v_dot4_i32_iu8 v106, v23, v43, v20 neg_lo:[1,1,0]
	ds_load_b128 v[24:27], v192 offset:6144
	ds_load_b128 v[20:23], v192 offset:6160
	s_waitcnt lgkmcnt(1)
	v_dot4_i32_iu8 v44, v24, v28, 0 neg_lo:[1,1,0]
	v_dot4_i32_iu8 v45, v24, v32, 0 neg_lo:[1,1,0]
	;; [unrolled: 1-line block ×4, first 2 shown]
	s_delay_alu instid0(VALU_DEP_4) | instskip(NEXT) | instid1(VALU_DEP_4)
	v_dot4_i32_iu8 v44, v25, v29, v44 neg_lo:[1,1,0]
	v_dot4_i32_iu8 v45, v25, v33, v45 neg_lo:[1,1,0]
	s_delay_alu instid0(VALU_DEP_4) | instskip(NEXT) | instid1(VALU_DEP_4)
	v_dot4_i32_iu8 v46, v25, v37, v46 neg_lo:[1,1,0]
	v_dot4_i32_iu8 v24, v25, v41, v24 neg_lo:[1,1,0]
	;; [unrolled: 3-line block ×4, first 2 shown]
	v_ashrrev_i32_e32 v46, s17, v59
	v_dot4_i32_iu8 v134, v27, v31, v25 neg_lo:[1,1,0]
	v_dot4_i32_iu8 v126, v27, v35, v44 neg_lo:[1,1,0]
	;; [unrolled: 1-line block ×4, first 2 shown]
	ds_load_b128 v[180:183], v192 offset:7168
	ds_load_b128 v[24:27], v192 offset:7184
	v_ashrrev_i32_e32 v44, s17, v61
	v_ashrrev_i32_e32 v45, s17, v62
	s_delay_alu instid0(VALU_DEP_2) | instskip(NEXT) | instid1(VALU_DEP_1)
	v_lshlrev_b32_e32 v44, 2, v44
	v_and_b32_e32 v44, 0x4040404, v44
	s_waitcnt lgkmcnt(1)
	v_dot4_i32_iu8 v28, v180, v28, 0 neg_lo:[1,1,0]
	s_delay_alu instid0(VALU_DEP_1) | instskip(SKIP_3) | instid1(VALU_DEP_4)
	v_dot4_i32_iu8 v28, v181, v29, v28 neg_lo:[1,1,0]
	v_dot4_i32_iu8 v29, v180, v32, 0 neg_lo:[1,1,0]
	;; [unrolled: 1-line block ×3, first 2 shown]
	v_ashrrev_i32_e32 v36, s16, v55
	v_dot4_i32_iu8 v28, v182, v30, v28 neg_lo:[1,1,0]
	s_delay_alu instid0(VALU_DEP_4)
	v_dot4_i32_iu8 v29, v181, v33, v29 neg_lo:[1,1,0]
	v_dot4_i32_iu8 v33, v180, v40, 0 neg_lo:[1,1,0]
	v_dot4_i32_iu8 v32, v181, v37, v32 neg_lo:[1,1,0]
	v_ashrrev_i32_e32 v37, s16, v56
	v_dot4_i32_iu8 v135, v183, v31, v28 neg_lo:[1,1,0]
	v_dot4_i32_iu8 v29, v182, v34, v29 neg_lo:[1,1,0]
	v_ashrrev_i32_e32 v28, s16, v47
	v_dot4_i32_iu8 v33, v181, v41, v33 neg_lo:[1,1,0]
	v_dot4_i32_iu8 v30, v182, v38, v32 neg_lo:[1,1,0]
	v_ashrrev_i32_e32 v31, s16, v50
	v_dot4_i32_iu8 v133, v183, v35, v29 neg_lo:[1,1,0]
	v_ashrrev_i32_e32 v29, s16, v48
	ds_load_2addr_b32 v[47:48], v178 offset0:4 offset1:5
	v_dot4_i32_iu8 v32, v182, v42, v33 neg_lo:[1,1,0]
	v_dot4_i32_iu8 v125, v183, v39, v30 neg_lo:[1,1,0]
	v_ashrrev_i32_e32 v30, s16, v49
	v_add_nc_u32_e32 v49, s16, v69
	v_add_nc_u32_e32 v50, 0x4218, v100
	v_dot4_i32_iu8 v111, v183, v43, v32 neg_lo:[1,1,0]
	v_ashrrev_i32_e32 v34, s16, v57
	v_ashrrev_i32_e32 v35, s16, v58
	;; [unrolled: 1-line block ×8, first 2 shown]
	s_delay_alu instid0(VALU_DEP_3)
	v_lshlrev_b32_e32 v64, 2, v64
	s_waitcnt lgkmcnt(0)
	v_ashrrev_i32_e32 v32, s16, v47
	v_ashrrev_i32_e32 v33, s16, v48
	ds_load_2addr_b32 v[47:48], v179 offset0:4 offset1:5
	v_and_b32_e32 v64, 0x4040404, v64
	s_delay_alu instid0(VALU_DEP_1)
	v_lshrrev_b32_e32 v91, 24, v64
	v_lshrrev_b32_e32 v96, 16, v64
	s_waitcnt lgkmcnt(0)
	v_ashrrev_i32_e32 v38, s16, v47
	scratch_load_b32 v47, off, off offset:140 ; 4-byte Folded Reload
	v_ashrrev_i32_e32 v39, s16, v48
	v_add_nc_u32_e32 v48, 0x4210, v100
	v_lshrrev_b32_e32 v100, 24, v65
	s_add_i32 s16, s16, 2
	s_waitcnt vmcnt(0)
	v_add3_u32 v47, v47, s19, v49
	ds_load_u16 v47, v47
	ds_load_2addr_b32 v[55:56], v48 offset1:1
	ds_load_2addr_b32 v[57:58], v50 offset1:1
	scratch_load_b32 v48, off, off offset:132 ; 4-byte Folded Reload
	v_add_nc_u32_e32 v50, 0x4210, v137
	s_waitcnt lgkmcnt(1)
	v_ashrrev_i32_e32 v61, s17, v55
	s_waitcnt lgkmcnt(0)
	v_ashrrev_i32_e32 v62, s17, v58
	v_ashrrev_i32_e32 v56, s17, v56
	;; [unrolled: 1-line block ×3, first 2 shown]
	s_delay_alu instid0(VALU_DEP_2) | instskip(NEXT) | instid1(VALU_DEP_1)
	v_lshlrev_b32_e32 v56, 2, v56
	v_and_b32_e32 v56, 0x4040404, v56
	s_waitcnt vmcnt(0)
	v_add3_u32 v48, v48, s19, v49
	ds_load_u16 v48, v48
	ds_load_2addr_b32 v[50:51], v50 offset1:1
	ds_load_2addr_b32 v[52:53], v52 offset1:1
	s_waitcnt lgkmcnt(1)
	v_ashrrev_i32_e32 v68, s17, v50
	v_ashrrev_i32_e32 v69, s17, v51
	v_bfe_u32 v50, v28, 24, 2
	v_lshrrev_b32_e32 v51, 24, v44
	v_and_b32_e32 v28, 0x3030303, v28
	s_waitcnt lgkmcnt(0)
	v_ashrrev_i32_e32 v70, s17, v52
	v_ashrrev_i32_e32 v71, s17, v53
	v_lshlrev_b32_e32 v68, 2, v68
	v_sub_nc_u16 v72, v50, v51
	v_lshrrev_b32_e32 v50, 16, v28
	v_lshrrev_b32_e32 v51, 16, v44
	v_sub_nc_u16 v55, v28, v44
	v_and_b32_e32 v68, 0x4040404, v68
	v_lshlrev_b32_e32 v69, 2, v69
	v_lshlrev_b32_e32 v70, 2, v70
	v_sub_nc_u16 v54, v50, v51
	v_lshrrev_b16 v50, 8, v28
	v_lshrrev_b16 v28, 8, v44
	v_lshlrev_b32_e32 v44, 2, v45
	v_bfe_u32 v45, v29, 24, 2
	v_and_b32_e32 v29, 0x3030303, v29
	v_lshrrev_b32_e32 v131, 24, v68
	v_sub_nc_u16 v28, v50, v28
	v_and_b32_e32 v44, 0x4040404, v44
	v_lshrrev_b32_e32 v137, 16, v68
	v_and_b32_e32 v69, 0x4040404, v69
	v_and_b32_e32 v70, 0x4040404, v70
	v_lshlrev_b32_e32 v71, 2, v71
	v_lshrrev_b32_e32 v50, 24, v44
	v_lshrrev_b32_e32 v51, 16, v44
	v_sub_nc_u16 v59, v29, v44
	v_lshrrev_b32_e32 v138, 24, v69
	v_lshrrev_b32_e32 v139, 16, v69
	v_sub_nc_u16 v45, v45, v50
	v_lshrrev_b32_e32 v50, 16, v29
	v_lshrrev_b32_e32 v140, 24, v70
	;; [unrolled: 1-line block ×3, first 2 shown]
	v_and_b32_e32 v71, 0x4040404, v71
	v_lshlrev_b16 v72, 8, v72
	v_sub_nc_u16 v58, v50, v51
	v_lshrrev_b16 v50, 8, v29
	v_lshrrev_b16 v29, 8, v44
	v_lshlrev_b32_e32 v44, 2, v46
	v_bfe_u32 v46, v30, 24, 2
	v_and_b32_e32 v30, 0x3030303, v30
	v_lshrrev_b32_e32 v142, 24, v71
	v_sub_nc_u16 v29, v50, v29
	v_and_b32_e32 v44, 0x4040404, v44
	v_lshrrev_b32_e32 v143, 16, v71
	v_lshlrev_b16 v28, 8, v28
	v_lshlrev_b16 v45, 8, v45
	;; [unrolled: 1-line block ×3, first 2 shown]
	v_lshrrev_b32_e32 v50, 24, v44
	v_lshrrev_b32_e32 v51, 16, v44
	v_sub_nc_u16 v53, v30, v44
	s_add_i32 s17, s17, 1
	s_delay_alu instid0(VALU_DEP_3) | instskip(SKIP_1) | instid1(VALU_DEP_2)
	v_sub_nc_u16 v46, v46, v50
	v_lshrrev_b32_e32 v50, 16, v30
	v_lshlrev_b16 v46, 8, v46
	s_delay_alu instid0(VALU_DEP_2) | instskip(SKIP_3) | instid1(VALU_DEP_2)
	v_sub_nc_u16 v52, v50, v51
	v_lshrrev_b16 v50, 8, v30
	v_lshrrev_b16 v30, 8, v44
	v_lshlrev_b32_e32 v44, 2, v60
	v_sub_nc_u16 v30, v50, v30
	s_delay_alu instid0(VALU_DEP_2) | instskip(SKIP_2) | instid1(VALU_DEP_4)
	v_and_b32_e32 v44, 0x4040404, v44
	v_bfe_u32 v50, v31, 24, 2
	v_and_b32_e32 v31, 0x3030303, v31
	v_lshlrev_b16 v30, 8, v30
	s_delay_alu instid0(VALU_DEP_4) | instskip(NEXT) | instid1(VALU_DEP_3)
	v_lshrrev_b32_e32 v51, 24, v44
	v_lshrrev_b16 v60, 8, v31
	s_delay_alu instid0(VALU_DEP_2) | instskip(SKIP_2) | instid1(VALU_DEP_3)
	v_sub_nc_u16 v73, v50, v51
	v_lshrrev_b32_e32 v50, 16, v31
	v_lshrrev_b32_e32 v51, 16, v44
	v_lshlrev_b16 v73, 8, v73
	s_delay_alu instid0(VALU_DEP_2) | instskip(SKIP_3) | instid1(VALU_DEP_2)
	v_sub_nc_u16 v50, v50, v51
	v_sub_nc_u16 v51, v31, v44
	v_lshrrev_b16 v31, 8, v44
	v_lshlrev_b32_e32 v44, 2, v61
	v_sub_nc_u16 v31, v60, v31
	s_delay_alu instid0(VALU_DEP_2) | instskip(SKIP_2) | instid1(VALU_DEP_4)
	v_and_b32_e32 v44, 0x4040404, v44
	v_bfe_u32 v60, v32, 24, 2
	v_and_b32_e32 v32, 0x3030303, v32
	v_lshlrev_b16 v31, 8, v31
	s_delay_alu instid0(VALU_DEP_4) | instskip(NEXT) | instid1(VALU_DEP_1)
	v_lshrrev_b32_e32 v61, 24, v44
	v_sub_nc_u16 v74, v60, v61
	s_delay_alu instid0(VALU_DEP_4) | instskip(SKIP_1) | instid1(VALU_DEP_3)
	v_lshrrev_b32_e32 v60, 16, v32
	v_lshrrev_b32_e32 v61, 16, v44
	v_lshlrev_b16 v74, 8, v74
	s_delay_alu instid0(VALU_DEP_2) | instskip(SKIP_4) | instid1(VALU_DEP_2)
	v_sub_nc_u16 v75, v60, v61
	v_lshrrev_b16 v60, 8, v32
	v_sub_nc_u16 v32, v32, v44
	v_lshrrev_b16 v44, 8, v44
	v_lshrrev_b32_e32 v61, 24, v56
	v_sub_nc_u16 v44, v60, v44
	v_bfe_u32 v60, v33, 24, 2
	v_and_b32_e32 v33, 0x3030303, v33
	s_delay_alu instid0(VALU_DEP_3) | instskip(NEXT) | instid1(VALU_DEP_3)
	v_lshlrev_b16 v44, 8, v44
	v_sub_nc_u16 v76, v60, v61
	s_delay_alu instid0(VALU_DEP_3) | instskip(SKIP_1) | instid1(VALU_DEP_3)
	v_lshrrev_b32_e32 v60, 16, v33
	v_lshrrev_b32_e32 v61, 16, v56
	v_lshlrev_b16 v76, 8, v76
	s_delay_alu instid0(VALU_DEP_2) | instskip(SKIP_3) | instid1(VALU_DEP_1)
	v_sub_nc_u16 v77, v60, v61
	v_lshrrev_b16 v60, 8, v33
	v_sub_nc_u16 v33, v33, v56
	v_lshrrev_b16 v56, 8, v56
	v_sub_nc_u16 v78, v60, v56
	v_lshlrev_b32_e32 v56, 2, v57
	v_bfe_u32 v57, v40, 24, 2
	v_and_b32_e32 v40, 0x3030303, v40
	s_delay_alu instid0(VALU_DEP_4) | instskip(NEXT) | instid1(VALU_DEP_4)
	v_lshlrev_b16 v78, 8, v78
	v_and_b32_e32 v56, 0x4040404, v56
	s_delay_alu instid0(VALU_DEP_1) | instskip(NEXT) | instid1(VALU_DEP_4)
	v_lshrrev_b32_e32 v60, 24, v56
	v_sub_nc_u16 v61, v40, v56
	s_delay_alu instid0(VALU_DEP_2) | instskip(SKIP_2) | instid1(VALU_DEP_3)
	v_sub_nc_u16 v81, v57, v60
	v_lshrrev_b32_e32 v57, 16, v40
	v_lshrrev_b32_e32 v60, 16, v56
	v_lshlrev_b16 v81, 8, v81
	s_delay_alu instid0(VALU_DEP_2) | instskip(SKIP_3) | instid1(VALU_DEP_2)
	v_sub_nc_u16 v60, v57, v60
	v_lshrrev_b16 v57, 8, v40
	v_lshrrev_b16 v40, 8, v56
	v_lshlrev_b32_e32 v56, 2, v62
	v_sub_nc_u16 v40, v57, v40
	s_delay_alu instid0(VALU_DEP_2) | instskip(SKIP_2) | instid1(VALU_DEP_4)
	v_and_b32_e32 v62, 0x4040404, v56
	v_bfe_u32 v56, v41, 24, 2
	v_and_b32_e32 v41, 0x3030303, v41
	v_lshlrev_b16 v40, 8, v40
	s_delay_alu instid0(VALU_DEP_4) | instskip(NEXT) | instid1(VALU_DEP_3)
	v_lshrrev_b32_e32 v57, 24, v62
	v_lshrrev_b16 v87, 8, v41
	s_delay_alu instid0(VALU_DEP_2) | instskip(SKIP_2) | instid1(VALU_DEP_3)
	v_sub_nc_u16 v84, v56, v57
	v_lshrrev_b32_e32 v56, 16, v41
	v_lshrrev_b32_e32 v57, 16, v62
	v_lshlrev_b16 v84, 8, v84
	s_delay_alu instid0(VALU_DEP_2)
	v_sub_nc_u16 v56, v56, v57
	v_sub_nc_u16 v57, v41, v62
	v_lshrrev_b16 v41, 8, v62
	v_lshlrev_b32_e32 v62, 2, v63
	v_bfe_u32 v63, v34, 24, 2
	v_and_b32_e32 v34, 0x3030303, v34
	s_delay_alu instid0(VALU_DEP_4) | instskip(NEXT) | instid1(VALU_DEP_4)
	v_sub_nc_u16 v41, v87, v41
	v_and_b32_e32 v62, 0x4040404, v62
	s_delay_alu instid0(VALU_DEP_2) | instskip(NEXT) | instid1(VALU_DEP_2)
	v_lshlrev_b16 v41, 8, v41
	v_lshrrev_b32_e32 v87, 24, v62
	v_lshrrev_b32_e32 v90, 16, v62
	s_delay_alu instid0(VALU_DEP_2) | instskip(SKIP_1) | instid1(VALU_DEP_2)
	v_sub_nc_u16 v63, v63, v87
	v_lshrrev_b32_e32 v87, 16, v34
	v_lshlrev_b16 v63, 8, v63
	s_delay_alu instid0(VALU_DEP_2) | instskip(SKIP_3) | instid1(VALU_DEP_1)
	v_sub_nc_u16 v87, v87, v90
	v_lshrrev_b16 v90, 8, v34
	v_sub_nc_u16 v34, v34, v62
	v_lshrrev_b16 v62, 8, v62
	v_sub_nc_u16 v62, v90, v62
	v_bfe_u32 v90, v35, 24, 2
	v_and_b32_e32 v35, 0x3030303, v35
	s_delay_alu instid0(VALU_DEP_3) | instskip(NEXT) | instid1(VALU_DEP_3)
	v_lshlrev_b16 v62, 8, v62
	v_sub_nc_u16 v90, v90, v91
	s_delay_alu instid0(VALU_DEP_3) | instskip(NEXT) | instid1(VALU_DEP_2)
	v_lshrrev_b32_e32 v91, 16, v35
	v_lshlrev_b16 v90, 8, v90
	s_delay_alu instid0(VALU_DEP_2) | instskip(SKIP_3) | instid1(VALU_DEP_1)
	v_sub_nc_u16 v91, v91, v96
	v_lshrrev_b16 v96, 8, v35
	v_sub_nc_u16 v35, v35, v64
	v_lshrrev_b16 v64, 8, v64
	v_sub_nc_u16 v64, v96, v64
	v_bfe_u32 v96, v36, 24, 2
	v_and_b32_e32 v36, 0x3030303, v36
	s_delay_alu instid0(VALU_DEP_3) | instskip(NEXT) | instid1(VALU_DEP_3)
	v_lshlrev_b16 v64, 8, v64
	v_sub_nc_u16 v96, v96, v100
	s_delay_alu instid0(VALU_DEP_3) | instskip(NEXT) | instid1(VALU_DEP_2)
	;; [unrolled: 14-line block ×7, first 2 shown]
	v_lshrrev_b32_e32 v142, 16, v43
	v_lshlrev_b16 v141, 8, v141
	s_delay_alu instid0(VALU_DEP_2) | instskip(SKIP_3) | instid1(VALU_DEP_1)
	v_sub_nc_u16 v142, v142, v143
	v_lshrrev_b16 v143, 8, v43
	v_sub_nc_u16 v43, v43, v71
	v_lshrrev_b16 v71, 8, v71
	v_sub_nc_u16 v71, v143, v71
	v_and_b32_e32 v143, 0xff, v54
	s_delay_alu instid0(VALU_DEP_2) | instskip(NEXT) | instid1(VALU_DEP_2)
	v_lshlrev_b16 v71, 8, v71
	v_or_b32_e32 v72, v143, v72
	v_and_b32_e32 v143, 0xff, v55
	s_delay_alu instid0(VALU_DEP_2) | instskip(NEXT) | instid1(VALU_DEP_2)
	v_perm_b32 v144, v72, v54, 0x5000c0c
	v_or_b32_e32 v28, v143, v28
	v_and_b32_e32 v143, 0xff, v58
	s_delay_alu instid0(VALU_DEP_1) | instskip(SKIP_1) | instid1(VALU_DEP_2)
	v_or_b32_e32 v45, v143, v45
	v_and_b32_e32 v143, 0xff, v59
	v_perm_b32 v145, v45, v58, 0x5000c0c
	s_delay_alu instid0(VALU_DEP_2) | instskip(SKIP_1) | instid1(VALU_DEP_1)
	v_or_b32_e32 v29, v143, v29
	v_and_b32_e32 v143, 0xff, v52
	v_or_b32_e32 v46, v143, v46
	v_and_b32_e32 v143, 0xff, v53
	s_delay_alu instid0(VALU_DEP_2) | instskip(NEXT) | instid1(VALU_DEP_2)
	v_perm_b32 v146, v46, v52, 0x5000c0c
	v_or_b32_e32 v30, v143, v30
	v_and_b32_e32 v143, 0xff, v50
	s_delay_alu instid0(VALU_DEP_1) | instskip(SKIP_1) | instid1(VALU_DEP_2)
	v_or_b32_e32 v73, v143, v73
	v_and_b32_e32 v143, 0xff, v51
	v_perm_b32 v147, v73, v50, 0x5000c0c
	s_delay_alu instid0(VALU_DEP_2) | instskip(SKIP_1) | instid1(VALU_DEP_1)
	v_or_b32_e32 v31, v143, v31
	v_and_b32_e32 v143, 0xff, v75
	;; [unrolled: 13-line block ×7, first 2 shown]
	v_or_b32_e32 v139, v143, v139
	v_and_b32_e32 v143, 0xff, v42
	s_delay_alu instid0(VALU_DEP_2) | instskip(NEXT) | instid1(VALU_DEP_2)
	v_perm_b32 v158, v139, v140, 0x5000c0c
	v_or_b32_e32 v70, v143, v70
	v_and_b32_e32 v143, 0xff, v142
	s_delay_alu instid0(VALU_DEP_1) | instskip(SKIP_1) | instid1(VALU_DEP_2)
	v_or_b32_e32 v141, v143, v141
	v_and_b32_e32 v143, 0xff, v43
	v_perm_b32 v159, v141, v142, 0x5000c0c
	s_delay_alu instid0(VALU_DEP_2) | instskip(SKIP_1) | instid1(VALU_DEP_1)
	v_or_b32_e32 v71, v143, v71
	v_perm_b32 v143, v28, v55, 0xc0c0500
	v_or_b32_e32 v143, v144, v143
	v_perm_b32 v144, v29, v59, 0xc0c0500
	s_delay_alu instid0(VALU_DEP_1) | instskip(SKIP_1) | instid1(VALU_DEP_1)
	v_or_b32_e32 v144, v145, v144
	v_perm_b32 v145, v30, v53, 0xc0c0500
	v_or_b32_e32 v145, v146, v145
	v_perm_b32 v146, v31, v51, 0xc0c0500
	s_delay_alu instid0(VALU_DEP_1) | instskip(SKIP_1) | instid1(VALU_DEP_1)
	v_or_b32_e32 v146, v147, v146
	v_perm_b32 v147, v44, v32, 0xc0c0500
	v_or_b32_e32 v147, v148, v147
	v_perm_b32 v148, v78, v33, 0xc0c0500
	s_delay_alu instid0(VALU_DEP_2) | instskip(NEXT) | instid1(VALU_DEP_2)
	v_dot4_i32_iu8 v160, v0, v147, 0 neg_lo:[1,1,0]
	v_or_b32_e32 v148, v149, v148
	v_perm_b32 v149, v40, v61, 0xc0c0500
	s_delay_alu instid0(VALU_DEP_2) | instskip(NEXT) | instid1(VALU_DEP_2)
	v_dot4_i32_iu8 v160, v1, v148, v160 neg_lo:[1,1,0]
	v_or_b32_e32 v149, v150, v149
	v_perm_b32 v150, v41, v57, 0xc0c0500
	s_delay_alu instid0(VALU_DEP_1) | instskip(SKIP_1) | instid1(VALU_DEP_1)
	v_or_b32_e32 v150, v151, v150
	v_perm_b32 v151, v62, v34, 0xc0c0500
	v_or_b32_e32 v151, v152, v151
	v_perm_b32 v152, v64, v35, 0xc0c0500
	s_delay_alu instid0(VALU_DEP_2) | instskip(NEXT) | instid1(VALU_DEP_2)
	v_dot4_i32_iu8 v161, v0, v151, 0 neg_lo:[1,1,0]
	v_or_b32_e32 v152, v153, v152
	v_perm_b32 v153, v65, v36, 0xc0c0500
	s_delay_alu instid0(VALU_DEP_2) | instskip(NEXT) | instid1(VALU_DEP_2)
	v_dot4_i32_iu8 v161, v1, v152, v161 neg_lo:[1,1,0]
	v_or_b32_e32 v153, v154, v153
	v_perm_b32 v154, v67, v37, 0xc0c0500
	s_delay_alu instid0(VALU_DEP_1) | instskip(SKIP_2) | instid1(VALU_DEP_2)
	v_or_b32_e32 v154, v155, v154
	v_perm_b32 v155, v68, v38, 0xc0c0500
	v_perm_b32 v38, v38, v130, 0x4010c0c
	v_or_b32_e32 v155, v156, v155
	v_perm_b32 v156, v69, v39, 0xc0c0500
	v_perm_b32 v39, v39, v137, 0x4010c0c
	s_delay_alu instid0(VALU_DEP_2) | instskip(SKIP_1) | instid1(VALU_DEP_1)
	v_or_b32_e32 v156, v157, v156
	v_perm_b32 v157, v70, v42, 0xc0c0500
	v_or_b32_e32 v157, v158, v157
	v_perm_b32 v158, v71, v43, 0xc0c0500
	s_delay_alu instid0(VALU_DEP_1) | instskip(SKIP_2) | instid1(VALU_DEP_2)
	v_or_b32_e32 v158, v159, v158
	v_dot4_i32_iu8 v159, v0, v143, 0 neg_lo:[1,1,0]
	v_dot4_i32_iu8 v0, v0, v155, 0 neg_lo:[1,1,0]
	;; [unrolled: 1-line block ×3, first 2 shown]
	s_delay_alu instid0(VALU_DEP_2) | instskip(NEXT) | instid1(VALU_DEP_2)
	v_dot4_i32_iu8 v0, v1, v156, v0 neg_lo:[1,1,0]
	v_dot4_i32_iu8 v1, v2, v145, v159 neg_lo:[1,1,0]
	;; [unrolled: 1-line block ×4, first 2 shown]
	s_delay_alu instid0(VALU_DEP_4)
	v_dot4_i32_iu8 v0, v2, v157, v0 neg_lo:[1,1,0]
	v_dot4_i32_iu8 v2, v4, v151, 0 neg_lo:[1,1,0]
	v_dot4_i32_iu8 v161, v3, v146, v1 neg_lo:[1,1,0]
	v_dot4_i32_iu8 v159, v3, v150, v159 neg_lo:[1,1,0]
	v_dot4_i32_iu8 v160, v3, v154, v160 neg_lo:[1,1,0]
	v_dot4_i32_iu8 v162, v3, v158, v0 neg_lo:[1,1,0]
	v_dot4_i32_iu8 v0, v4, v143, 0 neg_lo:[1,1,0]
	v_dot4_i32_iu8 v1, v4, v147, 0 neg_lo:[1,1,0]
	v_dot4_i32_iu8 v3, v4, v155, 0 neg_lo:[1,1,0]
	v_dot4_i32_iu8 v2, v5, v152, v2 neg_lo:[1,1,0]
	s_delay_alu instid0(VALU_DEP_4) | instskip(NEXT) | instid1(VALU_DEP_4)
	v_dot4_i32_iu8 v0, v5, v144, v0 neg_lo:[1,1,0]
	v_dot4_i32_iu8 v1, v5, v148, v1 neg_lo:[1,1,0]
	s_delay_alu instid0(VALU_DEP_4) | instskip(NEXT) | instid1(VALU_DEP_4)
	v_dot4_i32_iu8 v3, v5, v156, v3 neg_lo:[1,1,0]
	v_dot4_i32_iu8 v2, v6, v153, v2 neg_lo:[1,1,0]
	s_delay_alu instid0(VALU_DEP_4) | instskip(NEXT) | instid1(VALU_DEP_4)
	v_dot4_i32_iu8 v0, v6, v145, v0 neg_lo:[1,1,0]
	v_dot4_i32_iu8 v1, v6, v149, v1 neg_lo:[1,1,0]
	s_delay_alu instid0(VALU_DEP_4) | instskip(NEXT) | instid1(VALU_DEP_4)
	v_dot4_i32_iu8 v3, v6, v157, v3 neg_lo:[1,1,0]
	v_dot4_i32_iu8 v165, v7, v154, v2 neg_lo:[1,1,0]
	v_dot4_i32_iu8 v2, v8, v151, 0 neg_lo:[1,1,0]
	v_dot4_i32_iu8 v163, v7, v146, v0 neg_lo:[1,1,0]
	v_dot4_i32_iu8 v164, v7, v150, v1 neg_lo:[1,1,0]
	v_dot4_i32_iu8 v166, v7, v158, v3 neg_lo:[1,1,0]
	v_dot4_i32_iu8 v0, v8, v143, 0 neg_lo:[1,1,0]
	v_dot4_i32_iu8 v1, v8, v147, 0 neg_lo:[1,1,0]
	v_dot4_i32_iu8 v3, v8, v155, 0 neg_lo:[1,1,0]
	v_dot4_i32_iu8 v2, v9, v152, v2 neg_lo:[1,1,0]
	s_delay_alu instid0(VALU_DEP_4) | instskip(NEXT) | instid1(VALU_DEP_4)
	v_dot4_i32_iu8 v0, v9, v144, v0 neg_lo:[1,1,0]
	v_dot4_i32_iu8 v1, v9, v148, v1 neg_lo:[1,1,0]
	s_delay_alu instid0(VALU_DEP_4) | instskip(NEXT) | instid1(VALU_DEP_4)
	v_dot4_i32_iu8 v3, v9, v156, v3 neg_lo:[1,1,0]
	v_dot4_i32_iu8 v2, v10, v153, v2 neg_lo:[1,1,0]
	s_delay_alu instid0(VALU_DEP_4) | instskip(NEXT) | instid1(VALU_DEP_4)
	v_dot4_i32_iu8 v0, v10, v145, v0 neg_lo:[1,1,0]
	v_dot4_i32_iu8 v1, v10, v149, v1 neg_lo:[1,1,0]
	s_delay_alu instid0(VALU_DEP_4) | instskip(NEXT) | instid1(VALU_DEP_4)
	;; [unrolled: 20-line block ×5, first 2 shown]
	v_dot4_i32_iu8 v3, v22, v157, v3 neg_lo:[1,1,0]
	v_dot4_i32_iu8 v175, v23, v154, v2 neg_lo:[1,1,0]
	;; [unrolled: 1-line block ×10, first 2 shown]
	v_perm_b32 v22, v210, v238, 0xc0c0401
	v_dot4_i32_iu8 v0, v25, v144, v0 neg_lo:[1,1,0]
	v_dot4_i32_iu8 v1, v25, v148, v1 neg_lo:[1,1,0]
	;; [unrolled: 1-line block ×4, first 2 shown]
	v_perm_b32 v23, v211, v240, 0x4010c0c
	v_dot4_i32_iu8 v0, v26, v145, v0 neg_lo:[1,1,0]
	v_dot4_i32_iu8 v1, v26, v149, v1 neg_lo:[1,1,0]
	;; [unrolled: 1-line block ×4, first 2 shown]
	v_perm_b32 v24, v212, v235, 0xc0c0401
	v_dot4_i32_iu8 v12, v27, v146, v0 neg_lo:[1,1,0]
	v_dot4_i32_iu8 v18, v27, v150, v1 neg_lo:[1,1,0]
	;; [unrolled: 1-line block ×3, first 2 shown]
	ds_load_b128 v[0:3], v192
	ds_load_b128 v[4:7], v192 offset:16
	s_clause 0x1
	scratch_load_b32 v15, off, off
	scratch_load_b32 v19, off, off offset:4
	v_perm_b32 v25, v213, v236, 0x4010c0c
	v_perm_b32 v27, v218, v89, 0xc0c0401
	;; [unrolled: 1-line block ×3, first 2 shown]
	v_add_nc_u32_e32 v192, 32, v192
	s_waitcnt lgkmcnt(1)
	v_perm_b32 v13, v0, v0, 0x30201
	v_perm_b32 v14, v1, v1, 0x30201
	s_clause 0x1
	scratch_load_b32 v0, off, off offset:144
	scratch_load_b32 v1, off, off offset:136
	s_waitcnt lgkmcnt(0)
	v_perm_b32 v4, v4, v4, 0x30201
	v_perm_b32 v5, v5, v5, 0x30201
	;; [unrolled: 1-line block ×6, first 2 shown]
	s_waitcnt vmcnt(3)
	v_add_nc_u32_e32 v15, s20, v15
	s_waitcnt vmcnt(2)
	v_add_nc_u32_e32 v19, s20, v19
	ds_load_b32 v15, v15
	s_waitcnt vmcnt(1)
	v_add3_u32 v0, v0, s19, v49
	s_waitcnt vmcnt(0)
	v_add3_u32 v1, v1, s19, v49
	ds_load_b32 v19, v19
	ds_load_u16 v20, v0
	ds_load_u16 v21, v1
	ds_load_2addr_b32 v[0:1], v242 offset1:32
	v_perm_b32 v49, v219, v227, 0x4010c0c
	s_add_i32 s19, s1, s16
	s_delay_alu instid0(SALU_CYCLE_1) | instskip(NEXT) | instid1(SALU_CYCLE_1)
	s_add_i32 s19, s19, 8
	s_cmp_lt_u32 s19, s18
	s_waitcnt lgkmcnt(0)
	v_mul_f32_e32 v144, v0, v194
	v_mul_f32_e32 v145, v0, v15
	v_mul_f32_e32 v146, v0, v195
	v_dual_mul_f32 v147, v0, v19 :: v_dual_mul_f32 v148, v194, v1
	v_mul_f32_e32 v149, v15, v1
	v_mul_f32_e32 v150, v195, v1
	v_mul_f32_e32 v151, v19, v1
	ds_load_2addr_b32 v[0:1], v242 offset0:64 offset1:96
	s_waitcnt lgkmcnt(0)
	v_mul_f32_e32 v152, v194, v0
	v_mul_f32_e32 v153, v15, v0
	v_mul_f32_e32 v154, v195, v0
	v_dual_mul_f32 v155, v19, v0 :: v_dual_mul_f32 v156, v194, v1
	v_mul_f32_e32 v157, v15, v1
	v_mul_f32_e32 v158, v195, v1
	v_mul_f32_e32 v177, v19, v1
	ds_load_2addr_b32 v[0:1], v242 offset0:128 offset1:160
	;; [unrolled: 9-line block ×3, first 2 shown]
	v_add_nc_u32_e32 v242, 4, v242
	s_waitcnt lgkmcnt(0)
	v_mul_f32_e32 v186, v194, v0
	v_dual_mul_f32 v187, v194, v1 :: v_dual_mul_f32 v188, v15, v0
	v_mul_f32_e32 v189, v15, v1
	v_mul_f32_e32 v190, v195, v0
	;; [unrolled: 1-line block ×5, first 2 shown]
	v_perm_b32 v0, v202, v247, 0xc0c0401
	v_perm_b32 v1, v203, v245, 0x4010c0c
	;; [unrolled: 1-line block ×4, first 2 shown]
	s_delay_alu instid0(VALU_DEP_3) | instskip(NEXT) | instid1(VALU_DEP_2)
	v_or_b32_e32 v0, v1, v0
	v_or_b32_e32 v1, v19, v15
	;; [unrolled: 1-line block ×8, first 2 shown]
	v_dot4_i32_iu8 v0, v0, v13, 0 neg_lo:[1,1,0]
	v_dot4_i32_iu8 v15, v15, v13, 0 neg_lo:[1,1,0]
	;; [unrolled: 1-line block ×4, first 2 shown]
	v_perm_b32 v24, v75, v44, 0xc0c0401
	v_dot4_i32_iu8 v0, v1, v14, v0 neg_lo:[1,1,0]
	v_dot4_i32_iu8 v1, v19, v14, v15 neg_lo:[1,1,0]
	;; [unrolled: 1-line block ×4, first 2 shown]
	v_perm_b32 v14, v54, v28, 0xc0c0401
	v_perm_b32 v19, v55, v72, 0x4010c0c
	;; [unrolled: 1-line block ×13, first 2 shown]
	v_or_b32_e32 v14, v19, v14
	v_or_b32_e32 v19, v23, v22
	;; [unrolled: 1-line block ×8, first 2 shown]
	v_dot4_i32_iu8 v14, v14, v4, 0 neg_lo:[1,1,0]
	v_dot4_i32_iu8 v22, v22, v4, 0 neg_lo:[1,1,0]
	v_dot4_i32_iu8 v24, v24, v4, 0 neg_lo:[1,1,0]
	v_dot4_i32_iu8 v4, v27, v4, 0 neg_lo:[1,1,0]
	v_perm_b32 v27, v214, v244, 0xc0c0401
	v_dot4_i32_iu8 v14, v19, v5, v14 neg_lo:[1,1,0]
	v_dot4_i32_iu8 v19, v23, v5, v22 neg_lo:[1,1,0]
	;; [unrolled: 1-line block ×4, first 2 shown]
	s_clause 0x4
	scratch_load_b32 v5, off, off offset:96
	scratch_load_b32 v24, off, off offset:108
	;; [unrolled: 1-line block ×5, first 2 shown]
	v_perm_b32 v29, v222, v253, 0xc0c0401
	v_perm_b32 v32, v223, v252, 0x4010c0c
	v_mov_b32_e32 v93, v95
	s_clause 0x4
	scratch_load_b32 v95, off, off offset:48
	scratch_load_b32 v75, off, off offset:24
	scratch_load_b32 v77, off, off offset:28
	scratch_load_b32 v87, off, off offset:36
	scratch_load_b32 v69, off, off offset:8
	v_mov_b32_e32 v83, v109
	v_dual_mov_b32 v89, v104 :: v_dual_mov_b32 v78, v231
	v_dual_mov_b32 v76, v230 :: v_dual_mov_b32 v45, v193
	v_mov_b32_e32 v193, v82
	scratch_load_b32 v90, off, off offset:40 ; 4-byte Folded Reload
	s_waitcnt vmcnt(10)
	v_perm_b32 v5, v198, v5, 0xc0c0401
	s_waitcnt vmcnt(9)
	v_perm_b32 v24, v206, v24, 0xc0c0401
	s_waitcnt vmcnt(8)
	v_perm_b32 v28, v215, v28, 0x4010c0c
	s_waitcnt vmcnt(7)
	v_perm_b32 v25, v207, v25, 0x4010c0c
	s_waitcnt vmcnt(6)
	v_perm_b32 v23, v199, v23, 0x4010c0c
	s_delay_alu instid0(VALU_DEP_1) | instskip(NEXT) | instid1(VALU_DEP_3)
	v_or_b32_e32 v5, v23, v5
	v_or_b32_e32 v23, v25, v24
	v_or_b32_e32 v24, v28, v27
	v_or_b32_e32 v25, v32, v29
	v_perm_b32 v27, v36, v96, 0x4010c0c
	v_dot4_i32_iu8 v0, v5, v2, v0 neg_lo:[1,1,0]
	v_dot4_i32_iu8 v1, v23, v2, v1 neg_lo:[1,1,0]
	;; [unrolled: 1-line block ×4, first 2 shown]
	v_perm_b32 v13, v52, v30, 0xc0c0401
	v_perm_b32 v15, v53, v46, 0x4010c0c
	v_perm_b32 v23, v60, v40, 0xc0c0401
	v_perm_b32 v24, v61, v81, 0x4010c0c
	v_perm_b32 v25, v100, v65, 0xc0c0401
	v_perm_b32 v28, v140, v70, 0xc0c0401
	scratch_load_b32 v70, off, off offset:12 ; 4-byte Folded Reload
	v_perm_b32 v29, v42, v139, 0x4010c0c
	v_or_b32_e32 v13, v15, v13
	v_or_b32_e32 v15, v24, v23
	;; [unrolled: 1-line block ×3, first 2 shown]
	v_perm_b32 v27, v216, v243, 0xc0c0401
	v_or_b32_e32 v24, v29, v28
	v_dot4_i32_iu8 v13, v13, v6, v14 neg_lo:[1,1,0]
	v_dot4_i32_iu8 v14, v15, v6, v19 neg_lo:[1,1,0]
	v_dot4_i32_iu8 v15, v23, v6, v22 neg_lo:[1,1,0]
	scratch_load_b32 v22, off, off offset:80 ; 4-byte Folded Reload
	v_dot4_i32_iu8 v4, v24, v6, v4 neg_lo:[1,1,0]
	s_clause 0x5
	scratch_load_b32 v6, off, off offset:72
	scratch_load_b32 v24, off, off offset:88
	;; [unrolled: 1-line block ×6, first 2 shown]
	v_dual_mov_b32 v46, v85 :: v_dual_mov_b32 v85, v86
	v_mov_b32_e32 v86, v88
	v_mov_b32_e32 v88, v92
	;; [unrolled: 1-line block ×3, first 2 shown]
	v_dual_mov_b32 v94, v234 :: v_dual_mov_b32 v65, v225
	s_waitcnt vmcnt(6)
	v_perm_b32 v22, v200, v22, 0xc0c0401
	s_waitcnt vmcnt(5)
	v_perm_b32 v6, v196, v6, 0xc0c0401
	;; [unrolled: 2-line block ×7, first 2 shown]
	s_delay_alu instid0(VALU_DEP_1) | instskip(NEXT) | instid1(VALU_DEP_3)
	v_or_b32_e32 v6, v19, v6
	v_or_b32_e32 v19, v23, v22
	;; [unrolled: 1-line block ×4, first 2 shown]
	v_perm_b32 v24, v142, v71, 0xc0c0401
	v_dot4_i32_iu8 v0, v6, v3, v0 neg_lo:[1,1,0]
	v_dot4_i32_iu8 v19, v19, v3, v1 neg_lo:[1,1,0]
	;; [unrolled: 1-line block ×4, first 2 shown]
	v_perm_b32 v1, v50, v31, 0xc0c0401
	v_perm_b32 v2, v51, v73, 0x4010c0c
	;; [unrolled: 1-line block ×6, first 2 shown]
	v_or_b32_e32 v1, v2, v1
	v_perm_b32 v25, v43, v141, 0x4010c0c
	v_or_b32_e32 v2, v5, v3
	scratch_load_b32 v73, off, off offset:16 ; 4-byte Folded Reload
	v_or_b32_e32 v3, v23, v6
	v_dot4_i32_iu8 v6, v1, v7, v13 neg_lo:[1,1,0]
	v_lshrrev_b16 v1, 8, v20
	v_dot4_i32_iu8 v13, v2, v7, v14 neg_lo:[1,1,0]
	v_bfe_i32 v14, v20, 0, 8
	v_dot4_i32_iu8 v23, v3, v7, v15 neg_lo:[1,1,0]
	v_or_b32_e32 v5, v25, v24
	v_bfe_i32 v15, v1, 0, 8
	v_bfe_i32 v20, v47, 0, 8
	v_mul_lo_u32 v0, v0, v14
	v_bfe_i32 v25, v21, 0, 8
	v_dot4_i32_iu8 v28, v5, v7, v4 neg_lo:[1,1,0]
	s_clause 0x1
	scratch_load_b32 v84, off, off offset:32
	scratch_load_b32 v74, off, off offset:20
	v_mov_b32_e32 v31, v224
	v_mad_u64_u32 v[1:2], null, v6, v15, v[0:1]
	v_mul_lo_u32 v0, v108, v14
	s_delay_alu instid0(VALU_DEP_1) | instskip(SKIP_1) | instid1(VALU_DEP_1)
	v_mad_u64_u32 v[2:3], null, v161, v15, v[0:1]
	v_mul_lo_u32 v0, v101, v14
	v_mad_u64_u32 v[3:4], null, v163, v15, v[0:1]
	v_mul_lo_u32 v0, v102, v14
	s_delay_alu instid0(VALU_DEP_1) | instskip(SKIP_1) | instid1(VALU_DEP_1)
	v_mad_u64_u32 v[4:5], null, v8, v15, v[0:1]
	v_mul_lo_u32 v0, v116, v14
	;; [unrolled: 5-line block ×3, first 2 shown]
	v_mad_u64_u32 v[7:8], null, v11, v15, v[0:1]
	v_mul_lo_u32 v0, v135, v14
	s_delay_alu instid0(VALU_DEP_1) | instskip(SKIP_1) | instid1(VALU_DEP_1)
	v_mad_u64_u32 v[8:9], null, v12, v15, v[0:1]
	v_lshrrev_b16 v0, 8, v47
	v_bfe_i32 v24, v0, 0, 8
	v_mul_lo_u32 v0, v19, v20
	s_delay_alu instid0(VALU_DEP_1) | instskip(SKIP_1) | instid1(VALU_DEP_1)
	v_mad_u64_u32 v[9:10], null, v13, v24, v[0:1]
	v_mul_lo_u32 v0, v250, v20
	v_mad_u64_u32 v[10:11], null, v159, v24, v[0:1]
	v_mul_lo_u32 v0, v110, v20
	s_delay_alu instid0(VALU_DEP_1) | instskip(SKIP_1) | instid1(VALU_DEP_1)
	v_mad_u64_u32 v[11:12], null, v164, v24, v[0:1]
	v_mul_lo_u32 v0, v103, v20
	v_mad_u64_u32 v[12:13], null, v167, v24, v[0:1]
	;; [unrolled: 5-line block ×4, first 2 shown]
	v_lshrrev_b16 v0, 8, v21
	s_delay_alu instid0(VALU_DEP_1) | instskip(SKIP_1) | instid1(VALU_DEP_1)
	v_bfe_i32 v29, v0, 0, 8
	v_mul_lo_u32 v0, v22, v25
	v_mad_u64_u32 v[17:18], null, v23, v29, v[0:1]
	v_mul_lo_u32 v0, v241, v25
	s_delay_alu instid0(VALU_DEP_1) | instskip(SKIP_1) | instid1(VALU_DEP_1)
	v_mad_u64_u32 v[18:19], null, v160, v29, v[0:1]
	v_mul_lo_u32 v0, v249, v25
	v_mad_u64_u32 v[19:20], null, v165, v29, v[0:1]
	v_mul_lo_u32 v0, v255, v25
	s_delay_alu instid0(VALU_DEP_1) | instskip(SKIP_1) | instid1(VALU_DEP_1)
	v_mad_u64_u32 v[20:21], null, v168, v29, v[0:1]
	;; [unrolled: 5-line block ×3, first 2 shown]
	v_mul_lo_u32 v0, v114, v25
	v_mad_u64_u32 v[23:24], null, v175, v29, v[0:1]
	v_mul_lo_u32 v0, v125, v25
	s_delay_alu instid0(VALU_DEP_1) | instskip(SKIP_2) | instid1(VALU_DEP_2)
	v_mad_u64_u32 v[24:25], null, v26, v29, v[0:1]
	v_lshrrev_b16 v0, 8, v48
	v_bfe_i32 v29, v48, 0, 8
	v_bfe_i32 v30, v0, 0, 8
	s_delay_alu instid0(VALU_DEP_2) | instskip(NEXT) | instid1(VALU_DEP_1)
	v_mul_lo_u32 v0, v27, v29
	v_mad_u64_u32 v[25:26], null, v28, v30, v[0:1]
	s_clause 0x4
	scratch_load_b32 v28, off, off offset:64
	scratch_load_b32 v91, off, off offset:44
	;; [unrolled: 1-line block ×5, first 2 shown]
	v_mul_lo_u32 v0, v237, v29
	s_delay_alu instid0(VALU_DEP_1) | instskip(SKIP_1) | instid1(VALU_DEP_1)
	v_mad_u64_u32 v[26:27], null, v162, v30, v[0:1]
	v_mul_lo_u32 v0, v239, v29
	v_mad_u64_u32 v[47:48], null, v166, v30, v[0:1]
	v_mul_lo_u32 v0, v246, v29
	s_delay_alu instid0(VALU_DEP_1) | instskip(SKIP_1) | instid1(VALU_DEP_1)
	v_mad_u64_u32 v[48:49], null, v169, v30, v[0:1]
	v_mul_lo_u32 v0, v254, v29
	v_mad_u64_u32 v[49:50], null, v172, v30, v[0:1]
	;; [unrolled: 5-line block ×3, first 2 shown]
	v_mul_lo_u32 v0, v111, v29
	s_delay_alu instid0(VALU_DEP_1) | instskip(SKIP_1) | instid1(VALU_DEP_1)
	v_mad_u64_u32 v[52:53], null, v143, v30, v[0:1]
	v_cvt_f32_i32_e32 v0, v1
	v_fmac_f32_e32 v31, v144, v0
	v_cvt_f32_i32_e32 v0, v9
	s_delay_alu instid0(VALU_DEP_1) | instskip(SKIP_1) | instid1(VALU_DEP_1)
	v_fmac_f32_e32 v94, v145, v0
	v_cvt_f32_i32_e32 v0, v17
	v_fmac_f32_e32 v93, v146, v0
	v_cvt_f32_i32_e32 v0, v25
	s_delay_alu instid0(VALU_DEP_1) | instskip(SKIP_1) | instid1(VALU_DEP_1)
	v_fmac_f32_e32 v92, v147, v0
	v_cvt_f32_i32_e32 v0, v2
	v_fmac_f32_e32 v89, v148, v0
	v_cvt_f32_i32_e32 v0, v10
	s_delay_alu instid0(VALU_DEP_1) | instskip(SKIP_2) | instid1(VALU_DEP_1)
	v_fmac_f32_e32 v88, v149, v0
	v_cvt_f32_i32_e32 v0, v18
	s_waitcnt vmcnt(2)
	v_fmac_f32_e32 v108, v150, v0
	v_cvt_f32_i32_e32 v0, v26
	s_delay_alu instid0(VALU_DEP_1) | instskip(SKIP_1) | instid1(VALU_DEP_1)
	v_fmac_f32_e32 v86, v151, v0
	v_cvt_f32_i32_e32 v0, v3
	v_fmac_f32_e32 v85, v152, v0
	v_cvt_f32_i32_e32 v0, v11
	s_delay_alu instid0(VALU_DEP_1) | instskip(SKIP_1) | instid1(VALU_DEP_1)
	v_fmac_f32_e32 v83, v153, v0
	v_cvt_f32_i32_e32 v0, v19
	;; [unrolled: 5-line block ×11, first 2 shown]
	v_fmac_f32_e32 v113, v187, v0
	v_cvt_f32_i32_e32 v0, v16
	s_waitcnt vmcnt(0)
	s_delay_alu instid0(VALU_DEP_1) | instskip(SKIP_1) | instid1(VALU_DEP_1)
	v_fmac_f32_e32 v109, v189, v0
	v_cvt_f32_i32_e32 v0, v24
	v_fmac_f32_e32 v112, v191, v0
	v_cvt_f32_i32_e32 v0, v52
	s_delay_alu instid0(VALU_DEP_1)
	v_fmac_f32_e32 v28, v195, v0
	s_cbranch_scc1 .LBB150_12
; %bb.13:                               ;   in Loop: Header=BB150_8 Depth=2
	s_waitcnt_vscnt null, 0x0
	s_barrier
	buffer_gl0_inv
	s_clause 0x9
	scratch_load_b32 v81, off, off
	scratch_load_b32 v96, off, off offset:4
	scratch_load_b32 v97, off, off offset:116
	;; [unrolled: 1-line block ×9, first 2 shown]
	s_add_i32 s1, s1, 16
	s_cmp_eq_u32 s14, 4
	s_cselect_b32 s15, -1, 0
	s_delay_alu instid0(SALU_CYCLE_1)
	s_and_b32 vcc_lo, exec_lo, s15
	s_cbranch_vccz .LBB150_8
	s_branch .LBB150_5
.LBB150_14:
	s_clause 0x2
	scratch_load_b32 v1, off, off offset:580
	scratch_load_b32 v0, off, off offset:152
	;; [unrolled: 1-line block ×3, first 2 shown]
.LBB150_15:
	s_mov_b32 s0, exec_lo
	s_waitcnt vmcnt(0)
	v_cmpx_gt_u32_e64 s6, v2
	s_cbranch_execz .LBB150_66
; %bb.16:
	v_add_nc_u32_e32 v0, s12, v0
	v_mul_lo_u32 v5, v2, s10
	s_delay_alu instid0(VALU_DEP_2)
	v_cmp_gt_u32_e32 vcc_lo, s10, v0
	s_and_saveexec_b32 s1, vcc_lo
	s_cbranch_execz .LBB150_18
; %bb.17:
	s_delay_alu instid0(VALU_DEP_2) | instskip(SKIP_1) | instid1(VALU_DEP_2)
	v_dual_mov_b32 v3, 0 :: v_dual_add_nc_u32 v2, v0, v5
	v_cvt_f16_f32_e32 v4, v31
	v_lshlrev_b64 v[2:3], 1, v[2:3]
	s_waitcnt lgkmcnt(0)
	s_delay_alu instid0(VALU_DEP_1) | instskip(NEXT) | instid1(VALU_DEP_1)
	v_add_co_u32 v2, s0, s8, v2
	v_add_co_ci_u32_e64 v3, s0, s9, v3, s0
	global_store_b16 v[2:3], v4, off
.LBB150_18:
	s_or_b32 exec_lo, exec_lo, s1
	v_add_nc_u32_e32 v2, 32, v0
	s_delay_alu instid0(VALU_DEP_1) | instskip(NEXT) | instid1(VALU_DEP_1)
	v_cmp_gt_u32_e64 s0, s10, v2
	s_and_saveexec_b32 s2, s0
	s_cbranch_execz .LBB150_20
; %bb.19:
	v_dual_mov_b32 v4, 0 :: v_dual_add_nc_u32 v3, v2, v5
	v_cvt_f16_f32_e32 v6, v94
	s_delay_alu instid0(VALU_DEP_2) | instskip(SKIP_1) | instid1(VALU_DEP_1)
	v_lshlrev_b64 v[3:4], 1, v[3:4]
	s_waitcnt lgkmcnt(0)
	v_add_co_u32 v3, s1, s8, v3
	s_delay_alu instid0(VALU_DEP_1)
	v_add_co_ci_u32_e64 v4, s1, s9, v4, s1
	global_store_b16 v[3:4], v6, off
.LBB150_20:
	s_or_b32 exec_lo, exec_lo, s2
	v_add_nc_u32_e32 v3, 64, v0
	s_delay_alu instid0(VALU_DEP_1) | instskip(NEXT) | instid1(VALU_DEP_1)
	v_cmp_gt_u32_e64 s1, s10, v3
	s_and_saveexec_b32 s3, s1
	s_cbranch_execz .LBB150_22
; %bb.21:
	v_dual_mov_b32 v7, 0 :: v_dual_add_nc_u32 v6, v3, v5
	v_cvt_f16_f32_e32 v4, v93
	s_delay_alu instid0(VALU_DEP_2) | instskip(SKIP_1) | instid1(VALU_DEP_1)
	v_lshlrev_b64 v[6:7], 1, v[6:7]
	s_waitcnt lgkmcnt(0)
	v_add_co_u32 v6, s2, s8, v6
	s_delay_alu instid0(VALU_DEP_1)
	v_add_co_ci_u32_e64 v7, s2, s9, v7, s2
	global_store_b16 v[6:7], v4, off
.LBB150_22:
	;; [unrolled: 17-line block ×3, first 2 shown]
	s_or_b32 exec_lo, exec_lo, s4
	v_add3_u32 v5, v1, s11, 8
	s_delay_alu instid0(VALU_DEP_1) | instskip(NEXT) | instid1(VALU_DEP_1)
	v_cmp_gt_u32_e64 s3, s6, v5
	s_and_b32 exec_lo, exec_lo, s3
	s_cbranch_execz .LBB150_66
; %bb.25:
	v_mul_lo_u32 v5, v5, s10
	s_and_saveexec_b32 s4, vcc_lo
	s_cbranch_execnz .LBB150_67
; %bb.26:
	s_or_b32 exec_lo, exec_lo, s4
	s_and_saveexec_b32 s4, s0
	s_cbranch_execnz .LBB150_68
.LBB150_27:
	s_or_b32 exec_lo, exec_lo, s4
	s_and_saveexec_b32 s4, s1
	s_cbranch_execnz .LBB150_69
.LBB150_28:
	s_or_b32 exec_lo, exec_lo, s4
	s_and_saveexec_b32 s4, s2
	s_cbranch_execz .LBB150_30
.LBB150_29:
	v_dual_mov_b32 v6, 0 :: v_dual_add_nc_u32 v5, v5, v4
	v_cvt_f16_f32_e32 v7, v86
	s_delay_alu instid0(VALU_DEP_2) | instskip(SKIP_1) | instid1(VALU_DEP_1)
	v_lshlrev_b64 v[5:6], 1, v[5:6]
	s_waitcnt lgkmcnt(0)
	v_add_co_u32 v5, s3, s8, v5
	s_delay_alu instid0(VALU_DEP_1)
	v_add_co_ci_u32_e64 v6, s3, s9, v6, s3
	global_store_b16 v[5:6], v7, off
.LBB150_30:
	s_or_b32 exec_lo, exec_lo, s4
	v_add3_u32 v5, v1, s11, 16
	s_delay_alu instid0(VALU_DEP_1) | instskip(NEXT) | instid1(VALU_DEP_1)
	v_cmp_gt_u32_e64 s3, s6, v5
	s_and_b32 exec_lo, exec_lo, s3
	s_cbranch_execz .LBB150_66
; %bb.31:
	v_mul_lo_u32 v5, v5, s10
	s_and_saveexec_b32 s4, vcc_lo
	s_cbranch_execnz .LBB150_70
; %bb.32:
	s_or_b32 exec_lo, exec_lo, s4
	s_and_saveexec_b32 s4, s0
	s_cbranch_execnz .LBB150_71
.LBB150_33:
	s_or_b32 exec_lo, exec_lo, s4
	s_and_saveexec_b32 s4, s1
	s_cbranch_execnz .LBB150_72
.LBB150_34:
	s_or_b32 exec_lo, exec_lo, s4
	s_and_saveexec_b32 s4, s2
	s_cbranch_execz .LBB150_36
.LBB150_35:
	v_dual_mov_b32 v6, 0 :: v_dual_add_nc_u32 v5, v5, v4
	v_cvt_f16_f32_e32 v7, v76
	s_delay_alu instid0(VALU_DEP_2) | instskip(SKIP_1) | instid1(VALU_DEP_1)
	v_lshlrev_b64 v[5:6], 1, v[5:6]
	s_waitcnt lgkmcnt(0)
	v_add_co_u32 v5, s3, s8, v5
	s_delay_alu instid0(VALU_DEP_1)
	v_add_co_ci_u32_e64 v6, s3, s9, v6, s3
	global_store_b16 v[5:6], v7, off
.LBB150_36:
	s_or_b32 exec_lo, exec_lo, s4
	v_add3_u32 v5, v1, s11, 24
	s_delay_alu instid0(VALU_DEP_1) | instskip(NEXT) | instid1(VALU_DEP_1)
	v_cmp_gt_u32_e64 s3, s6, v5
	s_and_b32 exec_lo, exec_lo, s3
	s_cbranch_execz .LBB150_66
; %bb.37:
	v_mul_lo_u32 v5, v5, s10
	s_and_saveexec_b32 s4, vcc_lo
	s_cbranch_execnz .LBB150_73
; %bb.38:
	s_or_b32 exec_lo, exec_lo, s4
	s_and_saveexec_b32 s4, s0
	s_cbranch_execnz .LBB150_74
.LBB150_39:
	s_or_b32 exec_lo, exec_lo, s4
	s_and_saveexec_b32 s4, s1
	s_cbranch_execnz .LBB150_75
.LBB150_40:
	s_or_b32 exec_lo, exec_lo, s4
	s_and_saveexec_b32 s4, s2
	s_cbranch_execz .LBB150_42
.LBB150_41:
	v_dual_mov_b32 v6, 0 :: v_dual_add_nc_u32 v5, v5, v4
	v_cvt_f16_f32_e32 v7, v45
	s_delay_alu instid0(VALU_DEP_2) | instskip(SKIP_1) | instid1(VALU_DEP_1)
	v_lshlrev_b64 v[5:6], 1, v[5:6]
	s_waitcnt lgkmcnt(0)
	v_add_co_u32 v5, s3, s8, v5
	s_delay_alu instid0(VALU_DEP_1)
	v_add_co_ci_u32_e64 v6, s3, s9, v6, s3
	global_store_b16 v[5:6], v7, off
.LBB150_42:
	s_or_b32 exec_lo, exec_lo, s4
	v_add3_u32 v5, v1, s11, 32
	s_delay_alu instid0(VALU_DEP_1) | instskip(NEXT) | instid1(VALU_DEP_1)
	v_cmp_gt_u32_e64 s3, s6, v5
	s_and_b32 exec_lo, exec_lo, s3
	s_cbranch_execz .LBB150_66
; %bb.43:
	v_mul_lo_u32 v5, v5, s10
	s_and_saveexec_b32 s4, vcc_lo
	s_cbranch_execnz .LBB150_76
; %bb.44:
	s_or_b32 exec_lo, exec_lo, s4
	s_and_saveexec_b32 s4, s0
	s_cbranch_execnz .LBB150_77
.LBB150_45:
	s_or_b32 exec_lo, exec_lo, s4
	s_and_saveexec_b32 s4, s1
	s_cbranch_execnz .LBB150_78
.LBB150_46:
	s_or_b32 exec_lo, exec_lo, s4
	s_and_saveexec_b32 s4, s2
	s_cbranch_execz .LBB150_48
.LBB150_47:
	v_dual_mov_b32 v6, 0 :: v_dual_add_nc_u32 v5, v5, v4
	v_cvt_f16_f32_e64 v7, v128
	s_delay_alu instid0(VALU_DEP_2) | instskip(SKIP_1) | instid1(VALU_DEP_1)
	v_lshlrev_b64 v[5:6], 1, v[5:6]
	s_waitcnt lgkmcnt(0)
	v_add_co_u32 v5, s3, s8, v5
	s_delay_alu instid0(VALU_DEP_1)
	v_add_co_ci_u32_e64 v6, s3, s9, v6, s3
	global_store_b16 v[5:6], v7, off
.LBB150_48:
	s_or_b32 exec_lo, exec_lo, s4
	v_add3_u32 v5, v1, s11, 40
	s_delay_alu instid0(VALU_DEP_1) | instskip(NEXT) | instid1(VALU_DEP_1)
	v_cmp_gt_u32_e64 s3, s6, v5
	s_and_b32 exec_lo, exec_lo, s3
	s_cbranch_execz .LBB150_66
; %bb.49:
	v_mul_lo_u32 v5, v5, s10
	s_and_saveexec_b32 s4, vcc_lo
	s_cbranch_execnz .LBB150_79
; %bb.50:
	s_or_b32 exec_lo, exec_lo, s4
	s_and_saveexec_b32 s4, s0
	s_cbranch_execnz .LBB150_80
.LBB150_51:
	s_or_b32 exec_lo, exec_lo, s4
	s_and_saveexec_b32 s4, s1
	s_cbranch_execnz .LBB150_81
.LBB150_52:
	s_or_b32 exec_lo, exec_lo, s4
	s_and_saveexec_b32 s4, s2
	s_cbranch_execz .LBB150_54
.LBB150_53:
	v_dual_mov_b32 v6, 0 :: v_dual_add_nc_u32 v5, v5, v4
	v_cvt_f16_f32_e32 v7, v121
	s_delay_alu instid0(VALU_DEP_2) | instskip(SKIP_1) | instid1(VALU_DEP_1)
	v_lshlrev_b64 v[5:6], 1, v[5:6]
	s_waitcnt lgkmcnt(0)
	v_add_co_u32 v5, s3, s8, v5
	s_delay_alu instid0(VALU_DEP_1)
	v_add_co_ci_u32_e64 v6, s3, s9, v6, s3
	global_store_b16 v[5:6], v7, off
.LBB150_54:
	s_or_b32 exec_lo, exec_lo, s4
	v_add3_u32 v5, v1, s11, 48
	s_delay_alu instid0(VALU_DEP_1) | instskip(NEXT) | instid1(VALU_DEP_1)
	v_cmp_gt_u32_e64 s3, s6, v5
	s_and_b32 exec_lo, exec_lo, s3
	s_cbranch_execz .LBB150_66
; %bb.55:
	v_mul_lo_u32 v5, v5, s10
	s_and_saveexec_b32 s4, vcc_lo
	s_cbranch_execnz .LBB150_82
; %bb.56:
	s_or_b32 exec_lo, exec_lo, s4
	s_and_saveexec_b32 s4, s0
	s_cbranch_execnz .LBB150_83
.LBB150_57:
	s_or_b32 exec_lo, exec_lo, s4
	s_and_saveexec_b32 s4, s1
	s_cbranch_execnz .LBB150_84
.LBB150_58:
	s_or_b32 exec_lo, exec_lo, s4
	s_and_saveexec_b32 s4, s2
	s_cbranch_execz .LBB150_60
.LBB150_59:
	v_dual_mov_b32 v6, 0 :: v_dual_add_nc_u32 v5, v5, v4
	v_cvt_f16_f32_e32 v7, v117
	s_delay_alu instid0(VALU_DEP_2) | instskip(SKIP_1) | instid1(VALU_DEP_1)
	v_lshlrev_b64 v[5:6], 1, v[5:6]
	s_waitcnt lgkmcnt(0)
	v_add_co_u32 v5, s3, s8, v5
	s_delay_alu instid0(VALU_DEP_1)
	v_add_co_ci_u32_e64 v6, s3, s9, v6, s3
	global_store_b16 v[5:6], v7, off
.LBB150_60:
	s_or_b32 exec_lo, exec_lo, s4
	v_add3_u32 v1, v1, s11, 56
	s_delay_alu instid0(VALU_DEP_1) | instskip(NEXT) | instid1(VALU_DEP_1)
	v_cmp_gt_u32_e64 s3, s6, v1
	s_and_b32 exec_lo, exec_lo, s3
	s_cbranch_execz .LBB150_66
; %bb.61:
	v_mul_lo_u32 v1, v1, s10
	s_and_saveexec_b32 s3, vcc_lo
	s_cbranch_execnz .LBB150_85
; %bb.62:
	s_or_b32 exec_lo, exec_lo, s3
	s_and_saveexec_b32 s3, s0
	s_cbranch_execnz .LBB150_86
.LBB150_63:
	s_or_b32 exec_lo, exec_lo, s3
	s_and_saveexec_b32 s0, s1
	s_cbranch_execnz .LBB150_87
.LBB150_64:
	s_or_b32 exec_lo, exec_lo, s0
	s_delay_alu instid0(SALU_CYCLE_1)
	s_and_b32 exec_lo, exec_lo, s2
	s_cbranch_execz .LBB150_66
.LBB150_65:
	v_dual_mov_b32 v1, 0 :: v_dual_add_nc_u32 v0, v1, v4
	v_cvt_f16_f32_e32 v2, v28
	s_delay_alu instid0(VALU_DEP_2) | instskip(SKIP_1) | instid1(VALU_DEP_1)
	v_lshlrev_b64 v[0:1], 1, v[0:1]
	s_waitcnt lgkmcnt(0)
	v_add_co_u32 v0, vcc_lo, s8, v0
	s_delay_alu instid0(VALU_DEP_2)
	v_add_co_ci_u32_e32 v1, vcc_lo, s9, v1, vcc_lo
	global_store_b16 v[0:1], v2, off
.LBB150_66:
	s_endpgm
.LBB150_67:
	s_delay_alu instid0(VALU_DEP_1) | instskip(SKIP_1) | instid1(VALU_DEP_2)
	v_dual_mov_b32 v7, 0 :: v_dual_add_nc_u32 v6, v5, v0
	v_cvt_f16_f32_e32 v8, v89
	v_lshlrev_b64 v[6:7], 1, v[6:7]
	s_waitcnt lgkmcnt(0)
	s_delay_alu instid0(VALU_DEP_1) | instskip(NEXT) | instid1(VALU_DEP_1)
	v_add_co_u32 v6, s3, s8, v6
	v_add_co_ci_u32_e64 v7, s3, s9, v7, s3
	global_store_b16 v[6:7], v8, off
	s_or_b32 exec_lo, exec_lo, s4
	s_and_saveexec_b32 s4, s0
	s_cbranch_execz .LBB150_27
.LBB150_68:
	s_delay_alu instid0(VALU_DEP_1) | instskip(SKIP_1) | instid1(VALU_DEP_2)
	v_dual_mov_b32 v7, 0 :: v_dual_add_nc_u32 v6, v5, v2
	v_cvt_f16_f32_e32 v8, v88
	v_lshlrev_b64 v[6:7], 1, v[6:7]
	s_waitcnt lgkmcnt(0)
	s_delay_alu instid0(VALU_DEP_1) | instskip(NEXT) | instid1(VALU_DEP_1)
	v_add_co_u32 v6, s3, s8, v6
	v_add_co_ci_u32_e64 v7, s3, s9, v7, s3
	global_store_b16 v[6:7], v8, off
	s_or_b32 exec_lo, exec_lo, s4
	s_and_saveexec_b32 s4, s1
	s_cbranch_execz .LBB150_28
.LBB150_69:
	v_dual_mov_b32 v7, 0 :: v_dual_add_nc_u32 v6, v5, v3
	v_cvt_f16_f32_e32 v8, v108
	s_delay_alu instid0(VALU_DEP_2) | instskip(SKIP_1) | instid1(VALU_DEP_1)
	v_lshlrev_b64 v[6:7], 1, v[6:7]
	s_waitcnt lgkmcnt(0)
	v_add_co_u32 v6, s3, s8, v6
	s_delay_alu instid0(VALU_DEP_1)
	v_add_co_ci_u32_e64 v7, s3, s9, v7, s3
	global_store_b16 v[6:7], v8, off
	s_or_b32 exec_lo, exec_lo, s4
	s_and_saveexec_b32 s4, s2
	s_cbranch_execnz .LBB150_29
	s_branch .LBB150_30
.LBB150_70:
	s_delay_alu instid0(VALU_DEP_1) | instskip(SKIP_1) | instid1(VALU_DEP_2)
	v_dual_mov_b32 v7, 0 :: v_dual_add_nc_u32 v6, v5, v0
	v_cvt_f16_f32_e32 v8, v85
	v_lshlrev_b64 v[6:7], 1, v[6:7]
	s_waitcnt lgkmcnt(0)
	s_delay_alu instid0(VALU_DEP_1) | instskip(NEXT) | instid1(VALU_DEP_1)
	v_add_co_u32 v6, s3, s8, v6
	v_add_co_ci_u32_e64 v7, s3, s9, v7, s3
	global_store_b16 v[6:7], v8, off
	s_or_b32 exec_lo, exec_lo, s4
	s_and_saveexec_b32 s4, s0
	s_cbranch_execz .LBB150_33
.LBB150_71:
	s_delay_alu instid0(VALU_DEP_1) | instskip(SKIP_1) | instid1(VALU_DEP_2)
	v_dual_mov_b32 v7, 0 :: v_dual_add_nc_u32 v6, v5, v2
	v_cvt_f16_f32_e32 v8, v83
	v_lshlrev_b64 v[6:7], 1, v[6:7]
	s_waitcnt lgkmcnt(0)
	s_delay_alu instid0(VALU_DEP_1) | instskip(NEXT) | instid1(VALU_DEP_1)
	v_add_co_u32 v6, s3, s8, v6
	v_add_co_ci_u32_e64 v7, s3, s9, v7, s3
	global_store_b16 v[6:7], v8, off
	s_or_b32 exec_lo, exec_lo, s4
	s_and_saveexec_b32 s4, s1
	s_cbranch_execz .LBB150_34
.LBB150_72:
	v_dual_mov_b32 v7, 0 :: v_dual_add_nc_u32 v6, v5, v3
	v_cvt_f16_f32_e32 v8, v78
	s_delay_alu instid0(VALU_DEP_2) | instskip(SKIP_1) | instid1(VALU_DEP_1)
	v_lshlrev_b64 v[6:7], 1, v[6:7]
	s_waitcnt lgkmcnt(0)
	v_add_co_u32 v6, s3, s8, v6
	s_delay_alu instid0(VALU_DEP_1)
	v_add_co_ci_u32_e64 v7, s3, s9, v7, s3
	global_store_b16 v[6:7], v8, off
	s_or_b32 exec_lo, exec_lo, s4
	s_and_saveexec_b32 s4, s2
	s_cbranch_execnz .LBB150_35
	s_branch .LBB150_36
.LBB150_73:
	s_delay_alu instid0(VALU_DEP_1) | instskip(SKIP_1) | instid1(VALU_DEP_2)
	v_dual_mov_b32 v7, 0 :: v_dual_add_nc_u32 v6, v5, v0
	v_cvt_f16_f32_e64 v8, v229
	v_lshlrev_b64 v[6:7], 1, v[6:7]
	s_waitcnt lgkmcnt(0)
	s_delay_alu instid0(VALU_DEP_1) | instskip(NEXT) | instid1(VALU_DEP_1)
	v_add_co_u32 v6, s3, s8, v6
	v_add_co_ci_u32_e64 v7, s3, s9, v7, s3
	global_store_b16 v[6:7], v8, off
	s_or_b32 exec_lo, exec_lo, s4
	s_and_saveexec_b32 s4, s0
	s_cbranch_execz .LBB150_39
.LBB150_74:
	s_delay_alu instid0(VALU_DEP_1) | instskip(SKIP_1) | instid1(VALU_DEP_2)
	v_dual_mov_b32 v7, 0 :: v_dual_add_nc_u32 v6, v5, v2
	v_cvt_f16_f32_e32 v8, v65
	v_lshlrev_b64 v[6:7], 1, v[6:7]
	s_waitcnt lgkmcnt(0)
	s_delay_alu instid0(VALU_DEP_1) | instskip(NEXT) | instid1(VALU_DEP_1)
	v_add_co_u32 v6, s3, s8, v6
	v_add_co_ci_u32_e64 v7, s3, s9, v7, s3
	global_store_b16 v[6:7], v8, off
	s_or_b32 exec_lo, exec_lo, s4
	s_and_saveexec_b32 s4, s1
	s_cbranch_execz .LBB150_40
.LBB150_75:
	v_dual_mov_b32 v7, 0 :: v_dual_add_nc_u32 v6, v5, v3
	v_cvt_f16_f32_e32 v8, v46
	s_delay_alu instid0(VALU_DEP_2) | instskip(SKIP_1) | instid1(VALU_DEP_1)
	v_lshlrev_b64 v[6:7], 1, v[6:7]
	s_waitcnt lgkmcnt(0)
	v_add_co_u32 v6, s3, s8, v6
	s_delay_alu instid0(VALU_DEP_1)
	v_add_co_ci_u32_e64 v7, s3, s9, v7, s3
	global_store_b16 v[6:7], v8, off
	s_or_b32 exec_lo, exec_lo, s4
	s_and_saveexec_b32 s4, s2
	s_cbranch_execnz .LBB150_41
	s_branch .LBB150_42
.LBB150_76:
	s_delay_alu instid0(VALU_DEP_1) | instskip(SKIP_1) | instid1(VALU_DEP_2)
	v_dual_mov_b32 v7, 0 :: v_dual_add_nc_u32 v6, v5, v0
	v_cvt_f16_f32_e64 v8, v193
	v_lshlrev_b64 v[6:7], 1, v[6:7]
	s_waitcnt lgkmcnt(0)
	s_delay_alu instid0(VALU_DEP_1) | instskip(NEXT) | instid1(VALU_DEP_1)
	v_add_co_u32 v6, s3, s8, v6
	v_add_co_ci_u32_e64 v7, s3, s9, v7, s3
	global_store_b16 v[6:7], v8, off
	s_or_b32 exec_lo, exec_lo, s4
	s_and_saveexec_b32 s4, s0
	s_cbranch_execz .LBB150_45
.LBB150_77:
	s_delay_alu instid0(VALU_DEP_1) | instskip(SKIP_1) | instid1(VALU_DEP_2)
	v_dual_mov_b32 v7, 0 :: v_dual_add_nc_u32 v6, v5, v2
	v_cvt_f16_f32_e64 v8, v136
	v_lshlrev_b64 v[6:7], 1, v[6:7]
	s_waitcnt lgkmcnt(0)
	s_delay_alu instid0(VALU_DEP_1) | instskip(NEXT) | instid1(VALU_DEP_1)
	v_add_co_u32 v6, s3, s8, v6
	v_add_co_ci_u32_e64 v7, s3, s9, v7, s3
	global_store_b16 v[6:7], v8, off
	s_or_b32 exec_lo, exec_lo, s4
	s_and_saveexec_b32 s4, s1
	s_cbranch_execz .LBB150_46
.LBB150_78:
	v_dual_mov_b32 v7, 0 :: v_dual_add_nc_u32 v6, v5, v3
	v_cvt_f16_f32_e64 v8, v132
	s_delay_alu instid0(VALU_DEP_2) | instskip(SKIP_1) | instid1(VALU_DEP_1)
	v_lshlrev_b64 v[6:7], 1, v[6:7]
	s_waitcnt lgkmcnt(0)
	v_add_co_u32 v6, s3, s8, v6
	s_delay_alu instid0(VALU_DEP_1)
	v_add_co_ci_u32_e64 v7, s3, s9, v7, s3
	global_store_b16 v[6:7], v8, off
	s_or_b32 exec_lo, exec_lo, s4
	s_and_saveexec_b32 s4, s2
	s_cbranch_execnz .LBB150_47
	s_branch .LBB150_48
.LBB150_79:
	s_delay_alu instid0(VALU_DEP_1) | instskip(SKIP_1) | instid1(VALU_DEP_2)
	v_dual_mov_b32 v7, 0 :: v_dual_add_nc_u32 v6, v5, v0
	v_cvt_f16_f32_e32 v8, v124
	v_lshlrev_b64 v[6:7], 1, v[6:7]
	s_waitcnt lgkmcnt(0)
	s_delay_alu instid0(VALU_DEP_1) | instskip(NEXT) | instid1(VALU_DEP_1)
	v_add_co_u32 v6, s3, s8, v6
	v_add_co_ci_u32_e64 v7, s3, s9, v7, s3
	global_store_b16 v[6:7], v8, off
	s_or_b32 exec_lo, exec_lo, s4
	s_and_saveexec_b32 s4, s0
	s_cbranch_execz .LBB150_51
.LBB150_80:
	s_delay_alu instid0(VALU_DEP_1) | instskip(SKIP_1) | instid1(VALU_DEP_2)
	v_dual_mov_b32 v7, 0 :: v_dual_add_nc_u32 v6, v5, v2
	v_cvt_f16_f32_e32 v8, v123
	v_lshlrev_b64 v[6:7], 1, v[6:7]
	s_waitcnt lgkmcnt(0)
	s_delay_alu instid0(VALU_DEP_1) | instskip(NEXT) | instid1(VALU_DEP_1)
	v_add_co_u32 v6, s3, s8, v6
	v_add_co_ci_u32_e64 v7, s3, s9, v7, s3
	global_store_b16 v[6:7], v8, off
	s_or_b32 exec_lo, exec_lo, s4
	s_and_saveexec_b32 s4, s1
	s_cbranch_execz .LBB150_52
.LBB150_81:
	v_dual_mov_b32 v7, 0 :: v_dual_add_nc_u32 v6, v5, v3
	v_cvt_f16_f32_e32 v8, v122
	s_delay_alu instid0(VALU_DEP_2) | instskip(SKIP_1) | instid1(VALU_DEP_1)
	v_lshlrev_b64 v[6:7], 1, v[6:7]
	s_waitcnt lgkmcnt(0)
	v_add_co_u32 v6, s3, s8, v6
	s_delay_alu instid0(VALU_DEP_1)
	v_add_co_ci_u32_e64 v7, s3, s9, v7, s3
	global_store_b16 v[6:7], v8, off
	s_or_b32 exec_lo, exec_lo, s4
	s_and_saveexec_b32 s4, s2
	s_cbranch_execnz .LBB150_53
	s_branch .LBB150_54
.LBB150_82:
	s_delay_alu instid0(VALU_DEP_1) | instskip(SKIP_1) | instid1(VALU_DEP_2)
	v_dual_mov_b32 v7, 0 :: v_dual_add_nc_u32 v6, v5, v0
	v_cvt_f16_f32_e32 v8, v120
	v_lshlrev_b64 v[6:7], 1, v[6:7]
	s_waitcnt lgkmcnt(0)
	s_delay_alu instid0(VALU_DEP_1) | instskip(NEXT) | instid1(VALU_DEP_1)
	v_add_co_u32 v6, s3, s8, v6
	v_add_co_ci_u32_e64 v7, s3, s9, v7, s3
	global_store_b16 v[6:7], v8, off
	s_or_b32 exec_lo, exec_lo, s4
	s_and_saveexec_b32 s4, s0
	s_cbranch_execz .LBB150_57
.LBB150_83:
	s_delay_alu instid0(VALU_DEP_1) | instskip(SKIP_1) | instid1(VALU_DEP_2)
	v_dual_mov_b32 v7, 0 :: v_dual_add_nc_u32 v6, v5, v2
	v_cvt_f16_f32_e32 v8, v119
	v_lshlrev_b64 v[6:7], 1, v[6:7]
	s_waitcnt lgkmcnt(0)
	s_delay_alu instid0(VALU_DEP_1) | instskip(NEXT) | instid1(VALU_DEP_1)
	v_add_co_u32 v6, s3, s8, v6
	v_add_co_ci_u32_e64 v7, s3, s9, v7, s3
	global_store_b16 v[6:7], v8, off
	s_or_b32 exec_lo, exec_lo, s4
	s_and_saveexec_b32 s4, s1
	s_cbranch_execz .LBB150_58
.LBB150_84:
	v_dual_mov_b32 v7, 0 :: v_dual_add_nc_u32 v6, v5, v3
	v_cvt_f16_f32_e32 v8, v118
	s_delay_alu instid0(VALU_DEP_2) | instskip(SKIP_1) | instid1(VALU_DEP_1)
	v_lshlrev_b64 v[6:7], 1, v[6:7]
	s_waitcnt lgkmcnt(0)
	v_add_co_u32 v6, s3, s8, v6
	s_delay_alu instid0(VALU_DEP_1)
	v_add_co_ci_u32_e64 v7, s3, s9, v7, s3
	global_store_b16 v[6:7], v8, off
	s_or_b32 exec_lo, exec_lo, s4
	s_and_saveexec_b32 s4, s2
	s_cbranch_execnz .LBB150_59
	s_branch .LBB150_60
.LBB150_85:
	s_delay_alu instid0(VALU_DEP_1) | instskip(SKIP_1) | instid1(VALU_DEP_2)
	v_dual_mov_b32 v6, 0 :: v_dual_add_nc_u32 v5, v1, v0
	v_cvt_f16_f32_e32 v0, v113
	v_lshlrev_b64 v[5:6], 1, v[5:6]
	s_waitcnt lgkmcnt(0)
	s_delay_alu instid0(VALU_DEP_1) | instskip(NEXT) | instid1(VALU_DEP_2)
	v_add_co_u32 v5, vcc_lo, s8, v5
	v_add_co_ci_u32_e32 v6, vcc_lo, s9, v6, vcc_lo
	global_store_b16 v[5:6], v0, off
	s_or_b32 exec_lo, exec_lo, s3
	s_and_saveexec_b32 s3, s0
	s_cbranch_execz .LBB150_63
.LBB150_86:
	s_delay_alu instid0(VALU_DEP_1) | instskip(SKIP_1) | instid1(VALU_DEP_2)
	v_dual_mov_b32 v6, 0 :: v_dual_add_nc_u32 v5, v1, v2
	v_cvt_f16_f32_e32 v0, v109
	v_lshlrev_b64 v[5:6], 1, v[5:6]
	s_waitcnt lgkmcnt(0)
	s_delay_alu instid0(VALU_DEP_1) | instskip(NEXT) | instid1(VALU_DEP_2)
	v_add_co_u32 v5, vcc_lo, s8, v5
	v_add_co_ci_u32_e32 v6, vcc_lo, s9, v6, vcc_lo
	global_store_b16 v[5:6], v0, off
	s_or_b32 exec_lo, exec_lo, s3
	s_and_saveexec_b32 s0, s1
	s_cbranch_execz .LBB150_64
.LBB150_87:
	v_dual_mov_b32 v3, 0 :: v_dual_add_nc_u32 v2, v1, v3
	v_cvt_f16_f32_e32 v0, v112
	s_delay_alu instid0(VALU_DEP_2) | instskip(SKIP_1) | instid1(VALU_DEP_1)
	v_lshlrev_b64 v[2:3], 1, v[2:3]
	s_waitcnt lgkmcnt(0)
	v_add_co_u32 v2, vcc_lo, s8, v2
	s_delay_alu instid0(VALU_DEP_2) | instskip(SKIP_2) | instid1(SALU_CYCLE_1)
	v_add_co_ci_u32_e32 v3, vcc_lo, s9, v3, vcc_lo
	global_store_b16 v[2:3], v0, off
	s_or_b32 exec_lo, exec_lo, s0
	s_and_b32 exec_lo, exec_lo, s2
	s_cbranch_execnz .LBB150_65
	s_branch .LBB150_66
	.section	.rodata,"a",@progbits
	.p2align	6, 0x0
	.amdhsa_kernel _ZL12mul_mat_q3_KIN3c104HalfELb1EEvPKvS3_PT_iiiii
		.amdhsa_group_segment_fixed_size 39840
		.amdhsa_private_segment_fixed_size 592
		.amdhsa_kernarg_size 44
		.amdhsa_user_sgpr_count 14
		.amdhsa_user_sgpr_dispatch_ptr 0
		.amdhsa_user_sgpr_queue_ptr 0
		.amdhsa_user_sgpr_kernarg_segment_ptr 1
		.amdhsa_user_sgpr_dispatch_id 0
		.amdhsa_user_sgpr_private_segment_size 0
		.amdhsa_wavefront_size32 1
		.amdhsa_uses_dynamic_stack 0
		.amdhsa_enable_private_segment 1
		.amdhsa_system_sgpr_workgroup_id_x 1
		.amdhsa_system_sgpr_workgroup_id_y 1
		.amdhsa_system_sgpr_workgroup_id_z 0
		.amdhsa_system_sgpr_workgroup_info 0
		.amdhsa_system_vgpr_workitem_id 1
		.amdhsa_next_free_vgpr 256
		.amdhsa_next_free_sgpr 23
		.amdhsa_reserve_vcc 1
		.amdhsa_float_round_mode_32 0
		.amdhsa_float_round_mode_16_64 0
		.amdhsa_float_denorm_mode_32 3
		.amdhsa_float_denorm_mode_16_64 3
		.amdhsa_dx10_clamp 1
		.amdhsa_ieee_mode 1
		.amdhsa_fp16_overflow 0
		.amdhsa_workgroup_processor_mode 1
		.amdhsa_memory_ordered 1
		.amdhsa_forward_progress 0
		.amdhsa_shared_vgpr_count 0
		.amdhsa_exception_fp_ieee_invalid_op 0
		.amdhsa_exception_fp_denorm_src 0
		.amdhsa_exception_fp_ieee_div_zero 0
		.amdhsa_exception_fp_ieee_overflow 0
		.amdhsa_exception_fp_ieee_underflow 0
		.amdhsa_exception_fp_ieee_inexact 0
		.amdhsa_exception_int_div_zero 0
	.end_amdhsa_kernel
	.section	.text._ZL12mul_mat_q3_KIN3c104HalfELb1EEvPKvS3_PT_iiiii,"axG",@progbits,_ZL12mul_mat_q3_KIN3c104HalfELb1EEvPKvS3_PT_iiiii,comdat
.Lfunc_end150:
	.size	_ZL12mul_mat_q3_KIN3c104HalfELb1EEvPKvS3_PT_iiiii, .Lfunc_end150-_ZL12mul_mat_q3_KIN3c104HalfELb1EEvPKvS3_PT_iiiii
                                        ; -- End function
	.section	.AMDGPU.csdata,"",@progbits
; Kernel info:
; codeLenInByte = 33868
; NumSgprs: 25
; NumVgprs: 256
; ScratchSize: 592
; MemoryBound: 0
; FloatMode: 240
; IeeeMode: 1
; LDSByteSize: 39840 bytes/workgroup (compile time only)
; SGPRBlocks: 3
; VGPRBlocks: 31
; NumSGPRsForWavesPerEU: 25
; NumVGPRsForWavesPerEU: 256
; Occupancy: 5
; WaveLimiterHint : 0
; COMPUTE_PGM_RSRC2:SCRATCH_EN: 1
; COMPUTE_PGM_RSRC2:USER_SGPR: 14
; COMPUTE_PGM_RSRC2:TRAP_HANDLER: 0
; COMPUTE_PGM_RSRC2:TGID_X_EN: 1
; COMPUTE_PGM_RSRC2:TGID_Y_EN: 1
; COMPUTE_PGM_RSRC2:TGID_Z_EN: 0
; COMPUTE_PGM_RSRC2:TIDIG_COMP_CNT: 1
	.section	.text._ZL12mul_mat_q4_KIN3c104HalfELb0EEvPKvS3_PT_iiiii,"axG",@progbits,_ZL12mul_mat_q4_KIN3c104HalfELb0EEvPKvS3_PT_iiiii,comdat
	.globl	_ZL12mul_mat_q4_KIN3c104HalfELb0EEvPKvS3_PT_iiiii ; -- Begin function _ZL12mul_mat_q4_KIN3c104HalfELb0EEvPKvS3_PT_iiiii
	.p2align	8
	.type	_ZL12mul_mat_q4_KIN3c104HalfELb0EEvPKvS3_PT_iiiii,@function
_ZL12mul_mat_q4_KIN3c104HalfELb0EEvPKvS3_PT_iiiii: ; @_ZL12mul_mat_q4_KIN3c104HalfELb0EEvPKvS3_PT_iiiii
; %bb.0:
	s_clause 0x1
	s_load_b32 s11, s[0:1], 0x18
	s_load_b128 s[4:7], s[0:1], 0x20
	v_bfe_u32 v28, v0, 10, 10
	v_and_b32_e32 v1, 0x3ff, v0
	s_waitcnt lgkmcnt(0)
	s_lshl_b32 s7, s15, 6
	scratch_store_b32 off, v1, off offset:1284 ; 4-byte Folded Spill
	s_cmpk_gt_i32 s11, 0xff
	s_cbranch_scc1 .LBB151_2
; %bb.1:
	v_bfe_u32 v1, v0, 10, 10
	v_and_b32_e32 v0, 0x3ff, v0
	s_mov_b32 s2, 0
	s_mov_b32 s3, 0
	s_delay_alu instid0(VALU_DEP_2)
	v_add_nc_u32_e32 v2, s7, v1
	s_branch .LBB151_3
.LBB151_2:
	s_mov_b32 s2, -1
                                        ; implicit-def: $sgpr3
                                        ; implicit-def: $vgpr1
                                        ; implicit-def: $vgpr0
                                        ; implicit-def: $vgpr2
.LBB151_3:
	s_load_b64 s[8:9], s[0:1], 0x10
	v_dual_mov_b32 v30, s3 :: v_dual_mov_b32 v77, s3
	v_dual_mov_b32 v9, s3 :: v_dual_mov_b32 v10, s3
	;; [unrolled: 1-line block ×5, first 2 shown]
	s_and_not1_b32 vcc_lo, exec_lo, s2
	s_lshl_b32 s10, s14, 7
	s_clause 0x15
	scratch_store_b32 off, v30, off offset:1140
	scratch_store_b32 off, v30, off offset:1124
	;; [unrolled: 1-line block ×22, first 2 shown]
	s_cbranch_vccnz .LBB151_11
; %bb.4:
	scratch_load_b32 v29, off, off offset:1284 ; 4-byte Folded Reload
	s_load_b128 s[0:3], s[0:1], 0x0
	s_ashr_i32 s12, s11, 31
	s_ashr_i32 s13, s5, 31
	s_lshr_b32 s12, s12, 24
	s_lshr_b32 s13, s13, 27
	s_add_i32 s11, s11, s12
	s_add_i32 s12, s5, s13
	s_ashr_i32 s5, s11, 8
	s_ashr_i32 s13, s12, 5
	s_mul_i32 s11, s5, s10
	v_add_nc_u32_e32 v15, s7, v28
	s_mul_i32 s12, s11, 0x90
	s_mul_hi_i32 s14, s11, 0x90
	v_mul_i32_i24_e32 v32, s5, v28
	s_delay_alu instid0(VALU_DEP_2)
	v_dual_mov_b32 v71, 0 :: v_dual_add_nc_u32 v4, 8, v15
	v_add_nc_u32_e32 v10, 32, v15
	v_dual_mov_b32 v35, 0 :: v_dual_add_nc_u32 v12, 40, v15
	v_cvt_f64_u32_e32 v[0:1], v15
	s_waitcnt lgkmcnt(0)
	s_add_u32 s11, s0, s12
	s_addc_u32 s12, s1, s14
	s_lshl_b32 s0, s5, 3
	s_add_i32 s1, s4, -1
	v_mad_i32_i24 v7, s5, v28, s0
	v_cvt_f64_i32_e32 v[2:3], s1
	v_cvt_f64_u32_e32 v[4:5], v4
	v_dual_mov_b32 v77, 0 :: v_dual_add_nc_u32 v14, 48, v15
	s_delay_alu instid0(VALU_DEP_4)
	v_add_nc_u32_e32 v11, s0, v7
	scratch_store_b32 off, v7, off offset:1396 ; 4-byte Folded Spill
	v_add_nc_u32_e32 v17, 56, v15
	v_cvt_f64_u32_e32 v[12:13], v12
	v_dual_mov_b32 v33, 0 :: v_dual_lshlrev_b32 v20, 5, v28
	v_add_nc_u32_e32 v16, s0, v11
	scratch_store_b32 off, v11, off offset:1400 ; 4-byte Folded Spill
	v_cvt_f64_u32_e32 v[10:11], v10
	v_dual_mov_b32 v74, 0 :: v_dual_lshlrev_b32 v21, 3, v28
	v_add_nc_u32_e32 v18, s0, v16
	scratch_store_b32 off, v16, off offset:1404 ; 4-byte Folded Spill
	v_mov_b32_e32 v34, 0
	v_add_nc_u32_e32 v24, s0, v18
	scratch_store_b32 off, v18, off offset:1408 ; 4-byte Folded Spill
	v_cvt_f64_u32_e32 v[17:18], v17
	scratch_store_b32 off, v24, off offset:1412 ; 4-byte Folded Spill
	v_add_nc_u32_e32 v27, s0, v24
	v_min_f64 v[0:1], v[0:1], v[2:3]
	v_min_f64 v[4:5], v[4:5], v[2:3]
	v_min_f64 v[12:13], v[12:13], v[2:3]
	v_min_f64 v[10:11], v[10:11], v[2:3]
	s_delay_alu instid0(VALU_DEP_4) | instskip(NEXT) | instid1(VALU_DEP_4)
	v_cvt_i32_f64_e32 v0, v[0:1]
	v_cvt_i32_f64_e32 v4, v[4:5]
	s_delay_alu instid0(VALU_DEP_3) | instskip(SKIP_1) | instid1(VALU_DEP_4)
	v_cvt_i32_f64_e32 v10, v[10:11]
	v_cvt_i32_f64_e32 v11, v[12:13]
	v_mul_lo_u32 v0, s13, v0
	s_waitcnt vmcnt(0)
	v_lshlrev_b32_e32 v19, 2, v29
	v_and_b32_e32 v16, 3, v29
	v_lshrrev_b32_e32 v22, 2, v29
	v_lshrrev_b32_e32 v30, 5, v29
	v_lshlrev_b32_e32 v38, 4, v29
	v_and_b32_e32 v23, 0x7c, v19
	v_mad_u32_u24 v31, 0x84, v28, v19
	scratch_store_b32 off, v15, off offset:1580 ; 4-byte Folded Spill
	v_add_nc_u32_e32 v25, 0xfe, v16
	v_cmp_gt_u32_e32 vcc_lo, 2, v16
	s_clause 0x2
	scratch_store_b32 off, v23, off offset:1416
	scratch_store_b32 off, v32, off offset:1428
	;; [unrolled: 1-line block ×3, first 2 shown]
	v_add_nc_u32_e32 v32, 0x420, v31
	v_add_nc_u32_e32 v27, s0, v27
	;; [unrolled: 1-line block ×3, first 2 shown]
	v_and_b32_e32 v26, 4, v19
	v_add_nc_u32_e32 v8, 24, v15
	scratch_store_b32 off, v32, off offset:1436 ; 4-byte Folded Spill
	v_add_nc_u32_e32 v32, 0x840, v31
	v_cvt_f64_u32_e32 v[6:7], v6
	v_cvt_f64_u32_e32 v[14:15], v14
	;; [unrolled: 1-line block ×3, first 2 shown]
	v_add_nc_u32_e32 v23, v20, v29
	scratch_store_b32 off, v32, off offset:1440 ; 4-byte Folded Spill
	v_add_nc_u32_e32 v32, 0xc60, v31
	v_add_nc_u32_e32 v24, v22, v21
	v_add_nc_u16 v21, v22, v21
	v_lshlrev_b32_e32 v22, 2, v16
	scratch_store_b32 off, v32, off offset:1444 ; 4-byte Folded Spill
	v_add_nc_u32_e32 v32, 0x1080, v31
	s_clause 0x1
	scratch_store_b32 off, v32, off offset:1448
	scratch_store_b32 off, v27, off offset:1432
	v_add_nc_u32_e32 v32, 0x14a0, v31
	v_add_nc_u32_e32 v27, s0, v27
	v_lshrrev_b16 v5, 1, v21
	scratch_store_b32 off, v32, off offset:1456 ; 4-byte Folded Spill
	v_add_nc_u32_e32 v32, 0x18c0, v31
	v_and_b32_e32 v5, 60, v5
	scratch_store_b32 off, v32, off offset:1460 ; 4-byte Folded Spill
	v_add_nc_u32_e32 v32, 0x1ce0, v31
	scratch_store_b32 off, v32, off offset:1464 ; 4-byte Folded Spill
	v_add_nc_u32_e32 v32, 0x2100, v31
	s_clause 0x1
	scratch_store_b32 off, v32, off offset:1468
	scratch_store_b32 off, v27, off offset:1452
	v_add_nc_u32_e32 v32, 0x2520, v31
	v_add_nc_u32_e32 v27, s0, v27
	v_min_f64 v[6:7], v[6:7], v[2:3]
	v_min_f64 v[8:9], v[8:9], v[2:3]
	;; [unrolled: 1-line block ×3, first 2 shown]
	s_clause 0x1
	scratch_store_b32 off, v32, off offset:1476
	scratch_store_b32 off, v27, off offset:1472
	v_add_nc_u32_e32 v32, 0x2940, v31
	v_add_nc_u32_e32 v27, s0, v27
	v_min_f64 v[2:3], v[17:18], v[2:3]
	v_cndmask_b32_e32 v17, v25, v16, vcc_lo
	v_cmp_ne_u32_e32 vcc_lo, 0, v16
	s_clause 0x1
	scratch_store_b32 off, v32, off offset:1484
	scratch_store_b32 off, v27, off offset:1480
	v_add_nc_u32_e32 v32, 0x2d60, v31
	v_add_nc_u32_e32 v27, s0, v27
	v_and_b32_e32 v17, 0xff, v17
	scratch_store_b32 off, v32, off offset:1488 ; 4-byte Folded Spill
	v_add_nc_u32_e32 v32, 0x3180, v31
	v_lshlrev_b32_e32 v12, 1, v17
	scratch_store_b32 off, v32, off offset:1496 ; 4-byte Folded Spill
	v_add_nc_u32_e32 v32, 0x35a0, v31
	scratch_store_b32 off, v32, off offset:1500 ; 4-byte Folded Spill
	v_add_nc_u32_e32 v32, 0x39c0, v31
	s_clause 0x1
	scratch_store_b32 off, v32, off offset:1504
	scratch_store_b32 off, v27, off offset:1492
	v_add_nc_u32_e32 v32, s0, v27
	v_and_b32_e32 v27, 0x7f, v23
	v_lshrrev_b32_e32 v23, 3, v23
	scratch_store_b32 off, v31, off offset:1420 ; 4-byte Folded Spill
	v_add_nc_u32_e32 v31, 0x3de0, v31
	v_cvt_i32_f64_e32 v6, v[6:7]
	v_cvt_i32_f64_e32 v8, v[8:9]
	v_and_b32_e32 v18, 12, v23
	v_lshlrev_b32_e32 v23, 2, v27
	v_mul_i32_i24_e32 v27, s5, v27
	scratch_store_b32 off, v32, off offset:1508 ; 4-byte Folded Spill
	v_add_nc_u32_e32 v32, s0, v32
	scratch_store_b32 off, v31, off offset:1520 ; 4-byte Folded Spill
	v_add3_u32 v18, v23, v18, 0x6e40
	scratch_store_b32 off, v27, off offset:1524 ; 4-byte Folded Spill
	v_cvt_i32_f64_e32 v2, v[2:3]
	v_add_nc_u32_e32 v25, s0, v32
	s_clause 0x2
	scratch_store_b32 off, v32, off offset:1512
	scratch_store_b32 off, v18, off offset:1528
	scratch_store_b32 off, v25, off offset:1516
	v_add_nc_u32_e32 v18, s0, v25
	v_dual_mov_b32 v32, 0 :: v_dual_and_b32 v3, 28, v19
	v_mov_b32_e32 v31, 0
	scratch_store_b32 off, v18, off offset:1532 ; 4-byte Folded Spill
	v_add_co_ci_u32_e32 v18, vcc_lo, 0, v17, vcc_lo
	v_cmp_lt_u32_e32 vcc_lo, 1, v16
	v_cndmask_b32_e32 v23, 0, v26, vcc_lo
	v_cndmask_b32_e64 v1, 0, 1, vcc_lo
	scratch_store_b32 off, v23, off offset:1536 ; 4-byte Folded Spill
	v_and_b32_e32 v23, 0x7f, v24
	s_delay_alu instid0(VALU_DEP_1) | instskip(SKIP_2) | instid1(VALU_DEP_3)
	v_lshl_or_b32 v7, v23, 4, v22
	v_mul_i32_i24_e32 v13, s5, v23
	v_xor_b32_e32 v9, 64, v23
	v_add3_u32 v5, v7, v5, 0x6200
	scratch_store_b32 off, v13, off offset:1544 ; 4-byte Folded Spill
	v_add_co_u32 v13, s0, s2, v3
	v_lshl_or_b32 v7, v9, 4, v22
	scratch_store_b32 off, v5, off offset:1548 ; 4-byte Folded Spill
	v_cvt_i32_f64_e32 v5, v[14:15]
	v_add_co_ci_u32_e64 v14, null, s3, 0, s0
	v_mul_lo_u32 v2, s13, v2
	scratch_store_b64 off, v[13:14], off offset:1288 ; 8-byte Folded Spill
	v_mul_lo_u32 v5, s13, v5
	s_clause 0x1
	scratch_store_b32 off, v0, off offset:1300
	scratch_store_b32 off, v12, off offset:1540
	v_lshrrev_b32_e32 v12, 1, v9
	v_mul_i32_i24_e32 v9, s5, v9
	scratch_store_b32 off, v5, off offset:1348 ; 4-byte Folded Spill
	v_and_b32_e32 v12, 60, v12
	s_delay_alu instid0(VALU_DEP_1)
	v_add3_u32 v7, v7, v12, 0x6200
	scratch_store_b32 off, v9, off offset:1552 ; 4-byte Folded Spill
	v_and_b32_e32 v9, 63, v24
	scratch_store_b32 off, v7, off offset:1556 ; 4-byte Folded Spill
	v_and_b32_e32 v7, 31, v29
	v_or_b32_e32 v12, s7, v9
	v_lshl_or_b32 v9, v9, 4, v22
	s_delay_alu instid0(VALU_DEP_3) | instskip(NEXT) | instid1(VALU_DEP_3)
	v_or_b32_e32 v13, v20, v7
	v_min_i32_e32 v3, s1, v12
	v_lshlrev_b32_e32 v12, 7, v28
	s_delay_alu instid0(VALU_DEP_3) | instskip(NEXT) | instid1(VALU_DEP_3)
	v_lshl_add_u32 v0, v13, 2, 0x4200
	v_mad_u64_u32 v[14:15], null, v3, s13, v[16:17]
	s_delay_alu instid0(VALU_DEP_3) | instskip(SKIP_1) | instid1(VALU_DEP_2)
	v_lshl_or_b32 v3, v7, 2, v12
	v_add_nc_u32_e32 v7, 0x6a40, v9
	v_add_nc_u32_e32 v5, 0x5a00, v3
	s_clause 0x1
	scratch_store_b32 off, v7, off offset:1296
	scratch_store_b32 off, v0, off offset:1304
	v_mul_lo_u32 v0, s13, v4
	scratch_store_b64 off, v[14:15], off offset:1560 ; 8-byte Folded Spill
	v_add_nc_u32_e32 v4, 64, v29
	scratch_store_b32 off, v5, off offset:1352 ; 4-byte Folded Spill
	v_lshrrev_b32_e32 v7, 3, v4
	scratch_store_b32 off, v0, off offset:1308 ; 4-byte Folded Spill
	v_add_nc_u32_e32 v0, 0x4600, v3
	v_and_b32_e32 v7, 60, v7
	scratch_store_b32 off, v0, off offset:1312 ; 4-byte Folded Spill
	v_mul_lo_u32 v0, s13, v6
	v_add_nc_u32_e32 v6, 0x60, v29
	scratch_store_b32 off, v0, off offset:1316 ; 4-byte Folded Spill
	v_add_nc_u32_e32 v0, 0x4a00, v3
	scratch_store_b32 off, v0, off offset:1320 ; 4-byte Folded Spill
	v_mul_lo_u32 v0, s13, v8
	v_lshrrev_b32_e32 v8, 3, v6
	s_delay_alu instid0(VALU_DEP_1)
	v_and_b32_e32 v8, 60, v8
	scratch_store_b32 off, v0, off offset:1324 ; 4-byte Folded Spill
	v_add_nc_u32_e32 v0, 0x4e00, v3
	scratch_store_b32 off, v0, off offset:1328 ; 4-byte Folded Spill
	v_mul_lo_u32 v0, s13, v10
	scratch_store_b32 off, v0, off offset:1332 ; 4-byte Folded Spill
	v_add_nc_u32_e32 v0, 0x5200, v3
	scratch_store_b32 off, v0, off offset:1336 ; 4-byte Folded Spill
	v_mul_lo_u32 v0, s13, v11
	s_mov_b32 s13, 0
	scratch_store_b32 off, v0, off offset:1340 ; 4-byte Folded Spill
	v_add_nc_u32_e32 v0, 0x5600, v3
	v_add_nc_u32_e32 v3, 0x5e00, v3
	scratch_store_b32 off, v0, off offset:1344 ; 4-byte Folded Spill
	v_add_nc_u32_e32 v0, 32, v29
	s_clause 0x1
	scratch_store_b32 off, v2, off offset:1356
	scratch_store_b32 off, v30, off offset:1392
	v_lshlrev_b32_e32 v2, 2, v30
	v_mov_b32_e32 v30, 0
	v_lshrrev_b32_e32 v5, 3, v0
	v_lshrrev_b32_e32 v0, 1, v0
	s_delay_alu instid0(VALU_DEP_4)
	v_add3_u32 v2, v2, v19, 0x6e40
	scratch_store_b32 off, v3, off offset:1360 ; 4-byte Folded Spill
	v_lshrrev_b32_e32 v3, 1, v4
	v_and_b32_e32 v5, 60, v5
	v_and_b32_e32 v72, 0xfc, v0
	scratch_store_b32 off, v2, off offset:1364 ; 4-byte Folded Spill
	v_lshlrev_b32_e32 v0, 2, v18
	v_lshrrev_b32_e32 v4, 1, v29
	v_add3_u32 v2, v19, v5, 0x6e40
	v_and_b32_e32 v75, 0xfc, v3
	s_delay_alu instid0(VALU_DEP_3)
	v_and_b32_e32 v39, 0x7c, v4
	scratch_store_b32 off, v2, off offset:1368 ; 4-byte Folded Spill
	v_add3_u32 v2, v19, v7, 0x6e40
	scratch_store_b32 off, v2, off offset:1372 ; 4-byte Folded Spill
	v_add3_u32 v2, v19, v8, 0x6e40
	scratch_store_b32 off, v2, off offset:1376 ; 4-byte Folded Spill
	v_mul_u32_u24_e32 v2, 0x84, v29
	s_clause 0x2
	scratch_store_b32 off, v2, off offset:1380
	scratch_store_b32 off, v28, off offset:1576
	scratch_store_b32 off, v0, off offset:1568
	v_lshlrev_b32_e32 v0, 2, v1
	v_lshl_add_u32 v2, v28, 4, 0x6a40
	v_mov_b32_e32 v29, 0
	scratch_store_b32 off, v0, off offset:1572 ; 4-byte Folded Spill
	v_mov_b32_e32 v0, 0
	scratch_store_b32 off, v0, off offset:1104 ; 4-byte Folded Spill
	;; [unrolled: 2-line block ×13, first 2 shown]
	v_add_nc_u32_e32 v2, 0x4200, v12
	scratch_store_b32 off, v0, off offset:1084 ; 4-byte Folded Spill
	v_mov_b32_e32 v0, 0
	scratch_store_b32 off, v2, off offset:1388 ; 4-byte Folded Spill
	v_lshrrev_b32_e32 v2, 1, v6
	scratch_store_b32 off, v0, off offset:1096 ; 4-byte Folded Spill
	v_mov_b32_e32 v0, 0
	v_and_b32_e32 v2, 0xfc, v2
	scratch_store_b32 off, v0, off offset:1112 ; 4-byte Folded Spill
	v_mov_b32_e32 v0, 0
	scratch_store_b32 off, v0, off offset:1128 ; 4-byte Folded Spill
	v_mov_b32_e32 v0, 0
	;; [unrolled: 2-line block ×4, first 2 shown]
	s_clause 0x1
	scratch_store_b32 off, v2, off offset:1264
	scratch_store_b32 off, v0, off offset:1080
	v_mov_b32_e32 v0, 0
	scratch_store_b32 off, v0, off offset:1092 ; 4-byte Folded Spill
	v_mov_b32_e32 v0, 0
	scratch_store_b32 off, v0, off offset:1108 ; 4-byte Folded Spill
	;; [unrolled: 2-line block ×3, first 2 shown]
	v_mov_b32_e32 v0, 0
	s_clause 0x4
	scratch_store_b32 off, v0, off offset:1140
	scratch_store_b32 off, v38, off offset:1260
	;; [unrolled: 1-line block ×5, first 2 shown]
.LBB151_5:                              ; =>This Loop Header: Depth=1
                                        ;     Child Loop BB151_6 Depth 2
                                        ;       Child Loop BB151_7 Depth 3
	s_clause 0x7
	scratch_load_b32 v2, off, off offset:1392
	scratch_load_b32 v6, off, off offset:1396
	;; [unrolled: 1-line block ×8, first 2 shown]
	s_mul_i32 s0, s13, 0x90
	s_mul_hi_u32 s1, s13, 0x90
	s_add_u32 s0, s11, s0
	s_addc_u32 s1, s12, s1
	s_mov_b32 s14, -1
	s_mov_b32 s15, 0
	s_clause 0x1
	scratch_load_b32 v4, off, off offset:1428
	scratch_load_b32 v20, off, off offset:1544
	s_waitcnt vmcnt(9)
	v_mad_u64_u32 v[0:1], null, 0x90, v2, s[0:1]
	scratch_load_b32 v2, off, off offset:1416 ; 4-byte Folded Reload
	s_waitcnt vmcnt(0)
	v_add_co_u32 v0, vcc_lo, v0, v2
	v_add_co_ci_u32_e32 v1, vcc_lo, 0, v1, vcc_lo
	s_delay_alu instid0(VALU_DEP_2) | instskip(NEXT) | instid1(VALU_DEP_2)
	v_add_co_u32 v0, vcc_lo, v0, 16
	v_add_co_ci_u32_e32 v1, vcc_lo, 0, v1, vcc_lo
	s_delay_alu instid0(VALU_DEP_1)
	v_mad_u64_u32 v[2:3], null, 0x90, v4, v[0:1]
	v_mad_u64_u32 v[4:5], null, 0x90, v6, v[0:1]
	;; [unrolled: 1-line block ×9, first 2 shown]
	s_clause 0x7
	global_load_b32 v20, v[2:3], off
	global_load_b32 v21, v[4:5], off
	;; [unrolled: 1-line block ×8, first 2 shown]
	s_clause 0x5
	scratch_load_b32 v4, off, off offset:1452
	scratch_load_b32 v6, off, off offset:1472
	scratch_load_b32 v8, off, off offset:1552
	scratch_load_b32 v16, off, off offset:1568
	scratch_load_b32 v17, off, off offset:1572
	scratch_load_b32 v10, off, off offset:1480
	v_add_co_u32 v12, vcc_lo, v18, 4
	v_add_co_ci_u32_e32 v13, vcc_lo, 0, v19, vcc_lo
	s_waitcnt vmcnt(5)
	v_mad_u64_u32 v[2:3], null, 0x90, v4, v[0:1]
	s_waitcnt vmcnt(4)
	v_mad_u64_u32 v[4:5], null, 0x90, v6, v[0:1]
	;; [unrolled: 2-line block ×4, first 2 shown]
	v_add_co_u32 v10, vcc_lo, v12, v16
	v_add_co_ci_u32_e32 v11, vcc_lo, 0, v13, vcc_lo
	s_delay_alu instid0(VALU_DEP_4) | instskip(SKIP_3) | instid1(VALU_DEP_4)
	v_add_co_u32 v14, vcc_lo, v6, 4
	v_add_co_ci_u32_e32 v15, vcc_lo, 0, v7, vcc_lo
	v_add_co_u32 v6, vcc_lo, v12, v17
	v_add_co_ci_u32_e32 v7, vcc_lo, 0, v13, vcc_lo
	v_add_co_u32 v12, vcc_lo, v14, v16
	s_delay_alu instid0(VALU_DEP_4)
	v_add_co_ci_u32_e32 v13, vcc_lo, 0, v15, vcc_lo
	v_add_co_u32 v14, vcc_lo, v14, v17
	v_add_co_ci_u32_e32 v15, vcc_lo, 0, v15, vcc_lo
	s_clause 0x2
	global_load_b32 v18, v[10:11], off
	global_load_b32 v19, v[6:7], off
	;; [unrolled: 1-line block ×3, first 2 shown]
	scratch_load_b32 v10, off, off offset:1492 ; 4-byte Folded Reload
	global_load_b32 v28, v[14:15], off
	s_clause 0x3
	scratch_load_b32 v12, off, off offset:1508
	scratch_load_b32 v14, off, off offset:1512
	;; [unrolled: 1-line block ×4, first 2 shown]
	s_waitcnt vmcnt(5)
	v_mad_u64_u32 v[6:7], null, 0x90, v10, v[0:1]
	s_waitcnt vmcnt(3)
	v_mad_u64_u32 v[10:11], null, 0x90, v12, v[0:1]
	;; [unrolled: 2-line block ×5, first 2 shown]
	scratch_load_b32 v37, off, off offset:1524 ; 4-byte Folded Reload
	s_waitcnt vmcnt(0)
	v_mad_u64_u32 v[0:1], null, 0x90, v37, s[0:1]
	s_clause 0x8
	global_load_b32 v2, v[2:3], off
	global_load_b32 v3, v[4:5], off
	;; [unrolled: 1-line block ×9, first 2 shown]
	s_clause 0x3
	scratch_load_b32 v10, off, off offset:1536
	scratch_load_b64 v[11:12], off, off offset:1560
	scratch_load_b32 v13, off, off offset:1420
	scratch_load_b32 v12, off, off offset:1540
	s_lshl_b32 s0, s13, 3
	s_waitcnt vmcnt(3)
	v_ashrrev_i32_e32 v1, v10, v18
	s_waitcnt vmcnt(2)
	v_add_nc_u32_e32 v11, s0, v11
	s_waitcnt vmcnt(1)
	ds_store_b32 v13, v20
	scratch_load_b32 v13, off, off offset:1436 ; 4-byte Folded Reload
	v_ashrrev_i32_e32 v10, v10, v27
	v_and_b32_e32 v1, 0xf0f0f0f, v1
	scratch_store_b32 off, v11, off offset:1280 ; 4-byte Folded Spill
	s_waitcnt vmcnt(1)
	v_ashrrev_i32_e32 v11, v12, v19
	v_ashrrev_i32_e32 v12, v12, v28
	v_and_b32_e32 v10, 0xf0f0f0f, v10
	s_delay_alu instid0(VALU_DEP_3)
	v_and_or_b32 v1, 0x30303030, v11, v1
	s_waitcnt vmcnt(0)
	ds_store_b32 v13, v21
	scratch_load_b32 v13, off, off offset:1440 ; 4-byte Folded Reload
	s_waitcnt vmcnt(0)
	ds_store_b32 v13, v22
	scratch_load_b32 v13, off, off offset:1444 ; 4-byte Folded Reload
	;; [unrolled: 3-line block ×8, first 2 shown]
	s_waitcnt vmcnt(0)
	ds_store_b32 v2, v3
	s_clause 0x1
	scratch_load_b32 v2, off, off offset:1484
	scratch_load_b32 v3, off, off offset:1504
	s_waitcnt vmcnt(1)
	ds_store_b32 v2, v4
	scratch_load_b32 v2, off, off offset:1488 ; 4-byte Folded Reload
	s_waitcnt vmcnt(1)
	ds_store_b32 v3, v8
	scratch_load_b32 v3, off, off offset:1520 ; 4-byte Folded Reload
	;; [unrolled: 3-line block ×5, first 2 shown]
	s_waitcnt vmcnt(0)
	ds_store_b32 v2, v7
	ds_store_b32 v3, v0
	scratch_load_b32 v0, off, off offset:1548 ; 4-byte Folded Reload
	v_and_or_b32 v2, 0x30303030, v12, v10
	s_waitcnt vmcnt(0)
	ds_store_b32 v0, v1
	scratch_load_b32 v0, off, off offset:1556 ; 4-byte Folded Reload
	s_waitcnt vmcnt(0)
	ds_store_b32 v0, v2
.LBB151_6:                              ;   Parent Loop BB151_5 Depth=1
                                        ; =>  This Loop Header: Depth=2
                                        ;       Child Loop BB151_7 Depth 3
	s_clause 0x2
	scratch_store_b32 off, v35, off offset:1076
	scratch_store_b32 off, v34, off offset:1072
	;; [unrolled: 1-line block ×3, first 2 shown]
	s_clause 0x1
	scratch_load_b32 v0, off, off offset:1284
	scratch_load_b64 v[19:20], off, off offset:1288
	s_lshl_b32 s1, s15, 4
	s_xor_b32 s14, s14, -1
	s_mov_b32 s16, 0
	s_waitcnt vmcnt(1)
	v_lshl_add_u32 v0, s15, 5, v0
	s_delay_alu instid0(VALU_DEP_1) | instskip(NEXT) | instid1(VALU_DEP_1)
	v_lshrrev_b32_e32 v0, 3, v0
	v_add_nc_u32_e32 v12, s0, v0
	scratch_load_b32 v0, off, off offset:1300 ; 4-byte Folded Reload
	s_waitcnt vmcnt(0)
	v_add_nc_u32_e32 v2, v12, v0
	scratch_load_b32 v0, off, off offset:1308 ; 4-byte Folded Reload
	s_waitcnt vmcnt(0)
	;; [unrolled: 3-line block ×7, first 2 shown]
	v_add_nc_u32_e32 v14, v12, v0
	v_mad_i64_i32 v[0:1], null, v2, 36, v[19:20]
	v_mad_i64_i32 v[2:3], null, v4, 36, v[19:20]
	;; [unrolled: 1-line block ×6, first 2 shown]
	scratch_load_b32 v13, off, off offset:1356 ; 4-byte Folded Reload
	s_waitcnt vmcnt(0)
	v_add_nc_u32_e32 v16, v12, v13
	scratch_load_b32 v12, off, off offset:1280 ; 4-byte Folded Reload
	s_waitcnt vmcnt(0)
	v_lshl_add_u32 v18, s15, 2, v12
	v_mad_i64_i32 v[12:13], null, v14, 36, v[19:20]
	v_mad_i64_i32 v[14:15], null, v16, 36, v[19:20]
	s_delay_alu instid0(VALU_DEP_3)
	v_mad_u64_u32 v[16:17], null, v18, 36, s[2:3]
	s_clause 0x8
	global_load_b32 v0, v[0:1], off offset:4
	global_load_b32 v1, v[2:3], off offset:4
	;; [unrolled: 1-line block ×8, first 2 shown]
	global_load_b32 v8, v[16:17], off
	scratch_load_b32 v9, off, off offset:1304 ; 4-byte Folded Reload
	s_waitcnt vmcnt(0)
	ds_store_b32 v9, v0
	scratch_load_b32 v0, off, off offset:1312 ; 4-byte Folded Reload
	s_waitcnt vmcnt(0)
	ds_store_b32 v0, v1
	;; [unrolled: 3-line block ×9, first 2 shown]
	s_waitcnt lgkmcnt(0)
	s_waitcnt_vscnt null, 0x0
	s_barrier
	buffer_gl0_inv
	s_clause 0x6
	scratch_load_b32 v0, off, off offset:1364
	scratch_load_b32 v1, off, off offset:1368
	;; [unrolled: 1-line block ×7, first 2 shown]
	s_waitcnt vmcnt(6)
	ds_load_b32 v0, v0
	s_waitcnt vmcnt(5)
	ds_load_b32 v1, v1 offset:128
	s_waitcnt vmcnt(4)
	ds_load_b32 v2, v2 offset:256
	s_waitcnt vmcnt(3)
	ds_load_b32 v3, v3 offset:384
	s_waitcnt vmcnt(2)
	v_lshl_add_u32 v17, s15, 6, v4
	s_add_i32 s15, s1, 16
	s_waitcnt lgkmcnt(3)
	v_cvt_f32_f16_e32 v4, v0
	v_lshrrev_b32_e32 v0, 16, v0
	s_delay_alu instid0(VALU_DEP_1)
	v_cvt_f32_f16_e32 v0, v0
	scratch_store_b32 off, v4, off offset:1228 ; 4-byte Folded Spill
	s_waitcnt lgkmcnt(2)
	v_cvt_f32_f16_e32 v4, v1
	v_lshrrev_b32_e32 v1, 16, v1
	scratch_store_b32 off, v0, off offset:1244 ; 4-byte Folded Spill
	v_cvt_f32_f16_e32 v0, v1
	scratch_store_b32 off, v4, off offset:1232 ; 4-byte Folded Spill
	s_waitcnt lgkmcnt(1)
	v_cvt_f32_f16_e32 v4, v2
	v_lshrrev_b32_e32 v2, 16, v2
	scratch_store_b32 off, v0, off offset:1248 ; 4-byte Folded Spill
	v_cvt_f32_f16_e32 v0, v2
	scratch_store_b32 off, v4, off offset:1236 ; 4-byte Folded Spill
	s_waitcnt lgkmcnt(0)
	v_lshrrev_b32_e32 v4, 16, v3
	v_cvt_f32_f16_e32 v3, v3
	scratch_store_b32 off, v0, off offset:1252 ; 4-byte Folded Spill
	v_cvt_f32_f16_e32 v0, v4
	s_clause 0x1
	scratch_store_b32 off, v3, off offset:1240
	scratch_store_b32 off, v0, off offset:1256
.LBB151_7:                              ;   Parent Loop BB151_5 Depth=1
                                        ;     Parent Loop BB151_6 Depth=2
                                        ; =>    This Inner Loop Header: Depth=3
	s_waitcnt vmcnt(1)
	scratch_store_b32 off, v18, off offset:224 ; 4-byte Folded Spill
	s_waitcnt vmcnt(0)
	s_clause 0x6
	scratch_store_b32 off, v5, off
	scratch_store_b32 off, v17, off offset:4
	scratch_store_b32 off, v77, off offset:1184
	;; [unrolled: 1-line block ×6, first 2 shown]
	scratch_load_b32 v4, off, off           ; 4-byte Folded Reload
	ds_load_b128 v[0:3], v5
	ds_load_2addr_b32 v[21:22], v17 offset0:2 offset1:3
	v_add_nc_u32_e32 v213, s16, v38
	ds_load_2addr_b64 v[157:160], v18 offset1:16
	s_lshr_b32 s17, s1, 2
	s_add_i32 s1, s1, 8
	s_and_b32 s17, s17, 0x3ffffffc
	s_add_i32 s16, s16, 2
	s_cmp_lt_u32 s1, s15
	s_waitcnt lgkmcnt(1)
	v_and_b32_e32 v149, 15, v21
	v_and_b32_e32 v145, 15, v22
	v_bfe_u32 v148, v21, 8, 4
	v_bfe_u32 v143, v21, 16, 4
	;; [unrolled: 1-line block ×4, first 2 shown]
	v_ashrrev_i32_e32 v21, 4, v21
	s_clause 0x3
	scratch_store_b32 off, v145, off offset:756
	scratch_store_b32 off, v143, off offset:752
	;; [unrolled: 1-line block ×4, first 2 shown]
	s_waitcnt vmcnt(0)
	ds_load_b128 v[5:8], v4 offset:16
	scratch_load_b32 v4, off, off           ; 4-byte Folded Reload
	s_waitcnt lgkmcnt(0)
	v_bfe_i32 v197, v5, 0, 8
	v_bfe_i32 v196, v5, 8, 8
	;; [unrolled: 1-line block ×3, first 2 shown]
	v_ashrrev_i32_e32 v194, 24, v5
	v_bfe_i32 v193, v6, 0, 8
	v_bfe_i32 v192, v6, 8, 8
	;; [unrolled: 1-line block ×3, first 2 shown]
	v_ashrrev_i32_e32 v190, 24, v6
	ds_load_2addr_b32 v[5:6], v17 offset1:1
	v_bfe_i32 v189, v7, 0, 8
	v_bfe_i32 v188, v7, 8, 8
	;; [unrolled: 1-line block ×3, first 2 shown]
	v_ashrrev_i32_e32 v186, 24, v7
	v_bfe_i32 v185, v8, 0, 8
	v_bfe_i32 v184, v8, 8, 8
	;; [unrolled: 1-line block ×3, first 2 shown]
	v_ashrrev_i32_e32 v182, 24, v8
	v_add3_u32 v8, v39, s17, v213
	s_waitcnt lgkmcnt(0)
	v_bfe_u32 v138, v5, 8, 4
	v_bfe_u32 v134, v5, 24, 4
	;; [unrolled: 1-line block ×5, first 2 shown]
	scratch_store_b32 off, v138, off offset:336 ; 4-byte Folded Spill
	v_and_b32_e32 v137, 15, v5
	v_and_b32_e32 v139, 15, v6
	v_bfe_u32 v142, v6, 8, 4
	scratch_store_b32 off, v136, off offset:332 ; 4-byte Folded Spill
	v_ashrrev_i32_e32 v6, 4, v6
	v_ashrrev_i32_e32 v5, 4, v5
	scratch_store_b32 off, v139, off offset:740 ; 4-byte Folded Spill
	s_waitcnt vmcnt(0)
	ds_load_b128 v[9:12], v4 offset:32
	scratch_load_b32 v4, off, off           ; 4-byte Folded Reload
	s_waitcnt vmcnt(0)
	ds_load_b128 v[13:16], v4 offset:48
	v_bfe_i32 v211, v0, 0, 8
	v_bfe_i32 v4, v0, 8, 8
	;; [unrolled: 1-line block ×3, first 2 shown]
	v_ashrrev_i32_e32 v209, 24, v0
	v_bfe_i32 v199, v3, 16, 8
	v_bfe_u32 v0, v22, 16, 4
	v_ashrrev_i32_e32 v198, 24, v3
	s_clause 0x3
	scratch_store_b32 off, v140, off offset:392
	scratch_store_b32 off, v134, off offset:472
	;; [unrolled: 1-line block ×4, first 2 shown]
	v_mul_i32_i24_e32 v24, v0, v199
	v_bfe_u32 v0, v22, 24, 4
	v_bfe_i32 v174, v1, 0, 8
	v_bfe_i32 v205, v2, 0, 8
	;; [unrolled: 1-line block ×4, first 2 shown]
	scratch_store_b32 off, v0, off offset:956 ; 4-byte Folded Spill
	v_mul_i32_i24_e32 v25, v0, v198
	scratch_load_b32 v0, off, off offset:4  ; 4-byte Folded Reload
	s_waitcnt lgkmcnt(0)
	v_bfe_i32 v153, v16, 0, 8
	v_bfe_i32 v126, v16, 8, 8
	;; [unrolled: 1-line block ×3, first 2 shown]
	v_ashrrev_i32_e32 v45, 24, v16
	v_mul_i32_i24_e32 v16, v149, v205
	v_bfe_i32 v207, v1, 16, 8
	v_ashrrev_i32_e32 v206, 24, v1
	v_bfe_i32 v165, v13, 0, 8
	v_bfe_i32 v164, v13, 8, 8
	;; [unrolled: 1-line block ×3, first 2 shown]
	v_ashrrev_i32_e32 v162, 24, v13
	v_mul_i32_i24_e32 v13, v142, v208
	v_mul_i32_i24_e32 v20, v145, v201
	v_bfe_i32 v204, v2, 8, 8
	v_bfe_i32 v203, v2, 16, 8
	v_ashrrev_i32_e32 v202, 24, v2
	v_bfe_i32 v200, v3, 8, 8
	v_bfe_i32 v161, v14, 0, 8
	;; [unrolled: 1-line block ×4, first 2 shown]
	v_ashrrev_i32_e32 v2, 24, v14
	v_bfe_i32 v1, v15, 0, 8
	v_bfe_i32 v156, v15, 8, 8
	v_bfe_i32 v155, v15, 16, 8
	v_ashrrev_i32_e32 v154, 24, v15
	v_mul_i32_i24_e32 v14, v141, v207
	v_mul_i32_i24_e32 v15, v140, v206
	;; [unrolled: 1-line block ×6, first 2 shown]
	v_ashrrev_i32_e32 v22, 4, v22
	s_waitcnt vmcnt(0)
	ds_load_2addr_b32 v[27:28], v0 offset0:4 offset1:5
	v_bfe_i32 v181, v9, 0, 8
	v_bfe_i32 v180, v9, 8, 8
	;; [unrolled: 1-line block ×3, first 2 shown]
	v_ashrrev_i32_e32 v178, 24, v9
	v_mul_i32_i24_e32 v9, v137, v211
	v_bfe_i32 v42, v10, 0, 8
	v_bfe_i32 v177, v10, 8, 8
	;; [unrolled: 1-line block ×3, first 2 shown]
	v_ashrrev_i32_e32 v175, 24, v10
	v_mul_i32_i24_e32 v10, v138, v4
	v_mad_i32_i24 v9, v139, v174, v9
	v_bfe_i32 v173, v11, 0, 8
	v_bfe_i32 v172, v11, 8, 8
	;; [unrolled: 1-line block ×3, first 2 shown]
	v_ashrrev_i32_e32 v170, 24, v11
	v_bfe_i32 v169, v12, 0, 8
	v_bfe_i32 v168, v12, 8, 8
	;; [unrolled: 1-line block ×3, first 2 shown]
	v_ashrrev_i32_e32 v166, 24, v12
	s_waitcnt lgkmcnt(0)
	v_and_b32_e32 v0, 15, v27
	v_mul_i32_i24_e32 v11, v136, v210
	v_mul_i32_i24_e32 v12, v134, v209
	v_add3_u32 v9, v9, v16, v10
	scratch_store_b32 off, v0, off offset:960 ; 4-byte Folded Spill
	v_mul_i32_i24_e32 v26, v0, v197
	v_bfe_u32 v0, v27, 8, 4
	v_add3_u32 v9, v9, v11, v12
	scratch_store_b32 off, v0, off offset:944 ; 4-byte Folded Spill
	v_mul_i32_i24_e32 v29, v0, v196
	v_bfe_u32 v0, v27, 16, 4
	;; [unrolled: 4-line block ×3, first 2 shown]
	v_add3_u32 v9, v9, v14, v15
	v_ashrrev_i32_e32 v27, 4, v27
	scratch_store_b32 off, v0, off offset:952 ; 4-byte Folded Spill
	v_mul_i32_i24_e32 v31, v0, v194
	v_and_b32_e32 v0, 15, v28
	v_add3_u32 v9, v9, v26, v17
	scratch_store_b32 off, v0, off offset:948 ; 4-byte Folded Spill
	v_mul_i32_i24_e32 v32, v0, v193
	v_bfe_u32 v0, v28, 8, 4
	v_add3_u32 v9, v9, v18, v19
	scratch_store_b32 off, v0, off offset:612 ; 4-byte Folded Spill
	v_mul_i32_i24_e32 v33, v0, v192
	v_bfe_u32 v0, v28, 16, 4
	;; [unrolled: 4-line block ×3, first 2 shown]
	v_add3_u32 v9, v9, v24, v25
	scratch_store_b32 off, v0, off offset:232 ; 4-byte Folded Spill
	v_mul_i32_i24_e32 v35, v0, v190
	scratch_load_b32 v0, off, off offset:4  ; 4-byte Folded Reload
	s_waitcnt vmcnt(0)
	ds_load_2addr_b32 v[37:38], v0 offset0:6 offset1:7
	s_waitcnt lgkmcnt(0)
	v_and_b32_e32 v0, 15, v37
	v_ashrrev_i32_e32 v67, 4, v38
	scratch_store_b32 off, v0, off offset:236 ; 4-byte Folded Spill
	v_mul_i32_i24_e32 v36, v0, v189
	v_bfe_u32 v0, v37, 8, 4
	v_bfe_u32 v26, v67, 16, 4
	v_and_b32_e32 v16, 15, v67
	v_bfe_u32 v25, v67, 8, 4
	v_add3_u32 v9, v9, v36, v29
	scratch_store_b32 off, v0, off offset:240 ; 4-byte Folded Spill
	v_mul_i32_i24_e32 v39, v0, v188
	v_bfe_u32 v0, v37, 16, 4
	v_mul_i32_i24_e32 v69, v25, v126
	v_add3_u32 v9, v9, v30, v31
	v_mul_i32_i24_e32 v70, v26, v62
	scratch_store_b32 off, v0, off offset:244 ; 4-byte Folded Spill
	v_mul_i32_i24_e32 v40, v0, v187
	v_bfe_u32 v0, v37, 24, 4
	v_ashrrev_i32_e32 v37, 4, v37
	scratch_store_b32 off, v0, off offset:680 ; 4-byte Folded Spill
	v_mul_i32_i24_e32 v41, v0, v186
	v_and_b32_e32 v0, 15, v38
	s_clause 0x1
	scratch_store_b32 off, v149, off offset:748
	scratch_store_b32 off, v0, off offset:260
	v_mul_i32_i24_e32 v43, v0, v185
	v_bfe_u32 v0, v38, 8, 4
	s_delay_alu instid0(VALU_DEP_2)
	v_add3_u32 v9, v9, v43, v33
	scratch_store_b32 off, v0, off offset:264 ; 4-byte Folded Spill
	v_mul_i32_i24_e32 v44, v0, v184
	v_bfe_u32 v0, v38, 16, 4
	v_ashrrev_i32_e32 v33, 4, v28
	v_add3_u32 v9, v9, v34, v35
	v_bfe_u32 v28, v67, 24, 4
	v_and_b32_e32 v34, 15, v6
	scratch_store_b32 off, v0, off offset:288 ; 4-byte Folded Spill
	v_mul_i32_i24_e32 v46, v0, v183
	v_bfe_u32 v0, v38, 24, 4
	v_add3_u32 v9, v9, v39, v40
	v_mul_i32_i24_e32 v67, v28, v45
	scratch_store_b32 off, v0, off offset:248 ; 4-byte Folded Spill
	ds_load_u16 v10, v8 offset:25088
	ds_load_u16 v23, v8 offset:25096
	v_bfe_u32 v8, v6, 8, 4
	v_mul_i32_i24_e32 v47, v0, v182
	v_add3_u32 v9, v9, v41, v44
	scratch_store_b32 off, v8, off offset:460 ; 4-byte Folded Spill
	v_mul_i32_i24_e32 v44, v8, v177
	v_bfe_u32 v8, v6, 16, 4
	v_add3_u32 v9, v9, v46, v47
	v_bfe_u32 v6, v6, 24, 4
	scratch_store_b32 off, v8, off offset:456 ; 4-byte Folded Spill
	v_mul_i32_i24_e32 v46, v8, v176
	v_and_b32_e32 v8, 15, v21
	s_waitcnt lgkmcnt(1)
	v_and_b32_e32 v0, 0xff, v10
	scratch_store_b32 off, v8, off offset:464 ; 4-byte Folded Spill
	v_mul_i32_i24_e32 v47, v8, v173
	v_bfe_u32 v8, v21, 8, 4
	s_waitcnt lgkmcnt(0)
	v_cvt_f32_ubyte1_e32 v15, v23
	scratch_store_b32 off, v0, off offset:228 ; 4-byte Folded Spill
	v_mul_lo_u32 v9, v9, v0
	v_cvt_f32_ubyte0_e32 v0, v23
	scratch_store_b32 off, v8, off offset:468 ; 4-byte Folded Spill
	v_mul_i32_i24_e32 v48, v8, v172
	v_bfe_u32 v8, v21, 16, 4
	v_lshrrev_b16 v29, 8, v10
	scratch_store_b32 off, v0, off offset:292 ; 4-byte Folded Spill
	v_fma_mix_f32 v40, v157, v0, 0 op_sel:[1,0,0] op_sel_hi:[1,0,0]
	v_and_b32_e32 v0, 15, v5
	scratch_store_b32 off, v8, off offset:792 ; 4-byte Folded Spill
	v_mul_i32_i24_e32 v49, v8, v171
	v_bfe_u32 v8, v21, 24, 4
	v_and_b32_e32 v12, 0xffff, v29
	scratch_store_b32 off, v0, off offset:276 ; 4-byte Folded Spill
	v_mul_i32_i24_e32 v39, v0, v181
	v_bfe_u32 v0, v5, 8, 4
	scratch_store_b32 off, v8, off offset:620 ; 4-byte Folded Spill
	v_mul_i32_i24_e32 v50, v8, v170
	v_and_b32_e32 v8, 15, v22
	v_cvt_f32_i32_e32 v9, v9
	scratch_store_b32 off, v0, off offset:256 ; 4-byte Folded Spill
	v_mul_i32_i24_e32 v41, v0, v180
	v_bfe_u32 v0, v5, 16, 4
	scratch_store_b32 off, v8, off offset:268 ; 4-byte Folded Spill
	v_mul_i32_i24_e32 v51, v8, v169
	v_bfe_u32 v8, v22, 8, 4
	v_fma_mix_f32 v32, v157, v9, 0 op_sel_hi:[1,0,0]
	scratch_store_b32 off, v0, off offset:252 ; 4-byte Folded Spill
	v_mul_i32_i24_e32 v43, v0, v179
	v_bfe_u32 v0, v5, 24, 4
	scratch_store_b32 off, v8, off offset:272 ; 4-byte Folded Spill
	v_mul_i32_i24_e32 v52, v8, v168
	v_bfe_u32 v8, v22, 16, 4
	v_mul_i32_i24_e32 v5, v0, v178
	scratch_store_b32 off, v8, off offset:624 ; 4-byte Folded Spill
	v_mul_i32_i24_e32 v53, v8, v167
	v_bfe_u32 v8, v22, 24, 4
	scratch_store_b32 off, v8, off offset:476 ; 4-byte Folded Spill
	v_mul_i32_i24_e32 v22, v8, v166
	v_and_b32_e32 v8, 15, v27
	scratch_store_b32 off, v8, off offset:796 ; 4-byte Folded Spill
	v_mul_i32_i24_e32 v54, v8, v165
	v_bfe_u32 v8, v27, 8, 4
	scratch_store_b32 off, v8, off offset:652 ; 4-byte Folded Spill
	v_mul_i32_i24_e32 v55, v8, v164
	v_bfe_u32 v8, v27, 16, 4
	;; [unrolled: 3-line block ×3, first 2 shown]
	scratch_store_b32 off, v8, off offset:968 ; 4-byte Folded Spill
	v_mul_i32_i24_e32 v57, v8, v162
	v_and_b32_e32 v8, 15, v33
	scratch_store_b32 off, v8, off offset:980 ; 4-byte Folded Spill
	v_mul_i32_i24_e32 v58, v8, v161
	v_bfe_u32 v8, v33, 8, 4
	scratch_store_b32 off, v6, off offset:632 ; 4-byte Folded Spill
	v_mul_i32_i24_e32 v6, v6, v175
	scratch_store_b32 off, v8, off offset:628 ; 4-byte Folded Spill
	v_mul_i32_i24_e32 v59, v8, v7
	v_bfe_u32 v8, v33, 16, 4
	scratch_store_b32 off, v8, off offset:976 ; 4-byte Folded Spill
	v_mul_i32_i24_e32 v60, v8, v3
	v_bfe_u32 v8, v33, 24, 4
	scratch_store_b32 off, v8, off offset:964 ; 4-byte Folded Spill
	v_mul_i32_i24_e32 v61, v8, v2
	v_and_b32_e32 v8, 15, v37
	scratch_store_b32 off, v8, off offset:788 ; 4-byte Folded Spill
	v_mul_i32_i24_e32 v63, v8, v1
	v_bfe_u32 v8, v37, 8, 4
	scratch_store_b32 off, v0, off offset:780 ; 4-byte Folded Spill
	scratch_load_b32 v0, off, off offset:1244 ; 4-byte Folded Reload
	scratch_store_b32 off, v8, off offset:784 ; 4-byte Folded Spill
	v_mul_i32_i24_e32 v64, v8, v156
	v_bfe_u32 v8, v37, 16, 4
	scratch_store_b32 off, v8, off offset:636 ; 4-byte Folded Spill
	v_mul_i32_i24_e32 v65, v8, v155
	v_bfe_u32 v8, v37, 24, 4
	s_delay_alu instid0(VALU_DEP_1) | instskip(SKIP_4) | instid1(VALU_DEP_1)
	v_mul_i32_i24_e32 v66, v8, v154
	scratch_store_b32 off, v8, off offset:212 ; 4-byte Folded Spill
	s_waitcnt vmcnt(0)
	v_mov_b32_e32 v11, v0
	v_mad_i32_i24 v39, v34, v42, v39
	v_add3_u32 v39, v39, v47, v41
	v_mov_b32_e32 v41, v26
	v_mul_i32_i24_e32 v68, v16, v153
	v_mov_b32_e32 v26, v11
	s_delay_alu instid0(VALU_DEP_4) | instskip(NEXT) | instid1(VALU_DEP_1)
	v_add3_u32 v5, v39, v43, v5
	v_add3_u32 v5, v5, v51, v44
	s_delay_alu instid0(VALU_DEP_1) | instskip(SKIP_1) | instid1(VALU_DEP_2)
	v_add3_u32 v5, v5, v46, v6
	v_fma_mix_f32 v6, v158, v15, v40 op_sel:[1,0,0] op_sel_hi:[1,0,0]
	v_add3_u32 v5, v5, v54, v48
	s_delay_alu instid0(VALU_DEP_2) | instskip(SKIP_2) | instid1(VALU_DEP_1)
	v_mul_f32_e32 v6, v6, v0
	scratch_load_b32 v0, off, off offset:1228 ; 4-byte Folded Reload
	v_add3_u32 v5, v5, v49, v50
	v_add3_u32 v5, v5, v58, v52
	s_delay_alu instid0(VALU_DEP_1) | instskip(SKIP_1) | instid1(VALU_DEP_2)
	v_add3_u32 v5, v5, v53, v22
	v_add3_u32 v22, v72, s17, v213
	;; [unrolled: 1-line block ×3, first 2 shown]
	s_delay_alu instid0(VALU_DEP_1) | instskip(NEXT) | instid1(VALU_DEP_1)
	v_add3_u32 v5, v5, v56, v57
	v_add3_u32 v5, v5, v68, v59
	s_delay_alu instid0(VALU_DEP_1) | instskip(NEXT) | instid1(VALU_DEP_1)
	v_add3_u32 v5, v5, v60, v61
	v_add3_u32 v5, v5, v64, v65
	;; [unrolled: 3-line block ×3, first 2 shown]
	s_delay_alu instid0(VALU_DEP_1) | instskip(NEXT) | instid1(VALU_DEP_1)
	v_mul_lo_u32 v5, v5, v12
	v_cvt_f32_i32_e32 v5, v5
	s_delay_alu instid0(VALU_DEP_1) | instskip(SKIP_1) | instid1(VALU_DEP_1)
	v_fma_mix_f32 v5, v158, v5, v32 op_sel_hi:[1,0,0]
	s_waitcnt vmcnt(0)
	v_fma_f32 v5, v5, v0, -v6
	v_mov_b32_e32 v60, v0
	scratch_load_b32 v0, off, off offset:4  ; 4-byte Folded Reload
	v_add_f32_e32 v71, v71, v5
	scratch_store_b32 off, v71, off offset:1188 ; 4-byte Folded Spill
	s_waitcnt vmcnt(0)
	v_add_nc_u32_e32 v5, 0x1080, v0
	ds_load_2addr_b32 v[5:6], v5 offset1:1
	s_waitcnt lgkmcnt(0)
	v_and_b32_e32 v0, 15, v5
	v_and_b32_e32 v59, 15, v6
	scratch_store_b32 off, v0, off offset:644 ; 4-byte Folded Spill
	v_mul_i32_i24_e32 v23, v0, v211
	v_bfe_u32 v0, v5, 8, 4
	s_delay_alu instid0(VALU_DEP_2)
	v_mad_i32_i24 v23, v59, v174, v23
	scratch_store_b32 off, v0, off offset:656 ; 4-byte Folded Spill
	v_mul_i32_i24_e32 v29, v0, v4
	v_bfe_u32 v0, v5, 16, 4
	scratch_store_b32 off, v0, off offset:648 ; 4-byte Folded Spill
	v_mul_i32_i24_e32 v47, v0, v210
	v_bfe_u32 v0, v5, 24, 4
	v_ashrrev_i32_e32 v5, 4, v5
	scratch_store_b32 off, v0, off offset:640 ; 4-byte Folded Spill
	v_mul_i32_i24_e32 v48, v0, v209
	v_bfe_u32 v0, v6, 8, 4
	v_and_b32_e32 v44, 15, v5
	v_bfe_u32 v43, v5, 16, 4
	v_bfe_u32 v37, v5, 24, 4
	s_delay_alu instid0(VALU_DEP_4)
	v_mul_i32_i24_e32 v50, v0, v208
	v_mov_b32_e32 v57, v0
	v_bfe_u32 v0, v6, 16, 4
	v_mul_i32_i24_e32 v116, v44, v181
	v_mul_i32_i24_e32 v212, v43, v179
	scratch_store_b32 off, v0, off offset:112 ; 4-byte Folded Spill
	v_mul_i32_i24_e32 v54, v0, v207
	v_bfe_u32 v0, v6, 24, 4
	v_ashrrev_i32_e32 v6, 4, v6
	scratch_store_b32 off, v0, off offset:116 ; 4-byte Folded Spill
	v_mul_i32_i24_e32 v72, v0, v206
	scratch_load_b32 v0, off, off offset:4  ; 4-byte Folded Reload
	v_bfe_u32 v8, v6, 8, 4
	v_and_b32_e32 v61, 15, v6
	v_bfe_u32 v36, v6, 24, 4
	s_delay_alu instid0(VALU_DEP_3) | instskip(NEXT) | instid1(VALU_DEP_3)
	v_mul_i32_i24_e32 v217, v8, v177
	v_mad_i32_i24 v116, v61, v42, v116
	s_waitcnt vmcnt(0)
	v_add_nc_u32_e32 v32, 0x1088, v0
	ds_load_2addr_b32 v[52:53], v32 offset1:1
	s_waitcnt lgkmcnt(0)
	v_and_b32_e32 v0, 15, v52
	scratch_store_b32 off, v0, off offset:76 ; 4-byte Folded Spill
	v_mul_i32_i24_e32 v73, v0, v205
	v_bfe_u32 v0, v52, 8, 4
	s_delay_alu instid0(VALU_DEP_2)
	v_add3_u32 v23, v23, v73, v29
	scratch_store_b32 off, v0, off offset:120 ; 4-byte Folded Spill
	v_mul_i32_i24_e32 v78, v0, v204
	v_bfe_u32 v0, v52, 16, 4
	v_add3_u32 v23, v23, v47, v48
	scratch_store_b32 off, v0, off offset:108 ; 4-byte Folded Spill
	v_mul_i32_i24_e32 v79, v0, v203
	v_bfe_u32 v0, v52, 24, 4
	scratch_store_b32 off, v0, off offset:72 ; 4-byte Folded Spill
	v_mul_i32_i24_e32 v84, v0, v202
	v_and_b32_e32 v0, 15, v53
	scratch_store_b32 off, v0, off offset:68 ; 4-byte Folded Spill
	v_mul_i32_i24_e32 v85, v0, v201
	v_bfe_u32 v0, v53, 8, 4
	s_delay_alu instid0(VALU_DEP_2)
	v_add3_u32 v23, v23, v85, v50
	scratch_store_b32 off, v0, off offset:168 ; 4-byte Folded Spill
	v_mul_i32_i24_e32 v86, v0, v200
	v_bfe_u32 v0, v53, 16, 4
	v_add3_u32 v23, v23, v54, v72
	scratch_store_b32 off, v0, off offset:984 ; 4-byte Folded Spill
	v_mul_i32_i24_e32 v87, v0, v199
	v_bfe_u32 v0, v53, 24, 4
	scratch_store_b32 off, v0, off offset:768 ; 4-byte Folded Spill
	v_mul_i32_i24_e32 v88, v0, v198
	scratch_load_b32 v0, off, off offset:4  ; 4-byte Folded Reload
	s_waitcnt vmcnt(0)
	v_add_nc_u32_e32 v32, 0x1090, v0
	ds_load_2addr_b32 v[97:98], v32 offset1:1
	s_waitcnt lgkmcnt(0)
	v_and_b32_e32 v0, 15, v97
	scratch_store_b32 off, v0, off offset:448 ; 4-byte Folded Spill
	v_mul_i32_i24_e32 v89, v0, v197
	v_bfe_u32 v0, v97, 8, 4
	s_delay_alu instid0(VALU_DEP_2)
	v_add3_u32 v23, v23, v89, v78
	scratch_store_b32 off, v0, off offset:164 ; 4-byte Folded Spill
	v_mul_i32_i24_e32 v90, v0, v196
	v_bfe_u32 v0, v97, 16, 4
	v_add3_u32 v23, v23, v79, v84
	scratch_store_b32 off, v0, off offset:664 ; 4-byte Folded Spill
	v_mul_i32_i24_e32 v91, v0, v195
	v_bfe_u32 v0, v97, 24, 4
	scratch_store_b32 off, v0, off offset:444 ; 4-byte Folded Spill
	v_mul_i32_i24_e32 v92, v0, v194
	v_and_b32_e32 v0, 15, v98
	scratch_store_b32 off, v0, off offset:124 ; 4-byte Folded Spill
	v_mul_i32_i24_e32 v93, v0, v193
	v_bfe_u32 v0, v98, 8, 4
	s_delay_alu instid0(VALU_DEP_2)
	v_add3_u32 v23, v23, v93, v86
	scratch_store_b32 off, v0, off offset:668 ; 4-byte Folded Spill
	v_mul_i32_i24_e32 v94, v0, v192
	v_bfe_u32 v0, v98, 16, 4
	v_add3_u32 v23, v23, v87, v88
	scratch_store_b32 off, v0, off offset:396 ; 4-byte Folded Spill
	v_mul_i32_i24_e32 v95, v0, v191
	v_bfe_u32 v0, v98, 24, 4
	scratch_store_b32 off, v0, off offset:280 ; 4-byte Folded Spill
	v_mul_i32_i24_e32 v96, v0, v190
	scratch_load_b32 v0, off, off offset:4  ; 4-byte Folded Reload
	s_waitcnt vmcnt(0)
	v_add_nc_u32_e32 v46, 0x1098, v0
	ds_load_2addr_b32 v[105:106], v46 offset1:1
	v_bfe_u32 v46, v5, 8, 4
	v_mul_i32_i24_e32 v5, v37, v178
	s_delay_alu instid0(VALU_DEP_2)
	v_mul_i32_i24_e32 v117, v46, v180
	s_waitcnt lgkmcnt(0)
	v_and_b32_e32 v0, 15, v105
	v_ashrrev_i32_e32 v115, 4, v106
	scratch_store_b32 off, v0, off offset:132 ; 4-byte Folded Spill
	v_mul_i32_i24_e32 v99, v0, v189
	v_bfe_u32 v0, v105, 8, 4
	v_bfe_u32 v9, v115, 8, 4
	;; [unrolled: 1-line block ×3, first 2 shown]
	s_delay_alu instid0(VALU_DEP_4)
	v_add3_u32 v23, v23, v99, v90
	scratch_store_b32 off, v0, off offset:660 ; 4-byte Folded Spill
	v_mul_i32_i24_e32 v100, v0, v188
	v_bfe_u32 v0, v105, 16, 4
	v_mul_i32_i24_e32 v238, v9, v126
	v_add3_u32 v23, v23, v91, v92
	v_mul_i32_i24_e32 v239, v13, v62
	v_mov_b32_e32 v84, v13
	scratch_store_b32 off, v0, off offset:440 ; 4-byte Folded Spill
	v_mul_i32_i24_e32 v101, v0, v187
	v_bfe_u32 v0, v105, 24, 4
	scratch_store_b32 off, v0, off offset:160 ; 4-byte Folded Spill
	v_mul_i32_i24_e32 v102, v0, v186
	v_and_b32_e32 v0, 15, v106
	scratch_store_b32 off, v0, off offset:676 ; 4-byte Folded Spill
	v_mul_i32_i24_e32 v103, v0, v185
	v_bfe_u32 v0, v106, 8, 4
	s_delay_alu instid0(VALU_DEP_2)
	v_add3_u32 v23, v23, v103, v94
	scratch_store_b32 off, v0, off offset:452 ; 4-byte Folded Spill
	v_mul_i32_i24_e32 v104, v0, v184
	v_bfe_u32 v0, v106, 16, 4
	v_add3_u32 v23, v23, v95, v96
	scratch_store_b32 off, v0, off offset:672 ; 4-byte Folded Spill
	v_mul_i32_i24_e32 v107, v0, v183
	v_bfe_u32 v0, v106, 24, 4
	v_add3_u32 v23, v23, v100, v101
	scratch_store_b32 off, v0, off offset:284 ; 4-byte Folded Spill
	ds_load_u16 v29, v22 offset:25600
	ds_load_u16 v47, v22 offset:25608
	v_mul_i32_i24_e32 v113, v0, v182
	v_add3_u32 v23, v23, v102, v104
	scratch_store_b32 off, v8, off offset:144 ; 4-byte Folded Spill
	v_bfe_u32 v8, v6, 16, 4
	v_mul_i32_i24_e32 v6, v36, v175
	s_clause 0x1
	scratch_store_b32 off, v44, off offset:404
	scratch_store_b32 off, v46, off offset:408
	v_add3_u32 v23, v23, v107, v113
	scratch_store_b32 off, v8, off offset:80 ; 4-byte Folded Spill
	v_mul_i32_i24_e32 v218, v8, v176
	s_clause 0x1
	scratch_store_b32 off, v43, off offset:340
	scratch_store_b32 off, v37, off offset:344
	s_waitcnt lgkmcnt(1)
	v_and_b32_e32 v0, 0xff, v29
	s_waitcnt lgkmcnt(0)
	v_cvt_f32_ubyte0_e32 v48, v47
	v_lshrrev_b16 v50, 8, v29
	s_delay_alu instid0(VALU_DEP_3)
	v_mul_lo_u32 v22, v23, v0
	v_ashrrev_i32_e32 v23, 4, v52
	scratch_store_b32 off, v0, off offset:176 ; 4-byte Folded Spill
	v_fma_mix_f32 v54, v157, v48, 0 op_sel:[1,0,0] op_sel_hi:[1,0,0]
	v_cvt_f32_ubyte1_e32 v0, v47
	v_and_b32_e32 v65, 15, v23
	v_bfe_u32 v8, v23, 8, 4
	v_bfe_u32 v35, v23, 16, 4
	;; [unrolled: 1-line block ×3, first 2 shown]
	v_ashrrev_i32_e32 v23, 4, v53
	v_mul_i32_i24_e32 v52, v65, v173
	v_fma_mix_f32 v47, v158, v0, v54 op_sel:[1,0,0] op_sel_hi:[1,0,0]
	v_mov_b32_e32 v85, v0
	scratch_load_b32 v0, off, off offset:4  ; 4-byte Folded Reload
	v_and_b32_e32 v30, 15, v23
	v_add3_u32 v52, v116, v52, v117
	v_bfe_u32 v27, v23, 8, 4
	v_bfe_u32 v24, v23, 16, 4
	;; [unrolled: 1-line block ×3, first 2 shown]
	v_mul_i32_i24_e32 v53, v30, v169
	v_add3_u32 v5, v52, v212, v5
	v_ashrrev_i32_e32 v23, 4, v97
	scratch_store_b32 off, v8, off offset:84 ; 4-byte Folded Spill
	v_mul_i32_i24_e32 v219, v8, v172
	v_mul_i32_i24_e32 v220, v35, v171
	v_add3_u32 v5, v5, v53, v217
	v_bfe_u32 v21, v23, 16, 4
	v_mul_i32_i24_e32 v221, v32, v170
	v_mul_i32_i24_e32 v222, v27, v168
	;; [unrolled: 1-line block ×3, first 2 shown]
	v_add3_u32 v5, v5, v218, v6
	s_clause 0x1
	scratch_load_b32 v218, off, off offset:1248
	scratch_load_b32 v6, off, off offset:1232
	v_and_b32_e32 v8, 15, v23
	v_mul_i32_i24_e32 v224, v19, v166
	v_mul_i32_i24_e32 v227, v21, v163
	v_cvt_f32_i32_e32 v22, v22
	s_clause 0x1
	scratch_store_b32 off, v36, off offset:348
	scratch_store_b32 off, v8, off offset:88
	v_mul_i32_i24_e32 v225, v8, v165
	v_bfe_u32 v8, v23, 8, 4
	v_fma_mix_f32 v29, v157, v22, 0 op_sel_hi:[1,0,0]
	s_clause 0x4
	scratch_store_b32 off, v35, off offset:724
	scratch_store_b32 off, v32, off offset:728
	;; [unrolled: 1-line block ×5, first 2 shown]
	v_mul_i32_i24_e32 v226, v8, v164
	v_bfe_u32 v8, v23, 24, 4
	v_ashrrev_i32_e32 v23, 4, v98
	v_add3_u32 v5, v5, v225, v219
	s_clause 0x2
	scratch_store_b32 off, v24, off offset:772
	scratch_store_b32 off, v19, off offset:416
	;; [unrolled: 1-line block ×3, first 2 shown]
	v_mul_i32_i24_e32 v228, v8, v162
	v_and_b32_e32 v8, 15, v23
	v_bfe_u32 v20, v23, 8, 4
	v_bfe_u32 v73, v23, 16, 4
	v_add3_u32 v5, v5, v220, v221
	s_clause 0x2
	scratch_store_b32 off, v21, off offset:356
	scratch_store_b32 off, v8, off offset:100
	;; [unrolled: 1-line block ×3, first 2 shown]
	v_mul_i32_i24_e32 v229, v8, v161
	v_bfe_u32 v8, v23, 24, 4
	v_ashrrev_i32_e32 v23, 4, v105
	v_mul_i32_i24_e32 v230, v20, v7
	v_mul_i32_i24_e32 v231, v73, v3
	v_add3_u32 v5, v5, v229, v222
	scratch_store_b32 off, v8, off offset:128 ; 4-byte Folded Spill
	v_and_b32_e32 v18, 15, v23
	v_mul_i32_i24_e32 v232, v8, v2
	v_bfe_u32 v8, v23, 8, 4
	v_add3_u32 v5, v5, v223, v224
	v_bfe_u32 v17, v23, 16, 4
	v_mul_i32_i24_e32 v233, v18, v1
	v_bfe_u32 v86, v23, 24, 4
	scratch_store_b32 off, v8, off offset:104 ; 4-byte Folded Spill
	v_mul_i32_i24_e32 v234, v8, v156
	v_and_b32_e32 v8, 15, v115
	v_add3_u32 v5, v5, v233, v226
	v_mul_i32_i24_e32 v235, v17, v155
	v_mul_i32_i24_e32 v236, v86, v154
	scratch_store_b32 off, v48, off offset:420 ; 4-byte Folded Spill
	v_mul_i32_i24_e32 v237, v8, v153
	v_add3_u32 v5, v5, v227, v228
	scratch_store_b32 off, v8, off offset:136 ; 4-byte Folded Spill
	v_bfe_u32 v8, v115, 24, 4
	s_clause 0x1
	scratch_store_b32 off, v18, off offset:368
	scratch_store_b32 off, v17, off offset:376
	v_add3_u32 v5, v5, v237, v230
	v_mul_i32_i24_e32 v240, v8, v45
	scratch_store_b32 off, v8, off offset:140 ; 4-byte Folded Spill
	v_and_b32_e32 v8, 0xffff, v50
	v_add3_u32 v5, v5, v231, v232
	scratch_store_b32 off, v9, off offset:380 ; 4-byte Folded Spill
	v_add3_u32 v5, v5, v234, v235
	s_delay_alu instid0(VALU_DEP_1) | instskip(NEXT) | instid1(VALU_DEP_1)
	v_add3_u32 v5, v5, v236, v238
	v_add3_u32 v5, v5, v239, v240
	s_delay_alu instid0(VALU_DEP_1) | instskip(NEXT) | instid1(VALU_DEP_1)
	v_mul_lo_u32 v5, v5, v8
	v_cvt_f32_i32_e32 v5, v5
	s_delay_alu instid0(VALU_DEP_1) | instskip(SKIP_3) | instid1(VALU_DEP_1)
	v_fma_mix_f32 v29, v158, v5, v29 op_sel_hi:[1,0,0]
	s_waitcnt vmcnt(1)
	v_mul_f32_e32 v47, v47, v218
	s_waitcnt vmcnt(0)
	v_fma_f32 v29, v29, v6, -v47
	v_add_nc_u32_e32 v47, 0x2100, v0
	scratch_load_b32 v0, off, off offset:4  ; 4-byte Folded Reload
	v_add_f32_e32 v74, v74, v29
	ds_load_2addr_b32 v[52:53], v47 offset1:1
	v_add3_u32 v29, v75, s17, v213
	scratch_store_b32 off, v74, off offset:1192 ; 4-byte Folded Spill
	s_waitcnt lgkmcnt(0)
	v_and_b32_e32 v91, 15, v52
	v_bfe_u32 v94, v52, 8, 4
	v_and_b32_e32 v96, 15, v53
	v_bfe_u32 v90, v52, 16, 4
	v_bfe_u32 v89, v52, 24, 4
	v_mul_i32_i24_e32 v47, v91, v211
	v_mul_i32_i24_e32 v50, v94, v4
	v_bfe_u32 v224, v53, 8, 4
	v_mul_i32_i24_e32 v54, v90, v210
	v_mul_i32_i24_e32 v212, v89, v209
	v_mad_i32_i24 v47, v96, v174, v47
	v_bfe_u32 v223, v53, 16, 4
	v_mul_i32_i24_e32 v227, v224, v208
	v_bfe_u32 v220, v53, 24, 4
	s_clause 0x1
	scratch_store_b32 off, v91, off offset:148
	scratch_store_b32 off, v90, off offset:152
	v_mul_i32_i24_e32 v228, v223, v207
	scratch_store_b32 off, v94, off offset:156 ; 4-byte Folded Spill
	v_mul_i32_i24_e32 v229, v220, v206
	s_clause 0x1
	scratch_store_b32 off, v89, off offset:436
	scratch_store_b32 off, v224, off offset:580
	s_waitcnt vmcnt(0)
	v_add_nc_u32_e32 v116, 0x2108, v0
	scratch_load_b32 v0, off, off offset:4  ; 4-byte Folded Reload
	ds_load_2addr_b32 v[240:241], v116 offset1:1
	s_waitcnt lgkmcnt(0)
	v_bfe_u32 v98, v240, 24, 4
	v_bfe_u32 v99, v241, 16, 4
	v_and_b32_e32 v93, 15, v240
	v_and_b32_e32 v97, 15, v241
	v_bfe_u32 v95, v240, 8, 4
	v_bfe_u32 v113, v240, 16, 4
	v_mul_i32_i24_e32 v233, v98, v202
	v_mul_i32_i24_e32 v230, v93, v205
	;; [unrolled: 1-line block ×5, first 2 shown]
	v_bfe_u32 v101, v241, 8, 4
	v_add3_u32 v47, v47, v230, v50
	v_bfe_u32 v217, v241, 24, 4
	v_mul_i32_i24_e32 v236, v99, v199
	scratch_store_b32 off, v93, off offset:208 ; 4-byte Folded Spill
	v_mul_i32_i24_e32 v235, v101, v200
	v_add3_u32 v47, v47, v54, v212
	v_mul_i32_i24_e32 v237, v217, v198
	s_clause 0x2
	scratch_store_b32 off, v95, off offset:556
	scratch_store_b32 off, v101, off offset:568
	;; [unrolled: 1-line block ×3, first 2 shown]
	v_add3_u32 v47, v47, v234, v227
	scratch_store_b32 off, v220, off offset:576 ; 4-byte Folded Spill
	v_add3_u32 v47, v47, v228, v229
	s_waitcnt vmcnt(0)
	v_add_nc_u32_e32 v116, 0x2110, v0
	ds_load_2addr_b32 v[248:249], v116 offset1:1
	s_waitcnt lgkmcnt(0)
	v_and_b32_e32 v0, 15, v248
	s_clause 0x1
	scratch_store_b32 off, v98, off offset:500
	scratch_store_b32 off, v0, off offset:504
	v_mul_i32_i24_e32 v238, v0, v197
	v_bfe_u32 v0, v248, 8, 4
	scratch_store_b32 off, v99, off offset:836 ; 4-byte Folded Spill
	v_add3_u32 v47, v47, v238, v231
	scratch_store_b32 off, v0, off offset:840 ; 4-byte Folded Spill
	v_mul_i32_i24_e32 v239, v0, v196
	v_bfe_u32 v0, v248, 16, 4
	v_mov_b32_e32 v231, v61
	v_add3_u32 v47, v47, v232, v233
	scratch_store_b32 off, v8, off offset:384 ; 4-byte Folded Spill
	v_mov_b32_e32 v40, v12
	scratch_store_b32 off, v0, off offset:844 ; 4-byte Folded Spill
	v_mul_i32_i24_e32 v242, v0, v195
	v_bfe_u32 v0, v248, 24, 4
	s_clause 0x1
	scratch_store_b32 off, v113, off offset:560
	scratch_store_b32 off, v97, off offset:564
	v_mov_b32_e32 v232, v57
	v_mul_i32_i24_e32 v243, v0, v194
	v_mov_b32_e32 v106, v0
	v_and_b32_e32 v0, 15, v249
	scratch_store_b32 off, v0, off offset:508 ; 4-byte Folded Spill
	v_mul_i32_i24_e32 v244, v0, v193
	v_bfe_u32 v0, v249, 8, 4
	scratch_store_b32 off, v106, off offset:848 ; 4-byte Folded Spill
	v_add3_u32 v47, v47, v244, v235
	scratch_store_b32 off, v0, off offset:852 ; 4-byte Folded Spill
	v_mul_i32_i24_e32 v245, v0, v192
	v_bfe_u32 v0, v249, 16, 4
	v_add3_u32 v47, v47, v236, v237
	scratch_store_b32 off, v0, off offset:856 ; 4-byte Folded Spill
	v_mul_i32_i24_e32 v246, v0, v191
	v_bfe_u32 v0, v249, 24, 4
	scratch_store_b32 off, v0, off offset:860 ; 4-byte Folded Spill
	v_mul_i32_i24_e32 v247, v0, v190
	scratch_load_b32 v0, off, off offset:4  ; 4-byte Folded Reload
	s_waitcnt vmcnt(0)
	v_add_nc_u32_e32 v116, 0x2118, v0
	ds_load_2addr_b32 v[116:117], v116 offset1:1
	s_waitcnt lgkmcnt(0)
	v_and_b32_e32 v0, 15, v116
	v_bfe_u32 v92, v116, 24, 4
	scratch_store_b32 off, v0, off offset:512 ; 4-byte Folded Spill
	v_mul_i32_i24_e32 v250, v0, v189
	v_bfe_u32 v0, v116, 8, 4
	v_mul_i32_i24_e32 v253, v92, v186
	s_delay_alu instid0(VALU_DEP_3)
	v_add3_u32 v47, v47, v250, v239
	scratch_store_b32 off, v0, off offset:516 ; 4-byte Folded Spill
	v_mul_i32_i24_e32 v251, v0, v188
	v_bfe_u32 v0, v116, 16, 4
	v_add3_u32 v47, v47, v242, v243
	scratch_store_b32 off, v0, off offset:520 ; 4-byte Folded Spill
	v_mul_i32_i24_e32 v252, v0, v187
	v_and_b32_e32 v0, 15, v117
	s_clause 0x1
	scratch_store_b32 off, v92, off offset:868
	scratch_store_b32 off, v0, off offset:864
	v_mul_i32_i24_e32 v254, v0, v185
	v_bfe_u32 v0, v117, 8, 4
	s_delay_alu instid0(VALU_DEP_2)
	v_add3_u32 v47, v47, v254, v245
	scratch_store_b32 off, v0, off offset:872 ; 4-byte Folded Spill
	v_mul_i32_i24_e32 v255, v0, v184
	v_bfe_u32 v0, v117, 16, 4
	v_mov_b32_e32 v245, v6
	v_add3_u32 v47, v47, v246, v247
	scratch_store_b32 off, v0, off offset:524 ; 4-byte Folded Spill
	v_mul_i32_i24_e32 v214, v0, v183
	v_bfe_u32 v0, v117, 24, 4
	v_add3_u32 v47, v47, v251, v252
	scratch_store_b32 off, v0, off offset:876 ; 4-byte Folded Spill
	ds_load_u16 v50, v29 offset:26112
	ds_load_u16 v54, v29 offset:26120
	v_mul_i32_i24_e32 v74, v0, v182
	v_add3_u32 v47, v47, v253, v255
	s_delay_alu instid0(VALU_DEP_1)
	v_add3_u32 v47, v47, v214, v74
	s_waitcnt lgkmcnt(1)
	v_and_b32_e32 v252, 0xff, v50
	v_lshrrev_b16 v74, 8, v50
	s_waitcnt lgkmcnt(0)
	v_cvt_f32_ubyte0_e32 v222, v54
	s_delay_alu instid0(VALU_DEP_3) | instskip(NEXT) | instid1(VALU_DEP_3)
	v_mul_lo_u32 v29, v47, v252
	v_and_b32_e32 v47, 0xffff, v74
	scratch_store_b32 off, v252, off offset:880 ; 4-byte Folded Spill
	v_fma_mix_f32 v75, v157, v222, 0 op_sel:[1,0,0] op_sel_hi:[1,0,0]
	scratch_store_b32 off, v47, off offset:192 ; 4-byte Folded Spill
	v_cvt_f32_i32_e32 v29, v29
	s_delay_alu instid0(VALU_DEP_1) | instskip(SKIP_2) | instid1(VALU_DEP_2)
	v_fma_mix_f32 v214, v157, v29, 0 op_sel_hi:[1,0,0]
	v_ashrrev_i32_e32 v29, 4, v52
	v_ashrrev_i32_e32 v52, 4, v117
	v_and_b32_e32 v107, 15, v29
	v_bfe_u32 v219, v29, 8, 4
	v_bfe_u32 v216, v29, 16, 4
	;; [unrolled: 1-line block ×3, first 2 shown]
	v_ashrrev_i32_e32 v29, 4, v53
	v_and_b32_e32 v55, 15, v52
	v_bfe_u32 v51, v52, 8, 4
	v_bfe_u32 v50, v52, 16, 4
	;; [unrolled: 1-line block ×3, first 2 shown]
	v_and_b32_e32 v13, 15, v29
	v_bfe_u32 v100, v29, 8, 4
	v_bfe_u32 v152, v29, 16, 4
	v_bfe_u32 v151, v29, 24, 4
	v_ashrrev_i32_e32 v29, 4, v240
	s_clause 0x5
	scratch_store_b32 off, v222, off offset:884
	scratch_store_b32 off, v219, off offset:888
	;; [unrolled: 1-line block ×6, first 2 shown]
	v_and_b32_e32 v150, 15, v29
	v_bfe_u32 v250, v29, 8, 4
	v_bfe_u32 v105, v29, 16, 4
	v_bfe_u32 v104, v29, 24, 4
	v_ashrrev_i32_e32 v29, 4, v241
	s_clause 0x3
	scratch_store_b32 off, v152, off offset:908
	scratch_store_b32 off, v151, off offset:912
	;; [unrolled: 1-line block ×4, first 2 shown]
	v_and_b32_e32 v103, 15, v29
	v_bfe_u32 v102, v29, 8, 4
	v_bfe_u32 v88, v29, 16, 4
	;; [unrolled: 1-line block ×3, first 2 shown]
	v_ashrrev_i32_e32 v29, 4, v248
	s_clause 0x3
	scratch_store_b32 off, v105, off offset:540
	scratch_store_b32 off, v103, off offset:544
	scratch_store_b32 off, v102, off offset:548
	scratch_store_b32 off, v88, off offset:552
	v_mul_i32_i24_e32 v118, v5, v166
	v_dual_mov_b32 v254, v5 :: v_dual_and_b32 v5, 15, v29
	v_bfe_u32 v87, v29, 8, 4
	v_bfe_u32 v79, v29, 16, 4
	;; [unrolled: 1-line block ×3, first 2 shown]
	v_ashrrev_i32_e32 v29, 4, v249
	v_mov_b32_e32 v249, v13
	scratch_store_b32 off, v250, off offset:536 ; 4-byte Folded Spill
	v_mul_i32_i24_e32 v119, v5, v165
	v_dual_mov_b32 v243, v5 :: v_dual_and_b32 v78, 15, v29
	v_bfe_u32 v70, v29, 8, 4
	v_bfe_u32 v69, v29, 16, 4
	;; [unrolled: 1-line block ×3, first 2 shown]
	v_ashrrev_i32_e32 v29, 4, v116
	s_clause 0x4
	scratch_store_b32 off, v79, off offset:1020
	scratch_store_b32 off, v72, off offset:1024
	;; [unrolled: 1-line block ×5, first 2 shown]
	v_and_b32_e32 v68, 15, v29
	v_bfe_u32 v64, v29, 8, 4
	v_bfe_u32 v63, v29, 16, 4
	v_bfe_u32 v58, v29, 24, 4
	s_clause 0x9
	scratch_store_b32 off, v67, off offset:1032
	scratch_store_b32 off, v68, off offset:172
	;; [unrolled: 1-line block ×10, first 2 shown]
	v_cvt_f32_ubyte1_e32 v5, v54
	scratch_store_b32 off, v87, off offset:204 ; 4-byte Folded Spill
	s_clause 0x7
	scratch_load_b32 v135, off, off offset:1100
	scratch_load_b32 v226, off, off offset:1104
	;; [unrolled: 1-line block ×8, first 2 shown]
	v_mul_i32_i24_e32 v76, v107, v181
	v_mul_i32_i24_e32 v77, v219, v180
	;; [unrolled: 1-line block ×5, first 2 shown]
	v_mad_i32_i24 v76, v13, v42, v76
	v_mul_i32_i24_e32 v53, v100, v177
	v_mul_i32_i24_e32 v110, v103, v169
	v_mul_i32_i24_e32 v82, v152, v176
	v_mul_i32_i24_e32 v83, v151, v175
	v_add3_u32 v71, v76, v71, v77
	v_mul_i32_i24_e32 v114, v250, v172
	v_mul_i32_i24_e32 v108, v105, v171
	v_mul_i32_i24_e32 v109, v104, v170
	v_mul_i32_i24_e32 v111, v102, v168
	v_add3_u32 v71, v71, v80, v81
	;; [unrolled: 5-line block ×6, first 2 shown]
	v_fma_mix_f32 v74, v158, v5, v75 op_sel:[1,0,0] op_sel_hi:[1,0,0]
	scratch_store_b32 off, v5, off offset:200 ; 4-byte Folded Spill
	v_add3_u32 v53, v53, v123, v111
	s_delay_alu instid0(VALU_DEP_1) | instskip(NEXT) | instid1(VALU_DEP_1)
	v_add3_u32 v53, v53, v112, v118
	v_add3_u32 v53, v53, v116, v120
	s_delay_alu instid0(VALU_DEP_1) | instskip(NEXT) | instid1(VALU_DEP_1)
	v_add3_u32 v53, v53, v121, v122
	;; [unrolled: 3-line block ×4, first 2 shown]
	v_add3_u32 v71, v53, v132, v133
	s_delay_alu instid0(VALU_DEP_1) | instskip(NEXT) | instid1(VALU_DEP_1)
	v_mul_lo_u32 v71, v71, v47
	v_cvt_f32_i32_e32 v71, v71
	s_delay_alu instid0(VALU_DEP_1) | instskip(SKIP_4) | instid1(VALU_DEP_2)
	v_fma_mix_f32 v71, v158, v71, v214 op_sel_hi:[1,0,0]
	s_waitcnt vmcnt(2)
	v_mul_f32_e32 v74, v74, v66
	v_mov_b32_e32 v144, v66
	s_waitcnt vmcnt(1)
	v_fma_f32 v71, v71, v56, -v74
	s_waitcnt vmcnt(0)
	s_delay_alu instid0(VALU_DEP_1)
	v_add_f32_e32 v0, v0, v71
	scratch_store_b32 off, v0, off offset:1076 ; 4-byte Folded Spill
	scratch_load_b32 v0, off, off offset:1264 ; 4-byte Folded Reload
	s_waitcnt vmcnt(0)
	v_add3_u32 v71, v0, s17, v213
	scratch_load_b32 v0, off, off offset:4  ; 4-byte Folded Reload
	s_waitcnt vmcnt(0)
	v_add_nc_u32_e32 v74, 0x3180, v0
	ds_load_2addr_b32 v[116:117], v74 offset1:1
	s_waitcnt lgkmcnt(0)
	v_bfe_u32 v0, v117, 8, 4
	v_and_b32_e32 v54, 15, v116
	v_bfe_u32 v66, v116, 8, 4
	v_and_b32_e32 v240, 15, v117
	v_bfe_u32 v53, v116, 16, 4
	scratch_store_b32 off, v0, off offset:36 ; 4-byte Folded Spill
	v_mul_i32_i24_e32 v77, v0, v208
	v_bfe_u32 v0, v117, 16, 4
	v_mul_i32_i24_e32 v74, v54, v211
	v_bfe_u32 v52, v116, 24, 4
	v_mul_i32_i24_e32 v4, v66, v4
	s_clause 0x2
	scratch_store_b32 off, v54, off offset:488
	scratch_store_b32 off, v53, off offset:492
	;; [unrolled: 1-line block ×3, first 2 shown]
	v_mul_i32_i24_e32 v80, v0, v207
	v_bfe_u32 v0, v117, 24, 4
	v_mad_i32_i24 v74, v240, v174, v74
	s_clause 0x3
	scratch_store_b32 off, v66, off offset:484
	scratch_store_b32 off, v52, off offset:496
	;; [unrolled: 1-line block ×4, first 2 shown]
	v_mul_i32_i24_e32 v81, v0, v206
	scratch_load_b32 v0, off, off offset:4  ; 4-byte Folded Reload
	v_mul_i32_i24_e32 v75, v53, v210
	v_mul_i32_i24_e32 v76, v52, v209
	s_waitcnt vmcnt(0)
	v_add_nc_u32_e32 v82, 0x3188, v0
	ds_load_2addr_b32 v[206:207], v82 offset1:1
	s_waitcnt lgkmcnt(0)
	v_and_b32_e32 v0, 15, v206
	scratch_store_b32 off, v0, off offset:8 ; 4-byte Folded Spill
	v_mul_i32_i24_e32 v82, v0, v205
	v_bfe_u32 v0, v206, 8, 4
	s_delay_alu instid0(VALU_DEP_2)
	v_add3_u32 v4, v74, v82, v4
	scratch_store_b32 off, v0, off offset:16 ; 4-byte Folded Spill
	v_mul_i32_i24_e32 v83, v0, v204
	v_bfe_u32 v0, v206, 16, 4
	v_add3_u32 v4, v4, v75, v76
	scratch_store_b32 off, v0, off offset:20 ; 4-byte Folded Spill
	v_mul_i32_i24_e32 v108, v0, v203
	v_bfe_u32 v0, v206, 24, 4
	scratch_store_b32 off, v0, off offset:28 ; 4-byte Folded Spill
	v_mul_i32_i24_e32 v109, v0, v202
	v_and_b32_e32 v0, 15, v207
	scratch_store_b32 off, v0, off offset:12 ; 4-byte Folded Spill
	v_mul_i32_i24_e32 v110, v0, v201
	v_bfe_u32 v0, v207, 8, 4
	s_delay_alu instid0(VALU_DEP_2)
	v_add3_u32 v4, v4, v110, v77
	scratch_store_b32 off, v0, off offset:24 ; 4-byte Folded Spill
	v_mul_i32_i24_e32 v111, v0, v200
	v_bfe_u32 v0, v207, 16, 4
	v_add3_u32 v4, v4, v80, v81
	v_ashrrev_i32_e32 v81, 4, v117
	scratch_store_b32 off, v0, off offset:32 ; 4-byte Folded Spill
	v_mul_i32_i24_e32 v112, v0, v199
	v_bfe_u32 v0, v207, 24, 4
	v_and_b32_e32 v14, 15, v81
	scratch_store_b32 off, v0, off offset:300 ; 4-byte Folded Spill
	v_mul_i32_i24_e32 v114, v0, v198
	scratch_load_b32 v0, off, off offset:4  ; 4-byte Folded Reload
	s_waitcnt vmcnt(0)
	v_add_nc_u32_e32 v118, 0x3190, v0
	ds_load_2addr_b32 v[198:199], v118 offset1:1
	s_waitcnt lgkmcnt(0)
	v_and_b32_e32 v0, 15, v198
	scratch_store_b32 off, v0, off offset:48 ; 4-byte Folded Spill
	v_mul_i32_i24_e32 v118, v0, v197
	v_bfe_u32 v0, v198, 8, 4
	s_delay_alu instid0(VALU_DEP_2)
	v_add3_u32 v4, v4, v118, v83
	scratch_store_b32 off, v0, off offset:52 ; 4-byte Folded Spill
	v_mul_i32_i24_e32 v119, v0, v196
	v_bfe_u32 v0, v198, 16, 4
	v_ashrrev_i32_e32 v118, 4, v198
	v_add3_u32 v4, v4, v108, v109
	v_ashrrev_i32_e32 v108, 4, v206
	scratch_store_b32 off, v0, off offset:304 ; 4-byte Folded Spill
	v_mul_i32_i24_e32 v120, v0, v195
	v_bfe_u32 v0, v198, 24, 4
	scratch_store_b32 off, v0, off offset:312 ; 4-byte Folded Spill
	v_mul_i32_i24_e32 v121, v0, v194
	v_and_b32_e32 v0, 15, v199
	scratch_store_b32 off, v0, off offset:308 ; 4-byte Folded Spill
	v_mul_i32_i24_e32 v122, v0, v193
	v_bfe_u32 v0, v199, 8, 4
	s_delay_alu instid0(VALU_DEP_2)
	v_add3_u32 v4, v4, v122, v111
	scratch_store_b32 off, v0, off offset:316 ; 4-byte Folded Spill
	v_mul_i32_i24_e32 v123, v0, v192
	v_bfe_u32 v0, v199, 16, 4
	v_ashrrev_i32_e32 v122, 4, v199
	v_add3_u32 v4, v4, v112, v114
	v_ashrrev_i32_e32 v112, 4, v207
	scratch_store_b32 off, v0, off offset:320 ; 4-byte Folded Spill
	v_mul_i32_i24_e32 v124, v0, v191
	v_bfe_u32 v0, v199, 24, 4
	scratch_store_b32 off, v0, off offset:324 ; 4-byte Folded Spill
	v_mul_i32_i24_e32 v125, v0, v190
	scratch_load_b32 v0, off, off offset:4  ; 4-byte Folded Reload
	s_waitcnt vmcnt(0)
	v_add_nc_u32_e32 v127, 0x3198, v0
	ds_load_2addr_b32 v[190:191], v127 offset1:1
	s_waitcnt lgkmcnt(0)
	v_and_b32_e32 v0, 15, v190
	v_bfe_u32 v253, v191, 16, 4
	v_bfe_u32 v251, v191, 24, 4
	scratch_store_b32 off, v0, off offset:56 ; 4-byte Folded Spill
	v_mul_i32_i24_e32 v127, v0, v189
	v_bfe_u32 v0, v190, 8, 4
	s_clause 0x1
	scratch_store_b32 off, v253, off offset:1048
	scratch_store_b32 off, v251, off offset:1052
	v_mul_i32_i24_e32 v133, v253, v183
	v_add3_u32 v4, v4, v127, v119
	scratch_store_b32 off, v0, off offset:60 ; 4-byte Folded Spill
	v_mul_i32_i24_e32 v128, v0, v188
	v_bfe_u32 v0, v190, 16, 4
	v_mul_i32_i24_e32 v182, v251, v182
	v_add3_u32 v4, v4, v120, v121
	v_ashrrev_i32_e32 v127, 4, v190
	scratch_store_b32 off, v0, off offset:64 ; 4-byte Folded Spill
	v_mul_i32_i24_e32 v129, v0, v187
	v_bfe_u32 v0, v190, 24, 4
	scratch_store_b32 off, v0, off offset:328 ; 4-byte Folded Spill
	v_mul_i32_i24_e32 v130, v0, v186
	v_and_b32_e32 v0, 15, v191
	scratch_store_b32 off, v0, off offset:684 ; 4-byte Folded Spill
	v_mul_i32_i24_e32 v131, v0, v185
	v_bfe_u32 v0, v191, 8, 4
	s_delay_alu instid0(VALU_DEP_2)
	v_add3_u32 v4, v4, v131, v123
	scratch_store_b32 off, v0, off offset:688 ; 4-byte Folded Spill
	ds_load_u16 v74, v71 offset:26624
	ds_load_u16 v71, v71 offset:26632
	v_mul_i32_i24_e32 v132, v0, v184
	v_ashrrev_i32_e32 v131, 4, v191
	v_add3_u32 v4, v4, v124, v125
	s_clause 0x4
	scratch_load_b32 v13, off, off offset:1240
	scratch_load_b32 v255, off, off offset:916
	;; [unrolled: 1-line block ×5, first 2 shown]
	v_add3_u32 v4, v4, v128, v129
	s_clause 0x3
	scratch_load_b32 v241, off, off offset:784
	scratch_load_b32 v233, off, off offset:768
	scratch_load_b32 v212, off, off offset:452
	scratch_load_b32 v225, off, off offset:448
	v_add3_u32 v4, v4, v130, v132
	s_clause 0x4
	scratch_load_b32 v234, off, off offset:444
	scratch_load_b32 v227, off, off offset:396
	;; [unrolled: 1-line block ×5, first 2 shown]
	s_waitcnt lgkmcnt(1)
	v_lshrrev_b16 v75, 8, v74
	v_and_b32_e32 v246, 0xff, v74
	v_ashrrev_i32_e32 v74, 4, v116
	v_add3_u32 v4, v4, v133, v182
	s_waitcnt lgkmcnt(0)
	v_cvt_f32_ubyte0_e32 v133, v71
	s_clause 0x4
	scratch_load_b32 v230, off, off offset:112
	scratch_load_b32 v23, off, off offset:120
	;; [unrolled: 1-line block ×5, first 2 shown]
	v_and_b32_e32 v10, 15, v74
	v_mul_lo_u32 v4, v4, v246
	v_fma_mix_f32 v0, v157, v133, 0 op_sel:[1,0,0] op_sel_hi:[1,0,0]
	scratch_store_b32 off, v246, off offset:1056 ; 4-byte Folded Spill
	s_clause 0x5
	scratch_load_b32 v22, off, off offset:76
	scratch_load_b32 v228, off, off offset:80
	;; [unrolled: 1-line block ×6, first 2 shown]
	scratch_store_b32 off, v10, off offset:480 ; 4-byte Folded Spill
	v_mul_i32_i24_e32 v76, v10, v181
	v_bfe_u32 v10, v74, 8, 4
	v_cvt_f32_i32_e32 v4, v4
	s_clause 0x1
	scratch_load_b32 v29, off, off offset:108
	scratch_load_b32 v221, off, off offset:68
	v_mad_i32_i24 v42, v14, v42, v76
	scratch_store_b32 off, v10, off offset:692 ; 4-byte Folded Spill
	v_mul_i32_i24_e32 v77, v10, v180
	v_bfe_u32 v10, v74, 16, 4
	v_fma_mix_f32 v4, v157, v4, 0 op_sel_hi:[1,0,0]
	v_bfe_u32 v157, v74, 24, 4
	scratch_store_b32 off, v133, off offset:1060 ; 4-byte Folded Spill
	scratch_load_b32 v12, off, off offset:132 ; 4-byte Folded Reload
	scratch_store_b32 off, v10, off offset:700 ; 4-byte Folded Spill
	v_mul_i32_i24_e32 v80, v10, v179
	v_bfe_u32 v10, v81, 8, 4
	v_mul_i32_i24_e32 v74, v157, v178
	s_clause 0x1
	scratch_load_b32 v61, off, off offset:144
	scratch_load_b32 v57, off, off offset:176
	s_clause 0x4
	scratch_store_b32 off, v16, off offset:584
	scratch_store_b32 off, v41, off offset:588
	;; [unrolled: 1-line block ×5, first 2 shown]
	v_mul_i32_i24_e32 v82, v10, v177
	v_bfe_u32 v10, v81, 16, 4
	s_clause 0x1
	scratch_store_b32 off, v34, off offset:600
	scratch_store_b32 off, v254, off offset:604
	scratch_load_b32 v6, off, off offset:752 ; 4-byte Folded Reload
	s_clause 0x2
	scratch_store_b32 off, v25, off offset:216
	scratch_store_b32 off, v28, off offset:220
	;; [unrolled: 1-line block ×3, first 2 shown]
	v_mul_i32_i24_e32 v83, v10, v176
	v_bfe_u32 v10, v81, 24, 4
	s_clause 0x4
	scratch_store_b32 off, v59, off offset:372
	scratch_store_b32 off, v231, off offset:388
	;; [unrolled: 1-line block ×5, first 2 shown]
	v_mul_i32_i24_e32 v81, v10, v175
	v_and_b32_e32 v10, 15, v108
	s_clause 0x4
	scratch_store_b32 off, v86, off offset:424
	scratch_store_b32 off, v84, off offset:428
	scratch_store_b32 off, v85, off offset:432
	scratch_store_b32 off, v137, off offset:776
	scratch_store_b32 off, v10, off offset:924
	v_mul_i32_i24_e32 v109, v10, v173
	v_bfe_u32 v10, v108, 8, 4
	s_delay_alu instid0(VALU_DEP_2)
	v_add3_u32 v42, v42, v109, v77
	scratch_store_b32 off, v10, off offset:1012 ; 4-byte Folded Spill
	v_mul_i32_i24_e32 v110, v10, v172
	v_bfe_u32 v10, v108, 16, 4
	v_add3_u32 v42, v42, v80, v74
	scratch_store_b32 off, v10, off offset:1220 ; 4-byte Folded Spill
	v_mul_i32_i24_e32 v111, v10, v171
	v_bfe_u32 v10, v108, 24, 4
	scratch_store_b32 off, v10, off offset:1224 ; 4-byte Folded Spill
	v_mul_i32_i24_e32 v108, v10, v170
	v_and_b32_e32 v10, 15, v112
	scratch_store_b32 off, v10, off offset:1000 ; 4-byte Folded Spill
	v_mul_i32_i24_e32 v114, v10, v169
	v_bfe_u32 v10, v112, 8, 4
	s_delay_alu instid0(VALU_DEP_2)
	v_add3_u32 v42, v42, v114, v82
	scratch_store_b32 off, v10, off offset:1208 ; 4-byte Folded Spill
	v_mul_i32_i24_e32 v116, v10, v168
	v_bfe_u32 v10, v112, 16, 4
	v_add3_u32 v42, v42, v83, v81
	scratch_store_b32 off, v10, off offset:1212 ; 4-byte Folded Spill
	v_mul_i32_i24_e32 v117, v10, v167
	v_bfe_u32 v10, v112, 24, 4
	scratch_store_b32 off, v10, off offset:1216 ; 4-byte Folded Spill
	v_mul_i32_i24_e32 v112, v10, v166
	v_and_b32_e32 v10, 15, v118
	scratch_store_b32 off, v10, off offset:1200 ; 4-byte Folded Spill
	;; [unrolled: 15-line block ×3, first 2 shown]
	v_mul_i32_i24_e32 v123, v10, v161
	v_bfe_u32 v10, v122, 8, 4
	s_delay_alu instid0(VALU_DEP_2) | instskip(NEXT) | instid1(VALU_DEP_2)
	v_add3_u32 v42, v42, v123, v116
	v_mul_i32_i24_e32 v124, v10, v7
	v_bfe_u32 v7, v122, 16, 4
	s_delay_alu instid0(VALU_DEP_3) | instskip(NEXT) | instid1(VALU_DEP_2)
	v_add3_u32 v42, v42, v117, v112
	v_mul_i32_i24_e32 v125, v7, v3
	v_bfe_u32 v3, v122, 24, 4
	scratch_store_b32 off, v7, off offset:828 ; 4-byte Folded Spill
	v_mov_b32_e32 v7, v14
	scratch_load_b32 v14, off, off offset:1256 ; 4-byte Folded Reload
	scratch_store_b32 off, v3, off offset:832 ; 4-byte Folded Spill
	v_mul_i32_i24_e32 v122, v3, v2
	v_and_b32_e32 v2, 15, v127
	scratch_store_b32 off, v7, off offset:816 ; 4-byte Folded Spill
	v_mul_i32_i24_e32 v128, v2, v1
	v_bfe_u32 v1, v127, 8, 4
	scratch_store_b32 off, v2, off offset:804 ; 4-byte Folded Spill
	scratch_load_b32 v2, off, off offset:956 ; 4-byte Folded Reload
	v_add3_u32 v42, v42, v128, v120
	scratch_store_b32 off, v1, off offset:800 ; 4-byte Folded Spill
	v_mul_i32_i24_e32 v129, v1, v156
	v_bfe_u32 v1, v127, 16, 4
	v_add3_u32 v42, v42, v121, v118
	scratch_store_b32 off, v1, off offset:808 ; 4-byte Folded Spill
	v_mul_i32_i24_e32 v130, v1, v155
	v_bfe_u32 v1, v127, 24, 4
	scratch_store_b32 off, v1, off offset:812 ; 4-byte Folded Spill
	v_mul_i32_i24_e32 v127, v1, v154
	v_and_b32_e32 v1, 15, v131
	scratch_store_b32 off, v10, off offset:820 ; 4-byte Folded Spill
	scratch_load_b32 v10, off, off offset:116 ; 4-byte Folded Reload
	v_mul_i32_i24_e32 v132, v1, v153
	scratch_store_b32 off, v1, off offset:712 ; 4-byte Folded Spill
	v_bfe_u32 v1, v131, 8, 4
	v_add3_u32 v42, v42, v132, v124
	scratch_store_b32 off, v1, off offset:716 ; 4-byte Folded Spill
	v_mul_i32_i24_e32 v126, v1, v126
	v_bfe_u32 v1, v131, 16, 4
	v_add3_u32 v42, v42, v125, v122
	scratch_store_b32 off, v1, off offset:720 ; 4-byte Folded Spill
	v_mul_i32_i24_e32 v62, v1, v62
	v_bfe_u32 v1, v131, 24, 4
	v_add3_u32 v42, v42, v129, v130
	s_delay_alu instid0(VALU_DEP_2) | instskip(NEXT) | instid1(VALU_DEP_2)
	v_mul_i32_i24_e32 v45, v1, v45
	v_add3_u32 v42, v42, v127, v126
	v_mov_b32_e32 v131, v1
	v_and_b32_e32 v1, 0xffff, v75
	s_delay_alu instid0(VALU_DEP_3) | instskip(NEXT) | instid1(VALU_DEP_2)
	v_add3_u32 v42, v42, v62, v45
	v_mov_b32_e32 v110, v1
	scratch_store_b32 off, v65, off offset:352 ; 4-byte Folded Spill
	v_mul_lo_u32 v42, v42, v1
	v_cvt_f32_ubyte1_e32 v1, v71
	s_delay_alu instid0(VALU_DEP_1) | instskip(SKIP_3) | instid1(VALU_DEP_1)
	v_fma_mix_f32 v0, v158, v1, v0 op_sel:[1,0,0] op_sel_hi:[1,0,0]
	v_mov_b32_e32 v109, v1
	scratch_load_b32 v1, off, off offset:1072 ; 4-byte Folded Reload
	v_cvt_f32_i32_e32 v42, v42
	v_fma_mix_f32 v4, v158, v42, v4 op_sel_hi:[1,0,0]
	s_waitcnt vmcnt(3)
	v_mul_f32_e32 v0, v0, v14
	s_delay_alu instid0(VALU_DEP_1) | instskip(SKIP_1) | instid1(VALU_DEP_1)
	v_fma_f32 v0, v4, v13, -v0
	s_waitcnt vmcnt(0)
	v_add_f32_e32 v1, v1, v0
	scratch_load_b32 v0, off, off           ; 4-byte Folded Reload
	s_waitcnt vmcnt(0)
	ds_load_b128 v[153:156], v0 offset:1024
	scratch_load_b32 v0, off, off           ; 4-byte Folded Reload
	s_waitcnt lgkmcnt(0)
	v_bfe_i32 v208, v153, 0, 8
	v_bfe_i32 v207, v153, 8, 8
	;; [unrolled: 1-line block ×3, first 2 shown]
	v_ashrrev_i32_e32 v210, 24, v153
	v_bfe_i32 v190, v154, 0, 8
	v_mul_i32_i24_e32 v71, v208, v137
	v_bfe_i32 v187, v154, 8, 8
	v_mul_i32_i24_e32 v74, v209, v136
	v_mul_i32_i24_e32 v75, v210, v134
	v_bfe_i32 v188, v154, 16, 8
	v_mad_i32_i24 v71, v207, v138, v71
	v_ashrrev_i32_e32 v189, 24, v154
	v_bfe_i32 v183, v155, 0, 8
	v_bfe_i32 v184, v155, 8, 8
	v_mul_i32_i24_e32 v76, v188, v141
	v_add3_u32 v71, v71, v74, v75
	v_mul_i32_i24_e32 v74, v190, v139
	v_mul_i32_i24_e32 v75, v187, v142
	v_mul_i32_i24_e32 v77, v189, v140
	v_bfe_i32 v185, v155, 16, 8
	v_ashrrev_i32_e32 v186, 24, v155
	v_ashrrev_i32_e32 v182, 24, v156
	v_add3_u32 v71, v71, v74, v75
	v_mul_i32_i24_e32 v74, v183, v149
	v_mul_i32_i24_e32 v75, v184, v148
	v_bfe_i32 v167, v156, 0, 8
	v_bfe_i32 v180, v156, 8, 8
	v_add3_u32 v71, v71, v76, v77
	v_mul_i32_i24_e32 v76, v185, v143
	v_mul_i32_i24_e32 v77, v186, v146
	v_bfe_i32 v181, v156, 16, 8
	scratch_load_b32 v141, off, off offset:780 ; 4-byte Folded Reload
	v_add3_u32 v71, v71, v74, v75
	v_mul_i32_i24_e32 v74, v167, v145
	v_mul_i32_i24_e32 v75, v180, v147
	v_mov_b32_e32 v138, v142
	scratch_load_b32 v142, off, off offset:460 ; 4-byte Folded Reload
	v_add3_u32 v71, v71, v76, v77
	v_mul_i32_i24_e32 v77, v182, v2
	scratch_load_b32 v2, off, off offset:960 ; 4-byte Folded Reload
	v_mul_i32_i24_e32 v76, v181, v247
	scratch_load_b32 v143, off, off offset:456 ; 4-byte Folded Reload
	v_add3_u32 v71, v71, v74, v75
	s_clause 0x1
	scratch_load_b32 v146, off, off offset:464
	scratch_load_b32 v147, off, off offset:468
	v_mov_b32_e32 v149, v148
	scratch_load_b32 v148, off, off offset:792 ; 4-byte Folded Reload
	v_add3_u32 v71, v71, v76, v77
	s_clause 0x1
	scratch_load_b32 v134, off, off offset:476
	scratch_load_b32 v145, off, off offset:796
	v_mov_b32_e32 v136, v60
	s_clause 0x1
	scratch_load_b32 v139, off, off offset:332
	scratch_load_b32 v140, off, off offset:412
	scratch_store_b32 off, v138, off offset:744 ; 4-byte Folded Spill
	s_waitcnt vmcnt(11)
	ds_load_b128 v[153:156], v0 offset:1040
	scratch_load_b32 v0, off, off           ; 4-byte Folded Reload
	s_waitcnt lgkmcnt(0)
	v_bfe_i32 v203, v153, 0, 8
	v_bfe_i32 v204, v153, 8, 8
	v_bfe_i32 v205, v153, 16, 8
	v_ashrrev_i32_e32 v206, 24, v153
	v_bfe_i32 v199, v154, 0, 8
	v_bfe_i32 v200, v154, 8, 8
	v_bfe_i32 v201, v154, 16, 8
	v_ashrrev_i32_e32 v202, 24, v154
	;; [unrolled: 4-line block ×4, first 2 shown]
	s_waitcnt vmcnt(9)
	v_mul_i32_i24_e32 v74, v203, v2
	scratch_load_b32 v2, off, off offset:944 ; 4-byte Folded Reload
	s_waitcnt vmcnt(1)
	ds_load_b128 v[153:156], v0 offset:1056
	scratch_load_b32 v0, off, off           ; 4-byte Folded Reload
	s_waitcnt lgkmcnt(0)
	v_bfe_i32 v177, v153, 0, 8
	v_bfe_i32 v178, v153, 16, 8
	;; [unrolled: 1-line block ×3, first 2 shown]
	v_ashrrev_i32_e32 v174, 24, v154
	v_ashrrev_i32_e32 v179, 24, v153
	v_bfe_i32 v175, v154, 0, 8
	v_bfe_i32 v172, v154, 8, 8
	;; [unrolled: 1-line block ×3, first 2 shown]
	v_ashrrev_i32_e32 v170, 24, v155
	v_bfe_i32 v171, v155, 0, 8
	v_bfe_i32 v168, v155, 8, 8
	;; [unrolled: 1-line block ×3, first 2 shown]
	v_mul_i32_i24_e32 v80, v173, v143
	v_bfe_i32 v163, v156, 8, 8
	v_bfe_i32 v169, v155, 16, 8
	;; [unrolled: 1-line block ×3, first 2 shown]
	v_ashrrev_i32_e32 v165, 24, v156
	s_waitcnt vmcnt(1)
	v_mul_i32_i24_e32 v75, v204, v2
	scratch_load_b32 v2, off, off offset:608 ; 4-byte Folded Reload
	v_add3_u32 v71, v71, v74, v75
	s_waitcnt vmcnt(1)
	ds_load_b128 v[153:156], v0 offset:1072
	s_waitcnt lgkmcnt(0)
	v_bfe_i32 v83, v153, 8, 8
	v_bfe_i32 v108, v153, 16, 8
	v_ashrrev_i32_e32 v161, 24, v153
	v_bfe_i32 v162, v153, 0, 8
	v_bfe_i32 v82, v154, 0, 8
	;; [unrolled: 1-line block ×4, first 2 shown]
	v_ashrrev_i32_e32 v3, 24, v154
	v_bfe_i32 v126, v155, 16, 8
	v_bfe_i32 v153, v155, 0, 8
	;; [unrolled: 1-line block ×3, first 2 shown]
	v_ashrrev_i32_e32 v4, 24, v155
	v_bfe_i32 v0, v156, 0, 8
	v_bfe_i32 v42, v156, 16, 8
	v_ashrrev_i32_e32 v45, 24, v156
	s_waitcnt vmcnt(0)
	v_mul_i32_i24_e32 v76, v205, v2
	scratch_load_b32 v2, off, off offset:952 ; 4-byte Folded Reload
	s_waitcnt vmcnt(0)
	v_mul_i32_i24_e32 v77, v206, v2
	scratch_load_b32 v2, off, off offset:948 ; 4-byte Folded Reload
	v_add3_u32 v71, v71, v76, v77
	s_waitcnt vmcnt(0)
	v_mul_i32_i24_e32 v74, v199, v2
	scratch_load_b32 v2, off, off offset:612 ; 4-byte Folded Reload
	s_waitcnt vmcnt(0)
	v_mul_i32_i24_e32 v75, v200, v2
	scratch_load_b32 v2, off, off offset:616 ; 4-byte Folded Reload
	v_add3_u32 v71, v71, v74, v75
	;; [unrolled: 7-line block ×7, first 2 shown]
	v_mul_i32_i24_e32 v77, v179, v141
	s_waitcnt vmcnt(0)
	s_delay_alu instid0(VALU_DEP_2) | instskip(SKIP_2) | instid1(VALU_DEP_1)
	v_mul_lo_u32 v71, v71, v2
	scratch_load_b32 v2, off, off offset:292 ; 4-byte Folded Reload
	v_cvt_f32_i32_e32 v71, v71
	v_fma_mix_f32 v71, v159, v71, 0 op_sel_hi:[1,0,0]
	s_waitcnt vmcnt(0)
	v_fma_mix_f32 v74, v2, v159, 0 op_sel:[0,1,0] op_sel_hi:[0,1,0]
	scratch_load_b32 v2, off, off offset:276 ; 4-byte Folded Reload
	v_fma_mix_f32 v74, v15, v160, v74 op_sel:[0,1,0] op_sel_hi:[0,1,0]
	s_delay_alu instid0(VALU_DEP_1)
	v_mul_f32_e32 v74, v74, v11
	scratch_load_b32 v11, off, off offset:164 ; 4-byte Folded Reload
	s_waitcnt vmcnt(1)
	v_mul_i32_i24_e32 v75, v177, v2
	scratch_load_b32 v2, off, off offset:252 ; 4-byte Folded Reload
	s_waitcnt vmcnt(0)
	v_mul_i32_i24_e32 v76, v178, v2
	scratch_load_b32 v2, off, off offset:256 ; 4-byte Folded Reload
	s_waitcnt vmcnt(0)
	v_mad_i32_i24 v75, v176, v2, v75
	scratch_load_b32 v2, off, off offset:632 ; 4-byte Folded Reload
	v_add3_u32 v75, v75, v76, v77
	v_mul_i32_i24_e32 v76, v175, v34
	v_mul_i32_i24_e32 v77, v172, v142
	s_delay_alu instid0(VALU_DEP_1)
	v_add3_u32 v75, v75, v76, v77
	v_mul_i32_i24_e32 v76, v171, v146
	v_mul_i32_i24_e32 v77, v168, v147
	s_waitcnt vmcnt(0)
	v_mul_i32_i24_e32 v81, v174, v2
	scratch_load_b32 v2, off, off offset:620 ; 4-byte Folded Reload
	v_add3_u32 v75, v75, v80, v81
	v_mul_i32_i24_e32 v80, v169, v148
	s_delay_alu instid0(VALU_DEP_2)
	v_add3_u32 v75, v75, v76, v77
	s_waitcnt vmcnt(0)
	v_mul_i32_i24_e32 v81, v170, v2
	scratch_load_b32 v2, off, off offset:268 ; 4-byte Folded Reload
	v_add3_u32 v75, v75, v80, v81
	v_mul_i32_i24_e32 v81, v165, v134
	s_waitcnt vmcnt(0)
	v_mul_i32_i24_e32 v76, v166, v2
	scratch_load_b32 v2, off, off offset:272 ; 4-byte Folded Reload
	s_waitcnt vmcnt(0)
	v_mul_i32_i24_e32 v77, v163, v2
	scratch_load_b32 v2, off, off offset:624 ; 4-byte Folded Reload
	v_add3_u32 v75, v75, v76, v77
	v_mul_i32_i24_e32 v76, v162, v145
	s_waitcnt vmcnt(0)
	v_mul_i32_i24_e32 v80, v164, v2
	scratch_load_b32 v2, off, off offset:652 ; 4-byte Folded Reload
	v_add3_u32 v75, v75, v80, v81
	s_waitcnt vmcnt(0)
	v_mul_i32_i24_e32 v77, v83, v2
	scratch_load_b32 v2, off, off offset:972 ; 4-byte Folded Reload
	v_add3_u32 v75, v75, v76, v77
	s_waitcnt vmcnt(0)
	v_mul_i32_i24_e32 v80, v108, v2
	scratch_load_b32 v2, off, off offset:968 ; 4-byte Folded Reload
	s_waitcnt vmcnt(0)
	v_mul_i32_i24_e32 v81, v161, v2
	scratch_load_b32 v2, off, off offset:980 ; 4-byte Folded Reload
	v_add3_u32 v75, v75, v80, v81
	s_waitcnt vmcnt(0)
	v_mul_i32_i24_e32 v76, v82, v2
	scratch_load_b32 v2, off, off offset:628 ; 4-byte Folded Reload
	s_waitcnt vmcnt(0)
	v_mul_i32_i24_e32 v77, v211, v2
	scratch_load_b32 v2, off, off offset:976 ; 4-byte Folded Reload
	v_add3_u32 v75, v75, v76, v77
	v_mul_i32_i24_e32 v76, v153, v239
	v_mul_i32_i24_e32 v77, v62, v241
	s_waitcnt vmcnt(0)
	v_mul_i32_i24_e32 v80, v213, v2
	scratch_load_b32 v2, off, off offset:964 ; 4-byte Folded Reload
	s_waitcnt vmcnt(0)
	v_mul_i32_i24_e32 v81, v3, v2
	scratch_load_b32 v2, off, off offset:636 ; 4-byte Folded Reload
	v_add3_u32 v75, v75, v80, v81
	v_mul_i32_i24_e32 v81, v4, v39
	s_delay_alu instid0(VALU_DEP_2)
	v_add3_u32 v75, v75, v76, v77
	v_mul_i32_i24_e32 v76, v0, v16
	s_waitcnt vmcnt(0)
	v_mul_i32_i24_e32 v80, v126, v2
	scratch_load_b32 v2, off, off offset:1068 ; 4-byte Folded Reload
	scratch_store_b32 off, v1, off offset:1072 ; 4-byte Folded Spill
	v_bfe_i32 v1, v156, 8, 8
	v_add3_u32 v75, v75, v80, v81
	v_mul_i32_i24_e32 v80, v42, v41
	v_mul_i32_i24_e32 v81, v45, v28
	s_delay_alu instid0(VALU_DEP_4) | instskip(NEXT) | instid1(VALU_DEP_1)
	v_mul_i32_i24_e32 v77, v1, v25
	v_add3_u32 v75, v75, v76, v77
	v_mul_i32_i24_e32 v76, v188, v230
	v_mul_i32_i24_e32 v77, v189, v10
	s_delay_alu instid0(VALU_DEP_3) | instskip(SKIP_4) | instid1(VALU_DEP_1)
	v_add3_u32 v75, v75, v80, v81
	v_mul_i32_i24_e32 v80, v173, v228
	v_mul_i32_i24_e32 v81, v174, v36
	scratch_load_b32 v36, off, off offset:960 ; 4-byte Folded Reload
	v_mul_lo_u32 v75, v75, v40
	v_cvt_f32_i32_e32 v75, v75
	s_delay_alu instid0(VALU_DEP_1) | instskip(NEXT) | instid1(VALU_DEP_1)
	v_fma_mix_f32 v71, v160, v75, v71 op_sel_hi:[1,0,0]
	v_fma_f32 v71, v71, v60, -v74
	scratch_load_b32 v60, off, off offset:72 ; 4-byte Folded Reload
	s_waitcnt vmcnt(2)
	v_add_f32_e32 v2, v2, v71
	s_clause 0x1
	scratch_store_b32 off, v157, off offset:1064
	scratch_store_b32 off, v2, off offset:1068
	scratch_load_b32 v2, off, off offset:644 ; 4-byte Folded Reload
	s_waitcnt vmcnt(0)
	v_mul_i32_i24_e32 v71, v208, v2
	scratch_load_b32 v2, off, off offset:648 ; 4-byte Folded Reload
	s_waitcnt vmcnt(0)
	v_mul_i32_i24_e32 v74, v209, v2
	;; [unrolled: 3-line block ×3, first 2 shown]
	scratch_load_b32 v2, off, off offset:656 ; 4-byte Folded Reload
	s_waitcnt vmcnt(0)
	v_mad_i32_i24 v71, v207, v2, v71
	scratch_load_b32 v2, off, off offset:984 ; 4-byte Folded Reload
	v_add3_u32 v71, v71, v74, v75
	v_mul_i32_i24_e32 v74, v190, v59
	v_mul_i32_i24_e32 v75, v187, v232
	s_delay_alu instid0(VALU_DEP_1) | instskip(SKIP_2) | instid1(VALU_DEP_3)
	v_add3_u32 v71, v71, v74, v75
	v_mul_i32_i24_e32 v74, v183, v22
	v_mul_i32_i24_e32 v75, v184, v23
	v_add3_u32 v71, v71, v76, v77
	v_mul_i32_i24_e32 v76, v185, v29
	v_mul_i32_i24_e32 v77, v186, v60
	s_delay_alu instid0(VALU_DEP_3) | instskip(SKIP_2) | instid1(VALU_DEP_3)
	v_add3_u32 v71, v71, v74, v75
	v_mul_i32_i24_e32 v74, v167, v221
	v_mul_i32_i24_e32 v75, v180, v214
	v_add3_u32 v71, v71, v76, v77
	v_mul_i32_i24_e32 v77, v182, v233
	s_delay_alu instid0(VALU_DEP_2)
	v_add3_u32 v71, v71, v74, v75
	v_mul_i32_i24_e32 v74, v203, v225
	v_mul_i32_i24_e32 v75, v204, v11
	s_waitcnt vmcnt(0)
	v_mul_i32_i24_e32 v76, v181, v2
	scratch_load_b32 v2, off, off offset:664 ; 4-byte Folded Reload
	v_add3_u32 v71, v71, v76, v77
	v_mul_i32_i24_e32 v77, v206, v234
	s_delay_alu instid0(VALU_DEP_2)
	v_add3_u32 v71, v71, v74, v75
	v_mul_i32_i24_e32 v74, v199, v115
	s_waitcnt vmcnt(0)
	v_mul_i32_i24_e32 v76, v205, v2
	scratch_load_b32 v2, off, off offset:668 ; 4-byte Folded Reload
	v_add3_u32 v71, v71, v76, v77
	v_mul_i32_i24_e32 v76, v201, v227
	s_waitcnt vmcnt(0)
	v_mul_i32_i24_e32 v75, v200, v2
	scratch_load_b32 v2, off, off offset:280 ; 4-byte Folded Reload
	;; [unrolled: 5-line block ×5, first 2 shown]
	v_add3_u32 v71, v71, v76, v77
	s_waitcnt vmcnt(0)
	v_mul_i32_i24_e32 v74, v191, v2
	scratch_load_b32 v2, off, off offset:672 ; 4-byte Folded Reload
	v_add3_u32 v71, v71, v74, v75
	v_mul_i32_i24_e32 v75, v177, v44
	v_fma_mix_f32 v74, v48, v159, 0 op_sel:[0,1,0] op_sel_hi:[0,1,0]
	s_clause 0x1
	scratch_load_b32 v44, off, off offset:608
	scratch_load_b32 v48, off, off offset:232
	v_mad_i32_i24 v75, v176, v46, v75
	v_fma_mix_f32 v74, v85, v160, v74 op_sel:[0,1,0] op_sel_hi:[0,1,0]
	scratch_load_b32 v46, off, off offset:612 ; 4-byte Folded Reload
	v_mul_f32_e32 v74, v74, v218
	s_waitcnt vmcnt(3)
	v_mul_i32_i24_e32 v76, v193, v2
	scratch_load_b32 v2, off, off offset:284 ; 4-byte Folded Reload
	s_waitcnt vmcnt(0)
	v_mul_i32_i24_e32 v77, v194, v2
	scratch_load_b32 v2, off, off offset:36 ; 4-byte Folded Reload
	v_add3_u32 v71, v71, v76, v77
	v_mul_i32_i24_e32 v76, v178, v43
	v_mul_i32_i24_e32 v77, v179, v37
	v_mov_b32_e32 v43, v212
	scratch_load_b32 v37, off, off offset:944 ; 4-byte Folded Reload
	v_mul_lo_u32 v71, v71, v57
	v_add3_u32 v75, v75, v76, v77
	v_mul_i32_i24_e32 v76, v175, v231
	v_mul_i32_i24_e32 v77, v172, v61
	s_delay_alu instid0(VALU_DEP_4) | instskip(NEXT) | instid1(VALU_DEP_2)
	v_cvt_f32_i32_e32 v71, v71
	v_add3_u32 v75, v75, v76, v77
	v_mul_i32_i24_e32 v76, v171, v65
	v_mul_i32_i24_e32 v77, v168, v229
	s_delay_alu instid0(VALU_DEP_4) | instskip(NEXT) | instid1(VALU_DEP_4)
	v_fma_mix_f32 v71, v159, v71, 0 op_sel_hi:[1,0,0]
	v_add3_u32 v75, v75, v80, v81
	v_mul_i32_i24_e32 v80, v169, v35
	v_mul_i32_i24_e32 v81, v170, v32
	s_clause 0x1
	scratch_load_b32 v35, off, off offset:956
	scratch_load_b32 v32, off, off offset:948
	v_add3_u32 v75, v75, v76, v77
	v_mul_i32_i24_e32 v77, v163, v27
	scratch_load_b32 v27, off, off offset:96 ; 4-byte Folded Reload
	v_mul_i32_i24_e32 v76, v166, v30
	scratch_load_b32 v30, off, off offset:764 ; 4-byte Folded Reload
	v_add3_u32 v75, v75, v80, v81
	v_mul_i32_i24_e32 v81, v165, v19
	scratch_load_b32 v19, off, off offset:88 ; 4-byte Folded Reload
	v_mul_i32_i24_e32 v80, v164, v24
	scratch_load_b32 v24, off, off offset:624 ; 4-byte Folded Reload
	v_add3_u32 v75, v75, v76, v77
	v_mul_i32_i24_e32 v77, v83, v235
	s_delay_alu instid0(VALU_DEP_2)
	v_add3_u32 v75, v75, v80, v81
	v_mul_i32_i24_e32 v80, v108, v21
	v_mov_b32_e32 v21, v247
	scratch_load_b32 v247, off, off offset:680 ; 4-byte Folded Reload
	s_waitcnt vmcnt(4)
	v_mul_i32_i24_e32 v81, v161, v27
	s_waitcnt vmcnt(2)
	v_mul_i32_i24_e32 v76, v162, v19
	s_delay_alu instid0(VALU_DEP_1)
	v_add3_u32 v75, v75, v76, v77
	v_mul_i32_i24_e32 v76, v82, v236
	v_mul_i32_i24_e32 v77, v211, v20
	scratch_load_b32 v20, off, off offset:228 ; 4-byte Folded Reload
	v_add3_u32 v75, v75, v80, v81
	v_mul_i32_i24_e32 v80, v213, v73
	v_mul_i32_i24_e32 v81, v3, v237
	s_delay_alu instid0(VALU_DEP_3)
	v_add3_u32 v75, v75, v76, v77
	v_mul_i32_i24_e32 v76, v153, v18
	v_mul_i32_i24_e32 v77, v62, v238
	scratch_load_b32 v18, off, off offset:760 ; 4-byte Folded Reload
	v_add3_u32 v75, v75, v80, v81
	v_mul_i32_i24_e32 v80, v126, v17
	v_mul_i32_i24_e32 v81, v4, v86
	scratch_load_b32 v17, off, off offset:756 ; 4-byte Folded Reload
	;; [unrolled: 4-line block ×3, first 2 shown]
	v_add3_u32 v75, v75, v80, v81
	v_mul_i32_i24_e32 v80, v42, v84
	v_mul_i32_i24_e32 v81, v45, v244
	s_delay_alu instid0(VALU_DEP_3)
	v_add3_u32 v75, v75, v76, v77
	v_mul_i32_i24_e32 v76, v188, v223
	v_mul_i32_i24_e32 v77, v189, v220
	scratch_load_b32 v220, off, off offset:872 ; 4-byte Folded Reload
	v_add3_u32 v75, v75, v80, v81
	v_mul_i32_i24_e32 v80, v173, v152
	v_mul_i32_i24_e32 v81, v174, v151
	s_clause 0x1
	scratch_load_b32 v151, off, off offset:652
	scratch_load_b32 v152, off, off offset:972
	v_mul_lo_u32 v75, v75, v8
	scratch_load_b32 v8, off, off offset:628 ; 4-byte Folded Reload
	v_cvt_f32_i32_e32 v75, v75
	s_delay_alu instid0(VALU_DEP_1)
	v_fma_mix_f32 v71, v160, v75, v71 op_sel_hi:[1,0,0]
	v_mul_i32_i24_e32 v75, v210, v89
	scratch_load_b32 v89, off, off offset:504 ; 4-byte Folded Reload
	v_fma_f32 v71, v71, v245, -v74
	v_mul_i32_i24_e32 v74, v209, v90
	scratch_load_b32 v90, off, off offset:840 ; 4-byte Folded Reload
	v_add_f32_e32 v38, v38, v71
	v_mul_i32_i24_e32 v71, v208, v91
	scratch_load_b32 v91, off, off offset:844 ; 4-byte Folded Reload
	scratch_store_b32 off, v38, off offset:1088 ; 4-byte Folded Spill
	v_mad_i32_i24 v71, v207, v94, v71
	s_clause 0x1
	scratch_load_b32 v94, off, off offset:856
	scratch_load_b32 v38, off, off offset:964
	v_add3_u32 v71, v71, v74, v75
	v_mul_i32_i24_e32 v74, v190, v96
	v_mul_i32_i24_e32 v75, v187, v224
	v_mov_b32_e32 v224, v223
	scratch_load_b32 v223, off, off offset:864 ; 4-byte Folded Reload
	v_add3_u32 v71, v71, v74, v75
	v_mul_i32_i24_e32 v74, v183, v93
	scratch_load_b32 v93, off, off offset:852 ; 4-byte Folded Reload
	v_mul_i32_i24_e32 v75, v184, v95
	scratch_load_b32 v95, off, off offset:860 ; 4-byte Folded Reload
	v_add3_u32 v71, v71, v76, v77
	v_mul_i32_i24_e32 v76, v185, v113
	scratch_load_b32 v113, off, off offset:508 ; 4-byte Folded Reload
	v_mul_i32_i24_e32 v77, v186, v98
	scratch_load_b32 v98, off, off offset:520 ; 4-byte Folded Reload
	v_add3_u32 v71, v71, v74, v75
	v_mul_i32_i24_e32 v74, v167, v97
	v_mul_i32_i24_e32 v75, v180, v101
	scratch_load_b32 v97, off, off offset:516 ; 4-byte Folded Reload
	scratch_store_b32 off, v224, off offset:936 ; 4-byte Folded Spill
	v_add3_u32 v71, v71, v76, v77
	v_mul_i32_i24_e32 v76, v181, v99
	v_mul_i32_i24_e32 v77, v182, v217
	s_clause 0x1
	scratch_load_b32 v99, off, off offset:512
	scratch_load_b32 v217, off, off offset:876
	v_add3_u32 v71, v71, v74, v75
	scratch_load_b32 v101, off, off offset:204 ; 4-byte Folded Reload
	v_add3_u32 v71, v71, v76, v77
	v_mul_i32_i24_e32 v77, v206, v106
	scratch_load_b32 v106, off, off offset:572 ; 4-byte Folded Reload
	s_waitcnt vmcnt(14)
	v_mul_i32_i24_e32 v74, v203, v89
	s_waitcnt vmcnt(13)
	v_mul_i32_i24_e32 v75, v204, v90
	;; [unrolled: 2-line block ×3, first 2 shown]
	s_delay_alu instid0(VALU_DEP_2) | instskip(NEXT) | instid1(VALU_DEP_1)
	v_add3_u32 v71, v71, v74, v75
	v_add3_u32 v71, v71, v76, v77
	s_waitcnt vmcnt(11)
	v_mul_i32_i24_e32 v76, v201, v94
	s_waitcnt vmcnt(8)
	v_mul_i32_i24_e32 v75, v200, v93
	;; [unrolled: 2-line block ×4, first 2 shown]
	s_delay_alu instid0(VALU_DEP_1) | instskip(SKIP_2) | instid1(VALU_DEP_2)
	v_add3_u32 v71, v71, v74, v75
	s_waitcnt vmcnt(4)
	v_mul_i32_i24_e32 v75, v196, v97
	v_add3_u32 v71, v71, v76, v77
	v_mul_i32_i24_e32 v77, v198, v92
	scratch_load_b32 v92, off, off offset:524 ; 4-byte Folded Reload
	s_waitcnt vmcnt(4)
	v_mul_i32_i24_e32 v74, v195, v99
	v_mul_i32_i24_e32 v76, v197, v98
	s_waitcnt vmcnt(3)
	v_mov_b32_e32 v212, v217
	s_delay_alu instid0(VALU_DEP_3) | instskip(SKIP_2) | instid1(VALU_DEP_3)
	v_add3_u32 v71, v71, v74, v75
	v_mul_i32_i24_e32 v74, v191, v223
	v_mul_i32_i24_e32 v75, v192, v220
	v_add3_u32 v71, v71, v76, v77
	v_mul_i32_i24_e32 v77, v194, v217
	scratch_load_b32 v217, off, off offset:1028 ; 4-byte Folded Reload
	v_add3_u32 v71, v71, v74, v75
	v_mul_i32_i24_e32 v75, v177, v107
	v_fma_mix_f32 v74, v222, v159, 0 op_sel:[0,1,0] op_sel_hi:[0,1,0]
	s_clause 0x1
	scratch_load_b32 v222, off, off offset:836
	scratch_load_b32 v107, off, off offset:912
	v_mad_i32_i24 v75, v176, v219, v75
	v_fma_mix_f32 v74, v5, v160, v74 op_sel:[0,1,0] op_sel_hi:[0,1,0]
	s_clause 0x1
	scratch_load_b32 v5, off, off offset:480
	scratch_load_b32 v219, off, off offset:848
	s_waitcnt vmcnt(5)
	v_mul_i32_i24_e32 v76, v193, v92
	s_delay_alu instid0(VALU_DEP_1)
	v_add3_u32 v71, v71, v76, v77
	v_mul_i32_i24_e32 v76, v178, v216
	v_mul_i32_i24_e32 v77, v179, v215
	s_clause 0x1
	scratch_load_b32 v215, off, off offset:272
	scratch_load_b32 v216, off, off offset:976
	v_mul_lo_u32 v71, v71, v252
	v_mov_b32_e32 v252, v90
	v_add3_u32 v75, v75, v76, v77
	v_mul_i32_i24_e32 v76, v175, v249
	v_mul_i32_i24_e32 v77, v172, v100
	s_clause 0x2
	scratch_load_b32 v249, off, off offset:904
	scratch_load_b32 v100, off, off offset:1020
	;; [unrolled: 1-line block ×3, first 2 shown]
	v_cvt_f32_i32_e32 v71, v71
	v_add3_u32 v75, v75, v76, v77
	v_mul_i32_i24_e32 v76, v171, v150
	v_mul_i32_i24_e32 v77, v168, v250
	scratch_load_b32 v150, off, off offset:268 ; 4-byte Folded Reload
	v_fma_mix_f32 v71, v159, v71, 0 op_sel_hi:[1,0,0]
	v_add3_u32 v75, v75, v80, v81
	v_mul_i32_i24_e32 v80, v169, v105
	v_mul_i32_i24_e32 v81, v170, v104
	s_clause 0x1
	scratch_load_b32 v105, off, off offset:500
	scratch_load_b32 v104, off, off offset:888
	v_add3_u32 v75, v75, v76, v77
	v_mul_i32_i24_e32 v76, v166, v103
	v_mul_i32_i24_e32 v77, v163, v102
	s_clause 0x1
	scratch_load_b32 v102, off, off offset:576
	scratch_load_b32 v250, off, off offset:908
	v_add3_u32 v75, v75, v80, v81
	v_mul_i32_i24_e32 v80, v164, v88
	v_mul_i32_i24_e32 v81, v165, v254
	v_mov_b32_e32 v254, v144
	scratch_load_b32 v144, off, off offset:632 ; 4-byte Folded Reload
	v_add3_u32 v75, v75, v76, v77
	v_mul_i32_i24_e32 v76, v162, v243
	v_mul_i32_i24_e32 v77, v83, v87
	v_dual_mul_f32 v74, v74, v254 :: v_dual_mov_b32 v243, v56
	s_delay_alu instid0(VALU_DEP_4)
	v_add3_u32 v75, v75, v80, v81
	v_mul_i32_i24_e32 v80, v108, v79
	v_mul_i32_i24_e32 v81, v161, v72
	s_clause 0x1
	scratch_load_b32 v79, off, off offset:1200
	scratch_load_b32 v72, off, off offset:952
	v_add3_u32 v75, v75, v76, v77
	v_mul_i32_i24_e32 v76, v82, v78
	v_mul_i32_i24_e32 v77, v211, v70
	s_clause 0x1
	scratch_load_b32 v78, off, off offset:1204
	scratch_load_b32 v70, off, off offset:280
	;; [unrolled: 6-line block ×3, first 2 shown]
	v_add3_u32 v75, v75, v76, v77
	v_mul_i32_i24_e32 v76, v153, v68
	v_mul_i32_i24_e32 v77, v62, v64
	v_mov_b32_e32 v68, v234
	scratch_load_b32 v234, off, off offset:772 ; 4-byte Folded Reload
	v_add3_u32 v75, v75, v80, v81
	v_mul_i32_i24_e32 v80, v126, v63
	v_mul_i32_i24_e32 v81, v4, v58
	v_dual_mov_b32 v63, v232 :: v_dual_mov_b32 v64, v233
	s_delay_alu instid0(VALU_DEP_4)
	v_add3_u32 v75, v75, v76, v77
	v_mul_i32_i24_e32 v76, v0, v55
	v_mul_i32_i24_e32 v77, v1, v51
	s_clause 0x1
	scratch_load_b32 v51, off, off offset:244
	scratch_load_b32 v55, off, off offset:248
	v_add3_u32 v75, v75, v80, v81
	v_mul_i32_i24_e32 v80, v42, v50
	v_mul_i32_i24_e32 v81, v45, v49
	s_clause 0x1
	scratch_load_b32 v49, off, off offset:236
	scratch_load_b32 v50, off, off offset:240
	v_add3_u32 v75, v75, v76, v77
	s_clause 0x3
	scratch_load_b32 v58, off, off offset:404
	scratch_load_b32 v232, off, off offset:732
	;; [unrolled: 1-line block ×4, first 2 shown]
	v_add3_u32 v75, v75, v80, v81
	s_clause 0x1
	scratch_load_b32 v88, off, off offset:208
	scratch_load_b32 v103, off, off offset:880
	v_mul_lo_u32 v75, v75, v47
	scratch_load_b32 v47, off, off offset:616 ; 4-byte Folded Reload
	v_cvt_f32_i32_e32 v75, v75
	s_delay_alu instid0(VALU_DEP_1)
	v_fma_mix_f32 v71, v160, v75, v71 op_sel_hi:[1,0,0]
	v_mul_i32_i24_e32 v75, v210, v52
	s_clause 0x1
	scratch_load_b32 v210, off, off offset:996
	scratch_load_b32 v52, off, off offset:260
	v_fma_f32 v71, v71, v56, -v74
	v_mul_i32_i24_e32 v74, v209, v53
	s_clause 0x2
	scratch_load_b32 v209, off, off offset:832
	scratch_load_b32 v53, off, off offset:264
	;; [unrolled: 1-line block ×3, first 2 shown]
	v_add_f32_e32 v33, v33, v71
	v_mul_i32_i24_e32 v71, v208, v54
	s_clause 0x1
	scratch_load_b32 v208, off, off offset:828
	scratch_load_b32 v54, off, off offset:288
	v_mad_i32_i24 v71, v207, v66, v71
	s_clause 0x1
	scratch_load_b32 v207, off, off offset:820
	scratch_load_b32 v66, off, off offset:292
	v_add3_u32 v71, v71, v74, v75
	v_mul_i32_i24_e32 v75, v187, v2
	s_clause 0x1
	scratch_load_b32 v2, off, off offset:40
	scratch_load_b32 v187, off, off offset:1208
	v_mul_i32_i24_e32 v74, v190, v240
	s_clause 0x1
	scratch_load_b32 v190, off, off offset:1000
	scratch_load_b32 v240, off, off offset:740
	v_add3_u32 v71, v71, v74, v75
	s_waitcnt vmcnt(3)
	v_mul_i32_i24_e32 v76, v188, v2
	s_clause 0x1
	scratch_load_b32 v2, off, off offset:44
	scratch_load_b32 v188, off, off offset:1212
	s_waitcnt vmcnt(1)
	v_mul_i32_i24_e32 v77, v189, v2
	s_clause 0x1
	scratch_load_b32 v2, off, off offset:8
	scratch_load_b32 v189, off, off offset:1216
	v_add3_u32 v71, v71, v76, v77
	s_waitcnt vmcnt(1)
	v_mul_i32_i24_e32 v74, v183, v2
	scratch_load_b32 v2, off, off offset:16 ; 4-byte Folded Reload
	s_waitcnt vmcnt(0)
	v_mul_i32_i24_e32 v75, v184, v2
	scratch_load_b32 v2, off, off offset:20 ; 4-byte Folded Reload
	v_add3_u32 v71, v71, v74, v75
	s_waitcnt vmcnt(0)
	v_mul_i32_i24_e32 v76, v185, v2
	scratch_load_b32 v2, off, off offset:28 ; 4-byte Folded Reload
	s_waitcnt vmcnt(0)
	v_mul_i32_i24_e32 v77, v186, v2
	scratch_load_b32 v2, off, off offset:12 ; 4-byte Folded Reload
	;; [unrolled: 7-line block ×4, first 2 shown]
	v_add3_u32 v71, v71, v76, v77
	s_waitcnt vmcnt(0)
	v_mul_i32_i24_e32 v74, v203, v2
	s_clause 0x1
	scratch_load_b32 v2, off, off offset:52
	scratch_load_b32 v203, off, off offset:800
	s_waitcnt vmcnt(1)
	v_mul_i32_i24_e32 v75, v204, v2
	s_clause 0x1
	scratch_load_b32 v2, off, off offset:304
	scratch_load_b32 v204, off, off offset:808
	s_waitcnt vmcnt(2)
	v_mul_i32_i24_e32 v62, v62, v203
	v_add3_u32 v71, v71, v74, v75
	s_waitcnt vmcnt(1)
	v_mul_i32_i24_e32 v76, v205, v2
	s_clause 0x1
	scratch_load_b32 v2, off, off offset:312
	scratch_load_b32 v205, off, off offset:812
	s_waitcnt vmcnt(1)
	v_mul_i32_i24_e32 v77, v206, v2
	s_clause 0x1
	scratch_load_b32 v2, off, off offset:308
	scratch_load_b32 v206, off, off offset:824
	s_waitcnt vmcnt(2)
	v_mul_i32_i24_e32 v4, v4, v205
	;; [unrolled: 13-line block ×3, first 2 shown]
	v_add3_u32 v71, v71, v74, v75
	s_waitcnt vmcnt(1)
	v_mul_i32_i24_e32 v76, v201, v2
	scratch_load_b32 v2, off, off offset:324 ; 4-byte Folded Reload
	v_mov_b32_e32 v201, v131
	s_waitcnt vmcnt(1)
	v_mul_i32_i24_e32 v42, v42, v200
	s_delay_alu instid0(VALU_DEP_2)
	v_mul_i32_i24_e32 v45, v45, v201
	scratch_store_b32 off, v201, off offset:1016 ; 4-byte Folded Spill
	s_waitcnt vmcnt(0)
	v_mul_i32_i24_e32 v77, v202, v2
	s_clause 0x1
	scratch_load_b32 v2, off, off offset:56
	scratch_load_b32 v202, off, off offset:804
	v_add3_u32 v71, v71, v76, v77
	s_waitcnt vmcnt(1)
	v_mul_i32_i24_e32 v74, v195, v2
	scratch_load_b32 v2, off, off offset:60 ; 4-byte Folded Reload
	v_mov_b32_e32 v195, v13
	scratch_load_b32 v13, off, off offset:336 ; 4-byte Folded Reload
	s_waitcnt vmcnt(1)
	v_mul_i32_i24_e32 v75, v196, v2
	scratch_load_b32 v2, off, off offset:64 ; 4-byte Folded Reload
	v_mov_b32_e32 v196, v14
	scratch_load_b32 v14, off, off offset:472 ; 4-byte Folded Reload
	v_add3_u32 v71, v71, v74, v75
	s_waitcnt vmcnt(1)
	v_mul_i32_i24_e32 v76, v197, v2
	scratch_load_b32 v2, off, off offset:328 ; 4-byte Folded Reload
	v_mov_b32_e32 v197, v110
	s_waitcnt vmcnt(0)
	v_mul_i32_i24_e32 v77, v198, v2
	s_clause 0x1
	scratch_load_b32 v2, off, off offset:684
	scratch_load_b32 v198, off, off offset:712
	v_add3_u32 v71, v71, v76, v77
	v_mul_i32_i24_e32 v76, v193, v253
	v_mul_i32_i24_e32 v77, v194, v251
	s_clause 0x2
	scratch_load_b32 v193, off, off offset:1224
	scratch_load_b32 v253, off, off offset:748
	;; [unrolled: 1-line block ×3, first 2 shown]
	v_mov_b32_e32 v194, v109
	s_clause 0x1
	scratch_store_b32 off, v197, off offset:1008
	scratch_store_b32 off, v194, off offset:1004
	s_waitcnt vmcnt(4)
	v_mul_i32_i24_e32 v74, v191, v2
	s_clause 0x1
	scratch_load_b32 v2, off, off offset:688
	scratch_load_b32 v191, off, off offset:1012
	s_waitcnt vmcnt(5)
	v_mul_i32_i24_e32 v0, v0, v198
	s_waitcnt vmcnt(1)
	v_mul_i32_i24_e32 v75, v192, v2
	scratch_load_b32 v192, off, off offset:1220 ; 4-byte Folded Reload
	v_fma_mix_f32 v2, v133, v159, 0 op_sel:[0,1,0] op_sel_hi:[0,1,0]
	v_add3_u32 v71, v71, v74, v75
	v_mul_i32_i24_e32 v75, v179, v157
	s_delay_alu instid0(VALU_DEP_2) | instskip(NEXT) | instid1(VALU_DEP_1)
	v_add3_u32 v71, v71, v76, v77
	v_mul_lo_u32 v71, v71, v246
	scratch_load_b32 v246, off, off offset:392 ; 4-byte Folded Reload
	v_cvt_f32_i32_e32 v71, v71
	s_delay_alu instid0(VALU_DEP_1)
	v_fma_mix_f32 v167, v159, v71, 0 op_sel_hi:[1,0,0]
	v_mul_i32_i24_e32 v71, v177, v5
	scratch_load_b32 v5, off, off offset:700 ; 4-byte Folded Reload
	s_waitcnt vmcnt(0)
	v_mul_i32_i24_e32 v74, v178, v5
	scratch_load_b32 v5, off, off offset:692 ; 4-byte Folded Reload
	s_waitcnt vmcnt(0)
	v_mad_i32_i24 v71, v176, v5, v71
	scratch_load_b32 v5, off, off offset:696 ; 4-byte Folded Reload
	v_add3_u32 v71, v71, v74, v75
	v_mul_i32_i24_e32 v74, v175, v7
	scratch_load_b32 v7, off, off           ; 4-byte Folded Reload
	s_waitcnt vmcnt(1)
	v_mul_i32_i24_e32 v75, v172, v5
	scratch_load_b32 v5, off, off offset:704 ; 4-byte Folded Reload
	v_add3_u32 v71, v71, v74, v75
	v_mul_i32_i24_e32 v75, v168, v191
	s_waitcnt vmcnt(0)
	v_mul_i32_i24_e32 v76, v173, v5
	scratch_load_b32 v5, off, off offset:708 ; 4-byte Folded Reload
	s_waitcnt vmcnt(0)
	v_mul_i32_i24_e32 v77, v174, v5
	scratch_load_b32 v5, off, off offset:924 ; 4-byte Folded Reload
	v_add3_u32 v71, v71, v76, v77
	v_mul_i32_i24_e32 v76, v169, v192
	v_mul_i32_i24_e32 v77, v170, v193
	s_waitcnt vmcnt(0)
	v_mul_i32_i24_e32 v74, v171, v5
	scratch_load_b32 v5, off, off offset:252 ; 4-byte Folded Reload
	v_add3_u32 v71, v71, v74, v75
	v_mul_i32_i24_e32 v74, v166, v190
	v_mul_i32_i24_e32 v75, v163, v187
	s_delay_alu instid0(VALU_DEP_3) | instskip(SKIP_2) | instid1(VALU_DEP_3)
	v_add3_u32 v71, v71, v76, v77
	v_mul_i32_i24_e32 v76, v164, v188
	v_mul_i32_i24_e32 v77, v165, v189
	v_add3_u32 v71, v71, v74, v75
	v_mul_i32_i24_e32 v74, v162, v79
	v_mul_i32_i24_e32 v75, v83, v210
	s_delay_alu instid0(VALU_DEP_3) | instskip(SKIP_2) | instid1(VALU_DEP_3)
	v_add3_u32 v71, v71, v76, v77
	v_mul_i32_i24_e32 v76, v108, v251
	v_mul_i32_i24_e32 v77, v161, v78
	v_add3_u32 v71, v71, v74, v75
	v_mul_i32_i24_e32 v74, v82, v206
	v_mul_i32_i24_e32 v75, v211, v207
	scratch_load_b32 v211, off, off offset:256 ; 4-byte Folded Reload
	v_add3_u32 v71, v71, v76, v77
	v_mul_i32_i24_e32 v76, v213, v208
	v_mul_i32_i24_e32 v77, v3, v209
	scratch_load_b32 v213, off, off offset:276 ; 4-byte Folded Reload
	v_add3_u32 v71, v71, v74, v75
	v_mul_i32_i24_e32 v74, v153, v202
	v_mul_i32_i24_e32 v75, v126, v204
	s_delay_alu instid0(VALU_DEP_3) | instskip(NEXT) | instid1(VALU_DEP_1)
	v_add3_u32 v71, v71, v76, v77
	v_add3_u32 v62, v71, v74, v62
	s_delay_alu instid0(VALU_DEP_1) | instskip(NEXT) | instid1(VALU_DEP_1)
	v_add3_u32 v4, v62, v75, v4
	v_add3_u32 v0, v4, v0, v1
	v_fma_mix_f32 v1, v194, v160, v2 op_sel:[0,1,0] op_sel_hi:[0,1,0]
	s_delay_alu instid0(VALU_DEP_2) | instskip(NEXT) | instid1(VALU_DEP_2)
	v_add3_u32 v0, v0, v42, v45
	v_mul_f32_e32 v1, v1, v196
	s_delay_alu instid0(VALU_DEP_2) | instskip(NEXT) | instid1(VALU_DEP_1)
	v_mul_lo_u32 v0, v0, v197
	v_cvt_f32_i32_e32 v0, v0
	s_delay_alu instid0(VALU_DEP_1) | instskip(SKIP_3) | instid1(VALU_DEP_1)
	v_fma_mix_f32 v0, v160, v0, v167 op_sel_hi:[1,0,0]
	ds_load_b128 v[164:167], v7 offset:2080
	scratch_load_b32 v7, off, off           ; 4-byte Folded Reload
	v_fma_f32 v0, v0, v195, -v1
	v_add_f32_e32 v31, v31, v0
	scratch_load_b32 v0, off, off           ; 4-byte Folded Reload
	scratch_store_b32 off, v33, off offset:1084 ; 4-byte Folded Spill
	scratch_load_b32 v33, off, off offset:980 ; 4-byte Folded Reload
	scratch_store_b32 off, v31, off offset:1080 ; 4-byte Folded Spill
	scratch_load_b32 v31, off, off offset:968 ; 4-byte Folded Reload
	s_waitcnt lgkmcnt(0)
	v_bfe_i32 v117, v164, 0, 8
	v_bfe_i32 v118, v164, 8, 8
	v_bfe_i32 v119, v164, 16, 8
	v_ashrrev_i32_e32 v120, 24, v164
	v_bfe_i32 v121, v165, 0, 8
	v_bfe_i32 v122, v165, 8, 8
	v_bfe_i32 v123, v165, 16, 8
	v_ashrrev_i32_e32 v124, 24, v165
	;; [unrolled: 4-line block ×4, first 2 shown]
	v_mul_i32_i24_e32 v185, v123, v143
	v_mul_i32_i24_e32 v186, v124, v144
	s_waitcnt vmcnt(3)
	ds_load_b128 v[164:167], v7 offset:2096
	scratch_load_b32 v7, off, off offset:636 ; 4-byte Folded Reload
	s_waitcnt vmcnt(3)
	ds_load_b128 v[0:3], v0 offset:2048
	s_waitcnt lgkmcnt(1)
	v_bfe_i32 v168, v164, 0, 8
	v_bfe_i32 v169, v164, 8, 8
	;; [unrolled: 1-line block ×3, first 2 shown]
	v_ashrrev_i32_e32 v164, 24, v164
	v_bfe_i32 v171, v165, 0, 8
	v_bfe_i32 v172, v165, 8, 8
	;; [unrolled: 1-line block ×3, first 2 shown]
	v_ashrrev_i32_e32 v165, 24, v165
	v_bfe_i32 v174, v166, 0, 8
	s_waitcnt lgkmcnt(0)
	v_bfe_i32 v161, v0, 0, 8
	v_bfe_i32 v156, v0, 8, 8
	v_bfe_i32 v162, v0, 16, 8
	v_ashrrev_i32_e32 v163, 24, v0
	scratch_load_b32 v0, off, off           ; 4-byte Folded Reload
	v_bfe_i32 v157, v1, 0, 8
	v_bfe_i32 v158, v1, 8, 8
	v_bfe_i32 v159, v1, 16, 8
	v_ashrrev_i32_e32 v160, 24, v1
	v_bfe_i32 v126, v2, 0, 8
	v_bfe_i32 v153, v2, 8, 8
	v_bfe_i32 v154, v2, 16, 8
	v_ashrrev_i32_e32 v155, 24, v2
	;; [unrolled: 4-line block ×3, first 2 shown]
	v_mul_i32_i24_e32 v180, v161, v137
	v_mul_i32_i24_e32 v181, v162, v139
	;; [unrolled: 1-line block ×5, first 2 shown]
	v_mad_i32_i24 v180, v156, v13, v180
	v_bfe_i32 v175, v166, 8, 8
	v_bfe_i32 v176, v166, 16, 8
	v_ashrrev_i32_e32 v166, 24, v166
	v_bfe_i32 v177, v167, 0, 8
	v_add3_u32 v180, v180, v181, v182
	v_mul_i32_i24_e32 v181, v157, v240
	v_mul_i32_i24_e32 v182, v158, v138
	v_bfe_i32 v178, v167, 8, 8
	v_bfe_i32 v179, v167, 16, 8
	v_ashrrev_i32_e32 v167, 24, v167
	s_delay_alu instid0(VALU_DEP_4) | instskip(SKIP_2) | instid1(VALU_DEP_3)
	v_add3_u32 v180, v180, v181, v182
	v_mul_i32_i24_e32 v181, v126, v253
	v_mul_i32_i24_e32 v182, v153, v149
	v_add3_u32 v180, v180, v183, v184
	v_mul_i32_i24_e32 v183, v154, v6
	v_mul_i32_i24_e32 v184, v155, v18
	s_delay_alu instid0(VALU_DEP_3) | instskip(SKIP_2) | instid1(VALU_DEP_3)
	v_add3_u32 v180, v180, v181, v182
	v_mul_i32_i24_e32 v181, v4, v17
	v_mul_i32_i24_e32 v182, v42, v30
	v_add3_u32 v180, v180, v183, v184
	v_mul_i32_i24_e32 v183, v45, v21
	v_mul_i32_i24_e32 v184, v62, v35
	s_delay_alu instid0(VALU_DEP_3) | instskip(NEXT) | instid1(VALU_DEP_1)
	v_add3_u32 v180, v180, v181, v182
	v_add3_u32 v180, v180, v183, v184
	s_waitcnt vmcnt(0)
	ds_load_b128 v[0:3], v0 offset:2064
	s_waitcnt lgkmcnt(0)
	v_bfe_i32 v71, v0, 0, 8
	v_bfe_i32 v74, v0, 8, 8
	;; [unrolled: 1-line block ×3, first 2 shown]
	v_ashrrev_i32_e32 v76, 24, v0
	scratch_load_b32 v0, off, off offset:224 ; 4-byte Folded Reload
	v_mul_i32_i24_e32 v181, v71, v36
	v_mul_i32_i24_e32 v182, v74, v37
	v_bfe_i32 v77, v1, 0, 8
	v_bfe_i32 v80, v1, 8, 8
	v_mul_i32_i24_e32 v183, v75, v44
	v_mul_i32_i24_e32 v184, v76, v72
	v_add3_u32 v180, v180, v181, v182
	v_bfe_i32 v81, v1, 16, 8
	v_ashrrev_i32_e32 v82, 24, v1
	v_mul_i32_i24_e32 v181, v77, v32
	v_mul_i32_i24_e32 v182, v80, v46
	v_add3_u32 v180, v180, v183, v184
	v_bfe_i32 v83, v2, 0, 8
	v_bfe_i32 v108, v2, 8, 8
	v_mul_i32_i24_e32 v183, v81, v47
	v_mul_i32_i24_e32 v184, v82, v48
	v_add3_u32 v180, v180, v181, v182
	v_bfe_i32 v109, v2, 16, 8
	v_ashrrev_i32_e32 v110, 24, v2
	v_mul_i32_i24_e32 v181, v83, v49
	v_mul_i32_i24_e32 v182, v108, v50
	v_add3_u32 v180, v180, v183, v184
	;; [unrolled: 10-line block ×3, first 2 shown]
	v_mul_i32_i24_e32 v183, v114, v54
	v_mul_i32_i24_e32 v184, v116, v55
	s_delay_alu instid0(VALU_DEP_3) | instskip(SKIP_1) | instid1(VALU_DEP_2)
	v_add3_u32 v180, v180, v181, v182
	v_mul_i32_i24_e32 v182, v117, v213
	v_add3_u32 v180, v180, v183, v184
	v_mul_i32_i24_e32 v183, v119, v5
	v_mul_i32_i24_e32 v184, v120, v141
	s_delay_alu instid0(VALU_DEP_4) | instskip(NEXT) | instid1(VALU_DEP_4)
	v_mad_i32_i24 v182, v118, v211, v182
	v_mul_lo_u32 v180, v180, v20
	s_delay_alu instid0(VALU_DEP_2)
	v_add3_u32 v182, v182, v183, v184
	v_mul_i32_i24_e32 v183, v121, v34
	v_mul_i32_i24_e32 v184, v122, v142
	v_mov_b32_e32 v34, v248
	v_mov_b32_e32 v248, v94
	v_cvt_f32_i32_e32 v180, v180
	scratch_load_b32 v94, off, off offset:1036 ; 4-byte Folded Reload
	v_add3_u32 v182, v182, v183, v184
	v_mul_i32_i24_e32 v183, v125, v146
	v_mul_i32_i24_e32 v184, v127, v147
	s_delay_alu instid0(VALU_DEP_3) | instskip(SKIP_2) | instid1(VALU_DEP_3)
	v_add3_u32 v182, v182, v185, v186
	v_mul_i32_i24_e32 v185, v128, v148
	v_mul_i32_i24_e32 v186, v129, v9
	v_add3_u32 v182, v182, v183, v184
	v_mul_i32_i24_e32 v183, v130, v150
	v_mul_i32_i24_e32 v184, v131, v215
	s_delay_alu instid0(VALU_DEP_3) | instskip(SKIP_2) | instid1(VALU_DEP_3)
	v_add3_u32 v182, v182, v185, v186
	v_mul_i32_i24_e32 v185, v132, v24
	v_mul_i32_i24_e32 v186, v133, v134
	;; [unrolled: 7-line block ×4, first 2 shown]
	v_add3_u32 v182, v182, v183, v184
	v_mul_i32_i24_e32 v183, v174, v239
	v_mul_i32_i24_e32 v184, v175, v241
	s_delay_alu instid0(VALU_DEP_3)
	v_add3_u32 v182, v182, v185, v186
	v_mul_i32_i24_e32 v185, v176, v7
	v_mul_i32_i24_e32 v186, v166, v39
	scratch_load_b32 v39, off, off offset:676 ; 4-byte Folded Reload
	v_add3_u32 v182, v182, v183, v184
	v_mul_i32_i24_e32 v183, v177, v16
	v_mul_i32_i24_e32 v184, v178, v25
	s_clause 0x1
	scratch_load_b32 v16, off, off offset:648
	scratch_load_b32 v25, off, off offset:668
	v_add3_u32 v182, v182, v185, v186
	v_mul_i32_i24_e32 v185, v179, v41
	v_mul_i32_i24_e32 v186, v167, v28
	scratch_load_b32 v41, off, off offset:160 ; 4-byte Folded Reload
	v_mov_b32_e32 v28, v227
	v_add3_u32 v182, v182, v183, v184
	v_mul_i32_i24_e32 v183, v159, v230
	v_mul_i32_i24_e32 v184, v160, v10
	s_clause 0x1
	scratch_load_b32 v10, off, off offset:984
	scratch_load_b32 v230, off, off offset:724
	v_add3_u32 v182, v182, v185, v186
	v_mul_i32_i24_e32 v185, v123, v228
	scratch_load_b32 v228, off, off offset:892 ; 4-byte Folded Reload
	v_mov_b32_e32 v227, v89
	scratch_load_b32 v89, off, off offset:184 ; 4-byte Folded Reload
	v_mul_lo_u32 v182, v182, v40
	scratch_load_b32 v40, off, off offset:284 ; 4-byte Folded Reload
	v_cvt_f32_i32_e32 v182, v182
	s_waitcnt vmcnt(10)
	ds_load_2addr_b64 v[0:3], v0 offset0:32 offset1:48
	s_waitcnt lgkmcnt(0)
	v_fma_mix_f32 v181, v66, v0, 0 op_sel:[0,1,0] op_sel_hi:[0,1,0]
	v_fma_mix_f32 v180, v0, v180, 0 op_sel_hi:[1,0,0]
	s_delay_alu instid0(VALU_DEP_2) | instskip(NEXT) | instid1(VALU_DEP_2)
	v_fma_mix_f32 v181, v15, v1, v181 op_sel:[0,1,0] op_sel_hi:[0,1,0]
	v_fma_mix_f32 v180, v1, v182, v180 op_sel_hi:[1,0,0]
	scratch_load_b32 v15, off, off offset:644 ; 4-byte Folded Reload
	v_mul_f32_e32 v181, v181, v26
	s_delay_alu instid0(VALU_DEP_1) | instskip(NEXT) | instid1(VALU_DEP_1)
	v_fma_f32 v180, v180, v136, -v181
	v_add_f32_e32 v226, v226, v180
	scratch_store_b32 off, v226, off offset:1104 ; 4-byte Folded Spill
	scratch_load_b32 v226, off, off offset:640 ; 4-byte Folded Reload
	s_waitcnt vmcnt(9)
	v_mul_i32_i24_e32 v181, v162, v16
	s_waitcnt vmcnt(1)
	v_mul_i32_i24_e32 v180, v161, v15
	s_delay_alu instid0(VALU_DEP_1) | instskip(SKIP_2) | instid1(VALU_DEP_1)
	v_mad_i32_i24 v180, v156, v69, v180
	s_waitcnt vmcnt(0)
	v_mul_i32_i24_e32 v182, v163, v226
	v_add3_u32 v180, v180, v181, v182
	v_mul_i32_i24_e32 v181, v157, v59
	v_mul_i32_i24_e32 v182, v158, v63
	scratch_load_b32 v59, off, off offset:344 ; 4-byte Folded Reload
	v_add3_u32 v180, v180, v181, v182
	v_mul_i32_i24_e32 v181, v126, v22
	v_mul_i32_i24_e32 v182, v153, v23
	s_clause 0x1
	scratch_load_b32 v22, off, off offset:360
	scratch_load_b32 v23, off, off offset:376
	v_add3_u32 v180, v180, v183, v184
	v_mul_i32_i24_e32 v183, v154, v29
	v_mul_i32_i24_e32 v184, v155, v60
	v_mov_b32_e32 v29, v225
	scratch_load_b32 v60, off, off offset:408 ; 4-byte Folded Reload
	v_add3_u32 v180, v180, v181, v182
	v_mul_i32_i24_e32 v181, v4, v221
	v_mul_i32_i24_e32 v182, v42, v214
	s_clause 0x1
	scratch_load_b32 v214, off, off offset:672
	scratch_load_b32 v221, off, off offset:868
	v_add3_u32 v180, v180, v183, v184
	v_mul_i32_i24_e32 v183, v45, v10
	v_mul_i32_i24_e32 v184, v62, v64
	scratch_load_b32 v225, off, off offset:884 ; 4-byte Folded Reload
	v_add3_u32 v180, v180, v181, v182
	v_mul_i32_i24_e32 v182, v74, v11
	scratch_load_b32 v11, off, off offset:664 ; 4-byte Folded Reload
	v_mul_i32_i24_e32 v181, v71, v29
	v_add3_u32 v180, v180, v183, v184
	v_mul_i32_i24_e32 v184, v76, v68
	s_delay_alu instid0(VALU_DEP_2)
	v_add3_u32 v180, v180, v181, v182
	v_mul_i32_i24_e32 v181, v77, v115
	v_mul_i32_i24_e32 v182, v80, v25
	scratch_load_b32 v115, off, off offset:580 ; 4-byte Folded Reload
	s_waitcnt vmcnt(1)
	v_mul_i32_i24_e32 v183, v75, v11
	s_delay_alu instid0(VALU_DEP_1) | instskip(SKIP_2) | instid1(VALU_DEP_3)
	v_add3_u32 v180, v180, v183, v184
	v_mul_i32_i24_e32 v183, v81, v28
	v_mul_i32_i24_e32 v184, v82, v70
	v_add3_u32 v180, v180, v181, v182
	v_mul_i32_i24_e32 v181, v83, v12
	scratch_load_b32 v12, off, off offset:660 ; 4-byte Folded Reload
	v_add3_u32 v180, v180, v183, v184
	v_mul_i32_i24_e32 v183, v109, v34
	v_mul_i32_i24_e32 v184, v110, v41
	s_waitcnt vmcnt(0)
	v_mul_i32_i24_e32 v182, v108, v12
	s_delay_alu instid0(VALU_DEP_1) | instskip(SKIP_2) | instid1(VALU_DEP_3)
	v_add3_u32 v180, v180, v181, v182
	v_mul_i32_i24_e32 v181, v111, v39
	v_mul_i32_i24_e32 v182, v112, v43
	v_add3_u32 v180, v180, v183, v184
	v_mul_i32_i24_e32 v183, v114, v214
	v_mul_i32_i24_e32 v184, v116, v40
	s_delay_alu instid0(VALU_DEP_3) | instskip(SKIP_2) | instid1(VALU_DEP_3)
	v_add3_u32 v180, v180, v181, v182
	v_mul_i32_i24_e32 v182, v117, v58
	v_fma_mix_f32 v181, v56, v0, 0 op_sel:[0,1,0] op_sel_hi:[0,1,0]
	v_add3_u32 v180, v180, v183, v184
	v_mul_i32_i24_e32 v183, v119, v67
	v_mul_i32_i24_e32 v184, v120, v59
	v_mad_i32_i24 v182, v118, v60, v182
	v_fma_mix_f32 v181, v85, v1, v181 op_sel:[0,1,0] op_sel_hi:[0,1,0]
	v_mul_lo_u32 v180, v180, v57
	s_clause 0x1
	scratch_load_b32 v57, off, off offset:348
	scratch_load_b32 v85, off, off offset:148
	v_add3_u32 v182, v182, v183, v184
	v_mul_i32_i24_e32 v183, v121, v231
	scratch_load_b32 v231, off, off offset:728 ; 4-byte Folded Reload
	v_mul_i32_i24_e32 v184, v122, v61
	scratch_load_b32 v61, off, off offset:416 ; 4-byte Folded Reload
	v_cvt_f32_i32_e32 v180, v180
	v_mul_f32_e32 v181, v181, v218
	v_add3_u32 v182, v182, v183, v184
	v_mul_i32_i24_e32 v183, v125, v65
	v_mul_i32_i24_e32 v184, v127, v229
	scratch_load_b32 v65, off, off offset:368 ; 4-byte Folded Reload
	v_fma_mix_f32 v180, v0, v180, 0 op_sel_hi:[1,0,0]
	scratch_load_b32 v229, off, off offset:896 ; 4-byte Folded Reload
	s_waitcnt vmcnt(5)
	v_mul_i32_i24_e32 v186, v124, v57
	s_delay_alu instid0(VALU_DEP_1) | instskip(SKIP_3) | instid1(VALU_DEP_3)
	v_add3_u32 v182, v182, v185, v186
	v_mul_i32_i24_e32 v185, v128, v230
	s_waitcnt vmcnt(3)
	v_mul_i32_i24_e32 v186, v129, v231
	v_add3_u32 v182, v182, v183, v184
	v_mul_i32_i24_e32 v183, v130, v232
	v_mul_i32_i24_e32 v184, v131, v233
	s_delay_alu instid0(VALU_DEP_3) | instskip(SKIP_3) | instid1(VALU_DEP_3)
	v_add3_u32 v182, v182, v185, v186
	v_mul_i32_i24_e32 v185, v132, v234
	s_waitcnt vmcnt(2)
	v_mul_i32_i24_e32 v186, v133, v61
	v_add3_u32 v182, v182, v183, v184
	v_mul_i32_i24_e32 v183, v168, v19
	scratch_load_b32 v19, off, off offset:356 ; 4-byte Folded Reload
	v_mul_i32_i24_e32 v184, v169, v235
	scratch_load_b32 v235, off, off offset:900 ; 4-byte Folded Reload
	v_add3_u32 v182, v182, v185, v186
	v_mul_i32_i24_e32 v186, v164, v27
	scratch_load_b32 v27, off, off offset:380 ; 4-byte Folded Reload
	v_add3_u32 v182, v182, v183, v184
	v_mul_i32_i24_e32 v183, v171, v236
	v_mul_i32_i24_e32 v184, v172, v22
	scratch_load_b32 v236, off, off offset:556 ; 4-byte Folded Reload
	s_waitcnt vmcnt(3)
	v_mul_i32_i24_e32 v185, v170, v19
	s_delay_alu instid0(VALU_DEP_1)
	v_add3_u32 v182, v182, v185, v186
	v_mul_i32_i24_e32 v185, v173, v73
	scratch_load_b32 v73, off, off offset:384 ; 4-byte Folded Reload
	v_mul_i32_i24_e32 v186, v165, v237
	scratch_load_b32 v237, off, off offset:560 ; 4-byte Folded Reload
	v_add3_u32 v182, v182, v183, v184
	v_mul_i32_i24_e32 v183, v174, v65
	v_mul_i32_i24_e32 v184, v175, v238
	scratch_load_b32 v238, off, off offset:564 ; 4-byte Folded Reload
	v_add3_u32 v182, v182, v185, v186
	v_mul_i32_i24_e32 v185, v176, v23
	;; [unrolled: 4-line block ×3, first 2 shown]
	s_waitcnt vmcnt(5)
	v_mul_i32_i24_e32 v184, v178, v27
	v_mov_b32_e32 v242, v93
	scratch_load_b32 v93, off, off offset:172 ; 4-byte Folded Reload
	v_add3_u32 v182, v182, v185, v186
	v_mul_i32_i24_e32 v185, v179, v84
	scratch_load_b32 v84, off, off offset:152 ; 4-byte Folded Reload
	v_mul_i32_i24_e32 v186, v167, v244
	scratch_load_b32 v244, off, off offset:568 ; 4-byte Folded Reload
	v_add3_u32 v182, v182, v183, v184
	v_mul_i32_i24_e32 v183, v159, v224
	v_mul_i32_i24_e32 v184, v160, v102
	v_mov_b32_e32 v224, v91
	scratch_load_b32 v91, off, off offset:192 ; 4-byte Folded Reload
	v_add3_u32 v182, v182, v185, v186
	v_mul_i32_i24_e32 v185, v123, v250
	v_mul_i32_i24_e32 v186, v124, v107
	s_waitcnt vmcnt(7)
	s_delay_alu instid0(VALU_DEP_3) | instskip(NEXT) | instid1(VALU_DEP_1)
	v_mul_lo_u32 v182, v182, v73
	v_cvt_f32_i32_e32 v182, v182
	s_delay_alu instid0(VALU_DEP_1) | instskip(SKIP_2) | instid1(VALU_DEP_2)
	v_fma_mix_f32 v180, v1, v182, v180 op_sel_hi:[1,0,0]
	s_waitcnt vmcnt(4)
	v_mul_i32_i24_e32 v182, v163, v86
	v_fma_f32 v180, v180, v245, -v181
	s_waitcnt vmcnt(2)
	v_mul_i32_i24_e32 v181, v162, v84
	s_delay_alu instid0(VALU_DEP_2)
	v_add_f32_e32 v135, v135, v180
	v_mul_i32_i24_e32 v180, v161, v85
	scratch_store_b32 off, v135, off offset:1100 ; 4-byte Folded Spill
	v_mad_i32_i24 v180, v156, v87, v180
	v_mov_b32_e32 v135, v95
	scratch_load_b32 v95, off, off offset:1040 ; 4-byte Folded Reload
	v_add3_u32 v180, v180, v181, v182
	v_mul_i32_i24_e32 v181, v157, v96
	v_mul_i32_i24_e32 v182, v158, v115
	s_delay_alu instid0(VALU_DEP_1)
	v_add3_u32 v180, v180, v181, v182
	v_mul_i32_i24_e32 v181, v126, v88
	scratch_load_b32 v88, off, off offset:532 ; 4-byte Folded Reload
	v_mul_i32_i24_e32 v182, v153, v236
	v_add3_u32 v180, v180, v183, v184
	v_mul_i32_i24_e32 v183, v154, v237
	v_mul_i32_i24_e32 v184, v155, v105
	s_delay_alu instid0(VALU_DEP_3) | instskip(SKIP_3) | instid1(VALU_DEP_3)
	v_add3_u32 v180, v180, v181, v182
	v_mul_i32_i24_e32 v181, v4, v238
	s_waitcnt vmcnt(3)
	v_mul_i32_i24_e32 v182, v42, v244
	v_add3_u32 v180, v180, v183, v184
	v_mul_i32_i24_e32 v183, v45, v222
	v_mul_i32_i24_e32 v184, v62, v106
	s_delay_alu instid0(VALU_DEP_3) | instskip(SKIP_2) | instid1(VALU_DEP_3)
	v_add3_u32 v180, v180, v181, v182
	v_mul_i32_i24_e32 v181, v71, v227
	v_mul_i32_i24_e32 v182, v74, v252
	v_add3_u32 v180, v180, v183, v184
	v_mul_i32_i24_e32 v183, v75, v224
	v_mul_i32_i24_e32 v184, v76, v219
	s_delay_alu instid0(VALU_DEP_3)
	v_add3_u32 v180, v180, v181, v182
	v_mul_i32_i24_e32 v181, v77, v113
	v_mul_i32_i24_e32 v182, v80, v242
	scratch_load_b32 v113, off, off offset:920 ; 4-byte Folded Reload
	v_add3_u32 v180, v180, v183, v184
	v_mul_i32_i24_e32 v183, v81, v248
	v_mul_i32_i24_e32 v184, v82, v135
	s_delay_alu instid0(VALU_DEP_3)
	v_add3_u32 v180, v180, v181, v182
	v_mul_i32_i24_e32 v181, v83, v99
	v_mul_i32_i24_e32 v182, v108, v97
	s_clause 0x1
	scratch_load_b32 v97, off, off offset:1044
	scratch_load_b32 v99, off, off offset:188
	v_add3_u32 v180, v180, v183, v184
	v_mul_i32_i24_e32 v183, v109, v98
	v_mul_i32_i24_e32 v184, v110, v221
	scratch_load_b32 v98, off, off offset:196 ; 4-byte Folded Reload
	v_add3_u32 v180, v180, v181, v182
	v_mul_i32_i24_e32 v181, v111, v223
	v_mul_i32_i24_e32 v182, v112, v220
	s_delay_alu instid0(VALU_DEP_3)
	v_add3_u32 v180, v180, v183, v184
	v_mul_i32_i24_e32 v183, v114, v92
	v_mul_i32_i24_e32 v184, v116, v212
	scratch_load_b32 v92, off, off offset:200 ; 4-byte Folded Reload
	v_add3_u32 v180, v180, v181, v182
	v_mul_i32_i24_e32 v182, v117, v228
	v_fma_mix_f32 v181, v225, v0, 0 op_sel:[0,1,0] op_sel_hi:[0,1,0]
	s_delay_alu instid0(VALU_DEP_3) | instskip(SKIP_3) | instid1(VALU_DEP_4)
	v_add3_u32 v180, v180, v183, v184
	v_mul_i32_i24_e32 v183, v119, v229
	v_mul_i32_i24_e32 v184, v120, v235
	v_mad_i32_i24 v182, v118, v104, v182
	v_mul_lo_u32 v180, v180, v103
	s_delay_alu instid0(VALU_DEP_2) | instskip(SKIP_1) | instid1(VALU_DEP_3)
	v_add3_u32 v182, v182, v183, v184
	v_mul_i32_i24_e32 v184, v122, v249
	v_cvt_f32_i32_e32 v180, v180
	s_delay_alu instid0(VALU_DEP_1)
	v_fma_mix_f32 v180, v0, v180, 0 op_sel_hi:[1,0,0]
	s_waitcnt vmcnt(5)
	v_mul_i32_i24_e32 v183, v121, v88
	scratch_load_b32 v88, off, off offset:536 ; 4-byte Folded Reload
	v_add3_u32 v182, v182, v183, v184
	v_mul_i32_i24_e32 v183, v125, v255
	s_delay_alu instid0(VALU_DEP_2) | instskip(SKIP_4) | instid1(VALU_DEP_1)
	v_add3_u32 v182, v182, v185, v186
	s_waitcnt vmcnt(5)
	v_mul_i32_i24_e32 v186, v129, v113
	s_waitcnt vmcnt(1)
	v_fma_mix_f32 v181, v92, v1, v181 op_sel:[0,1,0] op_sel_hi:[0,1,0]
	v_mul_f32_e32 v181, v181, v254
	scratch_store_b32 off, v96, off offset:528 ; 4-byte Folded Spill
	scratch_load_b32 v96, off, off offset:1024 ; 4-byte Folded Reload
	s_waitcnt vmcnt(1)
	v_mul_i32_i24_e32 v184, v127, v88
	scratch_load_b32 v88, off, off offset:540 ; 4-byte Folded Reload
	v_add3_u32 v182, v182, v183, v184
	s_waitcnt vmcnt(0)
	v_mul_i32_i24_e32 v185, v128, v88
	scratch_load_b32 v88, off, off offset:544 ; 4-byte Folded Reload
	v_add3_u32 v182, v182, v185, v186
	s_waitcnt vmcnt(0)
	v_mul_i32_i24_e32 v183, v130, v88
	scratch_load_b32 v88, off, off offset:548 ; 4-byte Folded Reload
	s_waitcnt vmcnt(0)
	v_mul_i32_i24_e32 v184, v131, v88
	scratch_load_b32 v88, off, off offset:552 ; 4-byte Folded Reload
	v_add3_u32 v182, v182, v183, v184
	v_mul_i32_i24_e32 v184, v169, v101
	s_waitcnt vmcnt(0)
	v_mul_i32_i24_e32 v185, v132, v88
	scratch_load_b32 v88, off, off offset:604 ; 4-byte Folded Reload
	s_waitcnt vmcnt(0)
	v_mul_i32_i24_e32 v186, v133, v88
	scratch_load_b32 v88, off, off offset:940 ; 4-byte Folded Reload
	v_add3_u32 v182, v182, v185, v186
	v_mul_i32_i24_e32 v185, v170, v100
	v_mul_i32_i24_e32 v186, v164, v96
	s_waitcnt vmcnt(0)
	v_mul_i32_i24_e32 v183, v168, v88
	scratch_load_b32 v88, off, off offset:928 ; 4-byte Folded Reload
	v_add3_u32 v182, v182, v183, v184
	v_mul_i32_i24_e32 v184, v172, v217
	s_delay_alu instid0(VALU_DEP_2)
	v_add3_u32 v182, v182, v185, v186
	s_waitcnt vmcnt(0)
	v_mul_i32_i24_e32 v183, v171, v88
	scratch_load_b32 v88, off, off offset:932 ; 4-byte Folded Reload
	v_add3_u32 v182, v182, v183, v184
	v_mul_i32_i24_e32 v183, v174, v93
	v_mul_i32_i24_e32 v184, v175, v94
	s_waitcnt vmcnt(0)
	v_mul_i32_i24_e32 v185, v173, v88
	scratch_load_b32 v88, off, off offset:1032 ; 4-byte Folded Reload
	s_waitcnt vmcnt(0)
	v_mul_i32_i24_e32 v186, v165, v88
	s_delay_alu instid0(VALU_DEP_1) | instskip(SKIP_2) | instid1(VALU_DEP_3)
	v_add3_u32 v182, v182, v185, v186
	v_mul_i32_i24_e32 v185, v176, v95
	v_mul_i32_i24_e32 v186, v166, v89
	v_add3_u32 v182, v182, v183, v184
	v_mul_i32_i24_e32 v183, v177, v97
	v_mul_i32_i24_e32 v184, v178, v98
	s_delay_alu instid0(VALU_DEP_3) | instskip(SKIP_2) | instid1(VALU_DEP_3)
	v_add3_u32 v182, v182, v185, v186
	v_mul_i32_i24_e32 v185, v179, v99
	v_mul_i32_i24_e32 v186, v167, v90
	v_add3_u32 v182, v182, v183, v184
	s_delay_alu instid0(VALU_DEP_1) | instskip(NEXT) | instid1(VALU_DEP_1)
	v_add3_u32 v182, v182, v185, v186
	v_mul_lo_u32 v182, v182, v91
	s_delay_alu instid0(VALU_DEP_1) | instskip(NEXT) | instid1(VALU_DEP_1)
	v_cvt_f32_i32_e32 v182, v182
	v_fma_mix_f32 v180, v1, v182, v180 op_sel_hi:[1,0,0]
	s_delay_alu instid0(VALU_DEP_1)
	v_fma_f32 v180, v180, v243, -v181
	scratch_load_b32 v181, off, off offset:1096 ; 4-byte Folded Reload
	s_waitcnt vmcnt(0)
	v_add_f32_e32 v181, v181, v180
	scratch_load_b32 v180, off, off offset:488 ; 4-byte Folded Reload
	s_waitcnt vmcnt(0)
	v_mul_i32_i24_e32 v161, v161, v180
	scratch_load_b32 v180, off, off offset:492 ; 4-byte Folded Reload
	s_waitcnt vmcnt(0)
	v_mul_i32_i24_e32 v162, v162, v180
	;; [unrolled: 3-line block ×3, first 2 shown]
	scratch_load_b32 v180, off, off offset:484 ; 4-byte Folded Reload
	s_waitcnt vmcnt(0)
	v_mad_i32_i24 v156, v156, v180, v161
	scratch_load_b32 v161, off, off offset:296 ; 4-byte Folded Reload
	v_add3_u32 v156, v156, v162, v163
	s_waitcnt vmcnt(0)
	v_mul_i32_i24_e32 v157, v157, v161
	scratch_load_b32 v161, off, off offset:36 ; 4-byte Folded Reload
	s_waitcnt vmcnt(0)
	v_mul_i32_i24_e32 v158, v158, v161
	scratch_load_b32 v161, off, off offset:40 ; 4-byte Folded Reload
	v_add3_u32 v156, v156, v157, v158
	scratch_load_b32 v157, off, off offset:8 ; 4-byte Folded Reload
	s_waitcnt vmcnt(1)
	v_mul_i32_i24_e32 v159, v159, v161
	scratch_load_b32 v161, off, off offset:44 ; 4-byte Folded Reload
	s_waitcnt vmcnt(1)
	v_mul_i32_i24_e32 v126, v126, v157
	;; [unrolled: 3-line block ×3, first 2 shown]
	s_delay_alu instid0(VALU_DEP_1)
	v_add3_u32 v156, v156, v159, v160
	s_waitcnt vmcnt(0)
	v_mul_i32_i24_e32 v153, v153, v157
	scratch_load_b32 v157, off, off offset:20 ; 4-byte Folded Reload
	v_add3_u32 v126, v156, v126, v153
	scratch_load_b32 v153, off, off offset:12 ; 4-byte Folded Reload
	s_waitcnt vmcnt(1)
	v_mul_i32_i24_e32 v154, v154, v157
	scratch_load_b32 v157, off, off offset:28 ; 4-byte Folded Reload
	s_waitcnt vmcnt(1)
	v_mul_i32_i24_e32 v4, v4, v153
	;; [unrolled: 3-line block ×3, first 2 shown]
	s_waitcnt vmcnt(0)
	v_mul_i32_i24_e32 v42, v42, v153
	scratch_load_b32 v153, off, off offset:32 ; 4-byte Folded Reload
	v_add3_u32 v126, v126, v154, v155
	s_delay_alu instid0(VALU_DEP_1)
	v_add3_u32 v4, v126, v4, v42
	scratch_load_b32 v42, off, off offset:48 ; 4-byte Folded Reload
	s_waitcnt vmcnt(1)
	v_mul_i32_i24_e32 v45, v45, v153
	scratch_load_b32 v153, off, off offset:300 ; 4-byte Folded Reload
	s_waitcnt vmcnt(1)
	v_mul_i32_i24_e32 v42, v71, v42
	;; [unrolled: 3-line block ×3, first 2 shown]
	s_delay_alu instid0(VALU_DEP_1)
	v_add3_u32 v4, v4, v45, v62
	s_clause 0x1
	scratch_load_b32 v45, off, off offset:52
	scratch_load_b32 v62, off, off offset:304
	s_waitcnt vmcnt(2)
	v_mul_i32_i24_e32 v71, v76, v71
	s_waitcnt vmcnt(1)
	v_mul_i32_i24_e32 v45, v74, v45
	;; [unrolled: 2-line block ×3, first 2 shown]
	s_delay_alu instid0(VALU_DEP_2)
	v_add3_u32 v4, v4, v42, v45
	s_clause 0x1
	scratch_load_b32 v42, off, off offset:308
	scratch_load_b32 v45, off, off offset:316
	v_add3_u32 v4, v4, v62, v71
	s_clause 0x1
	scratch_load_b32 v62, off, off offset:320
	scratch_load_b32 v71, off, off offset:324
	s_waitcnt vmcnt(3)
	v_mul_i32_i24_e32 v42, v77, v42
	s_waitcnt vmcnt(2)
	v_mul_i32_i24_e32 v45, v80, v45
	;; [unrolled: 2-line block ×4, first 2 shown]
	v_add3_u32 v4, v4, v42, v45
	s_clause 0x1
	scratch_load_b32 v42, off, off offset:56
	scratch_load_b32 v45, off, off offset:60
	v_add3_u32 v4, v4, v62, v71
	s_clause 0x1
	scratch_load_b32 v62, off, off offset:64
	scratch_load_b32 v71, off, off offset:328
	s_waitcnt vmcnt(3)
	v_mul_i32_i24_e32 v42, v83, v42
	s_waitcnt vmcnt(2)
	v_mul_i32_i24_e32 v45, v108, v45
	scratch_load_b32 v108, off, off offset:684 ; 4-byte Folded Reload
	s_waitcnt vmcnt(2)
	v_mul_i32_i24_e32 v62, v109, v62
	scratch_load_b32 v109, off, off offset:688 ; 4-byte Folded Reload
	s_waitcnt vmcnt(2)
	v_mul_i32_i24_e32 v71, v110, v71
	v_add3_u32 v4, v4, v42, v45
	scratch_load_b32 v110, off, off offset:1048 ; 4-byte Folded Reload
	v_add3_u32 v4, v4, v62, v71
	s_waitcnt vmcnt(2)
	v_mul_i32_i24_e32 v42, v111, v108
	scratch_load_b32 v111, off, off offset:1052 ; 4-byte Folded Reload
	s_waitcnt vmcnt(2)
	v_mul_i32_i24_e32 v45, v112, v109
	scratch_load_b32 v112, off, off offset:1056 ; 4-byte Folded Reload
	;; [unrolled: 3-line block ×3, first 2 shown]
	v_add3_u32 v4, v4, v42, v45
	scratch_load_b32 v42, off, off offset:480 ; 4-byte Folded Reload
	s_waitcnt vmcnt(3)
	v_mul_i32_i24_e32 v71, v116, v111
	scratch_load_b32 v116, off, off offset:692 ; 4-byte Folded Reload
	v_add3_u32 v4, v4, v62, v71
	s_waitcnt vmcnt(1)
	v_mul_i32_i24_e32 v42, v117, v42
	scratch_load_b32 v117, off, off offset:700 ; 4-byte Folded Reload
	v_mul_lo_u32 v4, v4, v112
	s_delay_alu instid0(VALU_DEP_1) | instskip(NEXT) | instid1(VALU_DEP_1)
	v_cvt_f32_i32_e32 v4, v4
	v_fma_mix_f32 v4, v0, v4, 0 op_sel_hi:[1,0,0]
	v_fma_mix_f32 v0, v114, v0, 0 op_sel:[0,1,0] op_sel_hi:[0,1,0]
	s_delay_alu instid0(VALU_DEP_1) | instskip(NEXT) | instid1(VALU_DEP_1)
	v_fma_mix_f32 v0, v194, v1, v0 op_sel:[0,1,0] op_sel_hi:[0,1,0]
	v_mul_f32_e32 v0, v0, v196
	s_waitcnt vmcnt(1)
	v_mad_i32_i24 v42, v118, v116, v42
	scratch_load_b32 v118, off, off offset:696 ; 4-byte Folded Reload
	s_waitcnt vmcnt(1)
	v_mul_i32_i24_e32 v45, v119, v117
	scratch_load_b32 v119, off, off offset:1064 ; 4-byte Folded Reload
	s_waitcnt vmcnt(0)
	v_mul_i32_i24_e32 v62, v120, v119
	scratch_load_b32 v120, off, off offset:704 ; 4-byte Folded Reload
	v_add3_u32 v42, v42, v45, v62
	scratch_load_b32 v45, off, off offset:816 ; 4-byte Folded Reload
	v_mul_i32_i24_e32 v62, v122, v118
	v_mov_b32_e32 v122, v192
	s_waitcnt vmcnt(1)
	v_mul_i32_i24_e32 v71, v123, v120
	v_mov_b32_e32 v123, v195
	s_waitcnt vmcnt(0)
	v_mul_i32_i24_e32 v45, v121, v45
	scratch_load_b32 v121, off, off offset:708 ; 4-byte Folded Reload
	v_add3_u32 v42, v42, v45, v62
	scratch_load_b32 v45, off, off offset:924 ; 4-byte Folded Reload
	v_mul_i32_i24_e32 v62, v127, v191
	v_mov_b32_e32 v127, v191
	s_waitcnt vmcnt(1)
	v_mul_i32_i24_e32 v74, v124, v121
	v_mov_b32_e32 v124, v196
	s_delay_alu instid0(VALU_DEP_2)
	v_add3_u32 v42, v42, v71, v74
	s_waitcnt vmcnt(0)
	v_mul_i32_i24_e32 v45, v125, v45
	v_mul_i32_i24_e32 v71, v128, v192
	;; [unrolled: 1-line block ×3, first 2 shown]
	v_dual_mov_b32 v128, v187 :: v_dual_mov_b32 v129, v188
	s_delay_alu instid0(VALU_DEP_4)
	v_add3_u32 v42, v42, v45, v62
	v_mul_i32_i24_e32 v45, v130, v190
	v_mul_i32_i24_e32 v62, v131, v187
	v_mov_b32_e32 v130, v189
	v_mov_b32_e32 v125, v193
	v_add3_u32 v42, v42, v71, v74
	v_mul_i32_i24_e32 v71, v132, v188
	v_mul_i32_i24_e32 v74, v133, v189
	v_dual_mov_b32 v132, v210 :: v_dual_mov_b32 v133, v251
	s_delay_alu instid0(VALU_DEP_4) | instskip(SKIP_2) | instid1(VALU_DEP_3)
	v_add3_u32 v42, v42, v45, v62
	v_mul_i32_i24_e32 v45, v168, v79
	v_mul_i32_i24_e32 v62, v169, v210
	v_add3_u32 v42, v42, v71, v74
	v_mul_i32_i24_e32 v71, v170, v251
	v_mul_i32_i24_e32 v74, v164, v78
	v_dual_mov_b32 v251, v78 :: v_dual_mov_b32 v78, v141
	s_delay_alu instid0(VALU_DEP_4) | instskip(SKIP_2) | instid1(VALU_DEP_3)
	v_add3_u32 v42, v42, v45, v62
	v_mul_i32_i24_e32 v45, v171, v206
	v_mul_i32_i24_e32 v62, v172, v207
	v_add3_u32 v42, v42, v71, v74
	v_mul_i32_i24_e32 v71, v173, v208
	v_mul_i32_i24_e32 v74, v165, v209
	s_delay_alu instid0(VALU_DEP_3) | instskip(SKIP_2) | instid1(VALU_DEP_3)
	v_add3_u32 v42, v42, v45, v62
	v_mul_i32_i24_e32 v45, v174, v202
	v_mul_i32_i24_e32 v62, v175, v203
	v_add3_u32 v42, v42, v71, v74
	v_mul_i32_i24_e32 v71, v176, v204
	v_mul_i32_i24_e32 v74, v166, v205
	s_delay_alu instid0(VALU_DEP_3) | instskip(SKIP_2) | instid1(VALU_DEP_3)
	v_add3_u32 v42, v42, v45, v62
	v_mul_i32_i24_e32 v45, v177, v198
	v_mul_i32_i24_e32 v62, v178, v199
	v_add3_u32 v42, v42, v71, v74
	v_mul_i32_i24_e32 v71, v179, v200
	v_mul_i32_i24_e32 v74, v167, v201
	s_delay_alu instid0(VALU_DEP_3) | instskip(NEXT) | instid1(VALU_DEP_1)
	v_add3_u32 v42, v42, v45, v62
	v_add3_u32 v42, v42, v71, v74
	s_delay_alu instid0(VALU_DEP_1) | instskip(NEXT) | instid1(VALU_DEP_1)
	v_mul_lo_u32 v42, v42, v197
	v_cvt_f32_i32_e32 v42, v42
	s_delay_alu instid0(VALU_DEP_1) | instskip(SKIP_3) | instid1(VALU_DEP_1)
	v_fma_mix_f32 v4, v1, v42, v4 op_sel_hi:[1,0,0]
	scratch_load_b32 v1, off, off offset:1092 ; 4-byte Folded Reload
	v_fma_f32 v0, v4, v195, -v0
	s_waitcnt vmcnt(0)
	v_add_f32_e32 v1, v1, v0
	scratch_load_b32 v0, off, off           ; 4-byte Folded Reload
	s_clause 0x1
	scratch_store_b32 off, v181, off offset:1096
	scratch_store_b32 off, v1, off offset:1092
	s_waitcnt vmcnt(0)
	ds_load_b128 v[153:156], v0 offset:3072
	scratch_load_b32 v0, off, off           ; 4-byte Folded Reload
	s_waitcnt lgkmcnt(0)
	v_bfe_i32 v208, v153, 0, 8
	v_bfe_i32 v207, v153, 8, 8
	v_bfe_i32 v209, v153, 16, 8
	v_ashrrev_i32_e32 v210, 24, v153
	v_bfe_i32 v187, v154, 0, 8
	v_bfe_i32 v188, v154, 8, 8
	v_bfe_i32 v189, v154, 16, 8
	v_ashrrev_i32_e32 v190, 24, v154
	;; [unrolled: 4-line block ×4, first 2 shown]
	v_mul_i32_i24_e32 v71, v208, v137
	v_mul_i32_i24_e32 v74, v209, v139
	;; [unrolled: 1-line block ×5, first 2 shown]
	v_mad_i32_i24 v71, v207, v13, v71
	v_mov_b32_e32 v139, v32
	v_mov_b32_e32 v137, v149
	s_delay_alu instid0(VALU_DEP_3) | instskip(SKIP_2) | instid1(VALU_DEP_1)
	v_add3_u32 v71, v71, v74, v75
	v_mul_i32_i24_e32 v74, v187, v240
	v_mul_i32_i24_e32 v75, v188, v138
	v_add3_u32 v71, v71, v74, v75
	v_mul_i32_i24_e32 v74, v183, v253
	v_mul_i32_i24_e32 v75, v184, v149
	v_mov_b32_e32 v149, v6
	s_delay_alu instid0(VALU_DEP_4)
	v_add3_u32 v71, v71, v76, v77
	v_mul_i32_i24_e32 v76, v185, v6
	v_mul_i32_i24_e32 v77, v186, v18
	scratch_load_b32 v6, off, off offset:1120 ; 4-byte Folded Reload
	v_mov_b32_e32 v138, v149
	v_add3_u32 v71, v71, v74, v75
	v_mul_i32_i24_e32 v74, v163, v17
	v_mul_i32_i24_e32 v75, v180, v30
	s_delay_alu instid0(VALU_DEP_3) | instskip(SKIP_4) | instid1(VALU_DEP_1)
	v_add3_u32 v71, v71, v76, v77
	v_mul_i32_i24_e32 v76, v181, v21
	v_mul_i32_i24_e32 v77, v182, v35
	scratch_load_b32 v21, off, off offset:924 ; 4-byte Folded Reload
	v_add3_u32 v71, v71, v74, v75
	v_add3_u32 v71, v71, v76, v77
	s_waitcnt vmcnt(2)
	ds_load_b128 v[153:156], v0 offset:3088
	scratch_load_b32 v0, off, off           ; 4-byte Folded Reload
	s_waitcnt lgkmcnt(0)
	v_bfe_i32 v203, v153, 0, 8
	v_bfe_i32 v204, v153, 8, 8
	;; [unrolled: 1-line block ×4, first 2 shown]
	v_ashrrev_i32_e32 v206, 24, v153
	v_mul_i32_i24_e32 v74, v203, v36
	v_mul_i32_i24_e32 v75, v204, v37
	v_bfe_i32 v200, v154, 8, 8
	v_bfe_i32 v201, v154, 16, 8
	v_ashrrev_i32_e32 v202, 24, v154
	v_bfe_i32 v195, v155, 0, 8
	v_add3_u32 v71, v71, v74, v75
	v_mul_i32_i24_e32 v74, v199, v32
	scratch_load_b32 v32, off, off offset:600 ; 4-byte Folded Reload
	v_bfe_i32 v196, v155, 8, 8
	v_bfe_i32 v197, v155, 16, 8
	v_ashrrev_i32_e32 v198, 24, v155
	v_bfe_i32 v191, v156, 0, 8
	v_bfe_i32 v192, v156, 8, 8
	;; [unrolled: 1-line block ×3, first 2 shown]
	v_ashrrev_i32_e32 v194, 24, v156
	v_mul_i32_i24_e32 v76, v205, v44
	v_mul_i32_i24_e32 v77, v206, v72
	;; [unrolled: 1-line block ×3, first 2 shown]
	scratch_load_b32 v44, off, off offset:212 ; 4-byte Folded Reload
	v_add3_u32 v71, v71, v76, v77
	v_mul_i32_i24_e32 v76, v201, v47
	v_mul_i32_i24_e32 v77, v202, v48
	v_mov_b32_e32 v47, v31
	s_delay_alu instid0(VALU_DEP_4) | instskip(SKIP_3) | instid1(VALU_DEP_4)
	v_add3_u32 v71, v71, v74, v75
	v_mul_i32_i24_e32 v74, v195, v49
	v_mul_i32_i24_e32 v75, v196, v50
	v_dual_mov_b32 v50, v38 :: v_dual_mov_b32 v49, v216
	v_add3_u32 v71, v71, v76, v77
	v_mul_i32_i24_e32 v76, v197, v51
	v_mul_i32_i24_e32 v77, v198, v247
	scratch_load_b32 v51, off, off offset:584 ; 4-byte Folded Reload
	v_add3_u32 v71, v71, v74, v75
	v_mul_i32_i24_e32 v74, v191, v52
	v_mul_i32_i24_e32 v75, v192, v53
	s_clause 0x1
	scratch_load_b32 v53, off, off offset:592
	scratch_load_b32 v52, off, off offset:596
	v_add3_u32 v71, v71, v76, v77
	v_mul_i32_i24_e32 v76, v193, v54
	v_mul_i32_i24_e32 v77, v194, v55
	v_mov_b32_e32 v54, v63
	s_delay_alu instid0(VALU_DEP_4) | instskip(SKIP_2) | instid1(VALU_DEP_3)
	v_add3_u32 v71, v71, v74, v75
	v_fma_mix_f32 v74, v66, v2, 0 op_sel:[0,1,0] op_sel_hi:[0,1,0]
	v_mov_b32_e32 v66, v148
	v_add3_u32 v71, v71, v76, v77
	s_delay_alu instid0(VALU_DEP_1) | instskip(SKIP_2) | instid1(VALU_DEP_1)
	v_mul_lo_u32 v71, v71, v20
	scratch_load_b32 v20, off, off offset:588 ; 4-byte Folded Reload
	v_cvt_f32_i32_e32 v71, v71
	v_fma_mix_f32 v71, v2, v71, 0 op_sel_hi:[1,0,0]
	s_waitcnt vmcnt(6)
	ds_load_b128 v[153:156], v0 offset:3104
	scratch_load_b32 v0, off, off           ; 4-byte Folded Reload
	s_waitcnt lgkmcnt(0)
	v_bfe_i32 v178, v153, 16, 8
	v_bfe_i32 v177, v153, 0, 8
	;; [unrolled: 1-line block ×3, first 2 shown]
	v_ashrrev_i32_e32 v179, 24, v153
	v_bfe_i32 v172, v154, 0, 8
	v_mul_i32_i24_e32 v76, v178, v5
	scratch_load_b32 v5, off, off offset:216 ; 4-byte Folded Reload
	v_mul_i32_i24_e32 v75, v177, v213
	v_bfe_i32 v173, v154, 8, 8
	v_mul_i32_i24_e32 v77, v179, v141
	v_bfe_i32 v174, v154, 16, 8
	v_ashrrev_i32_e32 v175, 24, v154
	v_mad_i32_i24 v75, v176, v211, v75
	v_bfe_i32 v168, v155, 0, 8
	v_bfe_i32 v169, v155, 8, 8
	;; [unrolled: 1-line block ×3, first 2 shown]
	v_ashrrev_i32_e32 v171, 24, v155
	v_add3_u32 v75, v75, v76, v77
	s_waitcnt vmcnt(7)
	v_mul_i32_i24_e32 v76, v172, v32
	v_mul_i32_i24_e32 v77, v173, v142
	v_bfe_i32 v164, v156, 0, 8
	v_bfe_i32 v165, v156, 8, 8
	;; [unrolled: 1-line block ×3, first 2 shown]
	v_ashrrev_i32_e32 v167, 24, v156
	v_mul_i32_i24_e32 v80, v174, v143
	v_mul_i32_i24_e32 v81, v175, v144
	v_add3_u32 v75, v75, v76, v77
	v_mul_i32_i24_e32 v76, v168, v146
	v_mul_i32_i24_e32 v77, v169, v147
	v_mov_b32_e32 v211, v123
	v_mov_b32_e32 v147, v136
	v_add3_u32 v75, v75, v80, v81
	v_mul_i32_i24_e32 v80, v170, v148
	v_mul_i32_i24_e32 v81, v171, v9
	v_mov_b32_e32 v9, v129
	s_delay_alu instid0(VALU_DEP_4) | instskip(SKIP_2) | instid1(VALU_DEP_3)
	v_add3_u32 v75, v75, v76, v77
	v_mul_i32_i24_e32 v76, v164, v150
	v_mul_i32_i24_e32 v77, v165, v215
	v_add3_u32 v75, v75, v80, v81
	v_mul_i32_i24_e32 v80, v166, v24
	v_mul_i32_i24_e32 v81, v167, v134
	v_mov_b32_e32 v134, v245
	s_waitcnt vmcnt(3)
	v_fma_mix_f32 v74, v52, v3, v74 op_sel:[0,1,0] op_sel_hi:[0,1,0]
	v_add3_u32 v75, v75, v76, v77
	s_delay_alu instid0(VALU_DEP_2) | instskip(NEXT) | instid1(VALU_DEP_2)
	v_mul_f32_e32 v74, v74, v26
	v_add3_u32 v75, v75, v80, v81
	s_waitcnt vmcnt(1)
	ds_load_b128 v[153:156], v0 offset:3120
	s_waitcnt lgkmcnt(0)
	v_bfe_i32 v162, v153, 0, 8
	v_bfe_i32 v159, v153, 8, 8
	;; [unrolled: 1-line block ×3, first 2 shown]
	v_ashrrev_i32_e32 v161, 24, v153
	v_bfe_i32 v82, v154, 0, 8
	v_mul_i32_i24_e32 v76, v162, v145
	v_mul_i32_i24_e32 v77, v159, v151
	v_bfe_i32 v83, v154, 8, 8
	v_mul_i32_i24_e32 v80, v160, v152
	v_mul_i32_i24_e32 v81, v161, v31
	v_bfe_i32 v157, v154, 16, 8
	v_add3_u32 v75, v75, v76, v77
	v_ashrrev_i32_e32 v158, 24, v154
	v_mul_i32_i24_e32 v76, v82, v33
	v_mul_i32_i24_e32 v77, v83, v8
	v_bfe_i32 v62, v155, 0, 8
	v_add3_u32 v75, v75, v80, v81
	v_bfe_i32 v126, v155, 8, 8
	v_mul_i32_i24_e32 v80, v157, v216
	v_mul_i32_i24_e32 v81, v158, v38
	v_bfe_i32 v1, v156, 8, 8
	v_add3_u32 v75, v75, v76, v77
	v_mul_i32_i24_e32 v76, v62, v239
	v_mul_i32_i24_e32 v77, v126, v241
	v_bfe_i32 v4, v155, 16, 8
	v_ashrrev_i32_e32 v153, 24, v155
	v_add3_u32 v75, v75, v80, v81
	v_bfe_i32 v0, v156, 0, 8
	v_bfe_i32 v42, v156, 16, 8
	v_mul_i32_i24_e32 v80, v4, v7
	v_mul_i32_i24_e32 v81, v153, v44
	v_add3_u32 v75, v75, v76, v77
	s_waitcnt vmcnt(0)
	v_mul_i32_i24_e32 v77, v1, v5
	scratch_load_b32 v5, off, off offset:220 ; 4-byte Folded Reload
	v_ashrrev_i32_e32 v45, 24, v156
	v_mul_i32_i24_e32 v76, v0, v51
	v_add3_u32 v75, v75, v80, v81
	v_mul_i32_i24_e32 v80, v42, v20
	v_mov_b32_e32 v8, v128
	s_delay_alu instid0(VALU_DEP_3) | instskip(SKIP_2) | instid1(VALU_DEP_1)
	v_add3_u32 v75, v75, v76, v77
	s_waitcnt vmcnt(0)
	v_mul_i32_i24_e32 v81, v45, v5
	v_add3_u32 v75, v75, v80, v81
	v_mul_i32_i24_e32 v81, v175, v57
	s_delay_alu instid0(VALU_DEP_2) | instskip(NEXT) | instid1(VALU_DEP_1)
	v_mul_lo_u32 v75, v75, v53
	v_cvt_f32_i32_e32 v75, v75
	s_delay_alu instid0(VALU_DEP_1) | instskip(SKIP_1) | instid1(VALU_DEP_2)
	v_fma_mix_f32 v71, v3, v75, v71 op_sel_hi:[1,0,0]
	v_mul_i32_i24_e32 v75, v210, v226
	v_fma_f32 v71, v71, v136, -v74
	v_mul_i32_i24_e32 v74, v209, v16
	v_mov_b32_e32 v136, v253
	s_delay_alu instid0(VALU_DEP_3)
	v_add_f32_e32 v6, v6, v71
	v_mul_i32_i24_e32 v71, v208, v15
	scratch_store_b32 off, v6, off offset:1120 ; 4-byte Folded Spill
	scratch_load_b32 v6, off, off offset:372 ; 4-byte Folded Reload
	v_mad_i32_i24 v71, v207, v69, v71
	v_mov_b32_e32 v69, v10
	s_delay_alu instid0(VALU_DEP_2)
	v_add3_u32 v71, v71, v74, v75
	v_mul_i32_i24_e32 v75, v188, v63
	s_waitcnt vmcnt(0)
	v_mul_i32_i24_e32 v74, v187, v6
	scratch_load_b32 v6, off, off offset:112 ; 4-byte Folded Reload
	v_add3_u32 v71, v71, v74, v75
	s_waitcnt vmcnt(0)
	v_mul_i32_i24_e32 v76, v189, v6
	scratch_load_b32 v6, off, off offset:116 ; 4-byte Folded Reload
	s_waitcnt vmcnt(0)
	v_mul_i32_i24_e32 v77, v190, v6
	scratch_load_b32 v6, off, off offset:76 ; 4-byte Folded Reload
	v_add3_u32 v71, v71, v76, v77
	s_waitcnt vmcnt(0)
	v_mul_i32_i24_e32 v74, v183, v6
	scratch_load_b32 v6, off, off offset:120 ; 4-byte Folded Reload
	;; [unrolled: 7-line block ×3, first 2 shown]
	s_waitcnt vmcnt(0)
	v_mul_i32_i24_e32 v77, v186, v6
	scratch_load_b32 v6, off, off offset:68 ; 4-byte Folded Reload
	v_add3_u32 v71, v71, v76, v77
	v_mul_i32_i24_e32 v76, v181, v10
	v_mul_i32_i24_e32 v77, v182, v64
	scratch_load_b32 v10, off, off offset:1000 ; 4-byte Folded Reload
	s_waitcnt vmcnt(1)
	v_mul_i32_i24_e32 v74, v163, v6
	scratch_load_b32 v6, off, off offset:168 ; 4-byte Folded Reload
	s_waitcnt vmcnt(0)
	v_mul_i32_i24_e32 v75, v180, v6
	scratch_load_b32 v6, off, off offset:164 ; 4-byte Folded Reload
	v_add3_u32 v71, v71, v74, v75
	v_mul_i32_i24_e32 v74, v203, v29
	s_delay_alu instid0(VALU_DEP_2)
	v_add3_u32 v71, v71, v76, v77
	v_mul_i32_i24_e32 v76, v205, v11
	v_mul_i32_i24_e32 v77, v206, v68
	v_mov_b32_e32 v11, v130
	s_waitcnt vmcnt(0)
	v_mul_i32_i24_e32 v75, v204, v6
	scratch_load_b32 v6, off, off offset:124 ; 4-byte Folded Reload
	v_add3_u32 v71, v71, v74, v75
	v_mul_i32_i24_e32 v75, v200, v25
	s_delay_alu instid0(VALU_DEP_2)
	v_add3_u32 v71, v71, v76, v77
	v_mul_i32_i24_e32 v76, v201, v28
	v_mul_i32_i24_e32 v77, v202, v70
	s_waitcnt vmcnt(0)
	v_mul_i32_i24_e32 v74, v199, v6
	scratch_load_b32 v6, off, off offset:132 ; 4-byte Folded Reload
	v_add3_u32 v71, v71, v74, v75
	v_mul_i32_i24_e32 v75, v196, v12
	s_delay_alu instid0(VALU_DEP_2)
	v_add3_u32 v71, v71, v76, v77
	v_mul_i32_i24_e32 v76, v197, v34
	v_mul_i32_i24_e32 v77, v198, v41
	s_waitcnt vmcnt(0)
	v_mul_i32_i24_e32 v74, v195, v6
	scratch_load_b32 v6, off, off offset:176 ; 4-byte Folded Reload
	v_add3_u32 v71, v71, v74, v75
	v_mul_i32_i24_e32 v74, v191, v39
	v_mul_i32_i24_e32 v75, v192, v43
	s_delay_alu instid0(VALU_DEP_3) | instskip(SKIP_3) | instid1(VALU_DEP_4)
	v_add3_u32 v71, v71, v76, v77
	v_mul_i32_i24_e32 v76, v193, v214
	v_mul_i32_i24_e32 v77, v194, v40
	v_mov_b32_e32 v214, v218
	v_add3_u32 v71, v71, v74, v75
	v_mul_i32_i24_e32 v75, v177, v58
	v_fma_mix_f32 v74, v56, v2, 0 op_sel:[0,1,0] op_sel_hi:[0,1,0]
	s_delay_alu instid0(VALU_DEP_3) | instskip(SKIP_3) | instid1(VALU_DEP_1)
	v_add3_u32 v71, v71, v76, v77
	v_mul_i32_i24_e32 v76, v178, v67
	v_mul_i32_i24_e32 v77, v179, v59
	v_mad_i32_i24 v75, v176, v60, v75
	v_add3_u32 v75, v75, v76, v77
	s_waitcnt vmcnt(0)
	v_mul_lo_u32 v71, v71, v6
	scratch_load_b32 v6, off, off offset:388 ; 4-byte Folded Reload
	v_cvt_f32_i32_e32 v71, v71
	s_delay_alu instid0(VALU_DEP_1)
	v_fma_mix_f32 v71, v2, v71, 0 op_sel_hi:[1,0,0]
	s_waitcnt vmcnt(0)
	v_mul_i32_i24_e32 v76, v172, v6
	scratch_load_b32 v6, off, off offset:144 ; 4-byte Folded Reload
	s_waitcnt vmcnt(0)
	v_mul_i32_i24_e32 v77, v173, v6
	scratch_load_b32 v6, off, off offset:80 ; 4-byte Folded Reload
	v_add3_u32 v75, v75, v76, v77
	s_waitcnt vmcnt(0)
	v_mul_i32_i24_e32 v80, v174, v6
	scratch_load_b32 v6, off, off offset:352 ; 4-byte Folded Reload
	v_add3_u32 v75, v75, v80, v81
	v_mul_i32_i24_e32 v80, v170, v230
	v_mul_i32_i24_e32 v81, v171, v231
	s_waitcnt vmcnt(0)
	v_mul_i32_i24_e32 v76, v168, v6
	scratch_load_b32 v6, off, off offset:84 ; 4-byte Folded Reload
	s_waitcnt vmcnt(0)
	v_mul_i32_i24_e32 v77, v169, v6
	scratch_load_b32 v6, off, off offset:88 ; 4-byte Folded Reload
	v_add3_u32 v75, v75, v76, v77
	v_mul_i32_i24_e32 v76, v164, v232
	v_mul_i32_i24_e32 v77, v165, v233
	s_delay_alu instid0(VALU_DEP_3) | instskip(SKIP_2) | instid1(VALU_DEP_3)
	v_add3_u32 v75, v75, v80, v81
	v_mul_i32_i24_e32 v80, v166, v234
	v_mul_i32_i24_e32 v81, v167, v61
	v_add3_u32 v75, v75, v76, v77
	s_delay_alu instid0(VALU_DEP_1)
	v_add3_u32 v75, v75, v80, v81
	v_mul_i32_i24_e32 v80, v160, v19
	v_mov_b32_e32 v19, v243
	s_waitcnt vmcnt(0)
	v_mul_i32_i24_e32 v76, v162, v6
	scratch_load_b32 v6, off, off offset:92 ; 4-byte Folded Reload
	s_waitcnt vmcnt(0)
	v_mul_i32_i24_e32 v77, v159, v6
	scratch_load_b32 v6, off, off offset:96 ; 4-byte Folded Reload
	v_add3_u32 v75, v75, v76, v77
	v_mul_i32_i24_e32 v77, v83, v22
	v_mov_b32_e32 v22, v125
	s_waitcnt vmcnt(0)
	v_mul_i32_i24_e32 v81, v161, v6
	scratch_load_b32 v6, off, off offset:100 ; 4-byte Folded Reload
	v_add3_u32 v75, v75, v80, v81
	s_waitcnt vmcnt(0)
	v_mul_i32_i24_e32 v76, v82, v6
	scratch_load_b32 v6, off, off offset:364 ; 4-byte Folded Reload
	v_add3_u32 v75, v75, v76, v77
	v_mul_i32_i24_e32 v76, v62, v65
	v_dual_mov_b32 v65, v69 :: v_dual_mov_b32 v46, v152
	s_waitcnt vmcnt(0)
	v_mul_i32_i24_e32 v80, v157, v6
	scratch_load_b32 v6, off, off offset:128 ; 4-byte Folded Reload
	s_waitcnt vmcnt(0)
	v_mul_i32_i24_e32 v81, v158, v6
	scratch_load_b32 v6, off, off offset:104 ; 4-byte Folded Reload
	v_add3_u32 v75, v75, v80, v81
	v_mul_i32_i24_e32 v80, v4, v23
	v_mov_b32_e32 v23, v122
	s_waitcnt vmcnt(0)
	v_mul_i32_i24_e32 v77, v126, v6
	scratch_load_b32 v6, off, off offset:424 ; 4-byte Folded Reload
	v_add3_u32 v75, v75, v76, v77
	v_mul_i32_i24_e32 v77, v1, v27
	s_waitcnt vmcnt(0)
	v_mul_i32_i24_e32 v81, v153, v6
	scratch_load_b32 v6, off, off offset:136 ; 4-byte Folded Reload
	v_add3_u32 v75, v75, v80, v81
	s_waitcnt vmcnt(0)
	v_mul_i32_i24_e32 v76, v0, v6
	scratch_load_b32 v6, off, off offset:428 ; 4-byte Folded Reload
	v_add3_u32 v75, v75, v76, v77
	v_mul_i32_i24_e32 v77, v190, v102
	s_waitcnt vmcnt(0)
	v_mul_i32_i24_e32 v80, v42, v6
	scratch_load_b32 v6, off, off offset:140 ; 4-byte Folded Reload
	s_waitcnt vmcnt(0)
	v_mul_i32_i24_e32 v81, v45, v6
	scratch_load_b32 v6, off, off offset:432 ; 4-byte Folded Reload
	v_add3_u32 v75, v75, v80, v81
	v_mul_i32_i24_e32 v80, v174, v250
	v_mul_i32_i24_e32 v81, v175, v107
	scratch_load_b32 v250, off, off offset:304 ; 4-byte Folded Reload
	v_mov_b32_e32 v107, v233
	v_mul_lo_u32 v75, v75, v73
	v_mov_b32_e32 v146, v26
	s_delay_alu instid0(VALU_DEP_2) | instskip(NEXT) | instid1(VALU_DEP_1)
	v_cvt_f32_i32_e32 v75, v75
	v_fma_mix_f32 v71, v3, v75, v71 op_sel_hi:[1,0,0]
	v_mul_i32_i24_e32 v75, v210, v86
	s_waitcnt vmcnt(1)
	v_fma_mix_f32 v74, v6, v3, v74 op_sel:[0,1,0] op_sel_hi:[0,1,0]
	scratch_load_b32 v6, off, off offset:1116 ; 4-byte Folded Reload
	v_mul_f32_e32 v74, v74, v218
	s_delay_alu instid0(VALU_DEP_1) | instskip(SKIP_2) | instid1(VALU_DEP_2)
	v_fma_f32 v71, v71, v245, -v74
	v_mul_i32_i24_e32 v74, v209, v84
	s_waitcnt vmcnt(0)
	v_add_f32_e32 v6, v6, v71
	v_mul_i32_i24_e32 v71, v208, v85
	scratch_store_b32 off, v6, off offset:1116 ; 4-byte Folded Spill
	scratch_load_b32 v6, off, off offset:528 ; 4-byte Folded Reload
	v_mad_i32_i24 v71, v207, v87, v71
	s_delay_alu instid0(VALU_DEP_1)
	v_add3_u32 v71, v71, v74, v75
	v_mul_i32_i24_e32 v75, v188, v115
	s_waitcnt vmcnt(0)
	v_mul_i32_i24_e32 v74, v187, v6
	scratch_load_b32 v6, off, off offset:936 ; 4-byte Folded Reload
	v_add3_u32 v71, v71, v74, v75
	v_mul_i32_i24_e32 v75, v184, v236
	s_waitcnt vmcnt(0)
	v_mul_i32_i24_e32 v76, v189, v6
	scratch_load_b32 v6, off, off offset:208 ; 4-byte Folded Reload
	v_add3_u32 v71, v71, v76, v77
	v_mul_i32_i24_e32 v76, v185, v237
	v_mul_i32_i24_e32 v77, v186, v105
	v_mov_b32_e32 v105, v231
	s_waitcnt vmcnt(0)
	v_mul_i32_i24_e32 v74, v183, v6
	scratch_load_b32 v6, off, off offset:508 ; 4-byte Folded Reload
	v_add3_u32 v71, v71, v74, v75
	v_mul_i32_i24_e32 v74, v163, v238
	v_mul_i32_i24_e32 v75, v180, v244
	s_delay_alu instid0(VALU_DEP_3) | instskip(SKIP_3) | instid1(VALU_DEP_4)
	v_add3_u32 v71, v71, v76, v77
	v_mul_i32_i24_e32 v76, v181, v222
	v_mul_i32_i24_e32 v77, v182, v106
	v_mov_b32_e32 v106, v232
	v_add3_u32 v71, v71, v74, v75
	v_mul_i32_i24_e32 v74, v203, v227
	v_mul_i32_i24_e32 v75, v204, v252
	s_delay_alu instid0(VALU_DEP_3) | instskip(SKIP_2) | instid1(VALU_DEP_3)
	v_add3_u32 v71, v71, v76, v77
	v_mul_i32_i24_e32 v76, v205, v224
	v_mul_i32_i24_e32 v77, v206, v219
	v_add3_u32 v71, v71, v74, v75
	v_mul_i32_i24_e32 v75, v200, v242
	s_delay_alu instid0(VALU_DEP_2)
	v_add3_u32 v71, v71, v76, v77
	v_mul_i32_i24_e32 v76, v201, v248
	v_mul_i32_i24_e32 v77, v202, v135
	s_waitcnt vmcnt(0)
	v_mul_i32_i24_e32 v74, v199, v6
	scratch_load_b32 v6, off, off offset:512 ; 4-byte Folded Reload
	v_add3_u32 v71, v71, v74, v75
	s_delay_alu instid0(VALU_DEP_1)
	v_add3_u32 v71, v71, v76, v77
	v_mul_i32_i24_e32 v77, v198, v221
	s_waitcnt vmcnt(0)
	v_mul_i32_i24_e32 v74, v195, v6
	scratch_load_b32 v6, off, off offset:516 ; 4-byte Folded Reload
	s_waitcnt vmcnt(0)
	v_mul_i32_i24_e32 v75, v196, v6
	scratch_load_b32 v6, off, off offset:520 ; 4-byte Folded Reload
	v_add3_u32 v71, v71, v74, v75
	v_mul_i32_i24_e32 v74, v191, v223
	v_mul_i32_i24_e32 v75, v192, v220
	s_waitcnt vmcnt(0)
	v_mul_i32_i24_e32 v76, v197, v6
	scratch_load_b32 v6, off, off offset:524 ; 4-byte Folded Reload
	v_add3_u32 v71, v71, v76, v77
	v_mul_i32_i24_e32 v77, v194, v212
	s_delay_alu instid0(VALU_DEP_2) | instskip(SKIP_2) | instid1(VALU_DEP_2)
	v_add3_u32 v71, v71, v74, v75
	v_mul_i32_i24_e32 v75, v177, v228
	v_fma_mix_f32 v74, v225, v2, 0 op_sel:[0,1,0] op_sel_hi:[0,1,0]
	v_mad_i32_i24 v75, v176, v104, v75
	s_delay_alu instid0(VALU_DEP_2) | instskip(SKIP_1) | instid1(VALU_DEP_2)
	v_fma_mix_f32 v74, v92, v3, v74 op_sel:[0,1,0] op_sel_hi:[0,1,0]
	v_mov_b32_e32 v104, v230
	v_mul_f32_e32 v74, v74, v254
	s_waitcnt vmcnt(0)
	v_mul_i32_i24_e32 v76, v193, v6
	scratch_load_b32 v6, off, off offset:532 ; 4-byte Folded Reload
	v_add3_u32 v71, v71, v76, v77
	v_mul_i32_i24_e32 v76, v178, v229
	v_mul_i32_i24_e32 v77, v179, v235
	s_delay_alu instid0(VALU_DEP_3) | instskip(NEXT) | instid1(VALU_DEP_2)
	v_mul_lo_u32 v71, v71, v103
	v_add3_u32 v75, v75, v76, v77
	v_mul_i32_i24_e32 v77, v173, v249
	s_delay_alu instid0(VALU_DEP_3) | instskip(NEXT) | instid1(VALU_DEP_1)
	v_cvt_f32_i32_e32 v71, v71
	v_fma_mix_f32 v71, v2, v71, 0 op_sel_hi:[1,0,0]
	s_waitcnt vmcnt(0)
	v_mul_i32_i24_e32 v76, v172, v6
	scratch_load_b32 v6, off, off offset:536 ; 4-byte Folded Reload
	v_add3_u32 v75, v75, v76, v77
	v_mul_i32_i24_e32 v76, v168, v255
	s_delay_alu instid0(VALU_DEP_2)
	v_add3_u32 v75, v75, v80, v81
	v_mul_i32_i24_e32 v81, v171, v113
	v_mov_b32_e32 v113, v234
	s_waitcnt vmcnt(0)
	v_mul_i32_i24_e32 v77, v169, v6
	scratch_load_b32 v6, off, off offset:540 ; 4-byte Folded Reload
	v_add3_u32 v75, v75, v76, v77
	s_waitcnt vmcnt(0)
	v_mul_i32_i24_e32 v80, v170, v6
	scratch_load_b32 v6, off, off offset:544 ; 4-byte Folded Reload
	v_add3_u32 v75, v75, v80, v81
	s_waitcnt vmcnt(0)
	v_mul_i32_i24_e32 v76, v164, v6
	scratch_load_b32 v6, off, off offset:548 ; 4-byte Folded Reload
	s_waitcnt vmcnt(0)
	v_mul_i32_i24_e32 v77, v165, v6
	scratch_load_b32 v6, off, off offset:552 ; 4-byte Folded Reload
	v_add3_u32 v75, v75, v76, v77
	v_mul_i32_i24_e32 v77, v159, v101
	s_waitcnt vmcnt(0)
	v_mul_i32_i24_e32 v80, v166, v6
	scratch_load_b32 v6, off, off offset:604 ; 4-byte Folded Reload
	s_waitcnt vmcnt(0)
	v_mul_i32_i24_e32 v81, v167, v6
	scratch_load_b32 v6, off, off offset:940 ; 4-byte Folded Reload
	v_add3_u32 v75, v75, v80, v81
	v_mul_i32_i24_e32 v80, v160, v100
	v_mul_i32_i24_e32 v81, v161, v96
	s_waitcnt vmcnt(0)
	v_mul_i32_i24_e32 v76, v162, v6
	scratch_load_b32 v6, off, off offset:928 ; 4-byte Folded Reload
	v_add3_u32 v75, v75, v76, v77
	v_mul_i32_i24_e32 v77, v83, v217
	s_delay_alu instid0(VALU_DEP_2)
	v_add3_u32 v75, v75, v80, v81
	v_mul_i32_i24_e32 v81, v158, v88
	s_waitcnt vmcnt(0)
	v_mul_i32_i24_e32 v76, v82, v6
	scratch_load_b32 v6, off, off offset:932 ; 4-byte Folded Reload
	v_add3_u32 v75, v75, v76, v77
	v_mul_i32_i24_e32 v76, v62, v93
	v_mul_i32_i24_e32 v77, v126, v94
	s_waitcnt vmcnt(0)
	v_mul_i32_i24_e32 v80, v157, v6
	scratch_load_b32 v6, off, off offset:1112 ; 4-byte Folded Reload
	v_add3_u32 v75, v75, v80, v81
	v_mul_i32_i24_e32 v80, v4, v95
	v_mul_i32_i24_e32 v81, v153, v89
	s_delay_alu instid0(VALU_DEP_3) | instskip(SKIP_2) | instid1(VALU_DEP_3)
	v_add3_u32 v75, v75, v76, v77
	v_mul_i32_i24_e32 v76, v0, v97
	v_mul_i32_i24_e32 v77, v1, v98
	v_add3_u32 v75, v75, v80, v81
	v_mul_i32_i24_e32 v80, v42, v99
	v_mul_i32_i24_e32 v81, v45, v90
	s_delay_alu instid0(VALU_DEP_3) | instskip(NEXT) | instid1(VALU_DEP_1)
	v_add3_u32 v75, v75, v76, v77
	v_add3_u32 v75, v75, v80, v81
	s_delay_alu instid0(VALU_DEP_1) | instskip(NEXT) | instid1(VALU_DEP_1)
	v_mul_lo_u32 v75, v75, v91
	v_cvt_f32_i32_e32 v75, v75
	s_delay_alu instid0(VALU_DEP_1) | instskip(NEXT) | instid1(VALU_DEP_1)
	v_fma_mix_f32 v71, v3, v75, v71 op_sel_hi:[1,0,0]
	v_fma_f32 v71, v71, v243, -v74
	s_waitcnt vmcnt(0)
	s_delay_alu instid0(VALU_DEP_1)
	v_add_f32_e32 v6, v6, v71
	scratch_store_b32 off, v6, off offset:1112 ; 4-byte Folded Spill
	scratch_load_b32 v6, off, off offset:488 ; 4-byte Folded Reload
	s_waitcnt vmcnt(0)
	v_mul_i32_i24_e32 v71, v208, v6
	scratch_load_b32 v6, off, off offset:492 ; 4-byte Folded Reload
	v_mov_b32_e32 v208, v133
	s_waitcnt vmcnt(0)
	v_mul_i32_i24_e32 v74, v209, v6
	scratch_load_b32 v6, off, off offset:496 ; 4-byte Folded Reload
	v_mov_b32_e32 v209, v251
	v_mov_b32_e32 v251, v124
	;; [unrolled: 1-line block ×3, first 2 shown]
	s_waitcnt vmcnt(0)
	v_mul_i32_i24_e32 v75, v210, v6
	s_clause 0x1
	scratch_load_b32 v6, off, off offset:484
	scratch_load_b32 v210, off, off offset:300
	s_waitcnt vmcnt(1)
	v_mad_i32_i24 v71, v207, v6, v71
	scratch_load_b32 v6, off, off offset:296 ; 4-byte Folded Reload
	v_mov_b32_e32 v207, v132
	v_add3_u32 v71, v71, v74, v75
	s_waitcnt vmcnt(0)
	v_mul_i32_i24_e32 v74, v187, v6
	s_clause 0x1
	scratch_load_b32 v6, off, off offset:36
	scratch_load_b32 v187, off, off offset:328
	s_waitcnt vmcnt(1)
	v_mul_i32_i24_e32 v75, v188, v6
	s_clause 0x1
	scratch_load_b32 v6, off, off offset:40
	scratch_load_b32 v188, off, off offset:312
	v_add3_u32 v71, v71, v74, v75
	s_waitcnt vmcnt(1)
	v_mul_i32_i24_e32 v76, v189, v6
	s_clause 0x1
	scratch_load_b32 v6, off, off offset:44
	scratch_load_b32 v189, off, off offset:324
	s_waitcnt vmcnt(1)
	v_mul_i32_i24_e32 v77, v190, v6
	s_clause 0x1
	scratch_load_b32 v6, off, off offset:8
	scratch_load_b32 v190, off, off offset:308
	v_add3_u32 v71, v71, v76, v77
	s_waitcnt vmcnt(1)
	v_mul_i32_i24_e32 v74, v183, v6
	scratch_load_b32 v6, off, off offset:16 ; 4-byte Folded Reload
	s_waitcnt vmcnt(0)
	v_mul_i32_i24_e32 v75, v184, v6
	scratch_load_b32 v6, off, off offset:20 ; 4-byte Folded Reload
	v_add3_u32 v71, v71, v74, v75
	s_waitcnt vmcnt(0)
	v_mul_i32_i24_e32 v76, v185, v6
	scratch_load_b32 v6, off, off offset:28 ; 4-byte Folded Reload
	s_waitcnt vmcnt(0)
	v_mul_i32_i24_e32 v77, v186, v6
	scratch_load_b32 v6, off, off offset:12 ; 4-byte Folded Reload
	v_add3_u32 v71, v71, v76, v77
	v_mul_i32_i24_e32 v77, v182, v210
	s_waitcnt vmcnt(0)
	v_mul_i32_i24_e32 v74, v163, v6
	scratch_load_b32 v6, off, off offset:24 ; 4-byte Folded Reload
	s_waitcnt vmcnt(0)
	v_mul_i32_i24_e32 v75, v180, v6
	scratch_load_b32 v6, off, off offset:32 ; 4-byte Folded Reload
	v_add3_u32 v71, v71, v74, v75
	s_waitcnt vmcnt(0)
	v_mul_i32_i24_e32 v76, v181, v6
	scratch_load_b32 v6, off, off offset:48 ; 4-byte Folded Reload
	v_add3_u32 v71, v71, v76, v77
	v_mul_i32_i24_e32 v76, v205, v250
	v_mul_i32_i24_e32 v77, v206, v188
	s_clause 0x1
	scratch_load_b32 v206, off, off offset:320
	scratch_load_b32 v205, off, off offset:832
	s_waitcnt vmcnt(2)
	v_mul_i32_i24_e32 v74, v203, v6
	s_clause 0x1
	scratch_load_b32 v6, off, off offset:52
	scratch_load_b32 v203, off, off offset:820
	s_waitcnt vmcnt(1)
	v_mul_i32_i24_e32 v75, v204, v6
	s_clause 0x1
	scratch_load_b32 v6, off, off offset:56
	scratch_load_b32 v204, off, off offset:828
	v_add3_u32 v71, v71, v74, v75
	v_mul_i32_i24_e32 v74, v199, v190
	scratch_load_b32 v199, off, off offset:316 ; 4-byte Folded Reload
	v_add3_u32 v71, v71, v76, v77
	v_mul_i32_i24_e32 v76, v201, v206
	v_mul_i32_i24_e32 v77, v202, v189
	scratch_load_b32 v202, off, off offset:824 ; 4-byte Folded Reload
	s_waitcnt vmcnt(1)
	v_mul_i32_i24_e32 v75, v200, v199
	s_delay_alu instid0(VALU_DEP_1)
	v_add3_u32 v71, v71, v74, v75
	v_mul_i32_i24_e32 v74, v195, v6
	scratch_load_b32 v6, off, off offset:60 ; 4-byte Folded Reload
	v_add3_u32 v71, v71, v76, v77
	v_mul_i32_i24_e32 v77, v198, v187
	s_waitcnt vmcnt(0)
	v_mul_i32_i24_e32 v75, v196, v6
	scratch_load_b32 v6, off, off offset:64 ; 4-byte Folded Reload
	v_add3_u32 v71, v71, v74, v75
	v_mul_i32_i24_e32 v74, v191, v108
	v_mul_i32_i24_e32 v75, v192, v109
	s_waitcnt vmcnt(0)
	v_mul_i32_i24_e32 v76, v197, v6
	s_clause 0x3
	scratch_load_b32 v197, off, off offset:804
	scratch_load_b32 v196, off, off offset:1016
	;; [unrolled: 1-line block ×4, first 2 shown]
	v_add3_u32 v71, v71, v76, v77
	v_mul_i32_i24_e32 v76, v193, v110
	v_mul_i32_i24_e32 v77, v194, v111
	s_clause 0x1
	scratch_load_b32 v200, off, off offset:808
	scratch_load_b32 v201, off, off offset:812
	v_add3_u32 v71, v71, v74, v75
	s_clause 0x3
	scratch_load_b32 v193, off, off offset:712
	scratch_load_b32 v194, off, off offset:716
	;; [unrolled: 1-line block ×4, first 2 shown]
	v_add3_u32 v71, v71, v76, v77
	scratch_load_b32 v191, off, off offset:1004 ; 4-byte Folded Reload
	v_mul_i32_i24_e32 v74, v178, v117
	v_mul_i32_i24_e32 v75, v179, v119
	;; [unrolled: 1-line block ×3, first 2 shown]
	v_mul_lo_u32 v71, v71, v112
	v_mul_i32_i24_e32 v77, v175, v121
	s_clause 0x5
	scratch_load_b32 v7, off, off
	scratch_load_b32 v38, off, off offset:776
	scratch_load_b32 v39, off, off offset:332
	scratch_load_b32 v242, off, off offset:472
	scratch_load_b32 v135, off, off offset:744
	scratch_load_b32 v13, off, off offset:412
	v_cvt_f32_i32_e32 v71, v71
	s_clause 0x2
	scratch_load_b32 v12, off, off offset:392
	scratch_load_b32 v31, off, off offset:400
	;; [unrolled: 1-line block ×3, first 2 shown]
	v_mov_b32_e32 v48, v33
	v_fma_mix_f32 v163, v2, v71, 0 op_sel_hi:[1,0,0]
	v_fma_mix_f32 v2, v114, v2, 0 op_sel:[0,1,0] op_sel_hi:[0,1,0]
	v_mov_b32_e32 v33, v35
	v_dual_mov_b32 v35, v36 :: v_dual_mov_b32 v36, v37
	s_clause 0x8
	scratch_load_b32 v37, off, off offset:608
	scratch_load_b32 v14, off, off offset:612
	;; [unrolled: 1-line block ×9, first 2 shown]
	v_mov_b32_e32 v246, v145
	s_clause 0x6
	scratch_load_b32 v145, off, off offset:260
	scratch_load_b32 v16, off, off offset:288
	;; [unrolled: 1-line block ×7, first 2 shown]
	v_mov_b32_e32 v226, v64
	s_clause 0x1f
	scratch_load_b32 v64, off, off offset:460
	scratch_load_b32 v25, off, off offset:456
	;; [unrolled: 1-line block ×32, first 2 shown]
	s_clause 0x15
	scratch_load_b32 v90, off, off offset:452
	scratch_load_b32 v91, off, off offset:672
	;; [unrolled: 1-line block ×22, first 2 shown]
	v_mov_b32_e32 v67, v226
	s_clause 0x15
	scratch_load_b32 v224, off, off offset:368
	scratch_load_b32 v226, off, off offset:104
	;; [unrolled: 1-line block ×22, first 2 shown]
	scratch_store_b32 off, v137, off offset:992 ; 4-byte Folded Spill
	s_waitcnt vmcnt(62)
	v_mul_i32_i24_e32 v62, v62, v197
	v_mul_i32_i24_e32 v45, v45, v196
	;; [unrolled: 1-line block ×3, first 2 shown]
	scratch_load_b32 v6, off, off offset:816 ; 4-byte Folded Reload
	v_mad_i32_i24 v71, v176, v116, v71
	v_mul_i32_i24_e32 v4, v4, v200
	v_mul_i32_i24_e32 v0, v0, v193
	;; [unrolled: 1-line block ×3, first 2 shown]
	s_delay_alu instid0(VALU_DEP_4)
	v_add3_u32 v71, v71, v74, v75
	v_mul_i32_i24_e32 v75, v173, v118
	v_mul_i32_i24_e32 v42, v42, v195
	s_waitcnt vmcnt(0)
	v_mul_i32_i24_e32 v74, v172, v6
	v_mov_b32_e32 v6, v79
	scratch_load_b32 v79, off, off offset:640 ; 4-byte Folded Reload
	v_add3_u32 v71, v71, v74, v75
	v_mul_i32_i24_e32 v74, v168, v21
	v_mul_i32_i24_e32 v75, v169, v127
	s_delay_alu instid0(VALU_DEP_3) | instskip(SKIP_2) | instid1(VALU_DEP_3)
	v_add3_u32 v71, v71, v76, v77
	v_mul_i32_i24_e32 v76, v170, v23
	v_mul_i32_i24_e32 v77, v171, v22
	v_add3_u32 v71, v71, v74, v75
	v_mul_i32_i24_e32 v74, v164, v10
	v_mul_i32_i24_e32 v75, v165, v8
	s_delay_alu instid0(VALU_DEP_3)
	v_add3_u32 v71, v71, v76, v77
	v_mul_i32_i24_e32 v76, v166, v9
	v_mul_i32_i24_e32 v77, v167, v11
	ds_load_b128 v[164:167], v7 offset:4128
	scratch_load_b32 v7, off, off           ; 4-byte Folded Reload
	v_add3_u32 v71, v71, v74, v75
	v_mul_i32_i24_e32 v74, v162, v6
	v_mul_i32_i24_e32 v75, v159, v207
	s_delay_alu instid0(VALU_DEP_3) | instskip(SKIP_2) | instid1(VALU_DEP_3)
	v_add3_u32 v71, v71, v76, v77
	v_mul_i32_i24_e32 v76, v160, v208
	v_mul_i32_i24_e32 v77, v161, v209
	v_add3_u32 v71, v71, v74, v75
	v_mul_i32_i24_e32 v74, v82, v202
	v_mul_i32_i24_e32 v75, v83, v203
	s_delay_alu instid0(VALU_DEP_3)
	v_add3_u32 v71, v71, v76, v77
	v_mul_i32_i24_e32 v76, v157, v204
	v_mul_i32_i24_e32 v77, v158, v205
	s_waitcnt lgkmcnt(0)
	v_bfe_i32 v117, v164, 0, 8
	v_bfe_i32 v118, v164, 8, 8
	v_add3_u32 v71, v71, v74, v75
	v_mul_i32_i24_e32 v74, v126, v198
	v_mul_i32_i24_e32 v75, v153, v201
	v_bfe_i32 v119, v164, 16, 8
	v_ashrrev_i32_e32 v120, 24, v164
	v_add3_u32 v71, v71, v76, v77
	v_bfe_i32 v121, v165, 0, 8
	v_bfe_i32 v122, v165, 8, 8
	v_bfe_i32 v123, v165, 16, 8
	v_ashrrev_i32_e32 v124, 24, v165
	v_add3_u32 v62, v71, v62, v74
	v_bfe_i32 v125, v166, 0, 8
	v_bfe_i32 v127, v166, 8, 8
	;; [unrolled: 5-line block ×3, first 2 shown]
	v_bfe_i32 v132, v167, 16, 8
	v_ashrrev_i32_e32 v133, 24, v167
	v_add3_u32 v0, v4, v0, v1
	v_fma_mix_f32 v1, v191, v3, v2 op_sel:[0,1,0] op_sel_hi:[0,1,0]
	v_mul_i32_i24_e32 v185, v123, v25
	v_mul_i32_i24_e32 v186, v124, v28
	s_delay_alu instid0(VALU_DEP_4) | instskip(NEXT) | instid1(VALU_DEP_4)
	v_add3_u32 v0, v0, v42, v45
	v_mul_f32_e32 v1, v1, v251
	s_delay_alu instid0(VALU_DEP_2) | instskip(NEXT) | instid1(VALU_DEP_1)
	v_mul_lo_u32 v0, v0, v192
	v_cvt_f32_i32_e32 v0, v0
	s_delay_alu instid0(VALU_DEP_1) | instskip(NEXT) | instid1(VALU_DEP_1)
	v_fma_mix_f32 v0, v3, v0, v163 op_sel_hi:[1,0,0]
	v_fma_f32 v0, v0, v211, -v1
	scratch_load_b32 v1, off, off offset:1108 ; 4-byte Folded Reload
	s_waitcnt vmcnt(1)
	ds_load_b128 v[164:167], v7 offset:4144
	scratch_load_b32 v7, off, off offset:336 ; 4-byte Folded Reload
	s_waitcnt lgkmcnt(0)
	v_bfe_i32 v168, v164, 0, 8
	v_bfe_i32 v169, v164, 8, 8
	v_bfe_i32 v170, v164, 16, 8
	v_ashrrev_i32_e32 v164, 24, v164
	v_bfe_i32 v171, v165, 0, 8
	v_bfe_i32 v172, v165, 8, 8
	v_bfe_i32 v173, v165, 16, 8
	v_ashrrev_i32_e32 v165, 24, v165
	;; [unrolled: 4-line block ×4, first 2 shown]
	s_waitcnt vmcnt(1)
	v_add_f32_e32 v1, v1, v0
	scratch_load_b32 v0, off, off           ; 4-byte Folded Reload
	scratch_store_b32 off, v1, off offset:1108 ; 4-byte Folded Spill
	s_waitcnt vmcnt(0)
	ds_load_b128 v[0:3], v0 offset:4096
	s_waitcnt lgkmcnt(0)
	v_bfe_i32 v161, v0, 0, 8
	v_bfe_i32 v156, v0, 8, 8
	;; [unrolled: 1-line block ×3, first 2 shown]
	v_ashrrev_i32_e32 v163, 24, v0
	scratch_load_b32 v0, off, off           ; 4-byte Folded Reload
	v_mul_i32_i24_e32 v180, v161, v38
	v_bfe_i32 v157, v1, 0, 8
	v_bfe_i32 v158, v1, 8, 8
	v_mul_i32_i24_e32 v181, v162, v39
	v_mul_i32_i24_e32 v182, v163, v242
	v_mad_i32_i24 v180, v156, v7, v180
	v_bfe_i32 v159, v1, 16, 8
	v_ashrrev_i32_e32 v160, 24, v1
	v_bfe_i32 v126, v2, 0, 8
	v_bfe_i32 v153, v2, 8, 8
	v_add3_u32 v180, v180, v181, v182
	v_mul_i32_i24_e32 v181, v157, v240
	v_mul_i32_i24_e32 v182, v158, v135
	v_bfe_i32 v154, v2, 16, 8
	v_ashrrev_i32_e32 v155, 24, v2
	v_bfe_i32 v4, v3, 0, 8
	v_bfe_i32 v42, v3, 8, 8
	;; [unrolled: 1-line block ×3, first 2 shown]
	v_ashrrev_i32_e32 v62, 24, v3
	v_mul_i32_i24_e32 v183, v159, v13
	v_mul_i32_i24_e32 v184, v160, v12
	v_add3_u32 v180, v180, v181, v182
	v_mul_i32_i24_e32 v181, v126, v136
	v_mul_i32_i24_e32 v182, v153, v137
	s_delay_alu instid0(VALU_DEP_3) | instskip(SKIP_2) | instid1(VALU_DEP_3)
	v_add3_u32 v180, v180, v183, v184
	v_mul_i32_i24_e32 v183, v154, v138
	v_mul_i32_i24_e32 v184, v155, v18
	v_add3_u32 v180, v180, v181, v182
	v_mul_i32_i24_e32 v181, v4, v17
	v_mul_i32_i24_e32 v182, v42, v30
	s_delay_alu instid0(VALU_DEP_3) | instskip(SKIP_2) | instid1(VALU_DEP_3)
	v_add3_u32 v180, v180, v183, v184
	v_mul_i32_i24_e32 v183, v45, v31
	v_mul_i32_i24_e32 v184, v62, v33
	v_add3_u32 v180, v180, v181, v182
	s_delay_alu instid0(VALU_DEP_1)
	v_add3_u32 v180, v180, v183, v184
	s_waitcnt vmcnt(0)
	ds_load_b128 v[0:3], v0 offset:4112
	s_waitcnt lgkmcnt(0)
	v_bfe_i32 v71, v0, 0, 8
	v_bfe_i32 v74, v0, 8, 8
	;; [unrolled: 1-line block ×3, first 2 shown]
	v_ashrrev_i32_e32 v76, 24, v0
	v_bfe_i32 v77, v1, 0, 8
	v_mul_i32_i24_e32 v181, v71, v35
	v_mul_i32_i24_e32 v182, v74, v36
	v_bfe_i32 v80, v1, 8, 8
	v_mul_i32_i24_e32 v183, v75, v37
	v_mul_i32_i24_e32 v184, v76, v140
	v_bfe_i32 v81, v1, 16, 8
	v_add3_u32 v180, v180, v181, v182
	v_ashrrev_i32_e32 v82, 24, v1
	v_mul_i32_i24_e32 v181, v77, v139
	v_mul_i32_i24_e32 v182, v80, v14
	v_bfe_i32 v83, v2, 0, 8
	v_add3_u32 v180, v180, v183, v184
	v_bfe_i32 v108, v2, 8, 8
	v_mul_i32_i24_e32 v183, v81, v15
	v_mul_i32_i24_e32 v184, v82, v141
	v_bfe_i32 v109, v2, 16, 8
	v_add3_u32 v180, v180, v181, v182
	v_ashrrev_i32_e32 v110, 24, v2
	v_mul_i32_i24_e32 v181, v83, v142
	v_mul_i32_i24_e32 v182, v108, v143
	v_bfe_i32 v111, v3, 0, 8
	v_add3_u32 v180, v180, v183, v184
	v_bfe_i32 v112, v3, 8, 8
	v_mul_i32_i24_e32 v183, v109, v144
	v_mul_i32_i24_e32 v184, v110, v247
	v_bfe_i32 v114, v3, 16, 8
	v_add3_u32 v180, v180, v181, v182
	v_ashrrev_i32_e32 v116, 24, v3
	v_mul_i32_i24_e32 v181, v111, v145
	v_mul_i32_i24_e32 v182, v112, v243
	scratch_load_b32 v0, off, off offset:224 ; 4-byte Folded Reload
	v_add3_u32 v180, v180, v183, v184
	v_mul_i32_i24_e32 v183, v114, v16
	v_mul_i32_i24_e32 v184, v116, v148
	s_delay_alu instid0(VALU_DEP_3) | instskip(SKIP_1) | instid1(VALU_DEP_2)
	v_add3_u32 v180, v180, v181, v182
	v_mul_i32_i24_e32 v182, v117, v151
	v_add3_u32 v180, v180, v183, v184
	v_mul_i32_i24_e32 v183, v119, v152
	v_mul_i32_i24_e32 v184, v120, v78
	s_delay_alu instid0(VALU_DEP_4) | instskip(NEXT) | instid1(VALU_DEP_4)
	v_mad_i32_i24 v182, v118, v215, v182
	v_mul_lo_u32 v180, v180, v149
	s_delay_alu instid0(VALU_DEP_2) | instskip(SKIP_4) | instid1(VALU_DEP_2)
	v_add3_u32 v182, v182, v183, v184
	v_mul_i32_i24_e32 v183, v121, v32
	scratch_load_b32 v32, off, off offset:464 ; 4-byte Folded Reload
	v_mul_i32_i24_e32 v184, v122, v64
	v_cvt_f32_i32_e32 v180, v180
	v_add3_u32 v182, v182, v183, v184
	v_mul_i32_i24_e32 v184, v127, v34
	s_delay_alu instid0(VALU_DEP_2)
	v_add3_u32 v182, v182, v185, v186
	v_mul_i32_i24_e32 v185, v128, v66
	v_mul_i32_i24_e32 v186, v129, v40
	s_waitcnt vmcnt(1)
	ds_load_2addr_b64 v[0:3], v0 offset0:64 offset1:80
	s_waitcnt lgkmcnt(0)
	v_fma_mix_f32 v181, v150, v0, 0 op_sel:[0,1,0] op_sel_hi:[0,1,0]
	s_waitcnt vmcnt(0)
	v_mul_i32_i24_e32 v183, v125, v32
	v_fma_mix_f32 v180, v0, v180, 0 op_sel_hi:[1,0,0]
	s_delay_alu instid0(VALU_DEP_3) | instskip(NEXT) | instid1(VALU_DEP_3)
	v_fma_mix_f32 v181, v52, v1, v181 op_sel:[0,1,0] op_sel_hi:[0,1,0]
	v_add3_u32 v182, v182, v183, v184
	v_mul_i32_i24_e32 v183, v130, v41
	v_mul_i32_i24_e32 v184, v131, v43
	scratch_load_b32 v52, off, off offset:156 ; 4-byte Folded Reload
	v_mul_f32_e32 v181, v181, v146
	v_add3_u32 v182, v182, v185, v186
	v_mul_i32_i24_e32 v185, v132, v24
	v_mul_i32_i24_e32 v186, v133, v57
	s_delay_alu instid0(VALU_DEP_3) | instskip(SKIP_2) | instid1(VALU_DEP_3)
	v_add3_u32 v182, v182, v183, v184
	v_mul_i32_i24_e32 v183, v168, v246
	v_mul_i32_i24_e32 v184, v169, v26
	v_add3_u32 v182, v182, v185, v186
	v_mul_i32_i24_e32 v185, v170, v46
	v_mul_i32_i24_e32 v186, v164, v47
	s_delay_alu instid0(VALU_DEP_3) | instskip(SKIP_2) | instid1(VALU_DEP_3)
	v_add3_u32 v182, v182, v183, v184
	v_mul_i32_i24_e32 v183, v171, v48
	v_mul_i32_i24_e32 v184, v172, v216
	;; [unrolled: 7-line block ×3, first 2 shown]
	v_add3_u32 v182, v182, v185, v186
	v_mul_i32_i24_e32 v185, v176, v27
	v_mul_i32_i24_e32 v186, v166, v44
	scratch_load_b32 v44, off, off offset:656 ; 4-byte Folded Reload
	v_add3_u32 v182, v182, v183, v184
	v_mul_i32_i24_e32 v183, v177, v51
	v_mul_i32_i24_e32 v184, v178, v29
	s_clause 0x1
	scratch_load_b32 v29, off, off offset:648
	scratch_load_b32 v51, off, off offset:396
	v_add3_u32 v182, v182, v185, v186
	v_mul_i32_i24_e32 v185, v179, v20
	scratch_load_b32 v20, off, off offset:220 ; 4-byte Folded Reload
	v_add3_u32 v182, v182, v183, v184
	v_mul_i32_i24_e32 v183, v159, v55
	v_mul_i32_i24_e32 v184, v160, v58
	s_waitcnt vmcnt(0)
	v_mul_i32_i24_e32 v186, v167, v20
	scratch_load_b32 v20, off, off offset:1132 ; 4-byte Folded Reload
	v_add3_u32 v182, v182, v185, v186
	v_mul_i32_i24_e32 v185, v123, v100
	v_mul_i32_i24_e32 v186, v124, v101
	s_delay_alu instid0(VALU_DEP_3) | instskip(SKIP_2) | instid1(VALU_DEP_1)
	v_mul_lo_u32 v182, v182, v53
	scratch_load_b32 v53, off, off offset:76 ; 4-byte Folded Reload
	v_cvt_f32_i32_e32 v182, v182
	v_fma_mix_f32 v180, v1, v182, v180 op_sel_hi:[1,0,0]
	v_mul_i32_i24_e32 v182, v163, v79
	s_delay_alu instid0(VALU_DEP_2) | instskip(SKIP_1) | instid1(VALU_DEP_2)
	v_fma_f32 v180, v180, v147, -v181
	v_mul_i32_i24_e32 v181, v162, v29
	v_add_f32_e32 v5, v5, v180
	scratch_store_b32 off, v5, off offset:1136 ; 4-byte Folded Spill
	scratch_load_b32 v5, off, off offset:644 ; 4-byte Folded Reload
	s_waitcnt vmcnt(0)
	v_mul_i32_i24_e32 v180, v161, v5
	s_delay_alu instid0(VALU_DEP_1) | instskip(NEXT) | instid1(VALU_DEP_1)
	v_mad_i32_i24 v180, v156, v44, v180
	v_add3_u32 v180, v180, v181, v182
	v_mul_i32_i24_e32 v181, v157, v225
	v_mul_i32_i24_e32 v182, v158, v54
	s_delay_alu instid0(VALU_DEP_1) | instskip(SKIP_2) | instid1(VALU_DEP_3)
	v_add3_u32 v180, v180, v181, v182
	v_mul_i32_i24_e32 v181, v126, v53
	v_mul_i32_i24_e32 v182, v153, v59
	v_add3_u32 v180, v180, v183, v184
	v_mul_i32_i24_e32 v183, v154, v60
	v_mul_i32_i24_e32 v184, v155, v63
	s_delay_alu instid0(VALU_DEP_3) | instskip(SKIP_2) | instid1(VALU_DEP_3)
	v_add3_u32 v180, v180, v181, v182
	v_mul_i32_i24_e32 v181, v4, v61
	v_mul_i32_i24_e32 v182, v42, v249
	v_add3_u32 v180, v180, v183, v184
	v_mul_i32_i24_e32 v183, v45, v65
	v_mul_i32_i24_e32 v184, v62, v67
	s_delay_alu instid0(VALU_DEP_3) | instskip(SKIP_2) | instid1(VALU_DEP_3)
	;; [unrolled: 7-line block ×6, first 2 shown]
	v_add3_u32 v180, v180, v181, v182
	v_mul_i32_i24_e32 v182, v117, v96
	v_fma_mix_f32 v181, v94, v0, 0 op_sel:[0,1,0] op_sel_hi:[0,1,0]
	v_add3_u32 v180, v180, v183, v184
	v_mul_i32_i24_e32 v183, v119, v97
	v_mul_i32_i24_e32 v184, v120, v98
	v_mad_i32_i24 v182, v118, v95, v182
	v_fma_mix_f32 v181, v234, v1, v181 op_sel:[0,1,0] op_sel_hi:[0,1,0]
	v_mul_lo_u32 v180, v180, v93
	s_delay_alu instid0(VALU_DEP_3) | instskip(SKIP_4) | instid1(VALU_DEP_3)
	v_add3_u32 v182, v182, v183, v184
	v_mul_i32_i24_e32 v183, v121, v213
	v_mul_i32_i24_e32 v184, v122, v99
	v_mul_f32_e32 v181, v181, v214
	v_cvt_f32_i32_e32 v180, v180
	v_add3_u32 v182, v182, v183, v184
	v_mul_i32_i24_e32 v183, v125, v102
	v_mul_i32_i24_e32 v184, v127, v103
	s_delay_alu instid0(VALU_DEP_4) | instskip(NEXT) | instid1(VALU_DEP_4)
	v_fma_mix_f32 v180, v0, v180, 0 op_sel_hi:[1,0,0]
	v_add3_u32 v182, v182, v185, v186
	v_mul_i32_i24_e32 v185, v128, v104
	v_mul_i32_i24_e32 v186, v129, v105
	s_delay_alu instid0(VALU_DEP_3) | instskip(SKIP_2) | instid1(VALU_DEP_3)
	v_add3_u32 v182, v182, v183, v184
	v_mul_i32_i24_e32 v183, v130, v106
	v_mul_i32_i24_e32 v184, v131, v107
	v_add3_u32 v182, v182, v185, v186
	v_mul_i32_i24_e32 v185, v132, v113
	v_mul_i32_i24_e32 v186, v133, v115
	s_delay_alu instid0(VALU_DEP_3) | instskip(SKIP_2) | instid1(VALU_DEP_3)
	v_add3_u32 v182, v182, v183, v184
	v_mul_i32_i24_e32 v183, v168, v212
	v_mul_i32_i24_e32 v184, v169, v217
	;; [unrolled: 7-line block ×5, first 2 shown]
	v_add3_u32 v182, v182, v185, v186
	v_mul_i32_i24_e32 v185, v179, v231
	v_mul_i32_i24_e32 v186, v167, v232
	s_delay_alu instid0(VALU_DEP_3) | instskip(NEXT) | instid1(VALU_DEP_1)
	v_add3_u32 v182, v182, v183, v184
	v_add3_u32 v182, v182, v185, v186
	s_delay_alu instid0(VALU_DEP_1) | instskip(NEXT) | instid1(VALU_DEP_1)
	v_mul_lo_u32 v182, v182, v233
	v_cvt_f32_i32_e32 v182, v182
	s_delay_alu instid0(VALU_DEP_1) | instskip(NEXT) | instid1(VALU_DEP_1)
	v_fma_mix_f32 v180, v1, v182, v180 op_sel_hi:[1,0,0]
	v_fma_f32 v180, v180, v134, -v181
	s_delay_alu instid0(VALU_DEP_1)
	v_add_f32_e32 v20, v20, v180
	scratch_store_b32 off, v20, off offset:1132 ; 4-byte Folded Spill
	scratch_load_b32 v20, off, off offset:148 ; 4-byte Folded Reload
	s_waitcnt vmcnt(0)
	v_mul_i32_i24_e32 v180, v161, v20
	scratch_load_b32 v20, off, off offset:152 ; 4-byte Folded Reload
	v_mad_i32_i24 v180, v156, v52, v180
	scratch_load_b32 v52, off, off offset:528 ; 4-byte Folded Reload
	s_waitcnt vmcnt(1)
	v_mul_i32_i24_e32 v181, v162, v20
	scratch_load_b32 v20, off, off offset:436 ; 4-byte Folded Reload
	s_waitcnt vmcnt(0)
	v_mul_i32_i24_e32 v182, v163, v20
	s_delay_alu instid0(VALU_DEP_1)
	v_add3_u32 v180, v180, v181, v182
	v_mul_i32_i24_e32 v181, v157, v52
	scratch_load_b32 v52, off, off offset:580 ; 4-byte Folded Reload
	s_waitcnt vmcnt(0)
	v_mul_i32_i24_e32 v182, v158, v52
	scratch_load_b32 v52, off, off offset:936 ; 4-byte Folded Reload
	v_add3_u32 v180, v180, v181, v182
	s_waitcnt vmcnt(0)
	v_mul_i32_i24_e32 v183, v159, v52
	scratch_load_b32 v52, off, off offset:576 ; 4-byte Folded Reload
	s_waitcnt vmcnt(0)
	v_mul_i32_i24_e32 v184, v160, v52
	scratch_load_b32 v52, off, off offset:208 ; 4-byte Folded Reload
	v_add3_u32 v180, v180, v183, v184
	s_waitcnt vmcnt(0)
	v_mul_i32_i24_e32 v181, v126, v52
	scratch_load_b32 v52, off, off offset:556 ; 4-byte Folded Reload
	s_waitcnt vmcnt(0)
	v_mul_i32_i24_e32 v182, v153, v52
	scratch_load_b32 v52, off, off offset:560 ; 4-byte Folded Reload
	v_add3_u32 v180, v180, v181, v182
	s_waitcnt vmcnt(0)
	v_mul_i32_i24_e32 v183, v154, v52
	scratch_load_b32 v52, off, off offset:500 ; 4-byte Folded Reload
	s_waitcnt vmcnt(0)
	v_mul_i32_i24_e32 v184, v155, v52
	scratch_load_b32 v52, off, off offset:564 ; 4-byte Folded Reload
	v_add3_u32 v180, v180, v183, v184
	s_waitcnt vmcnt(0)
	v_mul_i32_i24_e32 v181, v4, v52
	scratch_load_b32 v52, off, off offset:568 ; 4-byte Folded Reload
	s_waitcnt vmcnt(0)
	v_mul_i32_i24_e32 v182, v42, v52
	scratch_load_b32 v52, off, off offset:836 ; 4-byte Folded Reload
	v_add3_u32 v180, v180, v181, v182
	s_waitcnt vmcnt(0)
	v_mul_i32_i24_e32 v183, v45, v52
	scratch_load_b32 v52, off, off offset:572 ; 4-byte Folded Reload
	s_waitcnt vmcnt(0)
	v_mul_i32_i24_e32 v184, v62, v52
	scratch_load_b32 v52, off, off offset:504 ; 4-byte Folded Reload
	v_mul_i32_i24_e32 v62, v62, v210
	v_add3_u32 v180, v180, v183, v184
	s_waitcnt vmcnt(0)
	v_mul_i32_i24_e32 v181, v71, v52
	scratch_load_b32 v52, off, off offset:840 ; 4-byte Folded Reload
	s_waitcnt vmcnt(0)
	v_mul_i32_i24_e32 v182, v74, v52
	scratch_load_b32 v52, off, off offset:844 ; 4-byte Folded Reload
	v_add3_u32 v180, v180, v181, v182
	s_waitcnt vmcnt(0)
	v_mul_i32_i24_e32 v183, v75, v52
	scratch_load_b32 v52, off, off offset:848 ; 4-byte Folded Reload
	s_waitcnt vmcnt(0)
	v_mul_i32_i24_e32 v184, v76, v52
	scratch_load_b32 v52, off, off offset:508 ; 4-byte Folded Reload
	;; [unrolled: 7-line block ×8, first 2 shown]
	v_add3_u32 v180, v180, v183, v184
	s_waitcnt vmcnt(0)
	s_delay_alu instid0(VALU_DEP_1) | instskip(SKIP_2) | instid1(VALU_DEP_1)
	v_mul_lo_u32 v180, v180, v52
	scratch_load_b32 v52, off, off offset:884 ; 4-byte Folded Reload
	v_cvt_f32_i32_e32 v180, v180
	v_fma_mix_f32 v180, v0, v180, 0 op_sel_hi:[1,0,0]
	s_waitcnt vmcnt(0)
	v_fma_mix_f32 v181, v52, v0, 0 op_sel:[0,1,0] op_sel_hi:[0,1,0]
	scratch_load_b32 v52, off, off offset:892 ; 4-byte Folded Reload
	s_waitcnt vmcnt(0)
	v_mul_i32_i24_e32 v182, v117, v52
	scratch_load_b32 v52, off, off offset:896 ; 4-byte Folded Reload
	s_waitcnt vmcnt(0)
	v_mul_i32_i24_e32 v183, v119, v52
	;; [unrolled: 3-line block ×3, first 2 shown]
	scratch_load_b32 v52, off, off offset:888 ; 4-byte Folded Reload
	s_waitcnt vmcnt(0)
	v_mad_i32_i24 v182, v118, v52, v182
	scratch_load_b32 v52, off, off offset:532 ; 4-byte Folded Reload
	v_add3_u32 v182, v182, v183, v184
	s_waitcnt vmcnt(0)
	v_mul_i32_i24_e32 v183, v121, v52
	scratch_load_b32 v52, off, off offset:904 ; 4-byte Folded Reload
	s_waitcnt vmcnt(0)
	v_mul_i32_i24_e32 v184, v122, v52
	scratch_load_b32 v52, off, off offset:908 ; 4-byte Folded Reload
	v_add3_u32 v182, v182, v183, v184
	s_waitcnt vmcnt(0)
	v_mul_i32_i24_e32 v185, v123, v52
	scratch_load_b32 v52, off, off offset:912 ; 4-byte Folded Reload
	s_waitcnt vmcnt(0)
	v_mul_i32_i24_e32 v186, v124, v52
	;; [unrolled: 7-line block ×5, first 2 shown]
	scratch_load_b32 v52, off, off offset:552 ; 4-byte Folded Reload
	v_add3_u32 v182, v182, v183, v184
	v_mul_i32_i24_e32 v183, v168, v237
	s_waitcnt vmcnt(0)
	v_mul_i32_i24_e32 v185, v132, v52
	scratch_load_b32 v52, off, off offset:604 ; 4-byte Folded Reload
	s_waitcnt vmcnt(0)
	v_mul_i32_i24_e32 v186, v133, v52
	scratch_load_b32 v52, off, off offset:204 ; 4-byte Folded Reload
	v_add3_u32 v182, v182, v185, v186
	v_mul_i32_i24_e32 v185, v170, v236
	v_mul_i32_i24_e32 v186, v164, v238
	s_waitcnt vmcnt(0)
	v_mul_i32_i24_e32 v184, v169, v52
	scratch_load_b32 v52, off, off offset:172 ; 4-byte Folded Reload
	v_add3_u32 v182, v182, v183, v184
	v_mul_i32_i24_e32 v183, v171, v244
	v_mul_i32_i24_e32 v184, v172, v245
	s_delay_alu instid0(VALU_DEP_3) | instskip(SKIP_2) | instid1(VALU_DEP_3)
	v_add3_u32 v182, v182, v185, v186
	v_mul_i32_i24_e32 v185, v173, v248
	v_mul_i32_i24_e32 v186, v165, v235
	v_add3_u32 v182, v182, v183, v184
	v_mul_i32_i24_e32 v184, v175, v252
	s_delay_alu instid0(VALU_DEP_2)
	v_add3_u32 v182, v182, v185, v186
	v_mul_i32_i24_e32 v185, v176, v253
	s_waitcnt vmcnt(0)
	v_mul_i32_i24_e32 v183, v174, v52
	scratch_load_b32 v52, off, off offset:184 ; 4-byte Folded Reload
	v_add3_u32 v182, v182, v183, v184
	v_mul_i32_i24_e32 v183, v177, v255
	s_waitcnt vmcnt(0)
	v_mul_i32_i24_e32 v186, v166, v52
	scratch_load_b32 v52, off, off offset:196 ; 4-byte Folded Reload
	v_add3_u32 v182, v182, v185, v186
	s_waitcnt vmcnt(0)
	v_mul_i32_i24_e32 v184, v178, v52
	scratch_load_b32 v52, off, off offset:188 ; 4-byte Folded Reload
	v_add3_u32 v182, v182, v183, v184
	s_waitcnt vmcnt(0)
	v_mul_i32_i24_e32 v185, v179, v52
	scratch_load_b32 v52, off, off offset:180 ; 4-byte Folded Reload
	s_waitcnt vmcnt(0)
	v_mul_i32_i24_e32 v186, v167, v52
	scratch_load_b32 v52, off, off offset:192 ; 4-byte Folded Reload
	v_add3_u32 v182, v182, v185, v186
	s_waitcnt vmcnt(0)
	s_delay_alu instid0(VALU_DEP_1) | instskip(SKIP_2) | instid1(VALU_DEP_1)
	v_mul_lo_u32 v182, v182, v52
	scratch_load_b32 v52, off, off offset:200 ; 4-byte Folded Reload
	v_cvt_f32_i32_e32 v182, v182
	v_fma_mix_f32 v180, v1, v182, v180 op_sel_hi:[1,0,0]
	s_waitcnt vmcnt(0)
	v_fma_mix_f32 v181, v52, v1, v181 op_sel:[0,1,0] op_sel_hi:[0,1,0]
	s_delay_alu instid0(VALU_DEP_1) | instskip(SKIP_4) | instid1(VALU_DEP_1)
	v_dual_mov_b32 v52, v254 :: v_dual_mul_f32 v181, v181, v254
	v_mov_b32_e32 v254, v19
	scratch_load_b32 v19, off, off offset:1128 ; 4-byte Folded Reload
	v_fma_f32 v180, v180, v254, -v181
	s_waitcnt vmcnt(0)
	v_add_f32_e32 v19, v19, v180
	scratch_store_b32 off, v19, off offset:1128 ; 4-byte Folded Spill
	scratch_load_b32 v19, off, off offset:488 ; 4-byte Folded Reload
	s_waitcnt vmcnt(0)
	v_mul_i32_i24_e32 v161, v161, v19
	scratch_load_b32 v19, off, off offset:492 ; 4-byte Folded Reload
	s_waitcnt vmcnt(0)
	v_mul_i32_i24_e32 v162, v162, v19
	;; [unrolled: 3-line block ×3, first 2 shown]
	scratch_load_b32 v19, off, off offset:484 ; 4-byte Folded Reload
	s_waitcnt vmcnt(0)
	v_mad_i32_i24 v156, v156, v19, v161
	scratch_load_b32 v19, off, off offset:296 ; 4-byte Folded Reload
	v_add3_u32 v156, v156, v162, v163
	s_waitcnt vmcnt(0)
	v_mul_i32_i24_e32 v157, v157, v19
	scratch_load_b32 v19, off, off offset:36 ; 4-byte Folded Reload
	s_waitcnt vmcnt(0)
	v_mul_i32_i24_e32 v158, v158, v19
	scratch_load_b32 v19, off, off offset:40 ; 4-byte Folded Reload
	v_add3_u32 v156, v156, v157, v158
	s_waitcnt vmcnt(0)
	v_mul_i32_i24_e32 v159, v159, v19
	scratch_load_b32 v19, off, off offset:44 ; 4-byte Folded Reload
	s_waitcnt vmcnt(0)
	v_mul_i32_i24_e32 v160, v160, v19
	;; [unrolled: 7-line block ×5, first 2 shown]
	scratch_load_b32 v19, off, off offset:32 ; 4-byte Folded Reload
	v_add3_u32 v4, v126, v4, v42
	s_waitcnt vmcnt(0)
	v_mul_i32_i24_e32 v45, v45, v19
	scratch_load_b32 v19, off, off offset:48 ; 4-byte Folded Reload
	v_add3_u32 v4, v4, v45, v62
	v_mul_i32_i24_e32 v62, v75, v250
	s_waitcnt vmcnt(0)
	v_mul_i32_i24_e32 v42, v71, v19
	scratch_load_b32 v19, off, off offset:52 ; 4-byte Folded Reload
	v_mul_i32_i24_e32 v71, v76, v188
	s_waitcnt vmcnt(0)
	v_mul_i32_i24_e32 v45, v74, v19
	scratch_load_b32 v19, off, off offset:56 ; 4-byte Folded Reload
	v_add3_u32 v4, v4, v42, v45
	v_mul_i32_i24_e32 v42, v77, v190
	v_mul_i32_i24_e32 v45, v80, v199
	s_delay_alu instid0(VALU_DEP_3) | instskip(SKIP_4) | instid1(VALU_DEP_1)
	v_add3_u32 v4, v4, v62, v71
	v_mul_i32_i24_e32 v62, v81, v206
	v_mul_i32_i24_e32 v71, v82, v189
	scratch_load_b32 v82, off, off offset:1052 ; 4-byte Folded Reload
	v_add3_u32 v4, v4, v42, v45
	v_add3_u32 v4, v4, v62, v71
	v_mul_i32_i24_e32 v71, v110, v187
	scratch_load_b32 v110, off, off offset:684 ; 4-byte Folded Reload
	s_waitcnt vmcnt(2)
	v_mul_i32_i24_e32 v42, v83, v19
	s_clause 0x1
	scratch_load_b32 v19, off, off offset:60
	scratch_load_b32 v83, off, off offset:1056
	s_waitcnt vmcnt(1)
	v_mul_i32_i24_e32 v45, v108, v19
	s_clause 0x1
	scratch_load_b32 v19, off, off offset:64
	scratch_load_b32 v108, off, off offset:1060
	v_add3_u32 v4, v4, v42, v45
	v_mul_i32_i24_e32 v42, v111, v110
	scratch_load_b32 v111, off, off offset:1064 ; 4-byte Folded Reload
	s_waitcnt vmcnt(2)
	v_mul_i32_i24_e32 v62, v109, v19
	s_clause 0x1
	scratch_load_b32 v19, off, off offset:688
	scratch_load_b32 v109, off, off offset:1048
	v_add3_u32 v4, v4, v62, v71
	v_mul_i32_i24_e32 v71, v116, v82
	scratch_load_b32 v116, off, off offset:692 ; 4-byte Folded Reload
	s_waitcnt vmcnt(2)
	v_mul_i32_i24_e32 v45, v112, v19
	scratch_load_b32 v112, off, off offset:480 ; 4-byte Folded Reload
	s_waitcnt vmcnt(2)
	v_mul_i32_i24_e32 v62, v114, v109
	scratch_load_b32 v114, off, off offset:700 ; 4-byte Folded Reload
	v_add3_u32 v4, v4, v42, v45
	s_delay_alu instid0(VALU_DEP_1) | instskip(SKIP_3) | instid1(VALU_DEP_1)
	v_add3_u32 v4, v4, v62, v71
	v_mul_i32_i24_e32 v62, v120, v111
	scratch_load_b32 v120, off, off offset:696 ; 4-byte Folded Reload
	v_mul_lo_u32 v4, v4, v83
	v_cvt_f32_i32_e32 v4, v4
	s_delay_alu instid0(VALU_DEP_1) | instskip(SKIP_1) | instid1(VALU_DEP_1)
	v_fma_mix_f32 v4, v0, v4, 0 op_sel_hi:[1,0,0]
	v_fma_mix_f32 v0, v108, v0, 0 op_sel:[0,1,0] op_sel_hi:[0,1,0]
	v_fma_mix_f32 v0, v191, v1, v0 op_sel:[0,1,0] op_sel_hi:[0,1,0]
	s_delay_alu instid0(VALU_DEP_1)
	v_mul_f32_e32 v0, v0, v251
	s_waitcnt vmcnt(2)
	v_mul_i32_i24_e32 v42, v117, v112
	scratch_load_b32 v117, off, off offset:708 ; 4-byte Folded Reload
	s_waitcnt vmcnt(2)
	v_mul_i32_i24_e32 v45, v119, v114
	scratch_load_b32 v119, off, off offset:816 ; 4-byte Folded Reload
	v_mad_i32_i24 v42, v118, v116, v42
	scratch_load_b32 v118, off, off offset:704 ; 4-byte Folded Reload
	v_add3_u32 v42, v42, v45, v62
	s_waitcnt vmcnt(3)
	v_mul_i32_i24_e32 v62, v122, v120
	s_waitcnt vmcnt(2)
	v_mul_i32_i24_e32 v74, v124, v117
	scratch_load_b32 v124, off, off offset:1012 ; 4-byte Folded Reload
	s_waitcnt vmcnt(2)
	v_mul_i32_i24_e32 v45, v121, v119
	s_waitcnt vmcnt(1)
	v_mul_i32_i24_e32 v71, v123, v118
	v_mov_b32_e32 v123, v21
	s_delay_alu instid0(VALU_DEP_3) | instskip(SKIP_2) | instid1(VALU_DEP_3)
	v_add3_u32 v42, v42, v45, v62
	v_mul_i32_i24_e32 v45, v125, v21
	v_mov_b32_e32 v125, v9
	v_add3_u32 v42, v42, v71, v74
	v_mul_i32_i24_e32 v71, v128, v23
	v_mul_i32_i24_e32 v74, v129, v22
	s_waitcnt vmcnt(0)
	v_mul_i32_i24_e32 v62, v127, v124
	s_delay_alu instid0(VALU_DEP_1) | instskip(SKIP_3) | instid1(VALU_DEP_4)
	v_add3_u32 v42, v42, v45, v62
	v_mul_i32_i24_e32 v45, v130, v10
	v_mul_i32_i24_e32 v62, v131, v8
	v_dual_mov_b32 v130, v208 :: v_dual_mov_b32 v131, v209
	v_add3_u32 v42, v42, v71, v74
	v_mul_i32_i24_e32 v71, v132, v9
	v_mul_i32_i24_e32 v74, v133, v11
	v_mov_b32_e32 v133, v211
	s_delay_alu instid0(VALU_DEP_4) | instskip(SKIP_2) | instid1(VALU_DEP_3)
	v_add3_u32 v42, v42, v45, v62
	v_mul_i32_i24_e32 v45, v168, v6
	v_mul_i32_i24_e32 v62, v169, v207
	v_add3_u32 v42, v42, v71, v74
	v_mul_i32_i24_e32 v71, v170, v208
	v_mul_i32_i24_e32 v74, v164, v209
	s_delay_alu instid0(VALU_DEP_3) | instskip(SKIP_2) | instid1(VALU_DEP_3)
	v_add3_u32 v42, v42, v45, v62
	v_mul_i32_i24_e32 v45, v171, v202
	v_mul_i32_i24_e32 v62, v172, v203
	v_add3_u32 v42, v42, v71, v74
	v_mul_i32_i24_e32 v71, v173, v204
	v_mul_i32_i24_e32 v74, v165, v205
	s_delay_alu instid0(VALU_DEP_3) | instskip(SKIP_2) | instid1(VALU_DEP_3)
	;; [unrolled: 7-line block ×3, first 2 shown]
	v_add3_u32 v42, v42, v45, v62
	v_mul_i32_i24_e32 v45, v177, v193
	v_mul_i32_i24_e32 v62, v178, v194
	v_add3_u32 v42, v42, v71, v74
	v_mul_i32_i24_e32 v71, v179, v195
	v_mul_i32_i24_e32 v74, v167, v196
	s_delay_alu instid0(VALU_DEP_3) | instskip(NEXT) | instid1(VALU_DEP_1)
	v_add3_u32 v42, v42, v45, v62
	v_add3_u32 v42, v42, v71, v74
	s_delay_alu instid0(VALU_DEP_1) | instskip(NEXT) | instid1(VALU_DEP_1)
	v_mul_lo_u32 v42, v42, v192
	v_cvt_f32_i32_e32 v42, v42
	s_delay_alu instid0(VALU_DEP_1) | instskip(SKIP_3) | instid1(VALU_DEP_1)
	v_fma_mix_f32 v4, v1, v42, v4 op_sel_hi:[1,0,0]
	scratch_load_b32 v1, off, off offset:1124 ; 4-byte Folded Reload
	v_fma_f32 v0, v4, v211, -v0
	s_waitcnt vmcnt(0)
	v_add_f32_e32 v1, v1, v0
	scratch_load_b32 v0, off, off           ; 4-byte Folded Reload
	scratch_store_b32 off, v1, off offset:1124 ; 4-byte Folded Spill
	s_waitcnt vmcnt(0)
	ds_load_b128 v[153:156], v0 offset:5120
	scratch_load_b32 v0, off, off           ; 4-byte Folded Reload
	s_waitcnt lgkmcnt(0)
	v_bfe_i32 v208, v153, 0, 8
	v_bfe_i32 v207, v153, 8, 8
	;; [unrolled: 1-line block ×3, first 2 shown]
	v_ashrrev_i32_e32 v210, 24, v153
	v_bfe_i32 v187, v154, 0, 8
	v_mul_i32_i24_e32 v71, v208, v38
	v_bfe_i32 v188, v154, 8, 8
	v_mul_i32_i24_e32 v74, v209, v39
	v_mul_i32_i24_e32 v75, v210, v242
	v_bfe_i32 v189, v154, 16, 8
	v_mad_i32_i24 v71, v207, v7, v71
	v_ashrrev_i32_e32 v190, 24, v154
	v_bfe_i32 v183, v155, 0, 8
	v_bfe_i32 v184, v155, 8, 8
	;; [unrolled: 1-line block ×3, first 2 shown]
	v_add3_u32 v71, v71, v74, v75
	v_mul_i32_i24_e32 v74, v187, v240
	v_mul_i32_i24_e32 v75, v188, v135
	v_ashrrev_i32_e32 v186, 24, v155
	v_bfe_i32 v171, v156, 0, 8
	v_bfe_i32 v180, v156, 8, 8
	;; [unrolled: 1-line block ×3, first 2 shown]
	v_ashrrev_i32_e32 v182, 24, v156
	v_mul_i32_i24_e32 v76, v189, v13
	v_mul_i32_i24_e32 v77, v190, v12
	v_add3_u32 v71, v71, v74, v75
	v_mul_i32_i24_e32 v74, v183, v136
	v_mul_i32_i24_e32 v75, v184, v137
	scratch_load_b32 v240, off, off offset:856 ; 4-byte Folded Reload
	v_mov_b32_e32 v136, v35
	v_add3_u32 v71, v71, v76, v77
	v_mul_i32_i24_e32 v76, v185, v138
	v_mul_i32_i24_e32 v77, v186, v18
	s_clause 0x1
	scratch_load_b32 v7, off, off offset:1152
	scratch_load_b32 v138, off, off offset:896
	v_add3_u32 v71, v71, v74, v75
	v_mul_i32_i24_e32 v74, v171, v17
	v_mul_i32_i24_e32 v75, v180, v30
	v_mov_b32_e32 v137, v36
	scratch_load_b32 v30, off, off offset:208 ; 4-byte Folded Reload
	v_add3_u32 v71, v71, v76, v77
	v_mul_i32_i24_e32 v76, v181, v31
	v_mul_i32_i24_e32 v77, v182, v33
	scratch_load_b32 v31, off, off offset:556 ; 4-byte Folded Reload
	v_mov_b32_e32 v135, v33
	v_add3_u32 v71, v71, v74, v75
	s_clause 0x3
	scratch_load_b32 v33, off, off offset:560
	scratch_load_b32 v39, off, off offset:500
	;; [unrolled: 1-line block ×4, first 2 shown]
	v_add3_u32 v71, v71, v76, v77
	v_mov_b32_e32 v17, v37
	s_clause 0x1
	scratch_load_b32 v12, off, off offset:236
	scratch_load_b32 v13, off, off offset:244
	s_waitcnt vmcnt(11)
	ds_load_b128 v[153:156], v0 offset:5136
	scratch_load_b32 v0, off, off           ; 4-byte Folded Reload
	s_waitcnt lgkmcnt(0)
	v_bfe_i32 v203, v153, 0, 8
	v_bfe_i32 v204, v153, 8, 8
	;; [unrolled: 1-line block ×3, first 2 shown]
	v_ashrrev_i32_e32 v206, 24, v153
	v_bfe_i32 v199, v154, 0, 8
	v_mul_i32_i24_e32 v74, v203, v35
	v_mul_i32_i24_e32 v75, v204, v36
	v_bfe_i32 v200, v154, 8, 8
	v_mul_i32_i24_e32 v76, v205, v37
	v_mul_i32_i24_e32 v77, v206, v140
	v_bfe_i32 v201, v154, 16, 8
	v_add3_u32 v71, v71, v74, v75
	v_ashrrev_i32_e32 v202, 24, v154
	v_mul_i32_i24_e32 v74, v199, v139
	v_mul_i32_i24_e32 v75, v200, v14
	v_bfe_i32 v195, v155, 0, 8
	v_add3_u32 v71, v71, v76, v77
	v_bfe_i32 v196, v155, 8, 8
	v_mul_i32_i24_e32 v76, v201, v15
	v_mul_i32_i24_e32 v77, v202, v141
	v_bfe_i32 v197, v155, 16, 8
	v_add3_u32 v71, v71, v74, v75
	v_ashrrev_i32_e32 v198, 24, v155
	v_mul_i32_i24_e32 v74, v195, v142
	v_mul_i32_i24_e32 v75, v196, v143
	v_bfe_i32 v191, v156, 0, 8
	v_add3_u32 v71, v71, v76, v77
	v_bfe_i32 v192, v156, 8, 8
	v_mul_i32_i24_e32 v76, v197, v144
	v_mul_i32_i24_e32 v77, v198, v247
	v_bfe_i32 v193, v156, 16, 8
	v_add3_u32 v71, v71, v74, v75
	v_ashrrev_i32_e32 v194, 24, v156
	v_mul_i32_i24_e32 v74, v191, v145
	v_mul_i32_i24_e32 v75, v192, v243
	v_mov_b32_e32 v35, v65
	v_add3_u32 v71, v71, v76, v77
	v_mul_i32_i24_e32 v76, v193, v16
	v_mul_i32_i24_e32 v77, v194, v148
	s_clause 0x1
	scratch_load_b32 v247, off, off offset:888
	scratch_load_b32 v36, off, off offset:516
	v_add3_u32 v71, v71, v74, v75
	v_fma_mix_f32 v74, v150, v2, 0 op_sel:[0,1,0] op_sel_hi:[0,1,0]
	scratch_load_b32 v150, off, off offset:864 ; 4-byte Folded Reload
	v_mov_b32_e32 v18, v139
	scratch_load_b32 v139, off, off offset:576 ; 4-byte Folded Reload
	v_add3_u32 v71, v71, v76, v77
	scratch_load_b32 v142, off, off offset:512 ; 4-byte Folded Reload
	v_mov_b32_e32 v143, v216
	scratch_load_b32 v243, off, off offset:884 ; 4-byte Folded Reload
	v_mov_b32_e32 v9, v46
	v_mul_lo_u32 v71, v71, v149
	scratch_load_b32 v149, off, off offset:848 ; 4-byte Folded Reload
	v_mov_b32_e32 v132, v6
	s_clause 0x1
	scratch_load_b32 v6, off, off offset:600
	scratch_load_b32 v141, off, off offset:8
	v_dual_mov_b32 v148, v40 :: v_dual_mov_b32 v37, v86
	v_mov_b32_e32 v145, v28
	v_cvt_f32_i32_e32 v71, v71
	scratch_load_b32 v16, off, off offset:288 ; 4-byte Folded Reload
	v_fma_mix_f32 v71, v2, v71, 0 op_sel_hi:[1,0,0]
	s_waitcnt vmcnt(10)
	ds_load_b128 v[153:156], v0 offset:5152
	scratch_load_b32 v0, off, off           ; 4-byte Folded Reload
	s_waitcnt lgkmcnt(0)
	v_bfe_i32 v177, v153, 0, 8
	v_bfe_i32 v176, v153, 8, 8
	;; [unrolled: 1-line block ×3, first 2 shown]
	v_ashrrev_i32_e32 v179, 24, v153
	v_bfe_i32 v172, v154, 0, 8
	v_mul_i32_i24_e32 v75, v177, v151
	v_bfe_i32 v173, v154, 8, 8
	v_mul_i32_i24_e32 v76, v178, v152
	v_mul_i32_i24_e32 v77, v179, v78
	v_bfe_i32 v174, v154, 16, 8
	v_mad_i32_i24 v75, v176, v215, v75
	v_ashrrev_i32_e32 v175, 24, v154
	v_bfe_i32 v167, v155, 0, 8
	v_bfe_i32 v168, v155, 8, 8
	;; [unrolled: 1-line block ×3, first 2 shown]
	v_add3_u32 v75, v75, v76, v77
	v_mul_i32_i24_e32 v77, v173, v64
	v_ashrrev_i32_e32 v170, 24, v155
	v_bfe_i32 v163, v156, 0, 8
	v_bfe_i32 v164, v156, 8, 8
	;; [unrolled: 1-line block ×3, first 2 shown]
	v_ashrrev_i32_e32 v166, 24, v156
	v_mul_i32_i24_e32 v80, v174, v25
	v_mul_i32_i24_e32 v81, v175, v28
	s_clause 0x3
	scratch_load_b32 v64, off, off offset:912
	scratch_load_b32 v151, off, off offset:520
	;; [unrolled: 1-line block ×4, first 2 shown]
	v_mov_b32_e32 v28, v14
	s_clause 0x1
	scratch_load_b32 v14, off, off offset:680
	scratch_load_b32 v25, off, off offset:268
	s_waitcnt vmcnt(9)
	v_mul_i32_i24_e32 v76, v172, v6
	scratch_load_b32 v6, off, off offset:212 ; 4-byte Folded Reload
	v_add3_u32 v75, v75, v76, v77
	v_mul_i32_i24_e32 v76, v167, v32
	v_mul_i32_i24_e32 v77, v168, v34
	scratch_load_b32 v34, off, off offset:20 ; 4-byte Folded Reload
	v_add3_u32 v75, v75, v80, v81
	v_mul_i32_i24_e32 v80, v169, v66
	;; [unrolled: 4-line block ×3, first 2 shown]
	v_mul_i32_i24_e32 v77, v164, v43
	v_mov_b32_e32 v41, v56
	scratch_load_b32 v43, off, off offset:36 ; 4-byte Folded Reload
	v_add3_u32 v75, v75, v80, v81
	v_mul_i32_i24_e32 v80, v165, v24
	v_mul_i32_i24_e32 v81, v166, v57
	scratch_load_b32 v24, off, off offset:256 ; 4-byte Folded Reload
	v_add3_u32 v75, v75, v76, v77
	s_delay_alu instid0(VALU_DEP_1)
	v_add3_u32 v75, v75, v80, v81
	s_waitcnt vmcnt(11)
	ds_load_b128 v[153:156], v0 offset:5168
	s_waitcnt lgkmcnt(0)
	v_bfe_i32 v159, v153, 0, 8
	v_bfe_i32 v160, v153, 8, 8
	;; [unrolled: 1-line block ×3, first 2 shown]
	v_ashrrev_i32_e32 v162, 24, v153
	v_bfe_i32 v211, v154, 0, 8
	v_mul_i32_i24_e32 v76, v159, v246
	v_mul_i32_i24_e32 v77, v160, v26
	v_bfe_i32 v21, v154, 8, 8
	v_mul_i32_i24_e32 v80, v161, v46
	v_mul_i32_i24_e32 v81, v162, v47
	v_bfe_i32 v157, v154, 16, 8
	v_add3_u32 v75, v75, v76, v77
	v_ashrrev_i32_e32 v158, 24, v154
	v_mul_i32_i24_e32 v76, v211, v48
	v_mul_i32_i24_e32 v77, v21, v216
	v_ashrrev_i32_e32 v153, 24, v155
	v_add3_u32 v75, v75, v80, v81
	v_mul_i32_i24_e32 v80, v157, v49
	v_mul_i32_i24_e32 v81, v158, v50
	v_bfe_i32 v62, v155, 0, 8
	v_bfe_i32 v126, v155, 8, 8
	v_add3_u32 v75, v75, v76, v77
	v_bfe_i32 v0, v156, 0, 8
	v_bfe_i32 v1, v156, 8, 8
	v_mul_i32_i24_e32 v76, v62, v239
	v_mul_i32_i24_e32 v77, v126, v241
	v_add3_u32 v75, v75, v80, v81
	v_bfe_i32 v4, v155, 16, 8
	v_bfe_i32 v42, v156, 16, 8
	v_ashrrev_i32_e32 v45, 24, v156
	v_mov_b32_e32 v246, v5
	v_add3_u32 v75, v75, v76, v77
	v_mul_i32_i24_e32 v80, v4, v27
	s_clause 0x2
	scratch_load_b32 v241, off, off offset:852
	scratch_load_b32 v216, off, off offset:876
	;; [unrolled: 1-line block ×3, first 2 shown]
	v_dual_mov_b32 v144, v27 :: v_dual_mov_b32 v27, v29
	s_waitcnt vmcnt(7)
	v_mul_i32_i24_e32 v81, v153, v6
	scratch_load_b32 v6, off, off offset:584 ; 4-byte Folded Reload
	v_add3_u32 v75, v75, v80, v81
	s_waitcnt vmcnt(0)
	v_mul_i32_i24_e32 v76, v0, v6
	scratch_load_b32 v6, off, off offset:216 ; 4-byte Folded Reload
	s_waitcnt vmcnt(0)
	v_mul_i32_i24_e32 v77, v1, v6
	scratch_load_b32 v6, off, off offset:588 ; 4-byte Folded Reload
	v_add3_u32 v75, v75, v76, v77
	v_mul_i32_i24_e32 v76, v189, v55
	v_mov_b32_e32 v55, v109
	v_mul_i32_i24_e32 v77, v190, v58
	s_waitcnt vmcnt(0)
	v_mul_i32_i24_e32 v80, v42, v6
	scratch_load_b32 v6, off, off offset:220 ; 4-byte Folded Reload
	s_waitcnt vmcnt(0)
	v_mul_i32_i24_e32 v81, v45, v6
	scratch_load_b32 v6, off, off offset:592 ; 4-byte Folded Reload
	v_add3_u32 v75, v75, v80, v81
	v_mul_i32_i24_e32 v80, v174, v100
	v_mul_i32_i24_e32 v81, v175, v101
	s_clause 0x1
	scratch_load_b32 v101, off, off offset:552
	scratch_load_b32 v100, off, off offset:296
	s_waitcnt vmcnt(2)
	v_mul_lo_u32 v75, v75, v6
	scratch_load_b32 v6, off, off offset:596 ; 4-byte Folded Reload
	v_cvt_f32_i32_e32 v75, v75
	s_delay_alu instid0(VALU_DEP_1)
	v_fma_mix_f32 v71, v3, v75, v71 op_sel_hi:[1,0,0]
	v_mul_i32_i24_e32 v75, v210, v79
	s_waitcnt vmcnt(0)
	v_fma_mix_f32 v74, v6, v3, v74 op_sel:[0,1,0] op_sel_hi:[0,1,0]
	scratch_load_b32 v6, off, off offset:776 ; 4-byte Folded Reload
	v_mul_f32_e32 v74, v74, v146
	s_delay_alu instid0(VALU_DEP_1)
	v_fma_f32 v71, v71, v147, -v74
	v_mul_i32_i24_e32 v74, v209, v29
	scratch_load_b32 v29, off, off offset:16 ; 4-byte Folded Reload
	v_add_f32_e32 v7, v7, v71
	v_mul_i32_i24_e32 v71, v208, v5
	scratch_load_b32 v5, off, off offset:1148 ; 4-byte Folded Reload
	scratch_store_b32 off, v7, off offset:1152 ; 4-byte Folded Spill
	v_mad_i32_i24 v71, v207, v44, v71
	scratch_load_b32 v7, off, off offset:1144 ; 4-byte Folded Reload
	v_add3_u32 v71, v71, v74, v75
	v_mul_i32_i24_e32 v74, v187, v225
	v_mul_i32_i24_e32 v75, v188, v54
	v_mov_b32_e32 v225, v70
	s_delay_alu instid0(VALU_DEP_2)
	v_add3_u32 v71, v71, v74, v75
	v_mul_i32_i24_e32 v74, v183, v53
	v_mul_i32_i24_e32 v75, v184, v59
	scratch_load_b32 v59, off, off offset:528 ; 4-byte Folded Reload
	v_mov_b32_e32 v53, v119
	v_add3_u32 v71, v71, v76, v77
	v_mul_i32_i24_e32 v76, v185, v60
	v_mul_i32_i24_e32 v77, v186, v63
	s_clause 0x1
	scratch_load_b32 v63, off, off offset:532
	scratch_load_b32 v60, off, off offset:904
	v_add3_u32 v71, v71, v74, v75
	v_mul_i32_i24_e32 v74, v171, v61
	v_mul_i32_i24_e32 v75, v180, v249
	scratch_load_b32 v61, off, off offset:908 ; 4-byte Folded Reload
	v_mov_b32_e32 v46, v44
	v_add3_u32 v71, v71, v76, v77
	v_mul_i32_i24_e32 v76, v181, v65
	v_mul_i32_i24_e32 v77, v182, v67
	s_clause 0x1
	scratch_load_b32 v65, off, off offset:916
	scratch_load_b32 v67, off, off offset:536
	v_add3_u32 v71, v71, v74, v75
	v_mul_i32_i24_e32 v74, v203, v68
	v_mul_i32_i24_e32 v75, v204, v69
	s_clause 0x1
	scratch_load_b32 v68, off, off offset:540
	scratch_load_b32 v69, off, off offset:920
	v_add3_u32 v71, v71, v76, v77
	v_mul_i32_i24_e32 v76, v205, v70
	v_mul_i32_i24_e32 v77, v206, v73
	scratch_load_b32 v70, off, off offset:544 ; 4-byte Folded Reload
	v_mov_b32_e32 v66, v52
	v_add3_u32 v71, v71, v74, v75
	v_mul_i32_i24_e32 v74, v199, v72
	v_mul_i32_i24_e32 v75, v200, v56
	v_mov_b32_e32 v58, v254
	scratch_load_b32 v254, off, off offset:488 ; 4-byte Folded Reload
	v_add3_u32 v71, v71, v76, v77
	v_mul_i32_i24_e32 v76, v201, v51
	v_mul_i32_i24_e32 v77, v202, v84
	scratch_load_b32 v51, off, off offset:844 ; 4-byte Folded Reload
	v_mov_b32_e32 v128, v10
	v_add3_u32 v71, v71, v74, v75
	v_mul_i32_i24_e32 v74, v195, v85
	v_mul_i32_i24_e32 v75, v196, v86
	v_mov_b32_e32 v10, v140
	scratch_load_b32 v140, off, off offset:580 ; 4-byte Folded Reload
	v_add3_u32 v71, v71, v76, v77
	v_mul_i32_i24_e32 v76, v197, v87
	v_mul_i32_i24_e32 v77, v198, v89
	s_clause 0x1
	scratch_load_b32 v56, off, off offset:492
	scratch_load_b32 v44, off, off offset:496
	v_add3_u32 v71, v71, v74, v75
	v_mul_i32_i24_e32 v74, v191, v88
	v_mul_i32_i24_e32 v75, v192, v90
	s_clause 0x1
	scratch_load_b32 v249, off, off offset:484
	scratch_load_b32 v84, off, off offset:28
	;; [unrolled: 6-line block ×3, first 2 shown]
	v_add3_u32 v71, v71, v74, v75
	v_mul_i32_i24_e32 v75, v177, v96
	v_fma_mix_f32 v74, v94, v2, 0 op_sel:[0,1,0] op_sel_hi:[0,1,0]
	scratch_load_b32 v87, off, off offset:300 ; 4-byte Folded Reload
	v_mov_b32_e32 v32, v88
	v_add3_u32 v71, v71, v76, v77
	v_mul_i32_i24_e32 v76, v178, v97
	v_mul_i32_i24_e32 v77, v179, v98
	v_mad_i32_i24 v75, v176, v95, v75
	v_fma_mix_f32 v74, v234, v3, v74 op_sel:[0,1,0] op_sel_hi:[0,1,0]
	v_mul_lo_u32 v71, v71, v93
	s_clause 0x1
	scratch_load_b32 v88, off, off offset:48
	scratch_load_b32 v89, off, off offset:52
	v_add3_u32 v75, v75, v76, v77
	v_mul_i32_i24_e32 v76, v172, v213
	v_mul_i32_i24_e32 v77, v173, v99
	v_mul_f32_e32 v74, v74, v214
	scratch_load_b32 v90, off, off offset:304 ; 4-byte Folded Reload
	v_cvt_f32_i32_e32 v71, v71
	scratch_load_b32 v92, off, off offset:312 ; 4-byte Folded Reload
	v_add3_u32 v75, v75, v76, v77
	v_mul_i32_i24_e32 v76, v167, v102
	v_mul_i32_i24_e32 v77, v168, v103
	v_fma_mix_f32 v71, v2, v71, 0 op_sel_hi:[1,0,0]
	scratch_load_b32 v103, off, off offset:604 ; 4-byte Folded Reload
	v_add3_u32 v75, v75, v80, v81
	v_mul_i32_i24_e32 v80, v169, v104
	v_mul_i32_i24_e32 v81, v170, v105
	scratch_load_b32 v102, off, off offset:44 ; 4-byte Folded Reload
	v_mov_b32_e32 v72, v91
	v_add3_u32 v75, v75, v76, v77
	v_mul_i32_i24_e32 v76, v163, v106
	v_mul_i32_i24_e32 v77, v164, v107
	s_clause 0x1
	scratch_load_b32 v107, off, off offset:508
	scratch_load_b32 v91, off, off offset:308
	v_add3_u32 v75, v75, v80, v81
	v_mul_i32_i24_e32 v80, v165, v113
	v_mul_i32_i24_e32 v81, v166, v115
	s_clause 0x1
	scratch_load_b32 v113, off, off offset:572
	scratch_load_b32 v115, off, off offset:504
	;; [unrolled: 6-line block ×8, first 2 shown]
	v_add3_u32 v75, v75, v76, v77
	v_mul_i32_i24_e32 v76, v0, v229
	v_mul_i32_i24_e32 v77, v1, v230
	scratch_load_b32 v229, off, off offset:868 ; 4-byte Folded Reload
	v_mov_b32_e32 v105, v118
	v_add3_u32 v75, v75, v80, v81
	v_mul_i32_i24_e32 v80, v42, v231
	v_mul_i32_i24_e32 v81, v45, v232
	scratch_load_b32 v231, off, off offset:892 ; 4-byte Folded Reload
	v_mov_b32_e32 v129, v8
	v_add3_u32 v75, v75, v76, v77
	v_mul_i32_i24_e32 v77, v190, v139
	v_dual_mov_b32 v73, v23 :: v_dual_mov_b32 v8, v110
	v_mov_b32_e32 v228, v82
	s_delay_alu instid0(VALU_DEP_4)
	v_add3_u32 v75, v75, v80, v81
	v_mul_i32_i24_e32 v81, v175, v64
	v_mov_b32_e32 v223, v83
	s_clause 0x1
	scratch_load_b32 v224, off, off offset:240
	scratch_load_b32 v227, off, off offset:260
	v_mul_lo_u32 v75, v75, v233
	s_clause 0x3
	scratch_load_b32 v233, off, off offset:836
	scratch_load_b32 v23, off, off offset:252
	;; [unrolled: 1-line block ×4, first 2 shown]
	v_mov_b32_e32 v234, v27
	v_mov_b32_e32 v232, v48
	v_cvt_f32_i32_e32 v75, v75
	s_delay_alu instid0(VALU_DEP_1)
	v_fma_mix_f32 v71, v3, v75, v71 op_sel_hi:[1,0,0]
	v_mul_i32_i24_e32 v75, v210, v20
	v_mov_b32_e32 v20, v18
	scratch_load_b32 v18, off, off offset:228 ; 4-byte Folded Reload
	v_fma_f32 v71, v71, v134, -v74
	s_waitcnt vmcnt(51)
	s_delay_alu instid0(VALU_DEP_1)
	v_add_f32_e32 v5, v5, v71
	v_mov_b32_e32 v57, v50
	scratch_load_b32 v50, off, off offset:40 ; 4-byte Folded Reload
	scratch_store_b32 off, v5, off offset:1148 ; 4-byte Folded Spill
	scratch_load_b32 v5, off, off offset:148 ; 4-byte Folded Reload
	s_waitcnt vmcnt(48)
	v_mul_i32_i24_e32 v80, v174, v61
	s_waitcnt vmcnt(20)
	v_mul_i32_i24_e32 v76, v189, v219
	;; [unrolled: 2-line block ×3, first 2 shown]
	scratch_load_b32 v5, off, off offset:152 ; 4-byte Folded Reload
	s_waitcnt vmcnt(0)
	v_mul_i32_i24_e32 v74, v209, v5
	scratch_load_b32 v5, off, off offset:156 ; 4-byte Folded Reload
	s_waitcnt vmcnt(0)
	v_mad_i32_i24 v71, v207, v5, v71
	scratch_load_b32 v5, off, off offset:204 ; 4-byte Folded Reload
	v_add3_u32 v71, v71, v74, v75
	v_mul_i32_i24_e32 v74, v187, v59
	v_mul_i32_i24_e32 v75, v188, v140
	s_delay_alu instid0(VALU_DEP_1) | instskip(SKIP_2) | instid1(VALU_DEP_3)
	v_add3_u32 v71, v71, v74, v75
	v_mul_i32_i24_e32 v74, v183, v30
	v_mul_i32_i24_e32 v75, v184, v31
	v_add3_u32 v71, v71, v76, v77
	v_mul_i32_i24_e32 v76, v185, v33
	v_mul_i32_i24_e32 v77, v186, v39
	s_delay_alu instid0(VALU_DEP_3) | instskip(SKIP_2) | instid1(VALU_DEP_3)
	v_add3_u32 v71, v71, v74, v75
	v_mul_i32_i24_e32 v74, v171, v38
	v_mul_i32_i24_e32 v75, v180, v220
	v_add3_u32 v71, v71, v76, v77
	v_mul_i32_i24_e32 v76, v181, v233
	v_mul_i32_i24_e32 v77, v182, v113
	s_delay_alu instid0(VALU_DEP_3) | instskip(SKIP_2) | instid1(VALU_DEP_3)
	;; [unrolled: 7-line block ×6, first 2 shown]
	v_add3_u32 v71, v71, v74, v75
	v_mul_i32_i24_e32 v75, v177, v231
	v_fma_mix_f32 v74, v243, v2, 0 op_sel:[0,1,0] op_sel_hi:[0,1,0]
	v_add3_u32 v71, v71, v76, v77
	v_mul_i32_i24_e32 v76, v178, v138
	v_mul_i32_i24_e32 v77, v179, v217
	v_mad_i32_i24 v75, v176, v247, v75
	s_delay_alu instid0(VALU_DEP_4) | instskip(NEXT) | instid1(VALU_DEP_2)
	v_mul_lo_u32 v71, v71, v239
	v_add3_u32 v75, v75, v76, v77
	v_mul_i32_i24_e32 v76, v172, v63
	v_mul_i32_i24_e32 v77, v173, v60
	s_delay_alu instid0(VALU_DEP_4) | instskip(NEXT) | instid1(VALU_DEP_2)
	v_cvt_f32_i32_e32 v71, v71
	v_add3_u32 v75, v75, v76, v77
	v_mul_i32_i24_e32 v76, v167, v65
	v_mul_i32_i24_e32 v77, v168, v67
	s_delay_alu instid0(VALU_DEP_4) | instskip(NEXT) | instid1(VALU_DEP_4)
	v_fma_mix_f32 v71, v2, v71, 0 op_sel_hi:[1,0,0]
	v_add3_u32 v75, v75, v80, v81
	v_mul_i32_i24_e32 v80, v169, v68
	v_mul_i32_i24_e32 v81, v170, v69
	s_delay_alu instid0(VALU_DEP_3) | instskip(SKIP_2) | instid1(VALU_DEP_3)
	v_add3_u32 v75, v75, v76, v77
	v_mul_i32_i24_e32 v76, v163, v70
	v_mul_i32_i24_e32 v77, v164, v212
	v_add3_u32 v75, v75, v80, v81
	v_mul_i32_i24_e32 v80, v165, v101
	v_mul_i32_i24_e32 v81, v166, v103
	s_delay_alu instid0(VALU_DEP_3) | instskip(SKIP_1) | instid1(VALU_DEP_2)
	v_add3_u32 v75, v75, v76, v77
	v_mul_i32_i24_e32 v76, v159, v237
	v_add3_u32 v75, v75, v80, v81
	v_mul_i32_i24_e32 v80, v161, v236
	v_mul_i32_i24_e32 v81, v162, v238
	s_waitcnt vmcnt(0)
	v_mul_i32_i24_e32 v77, v160, v5
	scratch_load_b32 v5, off, off offset:172 ; 4-byte Folded Reload
	v_add3_u32 v75, v75, v76, v77
	v_mul_i32_i24_e32 v76, v211, v244
	v_mul_i32_i24_e32 v77, v21, v245
	s_delay_alu instid0(VALU_DEP_3) | instskip(SKIP_2) | instid1(VALU_DEP_3)
	v_add3_u32 v75, v75, v80, v81
	v_mul_i32_i24_e32 v80, v157, v248
	v_mul_i32_i24_e32 v81, v158, v235
	v_add3_u32 v75, v75, v76, v77
	v_mul_i32_i24_e32 v77, v126, v252
	s_delay_alu instid0(VALU_DEP_2)
	v_add3_u32 v75, v75, v80, v81
	v_mul_i32_i24_e32 v80, v4, v253
	s_waitcnt vmcnt(0)
	v_mul_i32_i24_e32 v76, v62, v5
	scratch_load_b32 v5, off, off offset:184 ; 4-byte Folded Reload
	v_add3_u32 v75, v75, v76, v77
	v_mul_i32_i24_e32 v76, v0, v255
	s_waitcnt vmcnt(0)
	v_mul_i32_i24_e32 v81, v153, v5
	scratch_load_b32 v5, off, off offset:196 ; 4-byte Folded Reload
	v_add3_u32 v75, v75, v80, v81
	s_waitcnt vmcnt(0)
	v_mul_i32_i24_e32 v77, v1, v5
	scratch_load_b32 v5, off, off offset:188 ; 4-byte Folded Reload
	v_add3_u32 v75, v75, v76, v77
	v_mul_i32_i24_e32 v76, v189, v50
	v_mul_i32_i24_e32 v77, v190, v102
	s_clause 0x1
	scratch_load_b32 v189, off, off offset:712
	scratch_load_b32 v190, off, off offset:716
	s_waitcnt vmcnt(2)
	v_mul_i32_i24_e32 v80, v42, v5
	scratch_load_b32 v5, off, off offset:180 ; 4-byte Folded Reload
	s_waitcnt vmcnt(2)
	v_mul_i32_i24_e32 v0, v0, v189
	s_waitcnt vmcnt(1)
	v_mul_i32_i24_e32 v1, v1, v190
	;; [unrolled: 2-line block ×3, first 2 shown]
	scratch_load_b32 v5, off, off offset:192 ; 4-byte Folded Reload
	v_add3_u32 v75, v75, v80, v81
	s_waitcnt vmcnt(0)
	s_delay_alu instid0(VALU_DEP_1) | instskip(SKIP_2) | instid1(VALU_DEP_1)
	v_mul_lo_u32 v75, v75, v5
	scratch_load_b32 v5, off, off offset:200 ; 4-byte Folded Reload
	v_cvt_f32_i32_e32 v75, v75
	v_fma_mix_f32 v71, v3, v75, v71 op_sel_hi:[1,0,0]
	v_mul_i32_i24_e32 v75, v210, v44
	s_waitcnt vmcnt(0)
	v_fma_mix_f32 v74, v5, v3, v74 op_sel:[0,1,0] op_sel_hi:[0,1,0]
	v_dual_mov_b32 v5, v114 :: v_dual_mov_b32 v222, v108
	s_delay_alu instid0(VALU_DEP_2) | instskip(NEXT) | instid1(VALU_DEP_1)
	v_mul_f32_e32 v74, v74, v66
	v_fma_f32 v71, v71, v58, -v74
	v_mul_i32_i24_e32 v74, v209, v56
	v_mov_b32_e32 v209, v123
	s_delay_alu instid0(VALU_DEP_3)
	v_add_f32_e32 v7, v7, v71
	v_mul_i32_i24_e32 v71, v208, v254
	v_mov_b32_e32 v208, v11
	scratch_load_b32 v11, off, off offset:232 ; 4-byte Folded Reload
	v_mad_i32_i24 v71, v207, v249, v71
	v_dual_mov_b32 v207, v125 :: v_dual_mov_b32 v218, v116
	s_delay_alu instid0(VALU_DEP_2)
	v_add3_u32 v71, v71, v74, v75
	v_mul_i32_i24_e32 v74, v187, v100
	v_mul_i32_i24_e32 v75, v188, v43
	s_clause 0x1
	scratch_load_b32 v188, off, off offset:1008
	scratch_load_b32 v187, off, off offset:1004
	v_mov_b32_e32 v250, v133
	v_add3_u32 v71, v71, v74, v75
	v_mul_i32_i24_e32 v74, v183, v141
	v_mul_i32_i24_e32 v75, v184, v29
	s_delay_alu instid0(VALU_DEP_3) | instskip(SKIP_2) | instid1(VALU_DEP_3)
	v_add3_u32 v71, v71, v76, v77
	v_mul_i32_i24_e32 v76, v185, v34
	v_mul_i32_i24_e32 v77, v186, v84
	v_add3_u32 v71, v71, v74, v75
	v_mul_i32_i24_e32 v74, v171, v40
	v_mul_i32_i24_e32 v75, v180, v85
	s_delay_alu instid0(VALU_DEP_3) | instskip(SKIP_2) | instid1(VALU_DEP_3)
	v_add3_u32 v71, v71, v76, v77
	v_mul_i32_i24_e32 v76, v181, v86
	v_mul_i32_i24_e32 v77, v182, v87
	v_add3_u32 v71, v71, v74, v75
	v_mul_i32_i24_e32 v74, v203, v88
	v_mul_i32_i24_e32 v75, v204, v89
	v_mov_b32_e32 v203, v130
	s_delay_alu instid0(VALU_DEP_4) | instskip(SKIP_3) | instid1(VALU_DEP_4)
	v_add3_u32 v71, v71, v76, v77
	v_mul_i32_i24_e32 v76, v205, v90
	v_mul_i32_i24_e32 v77, v206, v92
	v_mov_b32_e32 v205, v128
	v_add3_u32 v71, v71, v74, v75
	v_mul_i32_i24_e32 v74, v199, v91
	v_mul_i32_i24_e32 v75, v200, v93
	s_clause 0x1
	scratch_load_b32 v199, off, off offset:828
	scratch_load_b32 v200, off, off offset:832
	v_add3_u32 v71, v71, v76, v77
	v_mul_i32_i24_e32 v77, v202, v95
	scratch_load_b32 v202, off, off offset:996 ; 4-byte Folded Reload
	v_mul_i32_i24_e32 v76, v201, v94
	v_mov_b32_e32 v78, v22
	v_add3_u32 v71, v71, v74, v75
	v_mul_i32_i24_e32 v74, v195, v96
	v_mul_i32_i24_e32 v75, v196, v97
	s_clause 0x1
	scratch_load_b32 v195, off, off offset:808
	scratch_load_b32 v196, off, off offset:812
	v_add3_u32 v71, v71, v76, v77
	v_mul_i32_i24_e32 v76, v197, v98
	v_mul_i32_i24_e32 v77, v198, v99
	s_clause 0x1
	scratch_load_b32 v197, off, off offset:824
	scratch_load_b32 v198, off, off offset:820
	;; [unrolled: 6-line block ×4, first 2 shown]
	v_add3_u32 v71, v71, v74, v75
	v_mul_i32_i24_e32 v74, v178, v114
	v_mul_i32_i24_e32 v75, v179, v111
	v_mov_b32_e32 v210, v124
	v_mov_b32_e32 v206, v129
	v_add3_u32 v71, v71, v76, v77
	v_mul_i32_i24_e32 v76, v174, v118
	v_mul_i32_i24_e32 v77, v175, v117
	v_dual_mov_b32 v201, v132 :: v_dual_mov_b32 v204, v131
	s_delay_alu instid0(VALU_DEP_4)
	v_mul_lo_u32 v71, v71, v83
	v_mov_b32_e32 v226, v111
	v_mov_b32_e32 v106, v117
	;; [unrolled: 1-line block ×3, first 2 shown]
	scratch_load_b32 v22, off, off offset:276 ; 4-byte Folded Reload
	v_cvt_f32_i32_e32 v71, v71
	s_delay_alu instid0(VALU_DEP_1) | instskip(SKIP_2) | instid1(VALU_DEP_2)
	v_fma_mix_f32 v171, v2, v71, 0 op_sel_hi:[1,0,0]
	v_mul_i32_i24_e32 v71, v177, v112
	v_fma_mix_f32 v2, v108, v2, 0 op_sel:[0,1,0] op_sel_hi:[0,1,0]
	v_mad_i32_i24 v71, v176, v116, v71
	s_delay_alu instid0(VALU_DEP_1) | instskip(SKIP_2) | instid1(VALU_DEP_1)
	v_add3_u32 v71, v71, v74, v75
	v_mul_i32_i24_e32 v74, v172, v119
	v_mul_i32_i24_e32 v75, v173, v120
	v_add3_u32 v71, v71, v74, v75
	v_mul_i32_i24_e32 v74, v167, v209
	v_mul_i32_i24_e32 v75, v168, v210
	s_delay_alu instid0(VALU_DEP_3) | instskip(SKIP_2) | instid1(VALU_DEP_3)
	v_add3_u32 v71, v71, v76, v77
	v_mul_i32_i24_e32 v76, v169, v73
	v_mul_i32_i24_e32 v77, v170, v78
	v_add3_u32 v71, v71, v74, v75
	v_mul_i32_i24_e32 v74, v163, v205
	v_mul_i32_i24_e32 v75, v164, v206
	s_delay_alu instid0(VALU_DEP_3) | instskip(SKIP_2) | instid1(VALU_DEP_3)
	v_add3_u32 v71, v71, v76, v77
	v_mul_i32_i24_e32 v76, v165, v207
	v_mul_i32_i24_e32 v77, v166, v208
	v_add3_u32 v71, v71, v74, v75
	v_mul_i32_i24_e32 v74, v159, v201
	s_delay_alu instid0(VALU_DEP_2) | instskip(SKIP_4) | instid1(VALU_DEP_1)
	v_add3_u32 v71, v71, v76, v77
	v_mul_i32_i24_e32 v76, v161, v203
	v_mul_i32_i24_e32 v77, v162, v204
	s_waitcnt vmcnt(9)
	v_mul_i32_i24_e32 v75, v160, v202
	v_add3_u32 v71, v71, v74, v75
	s_waitcnt vmcnt(8)
	v_mul_i32_i24_e32 v4, v4, v195
	s_delay_alu instid0(VALU_DEP_2)
	v_add3_u32 v71, v71, v76, v77
	s_waitcnt vmcnt(6)
	v_mul_i32_i24_e32 v74, v211, v197
	s_waitcnt vmcnt(5)
	v_mul_i32_i24_e32 v75, v21, v198
	v_mul_i32_i24_e32 v76, v157, v199
	;; [unrolled: 1-line block ×3, first 2 shown]
	v_mov_b32_e32 v211, v10
	s_waitcnt vmcnt(4)
	v_mul_i32_i24_e32 v42, v42, v191
	v_add3_u32 v71, v71, v74, v75
	v_mul_i32_i24_e32 v75, v153, v196
	s_waitcnt vmcnt(3)
	v_mul_i32_i24_e32 v45, v45, v192
	scratch_load_b32 v21, off, off offset:292 ; 4-byte Folded Reload
	s_waitcnt vmcnt(3)
	v_mul_i32_i24_e32 v62, v62, v193
	v_add3_u32 v71, v71, v76, v77
	s_waitcnt vmcnt(2)
	v_mul_i32_i24_e32 v74, v126, v194
	s_delay_alu instid0(VALU_DEP_1) | instskip(NEXT) | instid1(VALU_DEP_1)
	v_add3_u32 v62, v71, v62, v74
	v_add3_u32 v4, v62, v4, v75
	s_delay_alu instid0(VALU_DEP_1) | instskip(SKIP_1) | instid1(VALU_DEP_2)
	v_add3_u32 v0, v4, v0, v1
	v_fma_mix_f32 v1, v187, v3, v2 op_sel:[0,1,0] op_sel_hi:[0,1,0]
	v_add3_u32 v0, v0, v42, v45
	s_delay_alu instid0(VALU_DEP_2) | instskip(NEXT) | instid1(VALU_DEP_2)
	v_mul_f32_e32 v1, v1, v251
	v_mul_lo_u32 v0, v0, v188
	s_delay_alu instid0(VALU_DEP_1) | instskip(NEXT) | instid1(VALU_DEP_1)
	v_cvt_f32_i32_e32 v0, v0
	v_fma_mix_f32 v0, v3, v0, v171 op_sel_hi:[1,0,0]
	s_delay_alu instid0(VALU_DEP_1)
	v_fma_f32 v0, v0, v250, -v1
	scratch_load_b32 v1, off, off offset:1140 ; 4-byte Folded Reload
	s_waitcnt vmcnt(0)
	v_add_f32_e32 v1, v1, v0
	scratch_store_b32 off, v7, off offset:1144 ; 4-byte Folded Spill
	s_clause 0x1
	scratch_load_b32 v7, off, off
	scratch_load_b32 v0, off, off
	s_clause 0x1
	scratch_store_b32 off, v54, off offset:988
	scratch_store_b32 off, v1, off offset:1140
	v_mov_b32_e32 v54, v112
	s_waitcnt vmcnt(1)
	ds_load_b128 v[153:156], v7 offset:6176
	scratch_load_b32 v7, off, off           ; 4-byte Folded Reload
	s_waitcnt vmcnt(1)
	ds_load_b128 v[0:3], v0 offset:6144
	s_waitcnt lgkmcnt(1)
	v_bfe_i32 v129, v153, 0, 8
	v_bfe_i32 v130, v153, 8, 8
	v_bfe_i32 v131, v153, 16, 8
	v_ashrrev_i32_e32 v132, 24, v153
	v_bfe_i32 v133, v154, 0, 8
	v_bfe_i32 v157, v154, 8, 8
	v_bfe_i32 v158, v154, 16, 8
	v_ashrrev_i32_e32 v159, 24, v154
	;; [unrolled: 4-line block ×4, first 2 shown]
	s_waitcnt lgkmcnt(0)
	v_bfe_i32 v45, v0, 16, 8
	v_bfe_i32 v4, v0, 0, 8
	;; [unrolled: 1-line block ×3, first 2 shown]
	v_ashrrev_i32_e32 v62, 24, v0
	v_bfe_i32 v71, v1, 0, 8
	v_bfe_i32 v74, v1, 8, 8
	v_mul_i32_i24_e32 v180, v4, v6
	scratch_load_b32 v6, off, off offset:472 ; 4-byte Folded Reload
	v_ashrrev_i32_e32 v76, 24, v1
	v_bfe_i32 v77, v2, 0, 8
	v_bfe_i32 v80, v2, 8, 8
	v_bfe_i32 v75, v1, 16, 8
	v_bfe_i32 v81, v2, 16, 8
	v_ashrrev_i32_e32 v82, 24, v2
	v_bfe_i32 v83, v3, 0, 8
	scratch_load_b32 v0, off, off           ; 4-byte Folded Reload
	v_bfe_i32 v108, v3, 8, 8
	v_bfe_i32 v109, v3, 16, 8
	v_ashrrev_i32_e32 v110, 24, v3
	v_mul_i32_i24_e32 v186, v159, v145
	s_waitcnt vmcnt(2)
	ds_load_b128 v[153:156], v7 offset:6192
	scratch_load_b32 v7, off, off offset:332 ; 4-byte Folded Reload
	s_waitcnt lgkmcnt(0)
	v_bfe_i32 v168, v153, 0, 8
	v_bfe_i32 v169, v153, 8, 8
	;; [unrolled: 1-line block ×3, first 2 shown]
	v_ashrrev_i32_e32 v153, 24, v153
	v_bfe_i32 v171, v154, 0, 8
	v_bfe_i32 v172, v154, 8, 8
	;; [unrolled: 1-line block ×5, first 2 shown]
	v_ashrrev_i32_e32 v154, 24, v154
	v_bfe_i32 v176, v155, 16, 8
	v_ashrrev_i32_e32 v155, 24, v155
	v_bfe_i32 v177, v156, 0, 8
	v_bfe_i32 v178, v156, 8, 8
	;; [unrolled: 1-line block ×3, first 2 shown]
	v_ashrrev_i32_e32 v156, 24, v156
	s_waitcnt vmcnt(2)
	v_mul_i32_i24_e32 v182, v62, v6
	scratch_load_b32 v6, off, off offset:412 ; 4-byte Folded Reload
	s_waitcnt vmcnt(2)
	ds_load_b128 v[0:3], v0 offset:6160
	s_waitcnt lgkmcnt(0)
	v_ashrrev_i32_e32 v116, 24, v0
	v_bfe_i32 v111, v0, 0, 8
	v_bfe_i32 v112, v0, 8, 8
	;; [unrolled: 1-line block ×6, first 2 shown]
	v_ashrrev_i32_e32 v120, 24, v1
	v_bfe_i32 v121, v2, 0, 8
	v_bfe_i32 v122, v2, 8, 8
	;; [unrolled: 1-line block ×3, first 2 shown]
	v_ashrrev_i32_e32 v124, 24, v2
	v_bfe_i32 v125, v3, 0, 8
	v_bfe_i32 v126, v3, 8, 8
	;; [unrolled: 1-line block ×3, first 2 shown]
	v_ashrrev_i32_e32 v128, 24, v3
	scratch_load_b32 v0, off, off offset:224 ; 4-byte Folded Reload
	s_waitcnt vmcnt(2)
	v_mul_i32_i24_e32 v181, v45, v7
	scratch_load_b32 v7, off, off offset:336 ; 4-byte Folded Reload
	s_waitcnt vmcnt(2)
	v_mul_i32_i24_e32 v183, v75, v6
	v_mov_b32_e32 v6, v17
	scratch_load_b32 v17, off, off offset:248 ; 4-byte Folded Reload
	s_waitcnt vmcnt(2)
	ds_load_2addr_b64 v[0:3], v0 offset0:96 offset1:112
	s_waitcnt vmcnt(1)
	v_mad_i32_i24 v180, v42, v7, v180
	scratch_load_b32 v7, off, off offset:740 ; 4-byte Folded Reload
	v_add3_u32 v180, v180, v181, v182
	s_waitcnt vmcnt(0)
	v_mul_i32_i24_e32 v181, v71, v7
	scratch_load_b32 v7, off, off offset:744 ; 4-byte Folded Reload
	s_waitcnt vmcnt(0)
	v_mul_i32_i24_e32 v182, v74, v7
	scratch_load_b32 v7, off, off offset:392 ; 4-byte Folded Reload
	v_add3_u32 v180, v180, v181, v182
	s_waitcnt vmcnt(0)
	v_mul_i32_i24_e32 v184, v76, v7
	scratch_load_b32 v7, off, off offset:748 ; 4-byte Folded Reload
	v_add3_u32 v180, v180, v183, v184
	s_waitcnt vmcnt(0)
	v_mul_i32_i24_e32 v181, v77, v7
	scratch_load_b32 v7, off, off offset:992 ; 4-byte Folded Reload
	s_waitcnt vmcnt(0)
	v_mul_i32_i24_e32 v182, v80, v7
	scratch_load_b32 v7, off, off offset:752 ; 4-byte Folded Reload
	v_add3_u32 v180, v180, v181, v182
	s_waitcnt vmcnt(0)
	v_mul_i32_i24_e32 v183, v81, v7
	scratch_load_b32 v7, off, off offset:760 ; 4-byte Folded Reload
	s_waitcnt vmcnt(0)
	v_mul_i32_i24_e32 v184, v82, v7
	scratch_load_b32 v7, off, off offset:756 ; 4-byte Folded Reload
	v_add3_u32 v180, v180, v183, v184
	v_mul_i32_i24_e32 v184, v110, v135
	s_waitcnt vmcnt(0)
	v_mul_i32_i24_e32 v181, v83, v7
	scratch_load_b32 v7, off, off offset:764 ; 4-byte Folded Reload
	s_waitcnt vmcnt(0)
	v_mul_i32_i24_e32 v182, v108, v7
	scratch_load_b32 v7, off, off offset:400 ; 4-byte Folded Reload
	v_add3_u32 v180, v180, v181, v182
	v_mul_i32_i24_e32 v181, v111, v136
	v_mul_i32_i24_e32 v182, v112, v137
	s_waitcnt vmcnt(0)
	v_mul_i32_i24_e32 v183, v109, v7
	scratch_load_b32 v7, off, off offset:780 ; 4-byte Folded Reload
	v_add3_u32 v180, v180, v183, v184
	v_mul_i32_i24_e32 v184, v116, v10
	v_mov_b32_e32 v10, v15
	scratch_load_b32 v15, off, off offset:264 ; 4-byte Folded Reload
	v_mul_i32_i24_e32 v183, v114, v6
	v_add3_u32 v180, v180, v181, v182
	v_mul_i32_i24_e32 v181, v117, v20
	v_mul_i32_i24_e32 v182, v118, v28
	s_delay_alu instid0(VALU_DEP_3) | instskip(SKIP_2) | instid1(VALU_DEP_3)
	v_add3_u32 v180, v180, v183, v184
	v_mul_i32_i24_e32 v183, v119, v10
	v_mul_i32_i24_e32 v184, v120, v11
	v_add3_u32 v180, v180, v181, v182
	v_mul_i32_i24_e32 v181, v121, v12
	v_mul_i32_i24_e32 v182, v122, v224
	s_delay_alu instid0(VALU_DEP_3) | instskip(SKIP_2) | instid1(VALU_DEP_3)
	v_add3_u32 v180, v180, v183, v184
	v_mul_i32_i24_e32 v183, v123, v13
	v_mul_i32_i24_e32 v184, v124, v14
	v_add3_u32 v180, v180, v181, v182
	v_mul_i32_i24_e32 v181, v125, v227
	s_delay_alu instid0(VALU_DEP_2) | instskip(SKIP_4) | instid1(VALU_DEP_1)
	v_add3_u32 v180, v180, v183, v184
	v_mul_i32_i24_e32 v183, v127, v16
	v_mul_i32_i24_e32 v184, v128, v17
	s_waitcnt vmcnt(0)
	v_mul_i32_i24_e32 v182, v126, v15
	v_add3_u32 v180, v180, v181, v182
	v_mul_i32_i24_e32 v182, v129, v22
	s_waitcnt lgkmcnt(0)
	v_fma_mix_f32 v181, v21, v0, 0 op_sel:[0,1,0] op_sel_hi:[0,1,0]
	s_delay_alu instid0(VALU_DEP_3)
	v_add3_u32 v180, v180, v183, v184
	v_mul_i32_i24_e32 v184, v132, v7
	scratch_load_b32 v7, off, off offset:600 ; 4-byte Folded Reload
	v_mul_i32_i24_e32 v183, v131, v23
	v_mad_i32_i24 v182, v130, v24, v182
	v_mul_lo_u32 v180, v180, v18
	s_delay_alu instid0(VALU_DEP_2) | instskip(NEXT) | instid1(VALU_DEP_2)
	v_add3_u32 v182, v182, v183, v184
	v_cvt_f32_i32_e32 v180, v180
	s_delay_alu instid0(VALU_DEP_1)
	v_fma_mix_f32 v180, v0, v180, 0 op_sel_hi:[1,0,0]
	s_waitcnt vmcnt(0)
	v_mul_i32_i24_e32 v183, v133, v7
	scratch_load_b32 v7, off, off offset:460 ; 4-byte Folded Reload
	s_waitcnt vmcnt(0)
	v_mul_i32_i24_e32 v184, v157, v7
	scratch_load_b32 v7, off, off offset:456 ; 4-byte Folded Reload
	v_add3_u32 v182, v182, v183, v184
	s_waitcnt vmcnt(0)
	v_mul_i32_i24_e32 v185, v158, v7
	scratch_load_b32 v7, off, off offset:464 ; 4-byte Folded Reload
	v_add3_u32 v182, v182, v185, v186
	v_mul_i32_i24_e32 v186, v163, v148
	s_waitcnt vmcnt(0)
	v_mul_i32_i24_e32 v183, v160, v7
	scratch_load_b32 v7, off, off offset:468 ; 4-byte Folded Reload
	s_waitcnt vmcnt(0)
	v_mul_i32_i24_e32 v184, v161, v7
	scratch_load_b32 v7, off, off offset:792 ; 4-byte Folded Reload
	v_add3_u32 v182, v182, v183, v184
	v_mul_i32_i24_e32 v183, v164, v25
	v_mul_i32_i24_e32 v184, v165, v52
	s_waitcnt vmcnt(0)
	v_mul_i32_i24_e32 v185, v162, v7
	scratch_load_b32 v7, off, off offset:476 ; 4-byte Folded Reload
	v_add3_u32 v182, v182, v185, v186
	v_mul_i32_i24_e32 v185, v166, v213
	s_delay_alu instid0(VALU_DEP_2)
	v_add3_u32 v182, v182, v183, v184
	v_mul_i32_i24_e32 v184, v169, v26
	s_waitcnt vmcnt(0)
	v_mul_i32_i24_e32 v186, v167, v7
	scratch_load_b32 v7, off, off offset:796 ; 4-byte Folded Reload
	v_add3_u32 v182, v182, v185, v186
	v_mul_i32_i24_e32 v185, v170, v9
	v_mul_i32_i24_e32 v186, v153, v47
	s_waitcnt vmcnt(0)
	v_mul_i32_i24_e32 v183, v168, v7
	scratch_load_b32 v7, off, off offset:788 ; 4-byte Folded Reload
	v_add3_u32 v182, v182, v183, v184
	v_mul_i32_i24_e32 v183, v171, v48
	v_mul_i32_i24_e32 v184, v172, v143
	v_mov_b32_e32 v48, v49
	s_delay_alu instid0(VALU_DEP_4)
	v_add3_u32 v182, v182, v185, v186
	v_mul_i32_i24_e32 v185, v173, v49
	v_mul_i32_i24_e32 v186, v154, v57
	v_mov_b32_e32 v49, v32
	v_mov_b32_e32 v32, v72
	v_add3_u32 v182, v182, v183, v184
	scratch_load_b32 v72, off, off offset:284 ; 4-byte Folded Reload
	v_add3_u32 v182, v182, v185, v186
	v_mul_i32_i24_e32 v185, v176, v144
	s_waitcnt vmcnt(1)
	v_mul_i32_i24_e32 v183, v174, v7
	scratch_load_b32 v7, off, off offset:784 ; 4-byte Folded Reload
	s_waitcnt vmcnt(0)
	v_mul_i32_i24_e32 v184, v175, v7
	scratch_load_b32 v7, off, off offset:212 ; 4-byte Folded Reload
	v_add3_u32 v182, v182, v183, v184
	s_waitcnt vmcnt(0)
	v_mul_i32_i24_e32 v186, v155, v7
	scratch_load_b32 v7, off, off offset:584 ; 4-byte Folded Reload
	v_add3_u32 v182, v182, v185, v186
	s_waitcnt vmcnt(0)
	v_mul_i32_i24_e32 v183, v177, v7
	scratch_load_b32 v7, off, off offset:216 ; 4-byte Folded Reload
	s_waitcnt vmcnt(0)
	v_mul_i32_i24_e32 v184, v178, v7
	scratch_load_b32 v7, off, off offset:588 ; 4-byte Folded Reload
	v_add3_u32 v182, v182, v183, v184
	s_waitcnt vmcnt(0)
	v_mul_i32_i24_e32 v185, v179, v7
	scratch_load_b32 v7, off, off offset:220 ; 4-byte Folded Reload
	s_waitcnt vmcnt(0)
	v_mul_i32_i24_e32 v186, v156, v7
	scratch_load_b32 v7, off, off offset:592 ; 4-byte Folded Reload
	v_add3_u32 v182, v182, v185, v186
	s_waitcnt vmcnt(0)
	s_delay_alu instid0(VALU_DEP_1) | instskip(SKIP_2) | instid1(VALU_DEP_1)
	v_mul_lo_u32 v182, v182, v7
	scratch_load_b32 v7, off, off offset:596 ; 4-byte Folded Reload
	v_cvt_f32_i32_e32 v182, v182
	v_fma_mix_f32 v180, v1, v182, v180 op_sel_hi:[1,0,0]
	v_mul_i32_i24_e32 v182, v62, v79
	s_waitcnt vmcnt(0)
	v_fma_mix_f32 v181, v7, v1, v181 op_sel:[0,1,0] op_sel_hi:[0,1,0]
	scratch_load_b32 v7, off, off offset:1164 ; 4-byte Folded Reload
	v_mul_f32_e32 v181, v181, v146
	s_delay_alu instid0(VALU_DEP_1)
	v_fma_f32 v180, v180, v147, -v181
	v_mul_i32_i24_e32 v181, v45, v27
	v_mov_b32_e32 v27, v35
	v_mov_b32_e32 v35, v225
	scratch_load_b32 v225, off, off offset:280 ; 4-byte Folded Reload
	s_waitcnt vmcnt(1)
	v_add_f32_e32 v7, v7, v180
	v_mul_i32_i24_e32 v180, v4, v246
	scratch_store_b32 off, v7, off offset:1164 ; 4-byte Folded Spill
	scratch_load_b32 v7, off, off offset:372 ; 4-byte Folded Reload
	v_mad_i32_i24 v180, v42, v46, v180
	s_delay_alu instid0(VALU_DEP_1)
	v_add3_u32 v180, v180, v181, v182
	s_waitcnt vmcnt(0)
	v_mul_i32_i24_e32 v181, v71, v7
	scratch_load_b32 v7, off, off offset:988 ; 4-byte Folded Reload
	s_waitcnt vmcnt(0)
	v_mul_i32_i24_e32 v182, v74, v7
	scratch_load_b32 v7, off, off offset:112 ; 4-byte Folded Reload
	v_add3_u32 v180, v180, v181, v182
	s_waitcnt vmcnt(0)
	v_mul_i32_i24_e32 v183, v75, v7
	scratch_load_b32 v7, off, off offset:116 ; 4-byte Folded Reload
	s_waitcnt vmcnt(0)
	v_mul_i32_i24_e32 v184, v76, v7
	scratch_load_b32 v7, off, off offset:76 ; 4-byte Folded Reload
	;; [unrolled: 7-line block ×4, first 2 shown]
	v_add3_u32 v180, v180, v183, v184
	v_mul_i32_i24_e32 v183, v109, v27
	s_waitcnt vmcnt(0)
	v_mul_i32_i24_e32 v181, v83, v7
	scratch_load_b32 v7, off, off offset:168 ; 4-byte Folded Reload
	s_waitcnt vmcnt(0)
	v_mul_i32_i24_e32 v182, v108, v7
	scratch_load_b32 v7, off, off offset:768 ; 4-byte Folded Reload
	v_add3_u32 v180, v180, v181, v182
	s_waitcnt vmcnt(0)
	v_mul_i32_i24_e32 v184, v110, v7
	scratch_load_b32 v7, off, off offset:448 ; 4-byte Folded Reload
	v_add3_u32 v180, v180, v183, v184
	v_mul_i32_i24_e32 v183, v114, v35
	s_waitcnt vmcnt(0)
	v_mul_i32_i24_e32 v181, v111, v7
	scratch_load_b32 v7, off, off offset:164 ; 4-byte Folded Reload
	s_waitcnt vmcnt(0)
	v_mul_i32_i24_e32 v182, v112, v7
	scratch_load_b32 v7, off, off offset:444 ; 4-byte Folded Reload
	v_add3_u32 v180, v180, v181, v182
	v_mul_i32_i24_e32 v182, v118, v41
	s_waitcnt vmcnt(0)
	v_mul_i32_i24_e32 v184, v116, v7
	scratch_load_b32 v7, off, off offset:124 ; 4-byte Folded Reload
	v_add3_u32 v180, v180, v183, v184
	v_mul_i32_i24_e32 v184, v120, v225
	;; [unrolled: 5-line block ×3, first 2 shown]
	s_waitcnt vmcnt(0)
	v_mul_i32_i24_e32 v183, v119, v7
	scratch_load_b32 v7, off, off offset:132 ; 4-byte Folded Reload
	v_add3_u32 v180, v180, v183, v184
	s_waitcnt vmcnt(0)
	v_mul_i32_i24_e32 v181, v121, v7
	scratch_load_b32 v7, off, off offset:440 ; 4-byte Folded Reload
	v_add3_u32 v180, v180, v181, v182
	v_mul_i32_i24_e32 v181, v125, v49
	s_waitcnt vmcnt(0)
	v_mul_i32_i24_e32 v183, v123, v7
	scratch_load_b32 v7, off, off offset:160 ; 4-byte Folded Reload
	s_waitcnt vmcnt(0)
	v_mul_i32_i24_e32 v184, v124, v7
	scratch_load_b32 v7, off, off offset:452 ; 4-byte Folded Reload
	v_add3_u32 v180, v180, v183, v184
	v_mul_i32_i24_e32 v183, v127, v32
	v_mul_i32_i24_e32 v184, v128, v72
	s_waitcnt vmcnt(0)
	v_mul_i32_i24_e32 v182, v126, v7
	scratch_load_b32 v7, off, off offset:176 ; 4-byte Folded Reload
	v_add3_u32 v180, v180, v181, v182
	s_delay_alu instid0(VALU_DEP_1) | instskip(SKIP_1) | instid1(VALU_DEP_1)
	v_add3_u32 v180, v180, v183, v184
	s_waitcnt vmcnt(0)
	v_mul_lo_u32 v180, v180, v7
	scratch_load_b32 v7, off, off offset:420 ; 4-byte Folded Reload
	v_cvt_f32_i32_e32 v180, v180
	s_delay_alu instid0(VALU_DEP_1)
	v_fma_mix_f32 v180, v0, v180, 0 op_sel_hi:[1,0,0]
	s_waitcnt vmcnt(0)
	v_fma_mix_f32 v181, v7, v0, 0 op_sel:[0,1,0] op_sel_hi:[0,1,0]
	scratch_load_b32 v7, off, off offset:404 ; 4-byte Folded Reload
	s_waitcnt vmcnt(0)
	v_mul_i32_i24_e32 v182, v129, v7
	scratch_load_b32 v7, off, off offset:340 ; 4-byte Folded Reload
	s_waitcnt vmcnt(0)
	v_mul_i32_i24_e32 v183, v131, v7
	;; [unrolled: 3-line block ×3, first 2 shown]
	scratch_load_b32 v7, off, off offset:408 ; 4-byte Folded Reload
	s_waitcnt vmcnt(0)
	v_mad_i32_i24 v182, v130, v7, v182
	scratch_load_b32 v7, off, off offset:388 ; 4-byte Folded Reload
	v_add3_u32 v182, v182, v183, v184
	s_waitcnt vmcnt(0)
	v_mul_i32_i24_e32 v183, v133, v7
	scratch_load_b32 v7, off, off offset:144 ; 4-byte Folded Reload
	s_waitcnt vmcnt(0)
	v_mul_i32_i24_e32 v184, v157, v7
	scratch_load_b32 v7, off, off offset:80 ; 4-byte Folded Reload
	v_add3_u32 v182, v182, v183, v184
	s_waitcnt vmcnt(0)
	v_mul_i32_i24_e32 v185, v158, v7
	scratch_load_b32 v7, off, off offset:348 ; 4-byte Folded Reload
	s_waitcnt vmcnt(0)
	v_mul_i32_i24_e32 v186, v159, v7
	;; [unrolled: 7-line block ×13, first 2 shown]
	scratch_load_b32 v7, off, off offset:428 ; 4-byte Folded Reload
	v_add3_u32 v182, v182, v183, v184
	v_mul_i32_i24_e32 v183, v75, v219
	v_mul_i32_i24_e32 v184, v76, v139
	v_mov_b32_e32 v139, v36
	s_waitcnt vmcnt(0)
	v_mul_i32_i24_e32 v185, v179, v7
	scratch_load_b32 v7, off, off offset:140 ; 4-byte Folded Reload
	s_waitcnt vmcnt(0)
	v_mul_i32_i24_e32 v186, v156, v7
	scratch_load_b32 v7, off, off offset:384 ; 4-byte Folded Reload
	v_add3_u32 v182, v182, v185, v186
	v_mul_i32_i24_e32 v185, v158, v61
	v_mul_i32_i24_e32 v186, v159, v64
	s_waitcnt vmcnt(0)
	s_delay_alu instid0(VALU_DEP_3) | instskip(SKIP_2) | instid1(VALU_DEP_1)
	v_mul_lo_u32 v182, v182, v7
	scratch_load_b32 v7, off, off offset:432 ; 4-byte Folded Reload
	v_cvt_f32_i32_e32 v182, v182
	v_fma_mix_f32 v180, v1, v182, v180 op_sel_hi:[1,0,0]
	s_waitcnt vmcnt(0)
	v_fma_mix_f32 v181, v7, v1, v181 op_sel:[0,1,0] op_sel_hi:[0,1,0]
	scratch_load_b32 v7, off, off offset:1160 ; 4-byte Folded Reload
	v_mul_f32_e32 v181, v181, v214
	s_delay_alu instid0(VALU_DEP_1) | instskip(SKIP_1) | instid1(VALU_DEP_1)
	v_fma_f32 v180, v180, v134, -v181
	s_waitcnt vmcnt(0)
	v_add_f32_e32 v7, v7, v180
	scratch_store_b32 off, v7, off offset:1160 ; 4-byte Folded Spill
	scratch_load_b32 v7, off, off offset:148 ; 4-byte Folded Reload
	s_waitcnt vmcnt(0)
	v_mul_i32_i24_e32 v180, v4, v7
	scratch_load_b32 v7, off, off offset:152 ; 4-byte Folded Reload
	v_mul_i32_i24_e32 v4, v4, v254
	s_delay_alu instid0(VALU_DEP_1)
	v_mad_i32_i24 v4, v42, v249, v4
	s_waitcnt vmcnt(0)
	v_mul_i32_i24_e32 v181, v45, v7
	scratch_load_b32 v7, off, off offset:436 ; 4-byte Folded Reload
	v_mul_i32_i24_e32 v45, v45, v56
	s_waitcnt vmcnt(0)
	v_mul_i32_i24_e32 v182, v62, v7
	scratch_load_b32 v7, off, off offset:156 ; 4-byte Folded Reload
	v_mul_i32_i24_e32 v62, v62, v44
	s_delay_alu instid0(VALU_DEP_1)
	v_add3_u32 v4, v4, v45, v62
	v_mul_i32_i24_e32 v45, v74, v43
	v_mul_i32_i24_e32 v62, v75, v50
	s_waitcnt vmcnt(0)
	v_mad_i32_i24 v180, v42, v7, v180
	scratch_load_b32 v7, off, off offset:204 ; 4-byte Folded Reload
	v_mul_i32_i24_e32 v42, v71, v100
	v_add3_u32 v180, v180, v181, v182
	v_mul_i32_i24_e32 v181, v71, v59
	v_mul_i32_i24_e32 v182, v74, v140
	s_delay_alu instid0(VALU_DEP_4)
	v_add3_u32 v4, v4, v42, v45
	v_mul_i32_i24_e32 v42, v77, v141
	v_mul_i32_i24_e32 v71, v76, v102
	;; [unrolled: 1-line block ×3, first 2 shown]
	v_add3_u32 v180, v180, v181, v182
	v_mul_i32_i24_e32 v181, v77, v30
	v_mul_i32_i24_e32 v182, v80, v31
	scratch_load_b32 v77, off, off offset:1184 ; 4-byte Folded Reload
	v_add3_u32 v4, v4, v62, v71
	v_add3_u32 v180, v180, v183, v184
	v_mul_i32_i24_e32 v183, v81, v33
	v_mul_i32_i24_e32 v184, v82, v39
	v_mul_i32_i24_e32 v62, v81, v34
	v_mul_i32_i24_e32 v71, v82, v84
	v_add3_u32 v180, v180, v181, v182
	v_mul_i32_i24_e32 v181, v83, v38
	v_mul_i32_i24_e32 v182, v108, v220
	v_add3_u32 v4, v4, v42, v45
	v_mul_i32_i24_e32 v42, v83, v40
	v_add3_u32 v180, v180, v183, v184
	v_mul_i32_i24_e32 v183, v109, v233
	v_mul_i32_i24_e32 v184, v110, v113
	v_add3_u32 v4, v4, v62, v71
	v_mul_i32_i24_e32 v45, v108, v85
	v_add3_u32 v180, v180, v181, v182
	v_mul_i32_i24_e32 v181, v111, v115
	v_mul_i32_i24_e32 v182, v112, v221
	v_mul_i32_i24_e32 v62, v109, v86
	v_mul_i32_i24_e32 v71, v110, v87
	v_add3_u32 v180, v180, v183, v184
	v_mul_i32_i24_e32 v183, v114, v51
	v_mul_i32_i24_e32 v184, v116, v149
	v_add3_u32 v4, v4, v42, v45
	v_mul_i32_i24_e32 v42, v111, v88
	v_add3_u32 v180, v180, v181, v182
	v_mul_i32_i24_e32 v181, v117, v107
	v_mul_i32_i24_e32 v182, v118, v241
	v_add3_u32 v4, v4, v62, v71
	v_mul_i32_i24_e32 v45, v112, v89
	;; [unrolled: 15-line block ×3, first 2 shown]
	v_add3_u32 v180, v180, v181, v182
	v_mul_i32_i24_e32 v181, v125, v150
	v_mul_i32_i24_e32 v182, v126, v152
	;; [unrolled: 1-line block ×4, first 2 shown]
	v_add3_u32 v180, v180, v183, v184
	v_mul_i32_i24_e32 v183, v127, v215
	v_mul_i32_i24_e32 v184, v128, v216
	v_add3_u32 v4, v4, v42, v45
	v_mov_b32_e32 v59, v60
	v_add3_u32 v180, v180, v181, v182
	v_mul_i32_i24_e32 v182, v129, v231
	v_fma_mix_f32 v181, v243, v0, 0 op_sel:[0,1,0] op_sel_hi:[0,1,0]
	v_add3_u32 v4, v4, v62, v71
	v_mul_i32_i24_e32 v42, v121, v96
	v_add3_u32 v180, v180, v183, v184
	v_mul_i32_i24_e32 v183, v131, v138
	v_mul_i32_i24_e32 v184, v132, v217
	v_mad_i32_i24 v182, v130, v247, v182
	v_mul_i32_i24_e32 v45, v122, v97
	v_mul_lo_u32 v180, v180, v239
	v_mul_i32_i24_e32 v62, v123, v98
	v_mul_i32_i24_e32 v71, v124, v99
	v_add3_u32 v182, v182, v183, v184
	v_mul_i32_i24_e32 v183, v133, v63
	v_mul_i32_i24_e32 v184, v157, v60
	v_dual_mov_b32 v60, v61 :: v_dual_mov_b32 v61, v64
	v_cvt_f32_i32_e32 v180, v180
	v_mov_b32_e32 v64, v67
	s_delay_alu instid0(VALU_DEP_4)
	v_add3_u32 v182, v182, v183, v184
	v_mul_i32_i24_e32 v183, v160, v65
	v_mul_i32_i24_e32 v184, v161, v67
	v_fma_mix_f32 v180, v0, v180, 0 op_sel_hi:[1,0,0]
	v_mov_b32_e32 v67, v69
	v_add3_u32 v182, v182, v185, v186
	v_mul_i32_i24_e32 v185, v162, v68
	v_mul_i32_i24_e32 v186, v163, v69
	v_add3_u32 v4, v4, v42, v45
	v_mul_i32_i24_e32 v45, v126, v19
	v_add3_u32 v182, v182, v183, v184
	v_mul_i32_i24_e32 v183, v164, v70
	v_mul_i32_i24_e32 v184, v165, v212
	v_add3_u32 v4, v4, v62, v71
	v_mul_i32_i24_e32 v62, v127, v55
	v_add3_u32 v182, v182, v185, v186
	v_mul_i32_i24_e32 v185, v166, v101
	v_mul_i32_i24_e32 v186, v167, v103
	v_mov_b32_e32 v127, v207
	v_mov_b32_e32 v111, v194
	v_add3_u32 v182, v182, v183, v184
	v_mul_i32_i24_e32 v183, v168, v237
	v_mov_b32_e32 v121, v202
	v_mov_b32_e32 v109, v192
	;; [unrolled: 1-line block ×3, first 2 shown]
	v_add3_u32 v182, v182, v185, v186
	v_mul_i32_i24_e32 v185, v170, v236
	v_mul_i32_i24_e32 v186, v153, v238
	;; [unrolled: 1-line block ×3, first 2 shown]
	v_mov_b32_e32 v117, v198
	v_mov_b32_e32 v119, v200
	v_dual_mov_b32 v83, v190 :: v_dual_mov_b32 v140, v219
	v_mov_b32_e32 v219, v51
	v_mov_b32_e32 v51, v107
	v_dual_mov_b32 v107, v138 :: v_dual_mov_b32 v138, v217
	v_mov_b32_e32 v217, v5
	v_dual_mov_b32 v81, v188 :: v_dual_mov_b32 v80, v187
	v_mov_b32_e32 v82, v189
	v_mov_b32_e32 v124, v205
	;; [unrolled: 1-line block ×9, first 2 shown]
	v_dual_mov_b32 v108, v191 :: v_dual_mov_b32 v115, v221
	v_mov_b32_e32 v221, v149
	v_mov_b32_e32 v149, v241
	v_dual_mov_b32 v241, v240 :: v_dual_mov_b32 v36, v151
	v_dual_mov_b32 v151, v150 :: v_dual_mov_b32 v150, v152
	;; [unrolled: 1-line block ×3, first 2 shown]
	v_mov_b32_e32 v216, v239
	v_mov_b32_e32 v239, v243
	;; [unrolled: 1-line block ×3, first 2 shown]
	v_dual_mov_b32 v247, v63 :: v_dual_mov_b32 v240, v242
	v_mov_b32_e32 v63, v65
	v_dual_mov_b32 v65, v68 :: v_dual_mov_b32 v68, v70
	v_mov_b32_e32 v70, v101
	s_waitcnt vmcnt(1)
	v_mul_i32_i24_e32 v184, v169, v7
	scratch_load_b32 v7, off, off offset:172 ; 4-byte Folded Reload
	v_add3_u32 v182, v182, v183, v184
	v_mul_i32_i24_e32 v183, v171, v244
	v_mul_i32_i24_e32 v184, v172, v245
	s_delay_alu instid0(VALU_DEP_3) | instskip(SKIP_2) | instid1(VALU_DEP_3)
	v_add3_u32 v182, v182, v185, v186
	v_mul_i32_i24_e32 v185, v173, v248
	v_mul_i32_i24_e32 v186, v154, v235
	v_add3_u32 v182, v182, v183, v184
	v_mul_i32_i24_e32 v184, v175, v252
	s_delay_alu instid0(VALU_DEP_2)
	v_add3_u32 v182, v182, v185, v186
	v_mul_i32_i24_e32 v185, v176, v253
	s_waitcnt vmcnt(0)
	v_mul_i32_i24_e32 v183, v174, v7
	scratch_load_b32 v7, off, off offset:184 ; 4-byte Folded Reload
	v_add3_u32 v182, v182, v183, v184
	v_mul_i32_i24_e32 v183, v177, v255
	s_waitcnt vmcnt(0)
	v_mul_i32_i24_e32 v186, v155, v7
	scratch_load_b32 v7, off, off offset:196 ; 4-byte Folded Reload
	v_add3_u32 v182, v182, v185, v186
	s_waitcnt vmcnt(0)
	v_mul_i32_i24_e32 v184, v178, v7
	scratch_load_b32 v7, off, off offset:188 ; 4-byte Folded Reload
	v_add3_u32 v182, v182, v183, v184
	s_waitcnt vmcnt(0)
	v_mul_i32_i24_e32 v185, v179, v7
	scratch_load_b32 v7, off, off offset:180 ; 4-byte Folded Reload
	s_waitcnt vmcnt(0)
	v_mul_i32_i24_e32 v186, v156, v7
	scratch_load_b32 v7, off, off offset:192 ; 4-byte Folded Reload
	v_add3_u32 v182, v182, v185, v186
	s_waitcnt vmcnt(0)
	s_delay_alu instid0(VALU_DEP_1) | instskip(SKIP_2) | instid1(VALU_DEP_1)
	v_mul_lo_u32 v182, v182, v7
	scratch_load_b32 v7, off, off offset:200 ; 4-byte Folded Reload
	v_cvt_f32_i32_e32 v182, v182
	v_fma_mix_f32 v180, v1, v182, v180 op_sel_hi:[1,0,0]
	s_waitcnt vmcnt(0)
	v_fma_mix_f32 v181, v7, v1, v181 op_sel:[0,1,0] op_sel_hi:[0,1,0]
	scratch_load_b32 v7, off, off offset:1156 ; 4-byte Folded Reload
	v_mul_f32_e32 v181, v181, v66
	s_delay_alu instid0(VALU_DEP_1) | instskip(SKIP_1) | instid1(VALU_DEP_1)
	v_fma_f32 v180, v180, v58, -v181
	s_waitcnt vmcnt(0)
	v_add_f32_e32 v7, v7, v180
	v_mul_i32_i24_e32 v42, v125, v8
	v_mov_b32_e32 v113, v8
	v_mul_i32_i24_e32 v71, v128, v228
	v_mov_b32_e32 v125, v206
	scratch_store_b32 off, v7, off offset:1156 ; 4-byte Folded Spill
	v_add3_u32 v4, v4, v42, v45
	v_mul_i32_i24_e32 v42, v129, v54
	v_mul_i32_i24_e32 v45, v131, v5
	scratch_load_b32 v5, off, off offset:332 ; 4-byte Folded Reload
	v_mov_b32_e32 v129, v209
	v_add3_u32 v4, v4, v62, v71
	v_mul_i32_i24_e32 v62, v132, v226
	v_mad_i32_i24 v42, v130, v218, v42
	v_mul_i32_i24_e32 v71, v158, v105
	v_mov_b32_e32 v130, v210
	v_mul_lo_u32 v4, v4, v223
	v_mov_b32_e32 v128, v208
	v_add3_u32 v42, v42, v45, v62
	v_mul_i32_i24_e32 v45, v133, v53
	v_mul_i32_i24_e32 v62, v157, v104
	v_cvt_f32_i32_e32 v4, v4
	s_delay_alu instid0(VALU_DEP_2) | instskip(SKIP_2) | instid1(VALU_DEP_4)
	v_add3_u32 v42, v42, v45, v62
	v_mul_i32_i24_e32 v45, v160, v209
	v_mul_i32_i24_e32 v62, v161, v210
	v_fma_mix_f32 v4, v0, v4, 0 op_sel_hi:[1,0,0]
	s_delay_alu instid0(VALU_DEP_4) | instskip(SKIP_3) | instid1(VALU_DEP_4)
	v_add3_u32 v42, v42, v71, v74
	v_mul_i32_i24_e32 v71, v162, v73
	v_mul_i32_i24_e32 v74, v163, v78
	v_fma_mix_f32 v0, v222, v0, 0 op_sel:[0,1,0] op_sel_hi:[0,1,0]
	v_add3_u32 v42, v42, v45, v62
	v_mul_i32_i24_e32 v45, v164, v205
	v_mul_i32_i24_e32 v62, v165, v206
	s_delay_alu instid0(VALU_DEP_4) | instskip(NEXT) | instid1(VALU_DEP_4)
	v_fma_mix_f32 v0, v187, v1, v0 op_sel:[0,1,0] op_sel_hi:[0,1,0]
	v_add3_u32 v42, v42, v71, v74
	v_mul_i32_i24_e32 v71, v166, v207
	v_mul_i32_i24_e32 v74, v167, v208
	s_delay_alu instid0(VALU_DEP_4) | instskip(NEXT) | instid1(VALU_DEP_4)
	v_mul_f32_e32 v0, v0, v251
	v_add3_u32 v42, v42, v45, v62
	v_mul_i32_i24_e32 v45, v168, v201
	v_mul_i32_i24_e32 v62, v169, v202
	s_delay_alu instid0(VALU_DEP_3) | instskip(SKIP_2) | instid1(VALU_DEP_3)
	v_add3_u32 v42, v42, v71, v74
	v_mul_i32_i24_e32 v71, v170, v203
	v_mul_i32_i24_e32 v74, v153, v204
	v_add3_u32 v42, v42, v45, v62
	v_mul_i32_i24_e32 v45, v171, v197
	v_mul_i32_i24_e32 v62, v172, v198
	s_delay_alu instid0(VALU_DEP_3) | instskip(SKIP_2) | instid1(VALU_DEP_3)
	v_add3_u32 v42, v42, v71, v74
	v_mul_i32_i24_e32 v71, v173, v199
	v_mul_i32_i24_e32 v74, v154, v200
	;; [unrolled: 7-line block ×4, first 2 shown]
	v_add3_u32 v42, v42, v45, v62
	s_delay_alu instid0(VALU_DEP_1) | instskip(NEXT) | instid1(VALU_DEP_1)
	v_add3_u32 v42, v42, v71, v74
	v_mul_lo_u32 v42, v42, v188
	s_delay_alu instid0(VALU_DEP_1) | instskip(NEXT) | instid1(VALU_DEP_1)
	v_cvt_f32_i32_e32 v42, v42
	v_fma_mix_f32 v4, v1, v42, v4 op_sel_hi:[1,0,0]
	s_delay_alu instid0(VALU_DEP_1)
	v_fma_f32 v0, v4, v250, -v0
	scratch_load_b32 v4, off, off offset:776 ; 4-byte Folded Reload
	v_add_f32_e32 v77, v77, v0
	scratch_load_b32 v0, off, off           ; 4-byte Folded Reload
	s_waitcnt vmcnt(0)
	ds_load_b128 v[153:156], v0 offset:7168
	scratch_load_b32 v0, off, off           ; 4-byte Folded Reload
	s_waitcnt lgkmcnt(0)
	v_bfe_i32 v209, v153, 16, 8
	v_ashrrev_i32_e32 v210, 24, v153
	v_bfe_i32 v208, v153, 0, 8
	v_bfe_i32 v207, v153, 8, 8
	;; [unrolled: 1-line block ×3, first 2 shown]
	v_mul_i32_i24_e32 v71, v209, v5
	scratch_load_b32 v5, off, off offset:472 ; 4-byte Folded Reload
	v_mul_i32_i24_e32 v4, v208, v4
	v_bfe_i32 v188, v154, 8, 8
	v_bfe_i32 v189, v154, 16, 8
	v_ashrrev_i32_e32 v190, 24, v154
	v_bfe_i32 v183, v155, 0, 8
	v_bfe_i32 v184, v155, 8, 8
	;; [unrolled: 1-line block ×3, first 2 shown]
	v_ashrrev_i32_e32 v186, 24, v155
	v_bfe_i32 v179, v156, 0, 8
	v_bfe_i32 v180, v156, 8, 8
	;; [unrolled: 1-line block ×3, first 2 shown]
	v_ashrrev_i32_e32 v182, 24, v156
	s_waitcnt vmcnt(1)
	ds_load_b128 v[153:156], v0 offset:7184
	scratch_load_b32 v0, off, off           ; 4-byte Folded Reload
	s_waitcnt lgkmcnt(0)
	v_bfe_i32 v203, v153, 0, 8
	v_bfe_i32 v204, v153, 8, 8
	;; [unrolled: 1-line block ×3, first 2 shown]
	v_ashrrev_i32_e32 v206, 24, v153
	v_bfe_i32 v199, v154, 0, 8
	s_waitcnt vmcnt(1)
	v_mul_i32_i24_e32 v74, v210, v5
	scratch_load_b32 v5, off, off offset:336 ; 4-byte Folded Reload
	v_bfe_i32 v200, v154, 8, 8
	v_bfe_i32 v201, v154, 16, 8
	v_ashrrev_i32_e32 v202, 24, v154
	v_bfe_i32 v195, v155, 0, 8
	v_bfe_i32 v196, v155, 8, 8
	v_bfe_i32 v197, v155, 16, 8
	v_ashrrev_i32_e32 v198, 24, v155
	v_bfe_i32 v191, v156, 0, 8
	v_bfe_i32 v192, v156, 8, 8
	;; [unrolled: 1-line block ×3, first 2 shown]
	v_ashrrev_i32_e32 v194, 24, v156
	v_mul_i32_i24_e32 v7, v206, v211
	s_waitcnt vmcnt(1)
	ds_load_b128 v[153:156], v0 offset:7200
	scratch_load_b32 v0, off, off           ; 4-byte Folded Reload
	s_waitcnt lgkmcnt(0)
	v_bfe_i32 v176, v153, 0, 8
	v_bfe_i32 v175, v153, 8, 8
	;; [unrolled: 1-line block ×3, first 2 shown]
	v_ashrrev_i32_e32 v178, 24, v153
	v_bfe_i32 v171, v154, 0, 8
	s_waitcnt vmcnt(1)
	v_mad_i32_i24 v4, v207, v5, v4
	scratch_load_b32 v5, off, off offset:740 ; 4-byte Folded Reload
	v_bfe_i32 v172, v154, 8, 8
	v_bfe_i32 v173, v154, 16, 8
	v_ashrrev_i32_e32 v174, 24, v154
	v_add3_u32 v4, v4, v71, v74
	v_bfe_i32 v167, v155, 0, 8
	v_bfe_i32 v168, v155, 8, 8
	;; [unrolled: 1-line block ×3, first 2 shown]
	v_ashrrev_i32_e32 v170, 24, v155
	v_bfe_i32 v163, v156, 0, 8
	v_bfe_i32 v164, v156, 8, 8
	;; [unrolled: 1-line block ×3, first 2 shown]
	v_ashrrev_i32_e32 v166, 24, v156
	v_mul_i32_i24_e32 v8, v176, v22
	s_delay_alu instid0(VALU_DEP_1)
	v_mad_i32_i24 v8, v175, v24, v8
	s_waitcnt vmcnt(1)
	ds_load_b128 v[153:156], v0 offset:7216
	s_waitcnt lgkmcnt(0)
	v_bfe_i32 v159, v153, 0, 8
	v_bfe_i32 v160, v153, 8, 8
	;; [unrolled: 1-line block ×3, first 2 shown]
	v_ashrrev_i32_e32 v162, 24, v153
	v_bfe_i32 v132, v154, 0, 8
	s_waitcnt vmcnt(0)
	v_mul_i32_i24_e32 v71, v187, v5
	scratch_load_b32 v5, off, off offset:744 ; 4-byte Folded Reload
	v_bfe_i32 v133, v154, 8, 8
	v_bfe_i32 v62, v155, 0, 8
	;; [unrolled: 1-line block ×4, first 2 shown]
	v_ashrrev_i32_e32 v158, 24, v154
	v_ashrrev_i32_e32 v154, 24, v155
	v_bfe_i32 v0, v156, 0, 8
	v_bfe_i32 v1, v156, 8, 8
	;; [unrolled: 1-line block ×4, first 2 shown]
	v_ashrrev_i32_e32 v45, 24, v156
	s_waitcnt vmcnt(0)
	v_mul_i32_i24_e32 v74, v188, v5
	scratch_load_b32 v5, off, off offset:412 ; 4-byte Folded Reload
	v_add3_u32 v4, v4, v71, v74
	s_waitcnt vmcnt(0)
	v_mul_i32_i24_e32 v75, v189, v5
	scratch_load_b32 v5, off, off offset:392 ; 4-byte Folded Reload
	s_waitcnt vmcnt(0)
	v_mul_i32_i24_e32 v76, v190, v5
	scratch_load_b32 v5, off, off offset:748 ; 4-byte Folded Reload
	v_add3_u32 v4, v4, v75, v76
	s_waitcnt vmcnt(0)
	v_mul_i32_i24_e32 v71, v183, v5
	scratch_load_b32 v5, off, off offset:992 ; 4-byte Folded Reload
	;; [unrolled: 7-line block ×3, first 2 shown]
	s_waitcnt vmcnt(0)
	v_mul_i32_i24_e32 v76, v186, v5
	scratch_load_b32 v5, off, off offset:756 ; 4-byte Folded Reload
	v_add3_u32 v4, v4, v75, v76
	v_mul_i32_i24_e32 v76, v182, v135
	s_waitcnt vmcnt(0)
	v_mul_i32_i24_e32 v71, v179, v5
	scratch_load_b32 v5, off, off offset:764 ; 4-byte Folded Reload
	s_waitcnt vmcnt(0)
	v_mul_i32_i24_e32 v74, v180, v5
	scratch_load_b32 v5, off, off offset:400 ; 4-byte Folded Reload
	v_add3_u32 v4, v4, v71, v74
	v_mul_i32_i24_e32 v71, v203, v136
	v_mul_i32_i24_e32 v74, v204, v137
	s_waitcnt vmcnt(0)
	v_mul_i32_i24_e32 v75, v181, v5
	s_delay_alu instid0(VALU_DEP_1) | instskip(SKIP_1) | instid1(VALU_DEP_2)
	v_add3_u32 v4, v4, v75, v76
	v_mul_i32_i24_e32 v75, v205, v6
	v_add3_u32 v4, v4, v71, v74
	v_mul_i32_i24_e32 v71, v200, v28
	v_mul_i32_i24_e32 v74, v201, v10
	s_delay_alu instid0(VALU_DEP_3) | instskip(SKIP_2) | instid1(VALU_DEP_2)
	v_add3_u32 v4, v4, v75, v7
	v_mul_i32_i24_e32 v7, v199, v20
	v_mul_i32_i24_e32 v75, v202, v11
	v_add3_u32 v4, v4, v7, v71
	v_mul_i32_i24_e32 v7, v195, v12
	v_mul_i32_i24_e32 v71, v196, v224
	;; [unrolled: 1-line block ×3, first 2 shown]
	s_delay_alu instid0(VALU_DEP_4) | instskip(SKIP_2) | instid1(VALU_DEP_3)
	v_add3_u32 v4, v4, v74, v75
	v_mul_i32_i24_e32 v74, v197, v13
	v_mul_i32_i24_e32 v75, v198, v14
	v_add3_u32 v4, v4, v7, v71
	v_mul_i32_i24_e32 v7, v191, v227
	v_mul_i32_i24_e32 v71, v192, v15
	s_delay_alu instid0(VALU_DEP_3) | instskip(SKIP_2) | instid1(VALU_DEP_3)
	v_add3_u32 v4, v4, v74, v75
	v_mul_i32_i24_e32 v74, v193, v16
	v_mul_i32_i24_e32 v75, v194, v17
	v_add3_u32 v4, v4, v7, v71
	scratch_load_b32 v71, off, off offset:1188 ; 4-byte Folded Reload
	v_fma_mix_f32 v7, v21, v2, 0 op_sel:[0,1,0] op_sel_hi:[0,1,0]
	v_add3_u32 v4, v4, v74, v75
	s_clause 0x6
	scratch_load_b32 v75, off, off offset:1268
	scratch_load_b32 v74, off, off offset:1192
	;; [unrolled: 1-line block ×7, first 2 shown]
	v_mov_b32_e32 v230, v9
	v_mul_i32_i24_e32 v9, v177, v23
	v_mul_lo_u32 v4, v4, v18
	s_delay_alu instid0(VALU_DEP_1) | instskip(NEXT) | instid1(VALU_DEP_1)
	v_cvt_f32_i32_e32 v4, v4
	v_fma_mix_f32 v4, v2, v4, 0 op_sel_hi:[1,0,0]
	s_waitcnt vmcnt(4)
	v_mul_i32_i24_e32 v11, v178, v5
	scratch_load_b32 v5, off, off offset:600 ; 4-byte Folded Reload
	s_waitcnt vmcnt(1)
	v_add_nc_u32_e32 v17, 32, v17
	v_add3_u32 v8, v8, v9, v11
	s_waitcnt vmcnt(0)
	v_mul_i32_i24_e32 v9, v171, v5
	scratch_load_b32 v5, off, off offset:460 ; 4-byte Folded Reload
	s_waitcnt vmcnt(0)
	v_mul_i32_i24_e32 v10, v172, v5
	scratch_load_b32 v5, off, off offset:456 ; 4-byte Folded Reload
	v_add3_u32 v8, v8, v9, v10
	s_waitcnt vmcnt(0)
	v_mul_i32_i24_e32 v11, v173, v5
	scratch_load_b32 v5, off, off offset:464 ; 4-byte Folded Reload
	v_add3_u32 v8, v8, v11, v12
	v_mul_i32_i24_e32 v12, v170, v148
	s_waitcnt vmcnt(0)
	v_mul_i32_i24_e32 v9, v167, v5
	scratch_load_b32 v5, off, off offset:468 ; 4-byte Folded Reload
	s_waitcnt vmcnt(0)
	v_mul_i32_i24_e32 v10, v168, v5
	scratch_load_b32 v5, off, off offset:792 ; 4-byte Folded Reload
	v_add3_u32 v8, v8, v9, v10
	v_mul_i32_i24_e32 v9, v163, v25
	v_mul_i32_i24_e32 v10, v164, v52
	s_waitcnt vmcnt(0)
	v_mul_i32_i24_e32 v11, v169, v5
	scratch_load_b32 v5, off, off offset:476 ; 4-byte Folded Reload
	v_add3_u32 v8, v8, v11, v12
	v_mul_i32_i24_e32 v11, v165, v213
	s_delay_alu instid0(VALU_DEP_2)
	v_add3_u32 v8, v8, v9, v10
	v_mul_i32_i24_e32 v10, v160, v26
	s_waitcnt vmcnt(0)
	v_mul_i32_i24_e32 v12, v166, v5
	scratch_load_b32 v5, off, off offset:796 ; 4-byte Folded Reload
	v_add3_u32 v8, v8, v11, v12
	v_mul_i32_i24_e32 v11, v161, v230
	v_mul_i32_i24_e32 v12, v162, v47
	s_waitcnt vmcnt(0)
	v_mul_i32_i24_e32 v9, v159, v5
	scratch_load_b32 v5, off, off offset:788 ; 4-byte Folded Reload
	v_add3_u32 v8, v8, v9, v10
	v_mul_i32_i24_e32 v9, v132, v232
	v_mul_i32_i24_e32 v10, v133, v143
	s_delay_alu instid0(VALU_DEP_3) | instskip(SKIP_2) | instid1(VALU_DEP_3)
	v_add3_u32 v8, v8, v11, v12
	v_mul_i32_i24_e32 v11, v157, v48
	v_mul_i32_i24_e32 v12, v158, v57
	v_add3_u32 v8, v8, v9, v10
	s_delay_alu instid0(VALU_DEP_1)
	v_add3_u32 v8, v8, v11, v12
	v_mul_i32_i24_e32 v11, v153, v144
	s_waitcnt vmcnt(0)
	v_mul_i32_i24_e32 v9, v62, v5
	scratch_load_b32 v5, off, off offset:784 ; 4-byte Folded Reload
	s_waitcnt vmcnt(0)
	v_mul_i32_i24_e32 v10, v126, v5
	scratch_load_b32 v5, off, off offset:212 ; 4-byte Folded Reload
	v_add3_u32 v8, v8, v9, v10
	s_waitcnt vmcnt(0)
	v_mul_i32_i24_e32 v12, v154, v5
	scratch_load_b32 v5, off, off offset:584 ; 4-byte Folded Reload
	v_add3_u32 v8, v8, v11, v12
	s_waitcnt vmcnt(0)
	v_mul_i32_i24_e32 v9, v0, v5
	s_clause 0x3
	scratch_load_b32 v38, off, off offset:1260
	scratch_load_b32 v5, off, off offset:216
	;; [unrolled: 1-line block ×4, first 2 shown]
	s_waitcnt vmcnt(2)
	v_mul_i32_i24_e32 v10, v1, v5
	scratch_load_b32 v5, off, off offset:588 ; 4-byte Folded Reload
	s_waitcnt vmcnt(2)
	v_add_nc_u32_e32 v18, 8, v18
	v_add3_u32 v8, v8, v9, v10
	s_waitcnt vmcnt(0)
	v_mul_i32_i24_e32 v11, v42, v5
	scratch_load_b32 v5, off, off offset:220 ; 4-byte Folded Reload
	s_waitcnt vmcnt(0)
	v_mul_i32_i24_e32 v12, v45, v5
	scratch_load_b32 v5, off, off offset:592 ; 4-byte Folded Reload
	v_add3_u32 v8, v8, v11, v12
	s_waitcnt vmcnt(0)
	s_delay_alu instid0(VALU_DEP_1) | instskip(SKIP_2) | instid1(VALU_DEP_1)
	v_mul_lo_u32 v8, v8, v5
	scratch_load_b32 v5, off, off offset:596 ; 4-byte Folded Reload
	v_cvt_f32_i32_e32 v8, v8
	v_fma_mix_f32 v4, v3, v8, v4 op_sel_hi:[1,0,0]
	v_mul_i32_i24_e32 v8, v210, v79
	s_waitcnt vmcnt(0)
	v_fma_mix_f32 v7, v5, v3, v7 op_sel:[0,1,0] op_sel_hi:[0,1,0]
	scratch_load_b32 v5, off, off offset:372 ; 4-byte Folded Reload
	v_mul_f32_e32 v7, v7, v146
	s_delay_alu instid0(VALU_DEP_1) | instskip(SKIP_1) | instid1(VALU_DEP_2)
	v_fma_f32 v4, v4, v147, -v7
	v_mul_i32_i24_e32 v7, v209, v234
	v_add_f32_e32 v33, v33, v4
	v_mul_i32_i24_e32 v4, v208, v246
	s_delay_alu instid0(VALU_DEP_1) | instskip(NEXT) | instid1(VALU_DEP_1)
	v_mad_i32_i24 v4, v207, v46, v4
	v_add3_u32 v4, v4, v7, v8
	s_waitcnt vmcnt(0)
	v_mul_i32_i24_e32 v7, v187, v5
	scratch_load_b32 v5, off, off offset:988 ; 4-byte Folded Reload
	s_waitcnt vmcnt(0)
	v_mul_i32_i24_e32 v8, v188, v5
	scratch_load_b32 v5, off, off offset:112 ; 4-byte Folded Reload
	v_add3_u32 v4, v4, v7, v8
	s_waitcnt vmcnt(0)
	v_mul_i32_i24_e32 v9, v189, v5
	scratch_load_b32 v5, off, off offset:116 ; 4-byte Folded Reload
	s_waitcnt vmcnt(0)
	v_mul_i32_i24_e32 v10, v190, v5
	scratch_load_b32 v5, off, off offset:76 ; 4-byte Folded Reload
	;; [unrolled: 7-line block ×4, first 2 shown]
	v_add3_u32 v4, v4, v9, v10
	v_mul_i32_i24_e32 v9, v181, v27
	s_waitcnt vmcnt(0)
	v_mul_i32_i24_e32 v7, v179, v5
	scratch_load_b32 v5, off, off offset:168 ; 4-byte Folded Reload
	s_waitcnt vmcnt(0)
	v_mul_i32_i24_e32 v8, v180, v5
	scratch_load_b32 v5, off, off offset:768 ; 4-byte Folded Reload
	v_add3_u32 v4, v4, v7, v8
	s_waitcnt vmcnt(0)
	v_mul_i32_i24_e32 v10, v182, v5
	scratch_load_b32 v5, off, off offset:448 ; 4-byte Folded Reload
	v_add3_u32 v4, v4, v9, v10
	v_mul_i32_i24_e32 v9, v205, v35
	s_waitcnt vmcnt(0)
	v_mul_i32_i24_e32 v7, v203, v5
	scratch_load_b32 v5, off, off offset:164 ; 4-byte Folded Reload
	s_waitcnt vmcnt(0)
	v_mul_i32_i24_e32 v8, v204, v5
	scratch_load_b32 v5, off, off offset:444 ; 4-byte Folded Reload
	v_add3_u32 v4, v4, v7, v8
	v_mul_i32_i24_e32 v8, v200, v41
	s_waitcnt vmcnt(0)
	v_mul_i32_i24_e32 v10, v206, v5
	scratch_load_b32 v5, off, off offset:124 ; 4-byte Folded Reload
	v_add3_u32 v4, v4, v9, v10
	v_mul_i32_i24_e32 v10, v202, v225
	;; [unrolled: 5-line block ×3, first 2 shown]
	s_waitcnt vmcnt(0)
	v_mul_i32_i24_e32 v9, v201, v5
	scratch_load_b32 v5, off, off offset:132 ; 4-byte Folded Reload
	v_add3_u32 v4, v4, v9, v10
	s_waitcnt vmcnt(0)
	v_mul_i32_i24_e32 v7, v195, v5
	scratch_load_b32 v5, off, off offset:440 ; 4-byte Folded Reload
	v_add3_u32 v4, v4, v7, v8
	v_mul_i32_i24_e32 v7, v191, v49
	s_waitcnt vmcnt(0)
	v_mul_i32_i24_e32 v9, v197, v5
	scratch_load_b32 v5, off, off offset:160 ; 4-byte Folded Reload
	s_waitcnt vmcnt(0)
	v_mul_i32_i24_e32 v10, v198, v5
	scratch_load_b32 v5, off, off offset:452 ; 4-byte Folded Reload
	v_add3_u32 v4, v4, v9, v10
	v_mul_i32_i24_e32 v9, v193, v32
	v_mul_i32_i24_e32 v10, v194, v72
	scratch_load_b32 v72, off, off offset:1272 ; 4-byte Folded Reload
	s_waitcnt vmcnt(1)
	v_mul_i32_i24_e32 v8, v192, v5
	scratch_load_b32 v5, off, off offset:176 ; 4-byte Folded Reload
	v_add3_u32 v4, v4, v7, v8
	s_delay_alu instid0(VALU_DEP_1) | instskip(SKIP_1) | instid1(VALU_DEP_1)
	v_add3_u32 v4, v4, v9, v10
	s_waitcnt vmcnt(0)
	v_mul_lo_u32 v4, v4, v5
	scratch_load_b32 v5, off, off offset:420 ; 4-byte Folded Reload
	v_cvt_f32_i32_e32 v4, v4
	s_delay_alu instid0(VALU_DEP_1)
	v_fma_mix_f32 v4, v2, v4, 0 op_sel_hi:[1,0,0]
	s_waitcnt vmcnt(0)
	v_fma_mix_f32 v7, v5, v2, 0 op_sel:[0,1,0] op_sel_hi:[0,1,0]
	scratch_load_b32 v5, off, off offset:404 ; 4-byte Folded Reload
	s_waitcnt vmcnt(0)
	v_mul_i32_i24_e32 v8, v176, v5
	scratch_load_b32 v5, off, off offset:340 ; 4-byte Folded Reload
	s_waitcnt vmcnt(0)
	v_mul_i32_i24_e32 v9, v177, v5
	;; [unrolled: 3-line block ×3, first 2 shown]
	scratch_load_b32 v5, off, off offset:408 ; 4-byte Folded Reload
	s_waitcnt vmcnt(0)
	v_mad_i32_i24 v8, v175, v5, v8
	scratch_load_b32 v5, off, off offset:388 ; 4-byte Folded Reload
	v_add3_u32 v8, v8, v9, v10
	s_waitcnt vmcnt(0)
	v_mul_i32_i24_e32 v9, v171, v5
	s_clause 0x1
	scratch_load_b32 v32, off, off offset:1176
	scratch_load_b32 v5, off, off offset:144
	s_waitcnt vmcnt(0)
	v_mul_i32_i24_e32 v10, v172, v5
	scratch_load_b32 v5, off, off offset:80 ; 4-byte Folded Reload
	v_add3_u32 v8, v8, v9, v10
	s_waitcnt vmcnt(0)
	v_mul_i32_i24_e32 v11, v173, v5
	scratch_load_b32 v5, off, off offset:348 ; 4-byte Folded Reload
	s_waitcnt vmcnt(0)
	v_mul_i32_i24_e32 v12, v174, v5
	scratch_load_b32 v5, off, off offset:352 ; 4-byte Folded Reload
	v_add3_u32 v8, v8, v11, v12
	s_waitcnt vmcnt(0)
	v_mul_i32_i24_e32 v9, v167, v5
	scratch_load_b32 v5, off, off offset:84 ; 4-byte Folded Reload
	;; [unrolled: 7-line block ×12, first 2 shown]
	s_waitcnt vmcnt(0)
	v_mul_i32_i24_e32 v10, v1, v5
	scratch_load_b32 v5, off, off offset:428 ; 4-byte Folded Reload
	v_add3_u32 v8, v8, v9, v10
	v_mul_i32_i24_e32 v9, v173, v60
	v_mul_i32_i24_e32 v10, v174, v61
	s_waitcnt vmcnt(0)
	v_mul_i32_i24_e32 v11, v42, v5
	scratch_load_b32 v5, off, off offset:140 ; 4-byte Folded Reload
	s_waitcnt vmcnt(0)
	v_mul_i32_i24_e32 v12, v45, v5
	scratch_load_b32 v5, off, off offset:384 ; 4-byte Folded Reload
	v_add3_u32 v8, v8, v11, v12
	s_waitcnt vmcnt(0)
	s_delay_alu instid0(VALU_DEP_1) | instskip(SKIP_4) | instid1(VALU_DEP_1)
	v_mul_lo_u32 v6, v8, v5
	s_clause 0x1
	scratch_load_b32 v5, off, off offset:432
	scratch_load_b32 v8, off, off offset:576
	v_cvt_f32_i32_e32 v6, v6
	v_fma_mix_f32 v4, v3, v6, v4 op_sel_hi:[1,0,0]
	scratch_load_b32 v6, off, off offset:436 ; 4-byte Folded Reload
	s_waitcnt vmcnt(2)
	v_fma_mix_f32 v5, v5, v3, v7 op_sel:[0,1,0] op_sel_hi:[0,1,0]
	scratch_load_b32 v7, off, off offset:156 ; 4-byte Folded Reload
	s_waitcnt vmcnt(2)
	v_mul_i32_i24_e32 v8, v190, v8
	v_mul_f32_e32 v5, v5, v214
	s_delay_alu instid0(VALU_DEP_1)
	v_fma_f32 v4, v4, v134, -v5
	scratch_load_b32 v5, off, off offset:152 ; 4-byte Folded Reload
	s_waitcnt vmcnt(2)
	v_mul_i32_i24_e32 v6, v210, v6
	v_add_f32_e32 v32, v32, v4
	scratch_load_b32 v4, off, off offset:148 ; 4-byte Folded Reload
	s_waitcnt vmcnt(1)
	v_mul_i32_i24_e32 v5, v209, v5
	s_waitcnt vmcnt(0)
	v_mul_i32_i24_e32 v4, v208, v4
	s_delay_alu instid0(VALU_DEP_1) | instskip(SKIP_1) | instid1(VALU_DEP_2)
	v_mad_i32_i24 v4, v207, v7, v4
	v_mul_i32_i24_e32 v7, v189, v140
	v_add3_u32 v4, v4, v5, v6
	s_clause 0x1
	scratch_load_b32 v5, off, off offset:528
	scratch_load_b32 v6, off, off offset:580
	s_waitcnt vmcnt(1)
	v_mul_i32_i24_e32 v5, v187, v5
	s_waitcnt vmcnt(0)
	v_mul_i32_i24_e32 v6, v188, v6
	s_delay_alu instid0(VALU_DEP_1)
	v_add3_u32 v4, v4, v5, v6
	s_clause 0x1
	scratch_load_b32 v5, off, off offset:208
	scratch_load_b32 v6, off, off offset:556
	v_add3_u32 v4, v4, v7, v8
	s_clause 0x1
	scratch_load_b32 v7, off, off offset:560
	scratch_load_b32 v8, off, off offset:500
	s_waitcnt vmcnt(3)
	v_mul_i32_i24_e32 v5, v183, v5
	s_waitcnt vmcnt(2)
	v_mul_i32_i24_e32 v6, v184, v6
	;; [unrolled: 2-line block ×3, first 2 shown]
	s_delay_alu instid0(VALU_DEP_2)
	v_add3_u32 v4, v4, v5, v6
	s_clause 0x1
	scratch_load_b32 v5, off, off offset:564
	scratch_load_b32 v6, off, off offset:568
	s_waitcnt vmcnt(2)
	v_mul_i32_i24_e32 v8, v186, v8
	s_delay_alu instid0(VALU_DEP_1)
	v_add3_u32 v4, v4, v7, v8
	scratch_load_b32 v8, off, off offset:572 ; 4-byte Folded Reload
	v_mul_i32_i24_e32 v7, v181, v233
	s_waitcnt vmcnt(2)
	v_mul_i32_i24_e32 v5, v179, v5
	s_waitcnt vmcnt(1)
	v_mul_i32_i24_e32 v6, v180, v6
	s_delay_alu instid0(VALU_DEP_1) | instskip(SKIP_4) | instid1(VALU_DEP_2)
	v_add3_u32 v4, v4, v5, v6
	scratch_load_b32 v5, off, off offset:504 ; 4-byte Folded Reload
	s_waitcnt vmcnt(1)
	v_mul_i32_i24_e32 v8, v182, v8
	v_mul_i32_i24_e32 v6, v204, v115
	v_add3_u32 v4, v4, v7, v8
	v_mul_i32_i24_e32 v7, v205, v219
	v_mul_i32_i24_e32 v8, v206, v221
	s_waitcnt vmcnt(0)
	v_mul_i32_i24_e32 v5, v203, v5
	s_delay_alu instid0(VALU_DEP_1) | instskip(SKIP_2) | instid1(VALU_DEP_3)
	v_add3_u32 v4, v4, v5, v6
	v_mul_i32_i24_e32 v5, v199, v51
	v_mul_i32_i24_e32 v6, v200, v149
	v_add3_u32 v4, v4, v7, v8
	v_mul_i32_i24_e32 v7, v201, v241
	v_mul_i32_i24_e32 v8, v202, v240
	s_delay_alu instid0(VALU_DEP_3) | instskip(SKIP_2) | instid1(VALU_DEP_3)
	v_add3_u32 v4, v4, v5, v6
	v_mul_i32_i24_e32 v5, v195, v142
	v_mul_i32_i24_e32 v6, v196, v139
	v_add3_u32 v4, v4, v7, v8
	v_mul_i32_i24_e32 v7, v197, v36
	v_mul_i32_i24_e32 v8, v198, v229
	s_delay_alu instid0(VALU_DEP_3) | instskip(SKIP_2) | instid1(VALU_DEP_3)
	;; [unrolled: 7-line block ×3, first 2 shown]
	v_add3_u32 v4, v4, v5, v6
	v_mul_i32_i24_e32 v6, v176, v231
	v_fma_mix_f32 v5, v239, v2, 0 op_sel:[0,1,0] op_sel_hi:[0,1,0]
	v_add3_u32 v4, v4, v7, v8
	v_mul_i32_i24_e32 v7, v177, v107
	v_mul_i32_i24_e32 v8, v178, v138
	v_mad_i32_i24 v6, v175, v243, v6
	s_delay_alu instid0(VALU_DEP_4) | instskip(NEXT) | instid1(VALU_DEP_2)
	v_mul_lo_u32 v4, v4, v216
	v_add3_u32 v6, v6, v7, v8
	v_mul_i32_i24_e32 v7, v171, v247
	v_mul_i32_i24_e32 v8, v172, v59
	s_delay_alu instid0(VALU_DEP_4) | instskip(NEXT) | instid1(VALU_DEP_2)
	v_cvt_f32_i32_e32 v4, v4
	v_add3_u32 v6, v6, v7, v8
	v_mul_i32_i24_e32 v7, v167, v63
	v_mul_i32_i24_e32 v8, v168, v64
	s_delay_alu instid0(VALU_DEP_4) | instskip(NEXT) | instid1(VALU_DEP_4)
	v_fma_mix_f32 v4, v2, v4, 0 op_sel_hi:[1,0,0]
	v_add3_u32 v6, v6, v9, v10
	v_mul_i32_i24_e32 v9, v169, v65
	v_mul_i32_i24_e32 v10, v170, v67
	s_delay_alu instid0(VALU_DEP_3) | instskip(SKIP_2) | instid1(VALU_DEP_3)
	v_add3_u32 v6, v6, v7, v8
	v_mul_i32_i24_e32 v7, v163, v68
	v_mul_i32_i24_e32 v8, v164, v212
	v_add3_u32 v6, v6, v9, v10
	v_mul_i32_i24_e32 v9, v165, v70
	v_mul_i32_i24_e32 v10, v166, v103
	s_delay_alu instid0(VALU_DEP_3)
	v_add3_u32 v6, v6, v7, v8
	scratch_load_b32 v8, off, off offset:204 ; 4-byte Folded Reload
	v_mul_i32_i24_e32 v7, v159, v237
	v_add3_u32 v6, v6, v9, v10
	v_mul_i32_i24_e32 v9, v161, v236
	v_mul_i32_i24_e32 v10, v162, v238
	s_waitcnt vmcnt(0)
	v_mul_i32_i24_e32 v8, v160, v8
	s_delay_alu instid0(VALU_DEP_1) | instskip(SKIP_2) | instid1(VALU_DEP_3)
	v_add3_u32 v6, v6, v7, v8
	v_mul_i32_i24_e32 v7, v132, v244
	v_mul_i32_i24_e32 v8, v133, v245
	v_add3_u32 v6, v6, v9, v10
	v_mul_i32_i24_e32 v9, v157, v248
	v_mul_i32_i24_e32 v10, v158, v235
	s_delay_alu instid0(VALU_DEP_3)
	v_add3_u32 v6, v6, v7, v8
	scratch_load_b32 v7, off, off offset:172 ; 4-byte Folded Reload
	v_mul_i32_i24_e32 v8, v126, v252
	v_add3_u32 v6, v6, v9, v10
	scratch_load_b32 v10, off, off offset:184 ; 4-byte Folded Reload
	v_mul_i32_i24_e32 v9, v153, v253
	s_waitcnt vmcnt(1)
	v_mul_i32_i24_e32 v7, v62, v7
	s_delay_alu instid0(VALU_DEP_1)
	v_add3_u32 v6, v6, v7, v8
	scratch_load_b32 v8, off, off offset:196 ; 4-byte Folded Reload
	s_waitcnt vmcnt(1)
	v_mul_i32_i24_e32 v10, v154, v10
	v_mul_i32_i24_e32 v7, v0, v255
	;; [unrolled: 1-line block ×3, first 2 shown]
	s_delay_alu instid0(VALU_DEP_3)
	v_add3_u32 v6, v6, v9, v10
	s_clause 0x1
	scratch_load_b32 v9, off, off offset:188
	scratch_load_b32 v10, off, off offset:180
	s_waitcnt vmcnt(2)
	v_mul_i32_i24_e32 v8, v1, v8
	v_mul_i32_i24_e32 v1, v1, v83
	s_delay_alu instid0(VALU_DEP_2)
	v_add3_u32 v6, v6, v7, v8
	scratch_load_b32 v7, off, off offset:192 ; 4-byte Folded Reload
	s_waitcnt vmcnt(2)
	v_mul_i32_i24_e32 v9, v42, v9
	s_waitcnt vmcnt(1)
	v_mul_i32_i24_e32 v10, v45, v10
	v_mul_i32_i24_e32 v8, v190, v102
	s_delay_alu instid0(VALU_DEP_2) | instskip(SKIP_2) | instid1(VALU_DEP_2)
	v_add3_u32 v6, v6, v9, v10
	v_mul_i32_i24_e32 v9, v174, v106
	s_waitcnt vmcnt(0)
	v_mul_lo_u32 v6, v6, v7
	v_mul_i32_i24_e32 v7, v189, v50
	s_delay_alu instid0(VALU_DEP_2) | instskip(NEXT) | instid1(VALU_DEP_1)
	v_cvt_f32_i32_e32 v6, v6
	v_fma_mix_f32 v4, v3, v6, v4 op_sel_hi:[1,0,0]
	scratch_load_b32 v6, off, off offset:200 ; 4-byte Folded Reload
	s_waitcnt vmcnt(0)
	v_fma_mix_f32 v5, v6, v3, v5 op_sel:[0,1,0] op_sel_hi:[0,1,0]
	v_mul_i32_i24_e32 v6, v210, v44
	s_delay_alu instid0(VALU_DEP_2) | instskip(NEXT) | instid1(VALU_DEP_1)
	v_mul_f32_e32 v5, v5, v66
	v_fma_f32 v4, v4, v58, -v5
	v_mul_i32_i24_e32 v5, v209, v56
	s_delay_alu instid0(VALU_DEP_2) | instskip(SKIP_1) | instid1(VALU_DEP_1)
	v_add_f32_e32 v31, v31, v4
	v_mul_i32_i24_e32 v4, v208, v254
	v_mad_i32_i24 v4, v207, v249, v4
	s_delay_alu instid0(VALU_DEP_1) | instskip(SKIP_2) | instid1(VALU_DEP_1)
	v_add3_u32 v4, v4, v5, v6
	v_mul_i32_i24_e32 v5, v187, v100
	v_mul_i32_i24_e32 v6, v188, v43
	v_add3_u32 v4, v4, v5, v6
	v_mul_i32_i24_e32 v5, v183, v141
	v_mul_i32_i24_e32 v6, v184, v29
	s_delay_alu instid0(VALU_DEP_3) | instskip(SKIP_2) | instid1(VALU_DEP_3)
	v_add3_u32 v4, v4, v7, v8
	v_mul_i32_i24_e32 v7, v185, v34
	v_mul_i32_i24_e32 v8, v186, v84
	v_add3_u32 v4, v4, v5, v6
	v_mul_i32_i24_e32 v5, v179, v40
	v_mul_i32_i24_e32 v6, v180, v85
	s_delay_alu instid0(VALU_DEP_3) | instskip(SKIP_2) | instid1(VALU_DEP_3)
	;; [unrolled: 7-line block ×6, first 2 shown]
	v_add3_u32 v4, v4, v7, v8
	v_mul_i32_i24_e32 v7, v193, v55
	v_mul_i32_i24_e32 v8, v194, v228
	v_add3_u32 v4, v4, v5, v6
	v_mul_i32_i24_e32 v5, v176, v54
	v_mul_i32_i24_e32 v6, v177, v217
	s_delay_alu instid0(VALU_DEP_3) | instskip(SKIP_1) | instid1(VALU_DEP_4)
	v_add3_u32 v4, v4, v7, v8
	v_mul_i32_i24_e32 v7, v178, v226
	v_mad_i32_i24 v5, v175, v218, v5
	v_mul_i32_i24_e32 v8, v173, v105
	s_delay_alu instid0(VALU_DEP_4) | instskip(NEXT) | instid1(VALU_DEP_3)
	v_mul_lo_u32 v4, v4, v223
	v_add3_u32 v5, v5, v6, v7
	v_mul_i32_i24_e32 v6, v171, v53
	v_mul_i32_i24_e32 v7, v172, v104
	s_delay_alu instid0(VALU_DEP_4) | instskip(NEXT) | instid1(VALU_DEP_2)
	v_cvt_f32_i32_e32 v4, v4
	v_add3_u32 v5, v5, v6, v7
	v_mul_i32_i24_e32 v6, v167, v129
	v_mul_i32_i24_e32 v7, v168, v130
	s_delay_alu instid0(VALU_DEP_4) | instskip(NEXT) | instid1(VALU_DEP_4)
	v_fma_mix_f32 v4, v2, v4, 0 op_sel_hi:[1,0,0]
	v_add3_u32 v5, v5, v8, v9
	v_mul_i32_i24_e32 v8, v169, v73
	v_mul_i32_i24_e32 v9, v170, v78
	v_fma_mix_f32 v2, v222, v2, 0 op_sel:[0,1,0] op_sel_hi:[0,1,0]
	s_delay_alu instid0(VALU_DEP_4) | instskip(SKIP_1) | instid1(VALU_DEP_2)
	v_add3_u32 v5, v5, v6, v7
	v_mul_i32_i24_e32 v6, v166, v128
	v_add3_u32 v7, v5, v8, v9
	v_mul_i32_i24_e32 v8, v163, v124
	v_mul_i32_i24_e32 v9, v164, v125
	;; [unrolled: 1-line block ×3, first 2 shown]
	s_delay_alu instid0(VALU_DEP_2) | instskip(SKIP_2) | instid1(VALU_DEP_3)
	v_add3_u32 v7, v7, v8, v9
	v_mul_i32_i24_e32 v8, v161, v122
	v_mul_i32_i24_e32 v9, v162, v123
	v_add3_u32 v5, v7, v5, v6
	v_mul_i32_i24_e32 v6, v159, v120
	v_mul_i32_i24_e32 v7, v160, v121
	s_delay_alu instid0(VALU_DEP_1) | instskip(SKIP_2) | instid1(VALU_DEP_3)
	v_add3_u32 v5, v5, v6, v7
	v_mul_i32_i24_e32 v6, v132, v116
	v_mul_i32_i24_e32 v7, v133, v117
	v_add3_u32 v5, v5, v8, v9
	v_mul_i32_i24_e32 v8, v157, v118
	v_mul_i32_i24_e32 v9, v158, v119
	s_delay_alu instid0(VALU_DEP_3) | instskip(SKIP_2) | instid1(VALU_DEP_3)
	v_add3_u32 v5, v5, v6, v7
	v_mul_i32_i24_e32 v6, v62, v110
	v_mul_i32_i24_e32 v7, v126, v111
	v_add3_u32 v5, v5, v8, v9
	v_mul_i32_i24_e32 v8, v153, v112
	v_mul_i32_i24_e32 v9, v154, v114
	s_delay_alu instid0(VALU_DEP_3) | instskip(SKIP_2) | instid1(VALU_DEP_3)
	v_add3_u32 v5, v5, v6, v7
	v_mul_i32_i24_e32 v6, v42, v108
	v_mul_i32_i24_e32 v7, v45, v109
	v_add3_u32 v5, v5, v8, v9
	s_delay_alu instid0(VALU_DEP_1) | instskip(SKIP_3) | instid1(VALU_DEP_2)
	v_add3_u32 v0, v5, v0, v1
	scratch_load_b32 v5, off, off           ; 4-byte Folded Reload
	v_fma_mix_f32 v1, v80, v3, v2 op_sel:[0,1,0] op_sel_hi:[0,1,0]
	v_add3_u32 v0, v0, v6, v7
	v_mul_f32_e32 v1, v1, v251
	s_delay_alu instid0(VALU_DEP_2) | instskip(NEXT) | instid1(VALU_DEP_1)
	v_mul_lo_u32 v0, v0, v81
	v_cvt_f32_i32_e32 v0, v0
	s_delay_alu instid0(VALU_DEP_1) | instskip(NEXT) | instid1(VALU_DEP_1)
	v_fma_mix_f32 v0, v3, v0, v4 op_sel_hi:[1,0,0]
	v_fma_f32 v0, v0, v250, -v1
	s_waitcnt vmcnt(0)
	s_delay_alu instid0(VALU_DEP_1)
	v_dual_add_f32 v30, v30, v0 :: v_dual_add_nc_u32 v5, 64, v5
	s_cbranch_scc1 .LBB151_7
; %bb.8:                                ;   in Loop: Header=BB151_6 Depth=2
	s_clause 0x2
	scratch_load_b32 v35, off, off offset:1076
	scratch_load_b32 v34, off, off offset:1072
	;; [unrolled: 1-line block ×3, first 2 shown]
	s_mov_b32 s15, 1
	s_and_b32 vcc_lo, exec_lo, s14
	s_mov_b32 s14, 0
	s_waitcnt vmcnt(0)
	s_waitcnt_vscnt null, 0x0
	s_barrier
	buffer_gl0_inv
	s_cbranch_vccz .LBB151_6
; %bb.9:                                ;   in Loop: Header=BB151_5 Depth=1
	s_add_i32 s13, s13, 1
	s_delay_alu instid0(SALU_CYCLE_1)
	s_cmp_eq_u32 s13, s5
	s_cbranch_scc0 .LBB151_5
; %bb.10:
	s_clause 0x2
	scratch_load_b32 v1, off, off offset:1576
	scratch_load_b32 v0, off, off offset:1284
	;; [unrolled: 1-line block ×3, first 2 shown]
	v_dual_mov_b32 v8, v29 :: v_dual_mov_b32 v9, v34
	v_mov_b32_e32 v10, v35
.LBB151_11:
	s_mov_b32 s0, exec_lo
	s_waitcnt vmcnt(0)
	v_cmpx_gt_u32_e64 s4, v2
	s_cbranch_execz .LBB151_62
; %bb.12:
	v_add_nc_u32_e32 v0, s10, v0
	v_mul_lo_u32 v5, v2, s6
	s_delay_alu instid0(VALU_DEP_2)
	v_cmp_gt_u32_e32 vcc_lo, s6, v0
	s_and_saveexec_b32 s1, vcc_lo
	s_cbranch_execz .LBB151_14
; %bb.13:
	s_delay_alu instid0(VALU_DEP_2) | instskip(SKIP_1) | instid1(VALU_DEP_2)
	v_dual_mov_b32 v3, 0 :: v_dual_add_nc_u32 v2, v0, v5
	v_cvt_f16_f32_e32 v4, v71
	v_lshlrev_b64 v[2:3], 1, v[2:3]
	s_waitcnt lgkmcnt(0)
	s_delay_alu instid0(VALU_DEP_1) | instskip(NEXT) | instid1(VALU_DEP_1)
	v_add_co_u32 v2, s0, s8, v2
	v_add_co_ci_u32_e64 v3, s0, s9, v3, s0
	global_store_b16 v[2:3], v4, off
.LBB151_14:
	s_or_b32 exec_lo, exec_lo, s1
	v_add_nc_u32_e32 v2, 32, v0
	s_delay_alu instid0(VALU_DEP_1) | instskip(NEXT) | instid1(VALU_DEP_1)
	v_cmp_gt_u32_e64 s0, s6, v2
	s_and_saveexec_b32 s2, s0
	s_cbranch_execz .LBB151_16
; %bb.15:
	v_dual_mov_b32 v4, 0 :: v_dual_add_nc_u32 v3, v2, v5
	v_cvt_f16_f32_e32 v6, v74
	s_delay_alu instid0(VALU_DEP_2) | instskip(SKIP_1) | instid1(VALU_DEP_1)
	v_lshlrev_b64 v[3:4], 1, v[3:4]
	s_waitcnt lgkmcnt(0)
	v_add_co_u32 v3, s1, s8, v3
	s_delay_alu instid0(VALU_DEP_1)
	v_add_co_ci_u32_e64 v4, s1, s9, v4, s1
	global_store_b16 v[3:4], v6, off
.LBB151_16:
	s_or_b32 exec_lo, exec_lo, s2
	v_add_nc_u32_e32 v3, 64, v0
	s_delay_alu instid0(VALU_DEP_1) | instskip(NEXT) | instid1(VALU_DEP_1)
	v_cmp_gt_u32_e64 s1, s6, v3
	s_and_saveexec_b32 s3, s1
	s_cbranch_execz .LBB151_18
; %bb.17:
	v_dual_mov_b32 v7, 0 :: v_dual_add_nc_u32 v6, v3, v5
	v_cvt_f16_f32_e32 v4, v10
	s_delay_alu instid0(VALU_DEP_2) | instskip(SKIP_1) | instid1(VALU_DEP_1)
	v_lshlrev_b64 v[6:7], 1, v[6:7]
	s_waitcnt lgkmcnt(0)
	v_add_co_u32 v6, s2, s8, v6
	s_delay_alu instid0(VALU_DEP_1)
	v_add_co_ci_u32_e64 v7, s2, s9, v7, s2
	global_store_b16 v[6:7], v4, off
.LBB151_18:
	;; [unrolled: 17-line block ×3, first 2 shown]
	s_or_b32 exec_lo, exec_lo, s5
	v_add3_u32 v5, v1, s7, 8
	s_delay_alu instid0(VALU_DEP_1) | instskip(NEXT) | instid1(VALU_DEP_1)
	v_cmp_gt_u32_e64 s3, s4, v5
	s_and_b32 exec_lo, exec_lo, s3
	s_cbranch_execz .LBB151_62
; %bb.21:
	v_mul_lo_u32 v5, v5, s6
	s_and_saveexec_b32 s5, vcc_lo
	s_cbranch_execnz .LBB151_63
; %bb.22:
	s_or_b32 exec_lo, exec_lo, s5
	s_and_saveexec_b32 s5, s0
	s_cbranch_execnz .LBB151_64
.LBB151_23:
	s_or_b32 exec_lo, exec_lo, s5
	s_and_saveexec_b32 s5, s1
	s_cbranch_execnz .LBB151_65
.LBB151_24:
	s_or_b32 exec_lo, exec_lo, s5
	s_and_saveexec_b32 s5, s2
	s_cbranch_execz .LBB151_26
.LBB151_25:
	scratch_load_b32 v7, off, off offset:1080 ; 4-byte Folded Reload
	v_dual_mov_b32 v6, 0 :: v_dual_add_nc_u32 v5, v5, v4
	s_delay_alu instid0(VALU_DEP_1) | instskip(SKIP_1) | instid1(VALU_DEP_1)
	v_lshlrev_b64 v[5:6], 1, v[5:6]
	s_waitcnt lgkmcnt(0)
	v_add_co_u32 v5, s3, s8, v5
	s_delay_alu instid0(VALU_DEP_1)
	v_add_co_ci_u32_e64 v6, s3, s9, v6, s3
	s_waitcnt vmcnt(0)
	v_cvt_f16_f32_e32 v7, v7
	global_store_b16 v[5:6], v7, off
.LBB151_26:
	s_or_b32 exec_lo, exec_lo, s5
	v_add3_u32 v5, v1, s7, 16
	s_delay_alu instid0(VALU_DEP_1) | instskip(NEXT) | instid1(VALU_DEP_1)
	v_cmp_gt_u32_e64 s3, s4, v5
	s_and_b32 exec_lo, exec_lo, s3
	s_cbranch_execz .LBB151_62
; %bb.27:
	v_mul_lo_u32 v5, v5, s6
	s_and_saveexec_b32 s5, vcc_lo
	s_cbranch_execnz .LBB151_66
; %bb.28:
	s_or_b32 exec_lo, exec_lo, s5
	s_and_saveexec_b32 s5, s0
	s_cbranch_execnz .LBB151_67
.LBB151_29:
	s_or_b32 exec_lo, exec_lo, s5
	s_and_saveexec_b32 s5, s1
	s_cbranch_execnz .LBB151_68
.LBB151_30:
	s_or_b32 exec_lo, exec_lo, s5
	s_and_saveexec_b32 s5, s2
	s_cbranch_execz .LBB151_32
.LBB151_31:
	scratch_load_b32 v7, off, off offset:1092 ; 4-byte Folded Reload
	v_dual_mov_b32 v6, 0 :: v_dual_add_nc_u32 v5, v5, v4
	s_delay_alu instid0(VALU_DEP_1) | instskip(SKIP_1) | instid1(VALU_DEP_1)
	v_lshlrev_b64 v[5:6], 1, v[5:6]
	s_waitcnt lgkmcnt(0)
	v_add_co_u32 v5, s3, s8, v5
	s_delay_alu instid0(VALU_DEP_1)
	v_add_co_ci_u32_e64 v6, s3, s9, v6, s3
	s_waitcnt vmcnt(0)
	v_cvt_f16_f32_e32 v7, v7
	global_store_b16 v[5:6], v7, off
.LBB151_32:
	s_or_b32 exec_lo, exec_lo, s5
	v_add3_u32 v5, v1, s7, 24
	s_delay_alu instid0(VALU_DEP_1) | instskip(NEXT) | instid1(VALU_DEP_1)
	v_cmp_gt_u32_e64 s3, s4, v5
	s_and_b32 exec_lo, exec_lo, s3
	s_cbranch_execz .LBB151_62
; %bb.33:
	v_mul_lo_u32 v5, v5, s6
	s_and_saveexec_b32 s5, vcc_lo
	s_cbranch_execnz .LBB151_69
; %bb.34:
	s_or_b32 exec_lo, exec_lo, s5
	s_and_saveexec_b32 s5, s0
	s_cbranch_execnz .LBB151_70
.LBB151_35:
	s_or_b32 exec_lo, exec_lo, s5
	s_and_saveexec_b32 s5, s1
	s_cbranch_execnz .LBB151_71
.LBB151_36:
	s_or_b32 exec_lo, exec_lo, s5
	s_and_saveexec_b32 s5, s2
	s_cbranch_execz .LBB151_38
.LBB151_37:
	scratch_load_b32 v7, off, off offset:1108 ; 4-byte Folded Reload
	v_dual_mov_b32 v6, 0 :: v_dual_add_nc_u32 v5, v5, v4
	s_delay_alu instid0(VALU_DEP_1) | instskip(SKIP_1) | instid1(VALU_DEP_1)
	v_lshlrev_b64 v[5:6], 1, v[5:6]
	s_waitcnt lgkmcnt(0)
	v_add_co_u32 v5, s3, s8, v5
	s_delay_alu instid0(VALU_DEP_1)
	v_add_co_ci_u32_e64 v6, s3, s9, v6, s3
	s_waitcnt vmcnt(0)
	v_cvt_f16_f32_e32 v7, v7
	global_store_b16 v[5:6], v7, off
.LBB151_38:
	s_or_b32 exec_lo, exec_lo, s5
	v_add3_u32 v5, v1, s7, 32
	s_delay_alu instid0(VALU_DEP_1) | instskip(NEXT) | instid1(VALU_DEP_1)
	v_cmp_gt_u32_e64 s3, s4, v5
	s_and_b32 exec_lo, exec_lo, s3
	s_cbranch_execz .LBB151_62
; %bb.39:
	v_mul_lo_u32 v5, v5, s6
	s_and_saveexec_b32 s5, vcc_lo
	s_cbranch_execnz .LBB151_72
; %bb.40:
	s_or_b32 exec_lo, exec_lo, s5
	s_and_saveexec_b32 s5, s0
	s_cbranch_execnz .LBB151_73
.LBB151_41:
	s_or_b32 exec_lo, exec_lo, s5
	s_and_saveexec_b32 s5, s1
	s_cbranch_execnz .LBB151_74
.LBB151_42:
	s_or_b32 exec_lo, exec_lo, s5
	s_and_saveexec_b32 s5, s2
	s_cbranch_execz .LBB151_44
.LBB151_43:
	scratch_load_b32 v7, off, off offset:1124 ; 4-byte Folded Reload
	v_dual_mov_b32 v6, 0 :: v_dual_add_nc_u32 v5, v5, v4
	s_delay_alu instid0(VALU_DEP_1) | instskip(SKIP_1) | instid1(VALU_DEP_1)
	v_lshlrev_b64 v[5:6], 1, v[5:6]
	s_waitcnt lgkmcnt(0)
	v_add_co_u32 v5, s3, s8, v5
	s_delay_alu instid0(VALU_DEP_1)
	v_add_co_ci_u32_e64 v6, s3, s9, v6, s3
	s_waitcnt vmcnt(0)
	v_cvt_f16_f32_e32 v7, v7
	global_store_b16 v[5:6], v7, off
.LBB151_44:
	s_or_b32 exec_lo, exec_lo, s5
	v_add3_u32 v5, v1, s7, 40
	s_delay_alu instid0(VALU_DEP_1) | instskip(NEXT) | instid1(VALU_DEP_1)
	v_cmp_gt_u32_e64 s3, s4, v5
	s_and_b32 exec_lo, exec_lo, s3
	s_cbranch_execz .LBB151_62
; %bb.45:
	v_mul_lo_u32 v5, v5, s6
	s_and_saveexec_b32 s5, vcc_lo
	s_cbranch_execnz .LBB151_75
; %bb.46:
	s_or_b32 exec_lo, exec_lo, s5
	s_and_saveexec_b32 s5, s0
	s_cbranch_execnz .LBB151_76
.LBB151_47:
	s_or_b32 exec_lo, exec_lo, s5
	s_and_saveexec_b32 s5, s1
	s_cbranch_execnz .LBB151_77
.LBB151_48:
	s_or_b32 exec_lo, exec_lo, s5
	s_and_saveexec_b32 s5, s2
	s_cbranch_execz .LBB151_50
.LBB151_49:
	scratch_load_b32 v7, off, off offset:1140 ; 4-byte Folded Reload
	v_dual_mov_b32 v6, 0 :: v_dual_add_nc_u32 v5, v5, v4
	s_delay_alu instid0(VALU_DEP_1) | instskip(SKIP_1) | instid1(VALU_DEP_1)
	v_lshlrev_b64 v[5:6], 1, v[5:6]
	s_waitcnt lgkmcnt(0)
	v_add_co_u32 v5, s3, s8, v5
	s_delay_alu instid0(VALU_DEP_1)
	v_add_co_ci_u32_e64 v6, s3, s9, v6, s3
	s_waitcnt vmcnt(0)
	v_cvt_f16_f32_e32 v7, v7
	global_store_b16 v[5:6], v7, off
.LBB151_50:
	s_or_b32 exec_lo, exec_lo, s5
	v_add3_u32 v5, v1, s7, 48
	s_delay_alu instid0(VALU_DEP_1) | instskip(NEXT) | instid1(VALU_DEP_1)
	v_cmp_gt_u32_e64 s3, s4, v5
	s_and_b32 exec_lo, exec_lo, s3
	s_cbranch_execz .LBB151_62
; %bb.51:
	v_mul_lo_u32 v5, v5, s6
	s_and_saveexec_b32 s5, vcc_lo
	s_cbranch_execnz .LBB151_78
; %bb.52:
	s_or_b32 exec_lo, exec_lo, s5
	s_and_saveexec_b32 s5, s0
	s_cbranch_execnz .LBB151_79
.LBB151_53:
	s_or_b32 exec_lo, exec_lo, s5
	s_and_saveexec_b32 s5, s1
	s_cbranch_execnz .LBB151_80
.LBB151_54:
	s_or_b32 exec_lo, exec_lo, s5
	s_and_saveexec_b32 s5, s2
	s_cbranch_execz .LBB151_56
.LBB151_55:
	v_dual_mov_b32 v6, 0 :: v_dual_add_nc_u32 v5, v5, v4
	v_cvt_f16_f32_e32 v7, v77
	s_delay_alu instid0(VALU_DEP_2) | instskip(SKIP_1) | instid1(VALU_DEP_1)
	v_lshlrev_b64 v[5:6], 1, v[5:6]
	s_waitcnt lgkmcnt(0)
	v_add_co_u32 v5, s3, s8, v5
	s_delay_alu instid0(VALU_DEP_1)
	v_add_co_ci_u32_e64 v6, s3, s9, v6, s3
	global_store_b16 v[5:6], v7, off
.LBB151_56:
	s_or_b32 exec_lo, exec_lo, s5
	v_add3_u32 v1, v1, s7, 56
	s_delay_alu instid0(VALU_DEP_1) | instskip(NEXT) | instid1(VALU_DEP_1)
	v_cmp_gt_u32_e64 s3, s4, v1
	s_and_b32 exec_lo, exec_lo, s3
	s_cbranch_execz .LBB151_62
; %bb.57:
	v_mul_lo_u32 v1, v1, s6
	s_and_saveexec_b32 s3, vcc_lo
	s_cbranch_execnz .LBB151_81
; %bb.58:
	s_or_b32 exec_lo, exec_lo, s3
	s_and_saveexec_b32 s3, s0
	s_cbranch_execnz .LBB151_82
.LBB151_59:
	s_or_b32 exec_lo, exec_lo, s3
	s_and_saveexec_b32 s0, s1
	s_cbranch_execnz .LBB151_83
.LBB151_60:
	s_or_b32 exec_lo, exec_lo, s0
	s_delay_alu instid0(SALU_CYCLE_1)
	s_and_b32 exec_lo, exec_lo, s2
	s_cbranch_execz .LBB151_62
.LBB151_61:
	v_dual_mov_b32 v1, 0 :: v_dual_add_nc_u32 v0, v1, v4
	v_cvt_f16_f32_e32 v2, v30
	s_delay_alu instid0(VALU_DEP_2) | instskip(SKIP_1) | instid1(VALU_DEP_1)
	v_lshlrev_b64 v[0:1], 1, v[0:1]
	s_waitcnt lgkmcnt(0)
	v_add_co_u32 v0, vcc_lo, s8, v0
	s_delay_alu instid0(VALU_DEP_2)
	v_add_co_ci_u32_e32 v1, vcc_lo, s9, v1, vcc_lo
	global_store_b16 v[0:1], v2, off
.LBB151_62:
	s_endpgm
.LBB151_63:
	s_delay_alu instid0(VALU_DEP_1) | instskip(SKIP_1) | instid1(VALU_DEP_2)
	v_dual_mov_b32 v7, 0 :: v_dual_add_nc_u32 v6, v5, v0
	v_cvt_f16_f32_e32 v8, v8
	v_lshlrev_b64 v[6:7], 1, v[6:7]
	s_waitcnt lgkmcnt(0)
	s_delay_alu instid0(VALU_DEP_1) | instskip(NEXT) | instid1(VALU_DEP_1)
	v_add_co_u32 v6, s3, s8, v6
	v_add_co_ci_u32_e64 v7, s3, s9, v7, s3
	global_store_b16 v[6:7], v8, off
	s_or_b32 exec_lo, exec_lo, s5
	s_and_saveexec_b32 s5, s0
	s_cbranch_execz .LBB151_23
.LBB151_64:
	scratch_load_b32 v8, off, off offset:1088 ; 4-byte Folded Reload
	v_dual_mov_b32 v7, 0 :: v_dual_add_nc_u32 v6, v5, v2
	s_delay_alu instid0(VALU_DEP_1) | instskip(SKIP_1) | instid1(VALU_DEP_1)
	v_lshlrev_b64 v[6:7], 1, v[6:7]
	s_waitcnt lgkmcnt(0)
	v_add_co_u32 v6, s3, s8, v6
	s_delay_alu instid0(VALU_DEP_1)
	v_add_co_ci_u32_e64 v7, s3, s9, v7, s3
	s_waitcnt vmcnt(0)
	v_cvt_f16_f32_e32 v8, v8
	global_store_b16 v[6:7], v8, off
	s_or_b32 exec_lo, exec_lo, s5
	s_and_saveexec_b32 s5, s1
	s_cbranch_execz .LBB151_24
.LBB151_65:
	scratch_load_b32 v8, off, off offset:1084 ; 4-byte Folded Reload
	v_dual_mov_b32 v7, 0 :: v_dual_add_nc_u32 v6, v5, v3
	s_delay_alu instid0(VALU_DEP_1) | instskip(SKIP_1) | instid1(VALU_DEP_1)
	v_lshlrev_b64 v[6:7], 1, v[6:7]
	s_waitcnt lgkmcnt(0)
	v_add_co_u32 v6, s3, s8, v6
	s_delay_alu instid0(VALU_DEP_1)
	v_add_co_ci_u32_e64 v7, s3, s9, v7, s3
	s_waitcnt vmcnt(0)
	v_cvt_f16_f32_e32 v8, v8
	global_store_b16 v[6:7], v8, off
	s_or_b32 exec_lo, exec_lo, s5
	s_and_saveexec_b32 s5, s2
	s_cbranch_execnz .LBB151_25
	s_branch .LBB151_26
.LBB151_66:
	scratch_load_b32 v8, off, off offset:1104 ; 4-byte Folded Reload
	v_dual_mov_b32 v7, 0 :: v_dual_add_nc_u32 v6, v5, v0
	s_delay_alu instid0(VALU_DEP_1) | instskip(SKIP_1) | instid1(VALU_DEP_1)
	v_lshlrev_b64 v[6:7], 1, v[6:7]
	s_waitcnt lgkmcnt(0)
	v_add_co_u32 v6, s3, s8, v6
	s_delay_alu instid0(VALU_DEP_1)
	v_add_co_ci_u32_e64 v7, s3, s9, v7, s3
	s_waitcnt vmcnt(0)
	v_cvt_f16_f32_e32 v8, v8
	global_store_b16 v[6:7], v8, off
	s_or_b32 exec_lo, exec_lo, s5
	s_and_saveexec_b32 s5, s0
	s_cbranch_execz .LBB151_29
.LBB151_67:
	scratch_load_b32 v8, off, off offset:1100 ; 4-byte Folded Reload
	v_dual_mov_b32 v7, 0 :: v_dual_add_nc_u32 v6, v5, v2
	s_delay_alu instid0(VALU_DEP_1) | instskip(SKIP_1) | instid1(VALU_DEP_1)
	v_lshlrev_b64 v[6:7], 1, v[6:7]
	s_waitcnt lgkmcnt(0)
	v_add_co_u32 v6, s3, s8, v6
	s_delay_alu instid0(VALU_DEP_1)
	v_add_co_ci_u32_e64 v7, s3, s9, v7, s3
	s_waitcnt vmcnt(0)
	v_cvt_f16_f32_e32 v8, v8
	global_store_b16 v[6:7], v8, off
	s_or_b32 exec_lo, exec_lo, s5
	s_and_saveexec_b32 s5, s1
	s_cbranch_execz .LBB151_30
.LBB151_68:
	scratch_load_b32 v8, off, off offset:1096 ; 4-byte Folded Reload
	v_dual_mov_b32 v7, 0 :: v_dual_add_nc_u32 v6, v5, v3
	s_delay_alu instid0(VALU_DEP_1) | instskip(SKIP_1) | instid1(VALU_DEP_1)
	v_lshlrev_b64 v[6:7], 1, v[6:7]
	s_waitcnt lgkmcnt(0)
	v_add_co_u32 v6, s3, s8, v6
	s_delay_alu instid0(VALU_DEP_1)
	v_add_co_ci_u32_e64 v7, s3, s9, v7, s3
	s_waitcnt vmcnt(0)
	v_cvt_f16_f32_e32 v8, v8
	global_store_b16 v[6:7], v8, off
	s_or_b32 exec_lo, exec_lo, s5
	s_and_saveexec_b32 s5, s2
	s_cbranch_execnz .LBB151_31
	s_branch .LBB151_32
.LBB151_69:
	scratch_load_b32 v8, off, off offset:1120 ; 4-byte Folded Reload
	v_dual_mov_b32 v7, 0 :: v_dual_add_nc_u32 v6, v5, v0
	s_delay_alu instid0(VALU_DEP_1) | instskip(SKIP_1) | instid1(VALU_DEP_1)
	v_lshlrev_b64 v[6:7], 1, v[6:7]
	s_waitcnt lgkmcnt(0)
	v_add_co_u32 v6, s3, s8, v6
	s_delay_alu instid0(VALU_DEP_1)
	v_add_co_ci_u32_e64 v7, s3, s9, v7, s3
	s_waitcnt vmcnt(0)
	v_cvt_f16_f32_e32 v8, v8
	global_store_b16 v[6:7], v8, off
	s_or_b32 exec_lo, exec_lo, s5
	s_and_saveexec_b32 s5, s0
	s_cbranch_execz .LBB151_35
.LBB151_70:
	scratch_load_b32 v8, off, off offset:1116 ; 4-byte Folded Reload
	v_dual_mov_b32 v7, 0 :: v_dual_add_nc_u32 v6, v5, v2
	s_delay_alu instid0(VALU_DEP_1) | instskip(SKIP_1) | instid1(VALU_DEP_1)
	v_lshlrev_b64 v[6:7], 1, v[6:7]
	s_waitcnt lgkmcnt(0)
	v_add_co_u32 v6, s3, s8, v6
	s_delay_alu instid0(VALU_DEP_1)
	v_add_co_ci_u32_e64 v7, s3, s9, v7, s3
	s_waitcnt vmcnt(0)
	v_cvt_f16_f32_e32 v8, v8
	global_store_b16 v[6:7], v8, off
	s_or_b32 exec_lo, exec_lo, s5
	s_and_saveexec_b32 s5, s1
	s_cbranch_execz .LBB151_36
.LBB151_71:
	scratch_load_b32 v8, off, off offset:1112 ; 4-byte Folded Reload
	v_dual_mov_b32 v7, 0 :: v_dual_add_nc_u32 v6, v5, v3
	s_delay_alu instid0(VALU_DEP_1) | instskip(SKIP_1) | instid1(VALU_DEP_1)
	v_lshlrev_b64 v[6:7], 1, v[6:7]
	s_waitcnt lgkmcnt(0)
	v_add_co_u32 v6, s3, s8, v6
	s_delay_alu instid0(VALU_DEP_1)
	v_add_co_ci_u32_e64 v7, s3, s9, v7, s3
	s_waitcnt vmcnt(0)
	v_cvt_f16_f32_e32 v8, v8
	global_store_b16 v[6:7], v8, off
	s_or_b32 exec_lo, exec_lo, s5
	s_and_saveexec_b32 s5, s2
	s_cbranch_execnz .LBB151_37
	s_branch .LBB151_38
.LBB151_72:
	scratch_load_b32 v8, off, off offset:1136 ; 4-byte Folded Reload
	v_dual_mov_b32 v7, 0 :: v_dual_add_nc_u32 v6, v5, v0
	s_delay_alu instid0(VALU_DEP_1) | instskip(SKIP_1) | instid1(VALU_DEP_1)
	v_lshlrev_b64 v[6:7], 1, v[6:7]
	s_waitcnt lgkmcnt(0)
	v_add_co_u32 v6, s3, s8, v6
	s_delay_alu instid0(VALU_DEP_1)
	v_add_co_ci_u32_e64 v7, s3, s9, v7, s3
	s_waitcnt vmcnt(0)
	v_cvt_f16_f32_e32 v8, v8
	global_store_b16 v[6:7], v8, off
	s_or_b32 exec_lo, exec_lo, s5
	s_and_saveexec_b32 s5, s0
	s_cbranch_execz .LBB151_41
.LBB151_73:
	scratch_load_b32 v8, off, off offset:1132 ; 4-byte Folded Reload
	v_dual_mov_b32 v7, 0 :: v_dual_add_nc_u32 v6, v5, v2
	s_delay_alu instid0(VALU_DEP_1) | instskip(SKIP_1) | instid1(VALU_DEP_1)
	v_lshlrev_b64 v[6:7], 1, v[6:7]
	s_waitcnt lgkmcnt(0)
	v_add_co_u32 v6, s3, s8, v6
	s_delay_alu instid0(VALU_DEP_1)
	v_add_co_ci_u32_e64 v7, s3, s9, v7, s3
	s_waitcnt vmcnt(0)
	v_cvt_f16_f32_e32 v8, v8
	global_store_b16 v[6:7], v8, off
	s_or_b32 exec_lo, exec_lo, s5
	s_and_saveexec_b32 s5, s1
	s_cbranch_execz .LBB151_42
.LBB151_74:
	scratch_load_b32 v8, off, off offset:1128 ; 4-byte Folded Reload
	v_dual_mov_b32 v7, 0 :: v_dual_add_nc_u32 v6, v5, v3
	s_delay_alu instid0(VALU_DEP_1) | instskip(SKIP_1) | instid1(VALU_DEP_1)
	v_lshlrev_b64 v[6:7], 1, v[6:7]
	s_waitcnt lgkmcnt(0)
	v_add_co_u32 v6, s3, s8, v6
	s_delay_alu instid0(VALU_DEP_1)
	v_add_co_ci_u32_e64 v7, s3, s9, v7, s3
	s_waitcnt vmcnt(0)
	v_cvt_f16_f32_e32 v8, v8
	global_store_b16 v[6:7], v8, off
	s_or_b32 exec_lo, exec_lo, s5
	s_and_saveexec_b32 s5, s2
	s_cbranch_execnz .LBB151_43
	s_branch .LBB151_44
.LBB151_75:
	scratch_load_b32 v8, off, off offset:1152 ; 4-byte Folded Reload
	v_dual_mov_b32 v7, 0 :: v_dual_add_nc_u32 v6, v5, v0
	s_delay_alu instid0(VALU_DEP_1) | instskip(SKIP_1) | instid1(VALU_DEP_1)
	v_lshlrev_b64 v[6:7], 1, v[6:7]
	s_waitcnt lgkmcnt(0)
	v_add_co_u32 v6, s3, s8, v6
	s_delay_alu instid0(VALU_DEP_1)
	v_add_co_ci_u32_e64 v7, s3, s9, v7, s3
	s_waitcnt vmcnt(0)
	v_cvt_f16_f32_e32 v8, v8
	global_store_b16 v[6:7], v8, off
	s_or_b32 exec_lo, exec_lo, s5
	s_and_saveexec_b32 s5, s0
	s_cbranch_execz .LBB151_47
.LBB151_76:
	scratch_load_b32 v8, off, off offset:1148 ; 4-byte Folded Reload
	v_dual_mov_b32 v7, 0 :: v_dual_add_nc_u32 v6, v5, v2
	s_delay_alu instid0(VALU_DEP_1) | instskip(SKIP_1) | instid1(VALU_DEP_1)
	v_lshlrev_b64 v[6:7], 1, v[6:7]
	s_waitcnt lgkmcnt(0)
	v_add_co_u32 v6, s3, s8, v6
	s_delay_alu instid0(VALU_DEP_1)
	v_add_co_ci_u32_e64 v7, s3, s9, v7, s3
	s_waitcnt vmcnt(0)
	v_cvt_f16_f32_e32 v8, v8
	global_store_b16 v[6:7], v8, off
	s_or_b32 exec_lo, exec_lo, s5
	s_and_saveexec_b32 s5, s1
	s_cbranch_execz .LBB151_48
.LBB151_77:
	scratch_load_b32 v8, off, off offset:1144 ; 4-byte Folded Reload
	v_dual_mov_b32 v7, 0 :: v_dual_add_nc_u32 v6, v5, v3
	s_delay_alu instid0(VALU_DEP_1) | instskip(SKIP_1) | instid1(VALU_DEP_1)
	v_lshlrev_b64 v[6:7], 1, v[6:7]
	s_waitcnt lgkmcnt(0)
	v_add_co_u32 v6, s3, s8, v6
	s_delay_alu instid0(VALU_DEP_1)
	v_add_co_ci_u32_e64 v7, s3, s9, v7, s3
	s_waitcnt vmcnt(0)
	v_cvt_f16_f32_e32 v8, v8
	global_store_b16 v[6:7], v8, off
	s_or_b32 exec_lo, exec_lo, s5
	s_and_saveexec_b32 s5, s2
	s_cbranch_execnz .LBB151_49
	s_branch .LBB151_50
.LBB151_78:
	scratch_load_b32 v8, off, off offset:1164 ; 4-byte Folded Reload
	v_dual_mov_b32 v7, 0 :: v_dual_add_nc_u32 v6, v5, v0
	s_delay_alu instid0(VALU_DEP_1) | instskip(SKIP_1) | instid1(VALU_DEP_1)
	v_lshlrev_b64 v[6:7], 1, v[6:7]
	s_waitcnt lgkmcnt(0)
	v_add_co_u32 v6, s3, s8, v6
	s_delay_alu instid0(VALU_DEP_1)
	v_add_co_ci_u32_e64 v7, s3, s9, v7, s3
	s_waitcnt vmcnt(0)
	v_cvt_f16_f32_e32 v8, v8
	global_store_b16 v[6:7], v8, off
	s_or_b32 exec_lo, exec_lo, s5
	s_and_saveexec_b32 s5, s0
	s_cbranch_execz .LBB151_53
.LBB151_79:
	scratch_load_b32 v8, off, off offset:1160 ; 4-byte Folded Reload
	v_dual_mov_b32 v7, 0 :: v_dual_add_nc_u32 v6, v5, v2
	s_delay_alu instid0(VALU_DEP_1) | instskip(SKIP_1) | instid1(VALU_DEP_1)
	v_lshlrev_b64 v[6:7], 1, v[6:7]
	s_waitcnt lgkmcnt(0)
	v_add_co_u32 v6, s3, s8, v6
	s_delay_alu instid0(VALU_DEP_1)
	v_add_co_ci_u32_e64 v7, s3, s9, v7, s3
	s_waitcnt vmcnt(0)
	v_cvt_f16_f32_e32 v8, v8
	global_store_b16 v[6:7], v8, off
	s_or_b32 exec_lo, exec_lo, s5
	s_and_saveexec_b32 s5, s1
	s_cbranch_execz .LBB151_54
.LBB151_80:
	scratch_load_b32 v8, off, off offset:1156 ; 4-byte Folded Reload
	v_dual_mov_b32 v7, 0 :: v_dual_add_nc_u32 v6, v5, v3
	s_delay_alu instid0(VALU_DEP_1) | instskip(SKIP_1) | instid1(VALU_DEP_1)
	v_lshlrev_b64 v[6:7], 1, v[6:7]
	s_waitcnt lgkmcnt(0)
	v_add_co_u32 v6, s3, s8, v6
	s_delay_alu instid0(VALU_DEP_1)
	v_add_co_ci_u32_e64 v7, s3, s9, v7, s3
	s_waitcnt vmcnt(0)
	v_cvt_f16_f32_e32 v8, v8
	global_store_b16 v[6:7], v8, off
	s_or_b32 exec_lo, exec_lo, s5
	s_and_saveexec_b32 s5, s2
	s_cbranch_execnz .LBB151_55
	s_branch .LBB151_56
.LBB151_81:
	s_delay_alu instid0(VALU_DEP_1) | instskip(SKIP_1) | instid1(VALU_DEP_2)
	v_dual_mov_b32 v6, 0 :: v_dual_add_nc_u32 v5, v1, v0
	v_cvt_f16_f32_e32 v0, v33
	v_lshlrev_b64 v[5:6], 1, v[5:6]
	s_waitcnt lgkmcnt(0)
	s_delay_alu instid0(VALU_DEP_1) | instskip(NEXT) | instid1(VALU_DEP_2)
	v_add_co_u32 v5, vcc_lo, s8, v5
	v_add_co_ci_u32_e32 v6, vcc_lo, s9, v6, vcc_lo
	global_store_b16 v[5:6], v0, off
	s_or_b32 exec_lo, exec_lo, s3
	s_and_saveexec_b32 s3, s0
	s_cbranch_execz .LBB151_59
.LBB151_82:
	s_delay_alu instid0(VALU_DEP_1) | instskip(SKIP_1) | instid1(VALU_DEP_2)
	v_dual_mov_b32 v6, 0 :: v_dual_add_nc_u32 v5, v1, v2
	v_cvt_f16_f32_e32 v0, v32
	v_lshlrev_b64 v[5:6], 1, v[5:6]
	s_waitcnt lgkmcnt(0)
	s_delay_alu instid0(VALU_DEP_1) | instskip(NEXT) | instid1(VALU_DEP_2)
	v_add_co_u32 v5, vcc_lo, s8, v5
	v_add_co_ci_u32_e32 v6, vcc_lo, s9, v6, vcc_lo
	global_store_b16 v[5:6], v0, off
	s_or_b32 exec_lo, exec_lo, s3
	s_and_saveexec_b32 s0, s1
	s_cbranch_execz .LBB151_60
.LBB151_83:
	v_dual_mov_b32 v3, 0 :: v_dual_add_nc_u32 v2, v1, v3
	v_cvt_f16_f32_e32 v0, v31
	s_delay_alu instid0(VALU_DEP_2) | instskip(SKIP_1) | instid1(VALU_DEP_1)
	v_lshlrev_b64 v[2:3], 1, v[2:3]
	s_waitcnt lgkmcnt(0)
	v_add_co_u32 v2, vcc_lo, s8, v2
	s_delay_alu instid0(VALU_DEP_2) | instskip(SKIP_2) | instid1(SALU_CYCLE_1)
	v_add_co_ci_u32_e32 v3, vcc_lo, s9, v3, vcc_lo
	global_store_b16 v[2:3], v0, off
	s_or_b32 exec_lo, exec_lo, s0
	s_and_b32 exec_lo, exec_lo, s2
	s_cbranch_execnz .LBB151_61
	s_branch .LBB151_62
	.section	.rodata,"a",@progbits
	.p2align	6, 0x0
	.amdhsa_kernel _ZL12mul_mat_q4_KIN3c104HalfELb0EEvPKvS3_PT_iiiii
		.amdhsa_group_segment_fixed_size 28752
		.amdhsa_private_segment_fixed_size 1588
		.amdhsa_kernarg_size 44
		.amdhsa_user_sgpr_count 14
		.amdhsa_user_sgpr_dispatch_ptr 0
		.amdhsa_user_sgpr_queue_ptr 0
		.amdhsa_user_sgpr_kernarg_segment_ptr 1
		.amdhsa_user_sgpr_dispatch_id 0
		.amdhsa_user_sgpr_private_segment_size 0
		.amdhsa_wavefront_size32 1
		.amdhsa_uses_dynamic_stack 0
		.amdhsa_enable_private_segment 1
		.amdhsa_system_sgpr_workgroup_id_x 1
		.amdhsa_system_sgpr_workgroup_id_y 1
		.amdhsa_system_sgpr_workgroup_id_z 0
		.amdhsa_system_sgpr_workgroup_info 0
		.amdhsa_system_vgpr_workitem_id 1
		.amdhsa_next_free_vgpr 256
		.amdhsa_next_free_sgpr 18
		.amdhsa_reserve_vcc 1
		.amdhsa_float_round_mode_32 0
		.amdhsa_float_round_mode_16_64 0
		.amdhsa_float_denorm_mode_32 3
		.amdhsa_float_denorm_mode_16_64 3
		.amdhsa_dx10_clamp 1
		.amdhsa_ieee_mode 1
		.amdhsa_fp16_overflow 0
		.amdhsa_workgroup_processor_mode 1
		.amdhsa_memory_ordered 1
		.amdhsa_forward_progress 0
		.amdhsa_shared_vgpr_count 0
		.amdhsa_exception_fp_ieee_invalid_op 0
		.amdhsa_exception_fp_denorm_src 0
		.amdhsa_exception_fp_ieee_div_zero 0
		.amdhsa_exception_fp_ieee_overflow 0
		.amdhsa_exception_fp_ieee_underflow 0
		.amdhsa_exception_fp_ieee_inexact 0
		.amdhsa_exception_int_div_zero 0
	.end_amdhsa_kernel
	.section	.text._ZL12mul_mat_q4_KIN3c104HalfELb0EEvPKvS3_PT_iiiii,"axG",@progbits,_ZL12mul_mat_q4_KIN3c104HalfELb0EEvPKvS3_PT_iiiii,comdat
.Lfunc_end151:
	.size	_ZL12mul_mat_q4_KIN3c104HalfELb0EEvPKvS3_PT_iiiii, .Lfunc_end151-_ZL12mul_mat_q4_KIN3c104HalfELb0EEvPKvS3_PT_iiiii
                                        ; -- End function
	.section	.AMDGPU.csdata,"",@progbits
; Kernel info:
; codeLenInByte = 49284
; NumSgprs: 20
; NumVgprs: 256
; ScratchSize: 1588
; MemoryBound: 0
; FloatMode: 240
; IeeeMode: 1
; LDSByteSize: 28752 bytes/workgroup (compile time only)
; SGPRBlocks: 2
; VGPRBlocks: 31
; NumSGPRsForWavesPerEU: 20
; NumVGPRsForWavesPerEU: 256
; Occupancy: 5
; WaveLimiterHint : 0
; COMPUTE_PGM_RSRC2:SCRATCH_EN: 1
; COMPUTE_PGM_RSRC2:USER_SGPR: 14
; COMPUTE_PGM_RSRC2:TRAP_HANDLER: 0
; COMPUTE_PGM_RSRC2:TGID_X_EN: 1
; COMPUTE_PGM_RSRC2:TGID_Y_EN: 1
; COMPUTE_PGM_RSRC2:TGID_Z_EN: 0
; COMPUTE_PGM_RSRC2:TIDIG_COMP_CNT: 1
	.section	.text._ZL12mul_mat_q4_KIN3c104HalfELb1EEvPKvS3_PT_iiiii,"axG",@progbits,_ZL12mul_mat_q4_KIN3c104HalfELb1EEvPKvS3_PT_iiiii,comdat
	.globl	_ZL12mul_mat_q4_KIN3c104HalfELb1EEvPKvS3_PT_iiiii ; -- Begin function _ZL12mul_mat_q4_KIN3c104HalfELb1EEvPKvS3_PT_iiiii
	.p2align	8
	.type	_ZL12mul_mat_q4_KIN3c104HalfELb1EEvPKvS3_PT_iiiii,@function
_ZL12mul_mat_q4_KIN3c104HalfELb1EEvPKvS3_PT_iiiii: ; @_ZL12mul_mat_q4_KIN3c104HalfELb1EEvPKvS3_PT_iiiii
; %bb.0:
	s_clause 0x1
	s_load_b128 s[4:7], s[0:1], 0x18
	s_load_b32 s10, s[0:1], 0x28
	v_bfe_u32 v36, v0, 10, 10
	v_and_b32_e32 v1, 0x3ff, v0
	s_lshl_b32 s11, s15, 6
	scratch_store_b32 off, v1, off offset:1280 ; 4-byte Folded Spill
	s_waitcnt lgkmcnt(0)
	s_cmpk_gt_i32 s4, 0xff
	s_cbranch_scc1 .LBB152_2
; %bb.1:
	v_bfe_u32 v1, v0, 10, 10
	v_and_b32_e32 v0, 0x3ff, v0
	s_mov_b32 s2, 0
	s_mov_b32 s3, 0
	s_delay_alu instid0(VALU_DEP_2)
	v_add_nc_u32_e32 v2, s11, v1
	s_branch .LBB152_3
.LBB152_2:
	s_mov_b32 s2, -1
                                        ; implicit-def: $sgpr3
                                        ; implicit-def: $vgpr1
                                        ; implicit-def: $vgpr0
                                        ; implicit-def: $vgpr2
.LBB152_3:
	s_load_b64 s[8:9], s[0:1], 0x10
	v_dual_mov_b32 v30, s3 :: v_dual_mov_b32 v31, s3
	v_dual_mov_b32 v74, s3 :: v_dual_mov_b32 v67, s3
	;; [unrolled: 1-line block ×3, first 2 shown]
	v_mov_b32_e32 v32, s3
	v_mov_b32_e32 v70, s3
	s_and_not1_b32 vcc_lo, exec_lo, s2
	s_lshl_b32 s12, s14, 7
	s_clause 0x17
	scratch_store_b32 off, v30, off offset:1144
	scratch_store_b32 off, v30, off offset:1128
	;; [unrolled: 1-line block ×24, first 2 shown]
	s_cbranch_vccnz .LBB152_11
; %bb.4:
	scratch_load_b32 v37, off, off offset:1280 ; 4-byte Folded Reload
	s_load_b128 s[0:3], s[0:1], 0x0
	s_ashr_i32 s13, s4, 31
	s_ashr_i32 s14, s7, 31
	s_lshr_b32 s13, s13, 24
	v_dual_mov_b32 v67, 0 :: v_dual_add_nc_u32 v20, 8, v36
	s_add_i32 s4, s4, s13
	s_lshr_b32 s13, s14, 27
	s_ashr_i32 s4, s4, 8
	s_add_i32 s7, s7, s13
	s_mul_i32 s13, s4, s12
	s_ashr_i32 s14, s7, 5
	s_mul_i32 s7, s13, 0x90
	s_mul_hi_i32 s13, s13, 0x90
	v_dual_mov_b32 v70, 0 :: v_dual_add_nc_u32 v9, 0x60, v36
	v_add_nc_u32_e32 v21, 16, v36
	v_add_nc_u32_e32 v22, 24, v36
	;; [unrolled: 1-line block ×4, first 2 shown]
	s_waitcnt lgkmcnt(0)
	s_add_u32 s7, s0, s7
	s_addc_u32 s13, s1, s13
	s_not_b32 s0, s12
	v_add_nc_u32_e32 v24, 40, v36
	s_add_i32 s0, s0, s5
	v_add_nc_u32_e32 v25, 48, v36
	v_min_i32_e32 v1, s0, v36
	v_min_i32_e32 v19, s0, v9
	;; [unrolled: 1-line block ×3, first 2 shown]
	v_add_nc_u32_e32 v26, 56, v36
	s_add_i32 s1, s6, -1
	v_mul_lo_u32 v4, v1, s4
	v_mul_lo_u32 v29, v19, s4
	v_add_nc_u32_e32 v10, 24, v28
	v_lshlrev_b32_e32 v27, 5, v36
	v_add_nc_u32_e32 v7, 16, v28
	v_add_nc_u32_e32 v17, 0x68, v36
	;; [unrolled: 1-line block ×3, first 2 shown]
	v_cvt_f64_u32_e32 v[9:10], v10
	v_add_nc_u32_e32 v13, 40, v28
	v_add_nc_u32_e32 v16, 48, v28
	v_cvt_f64_u32_e32 v[7:8], v7
	v_cvt_f64_u32_e32 v[11:12], v11
	v_add_nc_u32_e32 v30, 0x70, v36
	v_cvt_f64_u32_e32 v[13:14], v13
	s_mov_b32 s5, 0
	s_clause 0x1
	scratch_store_b32 off, v4, off offset:1396
	scratch_store_b32 off, v28, off offset:1640
	v_mov_b32_e32 v68, 0
	v_mov_b32_e32 v74, 0
	s_waitcnt vmcnt(0)
	v_lshlrev_b32_e32 v0, 2, v37
	v_add_nc_u32_e32 v15, v27, v37
	v_lshrrev_b32_e32 v38, 5, v37
	s_delay_alu instid0(VALU_DEP_3) | instskip(SKIP_1) | instid1(VALU_DEP_4)
	v_and_b32_e32 v2, 0x7c, v0
	v_mad_u64_u32 v[4:5], null, 0x84, v1, v[0:1]
	v_and_b32_e32 v18, 0x7f, v15
	v_cvt_f64_u32_e32 v[15:16], v16
	scratch_store_b32 off, v2, off offset:1392 ; 4-byte Folded Spill
	v_min_i32_e32 v2, s0, v20
	scratch_store_b32 off, v38, off offset:1388 ; 4-byte Folded Spill
	v_min_i32_e32 v31, s0, v18
	v_mul_lo_u32 v1, v2, s4
	scratch_store_b64 off, v[4:5], off offset:1400 ; 8-byte Folded Spill
	v_mad_u64_u32 v[4:5], null, 0x84, v2, v[0:1]
	scratch_store_b32 off, v1, off offset:1408 ; 4-byte Folded Spill
	v_mul_lo_u32 v1, v3, s4
	v_min_i32_e32 v2, s0, v23
	s_clause 0x1
	scratch_store_b64 off, v[4:5], off offset:1412
	scratch_store_b32 off, v1, off offset:1420
	v_min_i32_e32 v1, s0, v22
	s_delay_alu instid0(VALU_DEP_1)
	v_mad_u64_u32 v[4:5], null, 0x84, v3, v[0:1]
	v_mul_lo_u32 v3, v1, s4
	s_clause 0x1
	scratch_store_b64 off, v[4:5], off offset:1424
	scratch_store_b32 off, v3, off offset:1432
	v_mad_u64_u32 v[3:4], null, 0x84, v1, v[0:1]
	v_min_i32_e32 v1, s0, v24
	scratch_store_b64 off, v[3:4], off offset:1436 ; 8-byte Folded Spill
	v_mul_lo_u32 v3, v2, s4
	scratch_store_b32 off, v3, off offset:1444 ; 4-byte Folded Spill
	v_mad_u64_u32 v[3:4], null, 0x84, v2, v[0:1]
	v_mul_lo_u32 v2, v1, s4
	scratch_store_b64 off, v[3:4], off offset:1448 ; 8-byte Folded Spill
	v_mad_u64_u32 v[3:4], null, 0x84, v1, v[0:1]
	scratch_store_b32 off, v2, off offset:1456 ; 4-byte Folded Spill
	v_min_i32_e32 v2, s0, v25
	v_add_nc_u32_e32 v1, 64, v36
	scratch_store_b64 off, v[3:4], off offset:1460 ; 8-byte Folded Spill
	v_mul_lo_u32 v4, v2, s4
	v_min_i32_e32 v3, s0, v26
	scratch_store_b32 off, v4, off offset:1468 ; 4-byte Folded Spill
	v_mad_u64_u32 v[4:5], null, 0x84, v2, v[0:1]
	v_min_i32_e32 v1, s0, v1
	v_mul_lo_u32 v2, v3, s4
	scratch_store_b64 off, v[4:5], off offset:1472 ; 8-byte Folded Spill
	v_mad_u64_u32 v[4:5], null, 0x84, v3, v[0:1]
	scratch_store_b32 off, v2, off offset:1480 ; 4-byte Folded Spill
	v_add_nc_u32_e32 v2, 0x48, v36
	v_mul_lo_u32 v3, v1, s4
	scratch_store_b64 off, v[4:5], off offset:1484 ; 8-byte Folded Spill
	v_mad_u64_u32 v[4:5], null, 0x84, v1, v[0:1]
	v_min_i32_e32 v2, s0, v2
	scratch_store_b32 off, v3, off offset:1492 ; 4-byte Folded Spill
	v_add_nc_u32_e32 v3, 0x50, v36
	v_add_nc_u32_e32 v1, 0x58, v36
	scratch_store_b64 off, v[4:5], off offset:1496 ; 8-byte Folded Spill
	v_mul_lo_u32 v4, v2, s4
	v_min_i32_e32 v3, s0, v3
	scratch_store_b32 off, v4, off offset:1504 ; 4-byte Folded Spill
	v_mad_u64_u32 v[4:5], null, 0x84, v2, v[0:1]
	v_mul_lo_u32 v2, v3, s4
	v_min_i32_e32 v1, s0, v1
	scratch_store_b64 off, v[4:5], off offset:1508 ; 8-byte Folded Spill
	v_mad_u64_u32 v[4:5], null, 0x84, v3, v[0:1]
	scratch_store_b32 off, v2, off offset:1516 ; 4-byte Folded Spill
	v_mul_lo_u32 v2, v1, s4
	scratch_store_b64 off, v[4:5], off offset:1520 ; 8-byte Folded Spill
	v_add_nc_u32_e32 v5, 8, v28
	scratch_store_b32 off, v2, off offset:1528 ; 4-byte Folded Spill
	v_mad_u64_u32 v[2:3], null, 0x84, v1, v[0:1]
	v_cvt_f64_u32_e32 v[5:6], v5
	scratch_store_b64 off, v[2:3], off offset:1532 ; 8-byte Folded Spill
	v_cvt_f64_i32_e32 v[1:2], s1
	v_cvt_f64_u32_e32 v[3:4], v28
	v_add_nc_u32_e32 v28, 56, v28
	s_delay_alu instid0(VALU_DEP_3)
	v_mad_u64_u32 v[32:33], null, 0x84, v19, v[0:1]
	scratch_store_b32 off, v29, off offset:1540 ; 4-byte Folded Spill
	v_min_i32_e32 v29, s0, v17
	v_cvt_f64_u32_e32 v[17:18], v28
	v_min_f64 v[3:4], v[3:4], v[1:2]
	v_ashrrev_i32_e32 v28, 31, v31
	v_min_f64 v[9:10], v[9:10], v[1:2]
	v_mul_lo_u32 v19, v29, s4
	scratch_store_b64 off, v[32:33], off offset:1544 ; 8-byte Folded Spill
	v_mad_u64_u32 v[32:33], null, 0x84, v29, v[0:1]
	v_min_f64 v[5:6], v[5:6], v[1:2]
	v_lshrrev_b32_e32 v28, 27, v28
	v_min_f64 v[7:8], v[7:8], v[1:2]
	v_min_f64 v[11:12], v[11:12], v[1:2]
	scratch_store_b32 off, v19, off offset:1552 ; 4-byte Folded Spill
	v_min_i32_e32 v19, s0, v30
	v_add_nc_u32_e32 v30, 0x78, v36
	v_min_f64 v[13:14], v[13:14], v[1:2]
	v_min_f64 v[15:16], v[15:16], v[1:2]
	s_delay_alu instid0(VALU_DEP_4)
	v_mul_lo_u32 v29, v19, s4
	scratch_store_b64 off, v[32:33], off offset:1556 ; 8-byte Folded Spill
	v_mad_u64_u32 v[32:33], null, 0x84, v19, v[0:1]
	v_add_nc_u32_e32 v19, v31, v28
	scratch_store_b32 off, v29, off offset:1564 ; 4-byte Folded Spill
	v_min_i32_e32 v29, s0, v30
	v_lshrrev_b32_e32 v30, 2, v37
	v_ashrrev_i32_e32 v19, 5, v19
	s_delay_alu instid0(VALU_DEP_3)
	v_mul_lo_u32 v28, v29, s4
	scratch_store_b64 off, v[32:33], off offset:1568 ; 8-byte Folded Spill
	v_mad_u64_u32 v[32:33], null, 0x84, v29, v[0:1]
	v_min_f64 v[1:2], v[17:18], v[1:2]
	v_mul_lo_u32 v17, v31, s4
	scratch_store_b32 off, v28, off offset:1576 ; 4-byte Folded Spill
	v_lshl_add_u32 v28, v36, 3, v30
	v_lshlrev_b32_e32 v30, 2, v19
	v_and_b32_e32 v19, 3, v37
	scratch_store_b64 off, v[32:33], off offset:1580 ; 8-byte Folded Spill
	v_lshlrev_b32_e32 v33, 2, v31
	v_and_b32_e32 v29, 0x7f, v28
	v_cvt_i32_f64_e32 v3, v[3:4]
	v_add_nc_u32_e32 v34, 0xfe, v19
	v_cmp_gt_u32_e32 vcc_lo, 2, v19
	v_cvt_i32_f64_e32 v9, v[9:10]
	v_min_i32_e32 v32, s0, v29
	v_xor_b32_e32 v29, 64, v29
	v_cvt_i32_f64_e32 v5, v[5:6]
	v_cndmask_b32_e32 v34, v34, v19, vcc_lo
	v_cmp_ne_u32_e32 vcc_lo, 0, v19
	v_ashrrev_i32_e32 v35, 31, v32
	v_min_i32_e32 v18, s0, v29
	v_add3_u32 v29, v30, v33, 0x6e40
	scratch_store_b32 off, v17, off offset:1588 ; 4-byte Folded Spill
	v_mul_lo_u32 v10, v32, s4
	v_lshrrev_b32_e32 v17, 29, v35
	v_and_b32_e32 v30, 4, v0
	scratch_store_b32 off, v29, off offset:1592 ; 4-byte Folded Spill
	v_and_b32_e32 v29, 0xff, v34
	v_ashrrev_i32_e32 v31, 31, v18
	v_add_nc_u32_e32 v17, v32, v17
	v_cvt_i32_f64_e32 v7, v[7:8]
	scratch_store_b32 off, v10, off offset:1604 ; 4-byte Folded Spill
	v_add_co_ci_u32_e32 v33, vcc_lo, 0, v29, vcc_lo
	v_cmp_lt_u32_e32 vcc_lo, 1, v19
	v_lshrrev_b32_e32 v31, 29, v31
	v_ashrrev_i32_e32 v17, 3, v17
	v_cvt_i32_f64_e32 v10, v[11:12]
	v_cvt_i32_f64_e32 v12, v[13:14]
	v_cndmask_b32_e32 v30, 0, v30, vcc_lo
	v_mul_lo_u32 v14, v18, s4
	v_lshlrev_b32_e32 v6, 2, v17
	v_lshlrev_b32_e32 v17, 1, v29
	v_cvt_i32_f64_e32 v1, v[1:2]
	scratch_store_b32 off, v30, off offset:1596 ; 4-byte Folded Spill
	v_add_nc_u32_e32 v30, v18, v31
	v_lshlrev_b32_e32 v8, 2, v19
	s_clause 0x1
	scratch_store_b32 off, v17, off offset:1600
	scratch_store_b32 off, v14, off offset:1608
	v_cvt_i32_f64_e32 v14, v[15:16]
	v_ashrrev_i32_e32 v17, 3, v30
	v_and_b32_e32 v15, 63, v28
	v_and_b32_e32 v2, 31, v37
	v_add3_u32 v6, v6, v8, 0x6200
	v_mul_lo_u32 v3, s14, v3
	v_lshlrev_b32_e32 v11, 2, v17
	v_and_b32_e32 v17, 28, v0
	v_lshlrev_b32_e32 v16, 4, v18
	v_or_b32_e32 v18, s11, v15
	v_mov_b32_e32 v31, 0
	v_add3_u32 v11, v11, v8, 0x6200
	v_lshl_or_b32 v8, v15, 4, v8
	v_add_co_u32 v28, s0, s2, v17
	v_lshlrev_b32_e32 v15, 2, v2
	v_or_b32_e32 v2, v27, v2
	v_add_co_ci_u32_e64 v29, null, s3, 0, s0
	v_add_nc_u32_e32 v8, 0x6a40, v8
	v_min_i32_e32 v17, s1, v18
	s_delay_alu instid0(VALU_DEP_4)
	v_lshl_add_u32 v2, v2, 2, 0x4200
	s_clause 0x2
	scratch_store_b64 off, v[28:29], off offset:1284
	scratch_store_b32 off, v3, off offset:1296
	scratch_store_b32 off, v8, off offset:1292
	v_mul_lo_u32 v3, s14, v5
	v_lshl_or_b32 v8, v20, 7, v15
	scratch_store_b32 off, v2, off offset:1300 ; 4-byte Folded Spill
	v_lshl_or_b32 v2, v21, 7, v15
	v_mul_lo_u32 v5, s14, v9
	v_lshl_or_b32 v9, v26, 7, v15
	v_mad_u64_u32 v[27:28], null, v17, s14, v[19:20]
	s_delay_alu instid0(VALU_DEP_4)
	v_add_nc_u32_e32 v2, 0x4200, v2
	scratch_store_b32 off, v3, off offset:1304 ; 4-byte Folded Spill
	v_add_nc_u32_e32 v3, 0x4200, v8
	v_mul_lo_u32 v1, s14, v1
	v_add_nc_u32_e32 v9, 0x4200, v9
	scratch_store_b32 off, v2, off offset:1316 ; 4-byte Folded Spill
	v_lshl_or_b32 v2, v23, 7, v15
	scratch_store_b32 off, v3, off offset:1308 ; 4-byte Folded Spill
	v_mul_lo_u32 v3, s14, v7
	scratch_store_b32 off, v9, off offset:1356 ; 4-byte Folded Spill
	v_dual_mov_b32 v30, 0 :: v_dual_add_nc_u32 v7, 0x60, v37
	v_add_nc_u32_e32 v2, 0x4200, v2
	scratch_store_b32 off, v1, off offset:1352 ; 4-byte Folded Spill
	v_cndmask_b32_e64 v4, 0, 1, vcc_lo
	v_lshrrev_b32_e32 v8, 3, v7
	s_clause 0x1
	scratch_store_b32 off, v3, off offset:1312
	scratch_store_b32 off, v2, off offset:1332
	v_lshl_or_b32 v3, v22, 7, v15
	v_mul_lo_u32 v2, s14, v12
	scratch_store_b64 off, v[27:28], off offset:1612 ; 8-byte Folded Spill
	v_and_b32_e32 v8, 60, v8
	v_lshlrev_b32_e32 v13, 4, v32
	v_add_nc_u32_e32 v3, 0x4200, v3
	scratch_store_b32 off, v5, off offset:1320 ; 4-byte Folded Spill
	v_lshl_or_b32 v5, v24, 7, v15
	v_dual_mov_b32 v32, 0 :: v_dual_lshlrev_b32 v35, 4, v37
	scratch_store_b32 off, v3, off offset:1324 ; 4-byte Folded Spill
	v_mul_lo_u32 v3, s14, v10
	v_lshlrev_b32_e32 v10, 2, v38
	s_delay_alu instid0(VALU_DEP_1)
	v_add3_u32 v9, v10, v0, 0x6e40
	scratch_store_b32 off, v2, off offset:1336 ; 4-byte Folded Spill
	v_add_nc_u32_e32 v2, 0x4200, v5
	scratch_store_b32 off, v3, off offset:1328 ; 4-byte Folded Spill
	v_mul_lo_u32 v3, s14, v14
	v_add_nc_u32_e32 v5, 64, v37
	scratch_store_b32 off, v2, off offset:1340 ; 4-byte Folded Spill
	v_lshl_or_b32 v2, v25, 7, v15
	s_delay_alu instid0(VALU_DEP_1) | instskip(SKIP_2) | instid1(VALU_DEP_1)
	v_add_nc_u32_e32 v2, 0x4200, v2
	scratch_store_b32 off, v3, off offset:1344 ; 4-byte Folded Spill
	v_add_nc_u32_e32 v3, 32, v37
	v_lshrrev_b32_e32 v1, 3, v3
	s_delay_alu instid0(VALU_DEP_1) | instskip(NEXT) | instid1(VALU_DEP_1)
	v_and_b32_e32 v1, 60, v1
	v_add3_u32 v1, v0, v1, 0x6e40
	scratch_store_b32 off, v2, off offset:1348 ; 4-byte Folded Spill
	v_lshrrev_b32_e32 v2, 3, v5
	scratch_store_b32 off, v1, off offset:1364 ; 4-byte Folded Spill
	v_and_b32_e32 v2, 60, v2
	s_delay_alu instid0(VALU_DEP_1)
	v_add3_u32 v1, v0, v2, 0x6e40
	v_add3_u32 v0, v0, v8, 0x6e40
	scratch_store_b32 off, v9, off offset:1360 ; 4-byte Folded Spill
	v_lshrrev_b32_e32 v2, 1, v3
	v_lshrrev_b32_e32 v3, 1, v37
	s_clause 0x1
	scratch_store_b32 off, v1, off offset:1368
	scratch_store_b32 off, v0, off offset:1372
	v_mul_u32_u24_e32 v0, 0x84, v37
	v_lshrrev_b32_e32 v1, 1, v5
	scratch_store_b32 off, v0, off offset:1376 ; 4-byte Folded Spill
	v_lshl_add_u32 v0, v36, 4, 0x6a40
	s_clause 0x1
	scratch_store_b32 off, v0, off offset:1380
	scratch_store_b32 off, v36, off offset:1636
	v_lshl_add_u32 v0, v36, 7, 0x4200
	v_and_b32_e32 v36, 0x7c, v3
	scratch_store_b32 off, v0, off offset:1384 ; 4-byte Folded Spill
	v_lshrrev_b32_e32 v0, 1, v7
	s_delay_alu instid0(VALU_DEP_1)
	v_and_b32_e32 v0, 0xfc, v0
	scratch_store_b32 off, v0, off offset:1264 ; 4-byte Folded Spill
	v_and_b32_e32 v0, 0xfc, v1
	scratch_store_b32 off, v0, off offset:1268 ; 4-byte Folded Spill
	;; [unrolled: 2-line block ×3, first 2 shown]
	v_dual_mov_b32 v33, 0 :: v_dual_lshlrev_b32 v0, 2, v33
	scratch_store_b32 off, v0, off offset:1620 ; 4-byte Folded Spill
	v_lshlrev_b32_e32 v0, 2, v4
	scratch_store_b32 off, v0, off offset:1624 ; 4-byte Folded Spill
	v_add_nc_u32_e32 v0, v6, v13
	scratch_store_b32 off, v0, off offset:1628 ; 4-byte Folded Spill
	v_add_nc_u32_e32 v0, v11, v16
	scratch_store_b32 off, v0, off offset:1632 ; 4-byte Folded Spill
	v_mov_b32_e32 v0, 0
	scratch_store_b32 off, v0, off offset:1092 ; 4-byte Folded Spill
	v_mov_b32_e32 v0, 0
	;; [unrolled: 2-line block ×24, first 2 shown]
	s_clause 0x2
	scratch_store_b32 off, v0, off offset:1144
	scratch_store_b32 off, v35, off offset:1256
	;; [unrolled: 1-line block ×3, first 2 shown]
.LBB152_5:                              ; =>This Loop Header: Depth=1
                                        ;     Child Loop BB152_6 Depth 2
                                        ;       Child Loop BB152_7 Depth 3
	s_clause 0x5
	scratch_load_b32 v2, off, off offset:1388
	scratch_load_b32 v4, off, off offset:1396
	scratch_load_b32 v8, off, off offset:1420
	scratch_load_b32 v12, off, off offset:1444
	scratch_load_b32 v16, off, off offset:1468
	scratch_load_b32 v20, off, off offset:1604
	s_mul_i32 s0, s5, 0x90
	s_mul_hi_u32 s1, s5, 0x90
	s_add_u32 s0, s7, s0
	s_addc_u32 s1, s13, s1
	s_mov_b32 s14, -1
	s_mov_b32 s15, 0
	s_clause 0x3
	scratch_load_b32 v6, off, off offset:1408
	scratch_load_b32 v10, off, off offset:1432
	;; [unrolled: 1-line block ×4, first 2 shown]
	s_waitcnt vmcnt(9)
	v_mad_u64_u32 v[0:1], null, 0x90, v2, s[0:1]
	scratch_load_b32 v2, off, off offset:1392 ; 4-byte Folded Reload
	s_waitcnt vmcnt(0)
	v_add_co_u32 v0, vcc_lo, v0, v2
	v_add_co_ci_u32_e32 v1, vcc_lo, 0, v1, vcc_lo
	s_delay_alu instid0(VALU_DEP_2) | instskip(NEXT) | instid1(VALU_DEP_2)
	v_add_co_u32 v0, vcc_lo, v0, 16
	v_add_co_ci_u32_e32 v1, vcc_lo, 0, v1, vcc_lo
	s_delay_alu instid0(VALU_DEP_1)
	v_mad_i64_i32 v[2:3], null, 0x90, v4, v[0:1]
	v_mad_i64_i32 v[4:5], null, 0x90, v6, v[0:1]
	;; [unrolled: 1-line block ×9, first 2 shown]
	s_clause 0x7
	global_load_b32 v20, v[2:3], off
	global_load_b32 v21, v[4:5], off
	;; [unrolled: 1-line block ×8, first 2 shown]
	s_clause 0x5
	scratch_load_b32 v4, off, off offset:1492
	scratch_load_b32 v6, off, off offset:1504
	;; [unrolled: 1-line block ×6, first 2 shown]
	v_add_co_u32 v12, vcc_lo, v18, 4
	v_add_co_ci_u32_e32 v13, vcc_lo, 0, v19, vcc_lo
	s_waitcnt vmcnt(5)
	v_mad_i64_i32 v[2:3], null, 0x90, v4, v[0:1]
	s_waitcnt vmcnt(4)
	v_mad_i64_i32 v[4:5], null, 0x90, v6, v[0:1]
	;; [unrolled: 2-line block ×4, first 2 shown]
	v_add_co_u32 v10, vcc_lo, v12, v16
	v_add_co_ci_u32_e32 v11, vcc_lo, 0, v13, vcc_lo
	s_delay_alu instid0(VALU_DEP_4) | instskip(SKIP_3) | instid1(VALU_DEP_4)
	v_add_co_u32 v14, vcc_lo, v6, 4
	v_add_co_ci_u32_e32 v15, vcc_lo, 0, v7, vcc_lo
	v_add_co_u32 v6, vcc_lo, v12, v17
	v_add_co_ci_u32_e32 v7, vcc_lo, 0, v13, vcc_lo
	v_add_co_u32 v12, vcc_lo, v14, v16
	s_delay_alu instid0(VALU_DEP_4)
	v_add_co_ci_u32_e32 v13, vcc_lo, 0, v15, vcc_lo
	v_add_co_u32 v14, vcc_lo, v14, v17
	v_add_co_ci_u32_e32 v15, vcc_lo, 0, v15, vcc_lo
	s_clause 0x2
	global_load_b32 v18, v[10:11], off
	global_load_b32 v19, v[6:7], off
	;; [unrolled: 1-line block ×3, first 2 shown]
	scratch_load_b32 v10, off, off offset:1528 ; 4-byte Folded Reload
	global_load_b32 v29, v[14:15], off
	s_clause 0x3
	scratch_load_b32 v12, off, off offset:1540
	scratch_load_b32 v14, off, off offset:1552
	;; [unrolled: 1-line block ×4, first 2 shown]
	s_waitcnt vmcnt(5)
	v_mad_i64_i32 v[6:7], null, 0x90, v10, v[0:1]
	s_waitcnt vmcnt(3)
	v_mad_i64_i32 v[10:11], null, 0x90, v12, v[0:1]
	;; [unrolled: 2-line block ×5, first 2 shown]
	scratch_load_b32 v34, off, off offset:1588 ; 4-byte Folded Reload
	s_waitcnt vmcnt(0)
	v_mad_i64_i32 v[0:1], null, 0x90, v34, s[0:1]
	s_clause 0x8
	global_load_b32 v2, v[2:3], off
	global_load_b32 v3, v[4:5], off
	;; [unrolled: 1-line block ×9, first 2 shown]
	s_clause 0x3
	scratch_load_b32 v10, off, off offset:1596
	scratch_load_b64 v[11:12], off, off offset:1612
	scratch_load_b64 v[13:14], off, off offset:1400
	scratch_load_b32 v12, off, off offset:1600
	s_lshl_b32 s0, s5, 3
	s_waitcnt vmcnt(3)
	v_ashrrev_i32_e32 v1, v10, v18
	s_waitcnt vmcnt(2)
	v_add_nc_u32_e32 v11, s0, v11
	s_waitcnt vmcnt(1)
	ds_store_b32 v13, v20
	scratch_load_b64 v[13:14], off, off offset:1412 ; 8-byte Folded Reload
	v_ashrrev_i32_e32 v10, v10, v28
	v_and_b32_e32 v1, 0xf0f0f0f, v1
	scratch_store_b32 off, v11, off offset:1276 ; 4-byte Folded Spill
	s_waitcnt vmcnt(1)
	v_ashrrev_i32_e32 v11, v12, v19
	v_ashrrev_i32_e32 v12, v12, v29
	v_and_b32_e32 v10, 0xf0f0f0f, v10
	s_delay_alu instid0(VALU_DEP_3)
	v_and_or_b32 v1, 0x30303030, v11, v1
	s_waitcnt vmcnt(0)
	ds_store_b32 v13, v21
	scratch_load_b64 v[13:14], off, off offset:1424 ; 8-byte Folded Reload
	s_waitcnt vmcnt(0)
	ds_store_b32 v13, v22
	scratch_load_b64 v[13:14], off, off offset:1436 ; 8-byte Folded Reload
	;; [unrolled: 3-line block ×11, first 2 shown]
	s_waitcnt vmcnt(0)
	ds_store_b32 v2, v6
	s_clause 0x1
	scratch_load_b64 v[2:3], off, off offset:1556
	scratch_load_b64 v[3:4], off, off offset:1568
	s_waitcnt vmcnt(1)
	ds_store_b32 v2, v7
	s_waitcnt vmcnt(0)
	ds_store_b32 v3, v8
	scratch_load_b64 v[3:4], off, off offset:1580 ; 8-byte Folded Reload
	v_and_or_b32 v2, 0x30303030, v12, v10
	s_waitcnt vmcnt(0)
	ds_store_b32 v3, v9
	scratch_load_b32 v3, off, off offset:1592 ; 4-byte Folded Reload
	s_waitcnt vmcnt(0)
	ds_store_b32 v3, v0
	scratch_load_b32 v0, off, off offset:1628 ; 4-byte Folded Reload
	;; [unrolled: 3-line block ×3, first 2 shown]
	s_waitcnt vmcnt(0)
	ds_store_b32 v0, v2
.LBB152_6:                              ;   Parent Loop BB152_5 Depth=1
                                        ; =>  This Loop Header: Depth=2
                                        ;       Child Loop BB152_7 Depth 3
	s_clause 0x1
	scratch_load_b32 v0, off, off offset:1280
	scratch_load_b64 v[19:20], off, off offset:1284
	s_lshl_b32 s1, s15, 4
	s_xor_b32 s14, s14, -1
	s_mov_b32 s16, 0
	s_waitcnt vmcnt(1)
	v_lshl_add_u32 v0, s15, 5, v0
	s_delay_alu instid0(VALU_DEP_1) | instskip(NEXT) | instid1(VALU_DEP_1)
	v_lshrrev_b32_e32 v0, 3, v0
	v_add_nc_u32_e32 v12, s0, v0
	scratch_load_b32 v0, off, off offset:1296 ; 4-byte Folded Reload
	s_waitcnt vmcnt(0)
	v_add_nc_u32_e32 v2, v12, v0
	scratch_load_b32 v0, off, off offset:1304 ; 4-byte Folded Reload
	s_waitcnt vmcnt(0)
	;; [unrolled: 3-line block ×7, first 2 shown]
	v_add_nc_u32_e32 v14, v12, v0
	v_mad_i64_i32 v[0:1], null, v2, 36, v[19:20]
	v_mad_i64_i32 v[2:3], null, v4, 36, v[19:20]
	;; [unrolled: 1-line block ×6, first 2 shown]
	scratch_load_b32 v13, off, off offset:1352 ; 4-byte Folded Reload
	s_waitcnt vmcnt(0)
	v_add_nc_u32_e32 v16, v12, v13
	scratch_load_b32 v12, off, off offset:1276 ; 4-byte Folded Reload
	s_waitcnt vmcnt(0)
	v_lshl_add_u32 v18, s15, 2, v12
	v_mad_i64_i32 v[12:13], null, v14, 36, v[19:20]
	v_mad_i64_i32 v[14:15], null, v16, 36, v[19:20]
	s_delay_alu instid0(VALU_DEP_3)
	v_mad_u64_u32 v[16:17], null, v18, 36, s[2:3]
	s_clause 0x8
	global_load_b32 v0, v[0:1], off offset:4
	global_load_b32 v1, v[2:3], off offset:4
	;; [unrolled: 1-line block ×8, first 2 shown]
	global_load_b32 v8, v[16:17], off
	scratch_load_b32 v9, off, off offset:1300 ; 4-byte Folded Reload
	s_waitcnt vmcnt(0)
	ds_store_b32 v9, v0
	scratch_load_b32 v0, off, off offset:1308 ; 4-byte Folded Reload
	s_waitcnt vmcnt(0)
	ds_store_b32 v0, v1
	;; [unrolled: 3-line block ×9, first 2 shown]
	s_waitcnt lgkmcnt(0)
	s_waitcnt_vscnt null, 0x0
	s_barrier
	buffer_gl0_inv
	s_clause 0x6
	scratch_load_b32 v0, off, off offset:1360
	scratch_load_b32 v1, off, off offset:1364
	;; [unrolled: 1-line block ×7, first 2 shown]
	s_waitcnt vmcnt(6)
	ds_load_b32 v0, v0
	s_waitcnt vmcnt(5)
	ds_load_b32 v1, v1 offset:128
	s_waitcnt vmcnt(4)
	ds_load_b32 v2, v2 offset:256
	;; [unrolled: 2-line block ×3, first 2 shown]
	s_waitcnt vmcnt(2)
	v_lshl_add_u32 v18, s15, 6, v4
	s_add_i32 s15, s1, 16
	s_waitcnt lgkmcnt(3)
	v_cvt_f32_f16_e32 v4, v0
	v_lshrrev_b32_e32 v0, 16, v0
	scratch_store_b32 off, v4, off offset:1228 ; 4-byte Folded Spill
	s_waitcnt lgkmcnt(2)
	v_cvt_f32_f16_e32 v4, v1
	v_lshrrev_b32_e32 v1, 16, v1
	v_cvt_f32_f16_e32 v0, v0
	scratch_store_b32 off, v4, off offset:1232 ; 4-byte Folded Spill
	s_waitcnt lgkmcnt(1)
	v_cvt_f32_f16_e32 v4, v2
	v_lshrrev_b32_e32 v2, 16, v2
	scratch_store_b32 off, v0, off offset:1240 ; 4-byte Folded Spill
	v_cvt_f32_f16_e32 v0, v1
	scratch_store_b32 off, v4, off offset:1064 ; 4-byte Folded Spill
	s_waitcnt lgkmcnt(0)
	v_lshrrev_b32_e32 v4, 16, v3
	v_cvt_f32_f16_e32 v3, v3
	scratch_store_b32 off, v0, off offset:1244 ; 4-byte Folded Spill
	v_cvt_f32_f16_e32 v0, v2
	s_clause 0x1
	scratch_store_b32 off, v3, off offset:1236
	scratch_store_b32 off, v0, off offset:1248
	v_cvt_f32_f16_e32 v0, v4
	scratch_store_b32 off, v0, off offset:1252 ; 4-byte Folded Spill
.LBB152_7:                              ;   Parent Loop BB152_5 Depth=1
                                        ;     Parent Loop BB152_6 Depth=2
                                        ; =>    This Inner Loop Header: Depth=3
	scratch_store_b32 off, v18, off         ; 4-byte Folded Spill
	s_waitcnt vmcnt(1)
	s_clause 0x7
	scratch_store_b32 off, v17, off offset:220
	scratch_store_b32 off, v67, off offset:1192
	;; [unrolled: 1-line block ×8, first 2 shown]
	s_waitcnt vmcnt(0)
	ds_load_b128 v[0:3], v216
	ds_load_b128 v[5:8], v216 offset:16
	ds_load_b128 v[9:12], v216 offset:32
	;; [unrolled: 1-line block ×3, first 2 shown]
	v_add_nc_u32_e32 v213, s16, v35
	s_lshr_b32 s17, s1, 2
	s_add_i32 s1, s1, 8
	s_and_b32 s17, s17, 0x3ffffffc
	s_add_i32 s16, s16, 2
	s_cmp_lt_u32 s1, s15
	s_waitcnt lgkmcnt(3)
	v_bfe_i32 v211, v0, 0, 8
	s_waitcnt lgkmcnt(2)
	v_bfe_i32 v197, v5, 0, 8
	;; [unrolled: 2-line block ×3, first 2 shown]
	v_bfe_i32 v180, v9, 8, 8
	v_bfe_i32 v179, v9, 16, 8
	v_ashrrev_i32_e32 v178, 24, v9
	scratch_load_b32 v9, off, off           ; 4-byte Folded Reload
	v_bfe_i32 v196, v5, 8, 8
	v_bfe_i32 v195, v5, 16, 8
	v_ashrrev_i32_e32 v194, 24, v5
	v_bfe_i32 v193, v6, 0, 8
	v_bfe_i32 v192, v6, 8, 8
	;; [unrolled: 1-line block ×3, first 2 shown]
	v_ashrrev_i32_e32 v190, 24, v6
	ds_load_2addr_b32 v[5:6], v18 offset1:1
	v_bfe_i32 v189, v7, 0, 8
	v_bfe_i32 v188, v7, 8, 8
	;; [unrolled: 1-line block ×3, first 2 shown]
	v_ashrrev_i32_e32 v186, 24, v7
	v_bfe_i32 v4, v0, 8, 8
	s_waitcnt lgkmcnt(1)
	v_bfe_i32 v161, v14, 0, 8
	v_bfe_i32 v160, v14, 8, 8
	v_bfe_i32 v159, v14, 16, 8
	v_ashrrev_i32_e32 v158, 24, v14
	v_bfe_i32 v69, v10, 0, 8
	v_bfe_i32 v177, v10, 8, 8
	v_bfe_i32 v176, v10, 16, 8
	v_ashrrev_i32_e32 v175, 24, v10
	;; [unrolled: 4-line block ×3, first 2 shown]
	v_bfe_i32 v173, v11, 0, 8
	v_bfe_i32 v172, v11, 8, 8
	s_waitcnt lgkmcnt(0)
	v_and_b32_e32 v7, 15, v5
	v_bfe_u32 v59, v5, 16, 4
	v_and_b32_e32 v23, 15, v6
	v_bfe_u32 v64, v6, 24, 4
	v_bfe_i32 v171, v11, 16, 8
	scratch_store_b32 off, v7, off offset:336 ; 4-byte Folded Spill
	v_mul_i32_i24_e32 v14, v7, v211
	v_bfe_u32 v7, v5, 8, 4
	v_ashrrev_i32_e32 v170, 24, v11
	scratch_load_b32 v11, off, off          ; 4-byte Folded Reload
	v_bfe_i32 v185, v8, 0, 8
	v_bfe_i32 v184, v8, 8, 8
	v_mul_i32_i24_e32 v15, v7, v4
	v_bfe_i32 v183, v8, 16, 8
	v_ashrrev_i32_e32 v182, 24, v8
	v_bfe_i32 v174, v1, 0, 8
	v_bfe_i32 v205, v2, 0, 8
	;; [unrolled: 1-line block ×3, first 2 shown]
	v_ashrrev_i32_e32 v209, 24, v0
	v_bfe_u32 v134, v5, 24, 4
	v_mad_i32_i24 v14, v23, v174, v14
	v_bfe_i32 v208, v1, 8, 8
	v_bfe_i32 v207, v1, 16, 8
	v_ashrrev_i32_e32 v206, 24, v1
	v_bfe_i32 v204, v2, 8, 8
	v_bfe_i32 v203, v2, 16, 8
	v_ashrrev_i32_e32 v202, 24, v2
	v_bfe_i32 v201, v3, 0, 8
	v_bfe_i32 v200, v3, 8, 8
	;; [unrolled: 1-line block ×3, first 2 shown]
	v_ashrrev_i32_e32 v198, 24, v3
	ds_load_2addr_b64 v[0:3], v17 offset1:16
	v_bfe_i32 v153, v16, 0, 8
	v_bfe_i32 v126, v16, 8, 8
	;; [unrolled: 1-line block ×3, first 2 shown]
	v_ashrrev_i32_e32 v71, 24, v16
	v_mul_i32_i24_e32 v16, v59, v210
	v_mul_i32_i24_e32 v17, v134, v209
	v_bfe_u32 v55, v6, 8, 4
	v_bfe_u32 v63, v6, 16, 4
	v_bfe_i32 v169, v12, 0, 8
	v_bfe_i32 v168, v12, 8, 8
	;; [unrolled: 1-line block ×3, first 2 shown]
	v_mul_i32_i24_e32 v18, v55, v208
	v_ashrrev_i32_e32 v166, 24, v12
	v_mul_i32_i24_e32 v19, v63, v207
	v_mul_i32_i24_e32 v20, v64, v206
	v_bfe_i32 v165, v13, 0, 8
	v_bfe_i32 v164, v13, 8, 8
	;; [unrolled: 1-line block ×3, first 2 shown]
	v_ashrrev_i32_e32 v162, 24, v13
	v_add3_u32 v13, v36, s17, v213
	v_ashrrev_i32_e32 v5, 4, v5
	v_ashrrev_i32_e32 v6, 4, v6
	s_clause 0x4
	scratch_store_b32 off, v23, off offset:332
	scratch_store_b32 off, v64, off offset:328
	;; [unrolled: 1-line block ×5, first 2 shown]
	s_waitcnt vmcnt(1)
	ds_load_2addr_b32 v[9:10], v9 offset0:4 offset1:5
	v_mov_b32_e32 v129, v7
	scratch_load_b32 v7, off, off           ; 4-byte Folded Reload
	s_waitcnt lgkmcnt(0)
	v_and_b32_e32 v140, 15, v10
	v_and_b32_e32 v137, 15, v9
	v_bfe_u32 v138, v9, 8, 4
	v_bfe_u32 v139, v9, 16, 4
	;; [unrolled: 1-line block ×3, first 2 shown]
	v_mul_i32_i24_e32 v34, v140, v193
	v_mul_i32_i24_e32 v30, v137, v197
	;; [unrolled: 1-line block ×5, first 2 shown]
	v_bfe_u32 v144, v10, 8, 4
	v_bfe_u32 v145, v10, 16, 4
	;; [unrolled: 1-line block ×3, first 2 shown]
	v_ashrrev_i32_e32 v9, 4, v9
	s_clause 0x3
	scratch_store_b32 off, v137, off offset:304
	scratch_store_b32 off, v138, off offset:308
	;; [unrolled: 1-line block ×4, first 2 shown]
	s_waitcnt vmcnt(1)
	ds_load_2addr_b32 v[11:12], v11 offset0:6 offset1:7
	v_mul_i32_i24_e32 v35, v144, v192
	v_mul_i32_i24_e32 v36, v145, v191
	;; [unrolled: 1-line block ×3, first 2 shown]
	s_clause 0x3
	scratch_store_b32 off, v143, off offset:320
	scratch_store_b32 off, v144, off offset:324
	;; [unrolled: 1-line block ×4, first 2 shown]
	v_ashrrev_i32_e32 v10, 4, v10
	s_waitcnt lgkmcnt(0)
	v_and_b32_e32 v149, 15, v11
	v_and_b32_e32 v152, 15, v12
	v_bfe_u32 v150, v11, 8, 4
	v_bfe_u32 v151, v11, 16, 4
	;; [unrolled: 1-line block ×3, first 2 shown]
	v_mul_i32_i24_e32 v38, v149, v189
	v_mul_i32_i24_e32 v42, v152, v185
	;; [unrolled: 1-line block ×4, first 2 shown]
	v_bfe_u32 v43, v12, 8, 4
	s_clause 0x3
	scratch_store_b32 off, v149, off offset:616
	scratch_store_b32 off, v150, off offset:620
	;; [unrolled: 1-line block ×4, first 2 shown]
	v_mul_i32_i24_e32 v41, v215, v186
	v_bfe_u32 v44, v12, 16, 4
	scratch_store_b32 off, v43, off offset:632 ; 4-byte Folded Spill
	v_mul_i32_i24_e32 v43, v43, v184
	v_bfe_u32 v45, v12, 24, 4
	v_ashrrev_i32_e32 v11, 4, v11
	scratch_store_b32 off, v44, off offset:636 ; 4-byte Folded Spill
	v_mul_i32_i24_e32 v44, v44, v183
	v_ashrrev_i32_e32 v12, 4, v12
	scratch_store_b32 off, v45, off offset:640 ; 4-byte Folded Spill
	v_mul_i32_i24_e32 v45, v45, v182
	s_waitcnt vmcnt(0)
	ds_load_2addr_b32 v[7:8], v7 offset0:2 offset1:3
	s_waitcnt lgkmcnt(0)
	v_and_b32_e32 v65, 15, v7
	v_and_b32_e32 v131, 15, v8
	v_bfe_u32 v67, v7, 8, 4
	v_bfe_u32 v130, v7, 16, 4
	;; [unrolled: 1-line block ×3, first 2 shown]
	v_mul_i32_i24_e32 v21, v65, v205
	v_mul_i32_i24_e32 v26, v131, v201
	;; [unrolled: 1-line block ×5, first 2 shown]
	v_add3_u32 v14, v14, v21, v15
	v_bfe_u32 v133, v8, 8, 4
	v_bfe_u32 v135, v8, 16, 4
	;; [unrolled: 1-line block ×3, first 2 shown]
	v_ashrrev_i32_e32 v7, 4, v7
	v_add3_u32 v14, v14, v16, v17
	v_mul_i32_i24_e32 v27, v133, v200
	v_mul_i32_i24_e32 v28, v135, v199
	;; [unrolled: 1-line block ×3, first 2 shown]
	v_ashrrev_i32_e32 v8, 4, v8
	v_add3_u32 v14, v14, v26, v18
	s_clause 0x3
	scratch_store_b32 off, v65, off offset:272
	scratch_store_b32 off, v67, off offset:276
	;; [unrolled: 1-line block ×4, first 2 shown]
	v_add3_u32 v14, v14, v19, v20
	s_clause 0x3
	scratch_store_b32 off, v132, off offset:288
	scratch_store_b32 off, v133, off offset:292
	;; [unrolled: 1-line block ×4, first 2 shown]
	v_add3_u32 v14, v14, v30, v22
	v_bfe_u32 v30, v6, 24, 4
	s_delay_alu instid0(VALU_DEP_2) | instskip(SKIP_1) | instid1(VALU_DEP_2)
	v_add3_u32 v14, v14, v24, v25
	v_and_b32_e32 v24, 15, v9
	v_add3_u32 v14, v14, v34, v27
	v_bfe_u32 v27, v5, 24, 4
	s_delay_alu instid0(VALU_DEP_3) | instskip(NEXT) | instid1(VALU_DEP_3)
	v_mul_i32_i24_e32 v48, v24, v165
	v_add3_u32 v14, v14, v28, v29
	v_bfe_u32 v28, v5, 16, 4
	s_delay_alu instid0(VALU_DEP_2) | instskip(SKIP_1) | instid1(VALU_DEP_3)
	v_add3_u32 v14, v14, v38, v31
	v_and_b32_e32 v31, 15, v7
	v_mul_i32_i24_e32 v19, v28, v179
	v_bfe_u32 v38, v7, 16, 4
	s_delay_alu instid0(VALU_DEP_4) | instskip(SKIP_3) | instid1(VALU_DEP_4)
	v_add3_u32 v14, v14, v32, v33
	v_bfe_u32 v33, v6, 8, 4
	v_mul_i32_i24_e32 v22, v31, v173
	v_bfe_u32 v32, v6, 16, 4
	v_add3_u32 v14, v14, v42, v35
	s_delay_alu instid0(VALU_DEP_4) | instskip(SKIP_1) | instid1(VALU_DEP_4)
	v_mul_i32_i24_e32 v20, v33, v177
	v_mul_i32_i24_e32 v35, v38, v171
	;; [unrolled: 1-line block ×3, first 2 shown]
	v_bfe_u32 v42, v8, 16, 4
	v_add3_u32 v14, v14, v36, v37
	v_bfe_u32 v37, v7, 8, 4
	s_delay_alu instid0(VALU_DEP_3) | instskip(NEXT) | instid1(VALU_DEP_3)
	v_mul_i32_i24_e32 v47, v42, v167
	v_add3_u32 v14, v14, v39, v40
	v_bfe_u32 v39, v7, 24, 4
	v_and_b32_e32 v29, 15, v5
	v_and_b32_e32 v40, 15, v8
	scratch_store_b32 off, v129, off offset:660 ; 4-byte Folded Spill
	v_add3_u32 v14, v14, v41, v43
	v_bfe_u32 v41, v8, 8, 4
	v_mul_i32_i24_e32 v17, v29, v181
	scratch_store_b32 off, v59, off offset:340 ; 4-byte Folded Spill
	ds_load_u16 v15, v13 offset:25088
	ds_load_u16 v13, v13 offset:25096
	v_add3_u32 v14, v14, v44, v45
	v_bfe_u32 v45, v5, 8, 4
	v_bfe_u32 v44, v8, 24, 4
	v_and_b32_e32 v23, 15, v6
	v_mul_i32_i24_e32 v5, v27, v178
	s_clause 0x4
	scratch_store_b32 off, v33, off offset:680
	scratch_store_b32 off, v30, off offset:684
	;; [unrolled: 1-line block ×5, first 2 shown]
	v_mul_i32_i24_e32 v18, v45, v180
	v_mad_i32_i24 v17, v23, v69, v17
	v_bfe_u32 v24, v9, 8, 4
	v_mul_i32_i24_e32 v43, v40, v169
	v_mul_i32_i24_e32 v6, v30, v175
	;; [unrolled: 1-line block ×3, first 2 shown]
	v_add3_u32 v17, v17, v22, v18
	scratch_store_b32 off, v24, off offset:700 ; 4-byte Folded Spill
	v_mul_i32_i24_e32 v49, v24, v164
	v_bfe_u32 v24, v9, 16, 4
	v_bfe_u32 v9, v9, 24, 4
	v_add3_u32 v5, v17, v19, v5
	v_mul_i32_i24_e32 v7, v39, v170
	v_mul_i32_i24_e32 v46, v41, v168
	s_clause 0x1
	scratch_store_b32 off, v24, off offset:704
	scratch_store_b32 off, v9, off offset:708
	v_mul_i32_i24_e32 v50, v24, v163
	v_and_b32_e32 v24, 15, v10
	v_add3_u32 v5, v5, v43, v20
	v_mul_i32_i24_e32 v8, v44, v166
	v_mul_i32_i24_e32 v9, v9, v162
	s_waitcnt lgkmcnt(1)
	v_lshrrev_b16 v16, 8, v15
	scratch_store_b32 off, v24, off offset:712 ; 4-byte Folded Spill
	v_mul_i32_i24_e32 v52, v24, v161
	v_bfe_u32 v24, v10, 8, 4
	v_add3_u32 v5, v5, v21, v6
	v_and_b32_e32 v26, 0xff, v15
	s_waitcnt lgkmcnt(0)
	v_cvt_f32_ubyte0_e32 v25, v13
	s_clause 0x3
	scratch_store_b32 off, v29, off offset:664
	scratch_store_b32 off, v28, off offset:668
	;; [unrolled: 1-line block ×4, first 2 shown]
	v_mul_i32_i24_e32 v53, v24, v160
	v_bfe_u32 v24, v10, 16, 4
	v_add3_u32 v5, v5, v48, v34
	scratch_store_b32 off, v41, off offset:344 ; 4-byte Folded Spill
	v_bfe_u32 v10, v10, 24, 4
	v_mul_lo_u32 v14, v14, v26
	scratch_store_b32 off, v24, off offset:348 ; 4-byte Folded Spill
	v_mul_i32_i24_e32 v54, v24, v159
	v_and_b32_e32 v24, 15, v11
	v_add3_u32 v5, v5, v35, v7
	scratch_store_b32 off, v10, off offset:720 ; 4-byte Folded Spill
	v_mul_i32_i24_e32 v10, v10, v158
	v_fma_mix_f32 v15, v0, v25, 0 op_sel:[1,0,0] op_sel_hi:[1,0,0]
	scratch_store_b32 off, v24, off offset:352 ; 4-byte Folded Spill
	v_mul_i32_i24_e32 v56, v24, v157
	v_bfe_u32 v24, v11, 8, 4
	v_add3_u32 v5, v5, v52, v46
	v_cvt_f32_i32_e32 v14, v14
	v_cvt_f32_ubyte1_e32 v7, v13
	s_clause 0x1
	scratch_store_b32 off, v26, off offset:644
	scratch_store_b32 off, v24, off offset:356
	v_mul_i32_i24_e32 v57, v24, v156
	v_bfe_u32 v24, v11, 16, 4
	v_add3_u32 v5, v5, v47, v8
	v_bfe_u32 v11, v11, 24, 4
	v_fma_mix_f32 v14, v0, v14, 0 op_sel_hi:[1,0,0]
	v_fma_mix_f32 v6, v1, v7, v15 op_sel:[1,0,0] op_sel_hi:[1,0,0]
	scratch_store_b32 off, v24, off offset:360 ; 4-byte Folded Spill
	v_mul_i32_i24_e32 v58, v24, v155
	v_and_b32_e32 v24, 15, v12
	v_add3_u32 v5, v5, v56, v49
	scratch_store_b32 off, v11, off offset:364 ; 4-byte Folded Spill
	v_mul_i32_i24_e32 v11, v11, v154
	s_clause 0x1
	scratch_store_b32 off, v25, off offset:648
	scratch_store_b32 off, v24, off offset:368
	v_mul_i32_i24_e32 v60, v24, v153
	v_add3_u32 v5, v5, v50, v9
	v_bfe_u32 v24, v12, 8, 4
	v_and_b32_e32 v9, 0xffff, v16
	s_clause 0x1
	scratch_store_b32 off, v45, off offset:676
	scratch_store_b32 off, v23, off offset:392
	v_add3_u32 v5, v5, v60, v53
	scratch_store_b32 off, v24, off offset:372 ; 4-byte Folded Spill
	v_mul_i32_i24_e32 v61, v24, v126
	v_bfe_u32 v24, v12, 16, 4
	v_bfe_u32 v12, v12, 24, 4
	v_add3_u32 v5, v5, v54, v10
	s_clause 0x3
	scratch_store_b32 off, v9, off offset:384
	scratch_store_b32 off, v7, off offset:388
	;; [unrolled: 1-line block ×4, first 2 shown]
	v_add3_u32 v5, v5, v57, v58
	v_mul_i32_i24_e32 v66, v24, v75
	v_mul_i32_i24_e32 v12, v12, v71
	scratch_load_b32 v24, off, off offset:1240 ; 4-byte Folded Reload
	v_add3_u32 v5, v5, v11, v61
	s_delay_alu instid0(VALU_DEP_1) | instskip(SKIP_2) | instid1(VALU_DEP_1)
	v_add3_u32 v5, v5, v66, v12
	scratch_load_b32 v12, off, off offset:1228 ; 4-byte Folded Reload
	v_mul_lo_u32 v5, v5, v9
	v_cvt_f32_i32_e32 v5, v5
	s_delay_alu instid0(VALU_DEP_1) | instskip(SKIP_3) | instid1(VALU_DEP_1)
	v_fma_mix_f32 v5, v1, v5, v14 op_sel_hi:[1,0,0]
	s_waitcnt vmcnt(1)
	v_mul_f32_e32 v6, v6, v24
	s_waitcnt vmcnt(0)
	v_fma_f32 v5, v5, v12, -v6
	s_delay_alu instid0(VALU_DEP_1)
	v_add_f32_e32 v70, v70, v5
	scratch_load_b32 v5, off, off offset:1272 ; 4-byte Folded Reload
	scratch_store_b32 off, v70, off offset:1184 ; 4-byte Folded Spill
	s_waitcnt vmcnt(0)
	v_add3_u32 v13, v5, s17, v213
	scratch_load_b32 v5, off, off           ; 4-byte Folded Reload
	s_waitcnt vmcnt(0)
	v_add_nc_u32_e32 v5, 0x1080, v5
	ds_load_2addr_b32 v[18:19], v5 offset1:1
	s_waitcnt lgkmcnt(0)
	v_and_b32_e32 v5, 15, v18
	v_and_b32_e32 v6, 15, v19
	scratch_store_b32 off, v5, off offset:512 ; 4-byte Folded Spill
	v_mul_i32_i24_e32 v14, v5, v211
	v_bfe_u32 v5, v18, 8, 4
	scratch_store_b32 off, v6, off offset:36 ; 4-byte Folded Spill
	v_mad_i32_i24 v14, v6, v174, v14
	scratch_store_b32 off, v5, off offset:260 ; 4-byte Folded Spill
	v_mul_i32_i24_e32 v15, v5, v4
	v_bfe_u32 v5, v18, 16, 4
	scratch_store_b32 off, v5, off offset:268 ; 4-byte Folded Spill
	v_mul_i32_i24_e32 v16, v5, v210
	v_bfe_u32 v5, v18, 24, 4
	v_ashrrev_i32_e32 v18, 4, v18
	scratch_store_b32 off, v5, off offset:264 ; 4-byte Folded Spill
	v_mul_i32_i24_e32 v17, v5, v209
	v_bfe_u32 v5, v19, 8, 4
	scratch_store_b32 off, v5, off offset:248 ; 4-byte Folded Spill
	v_mul_i32_i24_e32 v22, v5, v208
	v_bfe_u32 v5, v19, 16, 4
	scratch_store_b32 off, v5, off offset:252 ; 4-byte Folded Spill
	v_mul_i32_i24_e32 v35, v5, v207
	v_bfe_u32 v5, v19, 24, 4
	scratch_store_b32 off, v5, off offset:560 ; 4-byte Folded Spill
	v_mul_i32_i24_e32 v50, v5, v206
	scratch_load_b32 v5, off, off           ; 4-byte Folded Reload
	s_waitcnt vmcnt(0)
	v_add_nc_u32_e32 v5, 0x1088, v5
	ds_load_2addr_b32 v[20:21], v5 offset1:1
	s_waitcnt lgkmcnt(0)
	v_and_b32_e32 v5, 15, v20
	scratch_store_b32 off, v5, off offset:256 ; 4-byte Folded Spill
	v_mul_i32_i24_e32 v52, v5, v205
	v_bfe_u32 v5, v20, 8, 4
	s_delay_alu instid0(VALU_DEP_2)
	v_add3_u32 v14, v14, v52, v15
	scratch_store_b32 off, v5, off offset:224 ; 4-byte Folded Spill
	v_mul_i32_i24_e32 v82, v5, v204
	v_bfe_u32 v5, v20, 16, 4
	v_add3_u32 v14, v14, v16, v17
	scratch_store_b32 off, v5, off offset:776 ; 4-byte Folded Spill
	v_mul_i32_i24_e32 v83, v5, v203
	v_bfe_u32 v5, v20, 24, 4
	v_ashrrev_i32_e32 v20, 4, v20
	scratch_store_b32 off, v5, off offset:572 ; 4-byte Folded Spill
	v_mul_i32_i24_e32 v84, v5, v202
	v_and_b32_e32 v5, 15, v21
	scratch_store_b32 off, v5, off offset:564 ; 4-byte Folded Spill
	v_mul_i32_i24_e32 v85, v5, v201
	v_bfe_u32 v5, v21, 8, 4
	s_delay_alu instid0(VALU_DEP_2)
	v_add3_u32 v14, v14, v85, v22
	scratch_store_b32 off, v5, off offset:568 ; 4-byte Folded Spill
	v_mul_i32_i24_e32 v86, v5, v200
	v_bfe_u32 v5, v21, 16, 4
	v_add3_u32 v14, v14, v35, v50
	v_ashrrev_i32_e32 v35, 4, v19
	v_bfe_u32 v19, v20, 16, 4
	scratch_store_b32 off, v5, off offset:576 ; 4-byte Folded Spill
	v_mul_i32_i24_e32 v87, v5, v199
	v_bfe_u32 v5, v21, 24, 4
	v_ashrrev_i32_e32 v21, 4, v21
	v_mul_i32_i24_e32 v225, v19, v171
	scratch_store_b32 off, v5, off offset:580 ; 4-byte Folded Spill
	v_mul_i32_i24_e32 v88, v5, v198
	scratch_load_b32 v5, off, off           ; 4-byte Folded Reload
	v_bfe_u32 v85, v21, 16, 4
	s_delay_alu instid0(VALU_DEP_1)
	v_mul_i32_i24_e32 v228, v85, v167
	s_waitcnt vmcnt(0)
	v_add_nc_u32_e32 v5, 0x1090, v5
	ds_load_2addr_b32 v[46:47], v5 offset1:1
	s_waitcnt lgkmcnt(0)
	v_and_b32_e32 v5, 15, v46
	v_bfe_u32 v148, v47, 16, 4
	v_bfe_u32 v147, v47, 24, 4
	scratch_store_b32 off, v5, off offset:812 ; 4-byte Folded Spill
	v_mul_i32_i24_e32 v89, v5, v197
	v_bfe_u32 v5, v46, 8, 4
	scratch_store_b32 off, v148, off offset:592 ; 4-byte Folded Spill
	v_mul_i32_i24_e32 v95, v148, v191
	v_mul_i32_i24_e32 v96, v147, v190
	v_add3_u32 v14, v14, v89, v82
	scratch_store_b32 off, v5, off offset:816 ; 4-byte Folded Spill
	v_mul_i32_i24_e32 v90, v5, v196
	v_bfe_u32 v5, v46, 16, 4
	v_add3_u32 v14, v14, v83, v84
	v_bfe_u32 v84, v21, 24, 4
	scratch_store_b32 off, v5, off offset:824 ; 4-byte Folded Spill
	v_mul_i32_i24_e32 v91, v5, v195
	v_bfe_u32 v5, v46, 24, 4
	scratch_store_b32 off, v5, off offset:32 ; 4-byte Folded Spill
	v_mul_i32_i24_e32 v92, v5, v194
	v_and_b32_e32 v5, 15, v47
	scratch_store_b32 off, v5, off offset:820 ; 4-byte Folded Spill
	v_mul_i32_i24_e32 v93, v5, v193
	v_bfe_u32 v5, v47, 8, 4
	s_delay_alu instid0(VALU_DEP_2)
	v_add3_u32 v14, v14, v93, v86
	scratch_store_b32 off, v5, off offset:828 ; 4-byte Folded Spill
	v_mul_i32_i24_e32 v94, v5, v192
	scratch_load_b32 v5, off, off           ; 4-byte Folded Reload
	v_bfe_u32 v93, v35, 24, 4
	v_add3_u32 v14, v14, v87, v88
	v_and_b32_e32 v88, 15, v21
	v_bfe_u32 v87, v20, 24, 4
	v_bfe_u32 v86, v21, 8, 4
	v_mul_i32_i24_e32 v222, v93, v175
	v_mul_i32_i24_e32 v21, v84, v166
	;; [unrolled: 1-line block ×3, first 2 shown]
	s_delay_alu instid0(VALU_DEP_4)
	v_mul_i32_i24_e32 v227, v86, v168
	s_waitcnt vmcnt(0)
	v_add_nc_u32_e32 v5, 0x1098, v5
	ds_load_2addr_b32 v[48:49], v5 offset1:1
	s_waitcnt lgkmcnt(0)
	v_and_b32_e32 v5, 15, v48
	scratch_store_b32 off, v5, off offset:240 ; 4-byte Folded Spill
	v_mul_i32_i24_e32 v97, v5, v189
	v_bfe_u32 v5, v48, 8, 4
	scratch_store_b32 off, v147, off offset:596 ; 4-byte Folded Spill
	v_add3_u32 v14, v14, v97, v90
	scratch_store_b32 off, v5, off offset:600 ; 4-byte Folded Spill
	v_mul_i32_i24_e32 v98, v5, v188
	v_bfe_u32 v5, v48, 16, 4
	v_bfe_u32 v97, v18, 24, 4
	v_add3_u32 v14, v14, v91, v92
	v_bfe_u32 v90, v20, 8, 4
	scratch_store_b32 off, v5, off offset:244 ; 4-byte Folded Spill
	v_mul_i32_i24_e32 v99, v5, v187
	v_bfe_u32 v5, v48, 24, 4
	v_mul_i32_i24_e32 v219, v97, v178
	v_mul_i32_i24_e32 v224, v90, v172
	scratch_store_b32 off, v5, off offset:780 ; 4-byte Folded Spill
	v_mul_i32_i24_e32 v100, v5, v186
	v_and_b32_e32 v5, 15, v49
	scratch_store_b32 off, v5, off offset:516 ; 4-byte Folded Spill
	v_mul_i32_i24_e32 v101, v5, v185
	v_bfe_u32 v5, v49, 8, 4
	s_delay_alu instid0(VALU_DEP_2)
	v_add3_u32 v14, v14, v101, v94
	scratch_store_b32 off, v5, off offset:520 ; 4-byte Folded Spill
	v_mul_i32_i24_e32 v102, v5, v184
	v_bfe_u32 v5, v49, 16, 4
	v_bfe_u32 v94, v35, 16, 4
	v_add3_u32 v14, v14, v95, v96
	v_and_b32_e32 v96, 15, v35
	v_bfe_u32 v95, v35, 8, 4
	scratch_store_b32 off, v5, off offset:524 ; 4-byte Folded Spill
	v_mul_i32_i24_e32 v103, v5, v183
	v_bfe_u32 v5, v49, 24, 4
	v_add3_u32 v14, v14, v98, v99
	v_and_b32_e32 v99, 15, v18
	v_bfe_u32 v98, v18, 16, 4
	v_mul_i32_i24_e32 v220, v95, v177
	scratch_store_b32 off, v5, off offset:528 ; 4-byte Folded Spill
	ds_load_u16 v15, v13 offset:25600
	ds_load_u16 v50, v13 offset:25608
	s_clause 0x2
	scratch_load_b32 v142, off, off offset:1244
	scratch_load_b32 v13, off, off offset:1268
	scratch_load_b32 v141, off, off offset:1232
	v_mul_i32_i24_e32 v104, v5, v182
	scratch_load_b32 v5, off, off offset:1076 ; 4-byte Folded Reload
	v_add3_u32 v14, v14, v100, v102
	v_mul_i32_i24_e32 v212, v99, v181
	v_bfe_u32 v100, v18, 8, 4
	v_mul_i32_i24_e32 v218, v98, v179
	v_ashrrev_i32_e32 v35, 4, v46
	v_add3_u32 v14, v14, v103, v104
	v_mad_i32_i24 v212, v96, v69, v212
	v_mul_i32_i24_e32 v217, v100, v180
	v_mul_i32_i24_e32 v221, v94, v176
	v_and_b32_e32 v83, 15, v35
	v_bfe_u32 v82, v35, 8, 4
	v_bfe_u32 v66, v35, 16, 4
	;; [unrolled: 1-line block ×3, first 2 shown]
	s_waitcnt lgkmcnt(1)
	v_lshrrev_b16 v52, 8, v15
	v_and_b32_e32 v103, 0xff, v15
	v_and_b32_e32 v15, 15, v20
	v_mul_i32_i24_e32 v46, v83, v165
	v_ashrrev_i32_e32 v35, 4, v47
	v_mul_i32_i24_e32 v20, v87, v170
	s_waitcnt lgkmcnt(0)
	v_cvt_f32_ubyte0_e32 v101, v50
	v_mul_i32_i24_e32 v223, v15, v173
	v_mul_i32_i24_e32 v229, v82, v164
	v_and_b32_e32 v60, 15, v35
	v_bfe_u32 v58, v35, 8, 4
	v_bfe_u32 v57, v35, 16, 4
	v_add3_u32 v212, v212, v223, v217
	v_bfe_u32 v56, v35, 24, 4
	v_mul_i32_i24_e32 v47, v60, v161
	v_ashrrev_i32_e32 v35, 4, v48
	v_ashrrev_i32_e32 v49, 4, v49
	v_add3_u32 v212, v212, v218, v219
	v_mul_i32_i24_e32 v230, v66, v163
	v_mul_i32_i24_e32 v231, v61, v162
	v_and_b32_e32 v54, 15, v35
	v_and_b32_e32 v11, 15, v49
	v_add3_u32 v212, v212, v226, v220
	v_mul_i32_i24_e32 v232, v58, v160
	v_mul_i32_i24_e32 v233, v57, v159
	;; [unrolled: 1-line block ×4, first 2 shown]
	v_add3_u32 v212, v212, v221, v222
	v_bfe_u32 v53, v35, 8, 4
	v_bfe_u32 v34, v35, 16, 4
	;; [unrolled: 1-line block ×4, first 2 shown]
	v_add3_u32 v46, v212, v46, v224
	v_mul_i32_i24_e32 v235, v53, v156
	v_mul_i32_i24_e32 v236, v34, v155
	;; [unrolled: 1-line block ×4, first 2 shown]
	v_add3_u32 v20, v46, v225, v20
	v_mov_b32_e32 v225, v101
	v_mul_i32_i24_e32 v48, v54, v157
	v_bfe_u32 v43, v49, 16, 4
	v_bfe_u32 v6, v49, 24, 4
	v_add3_u32 v20, v20, v47, v227
	v_mul_lo_u32 v14, v14, v103
	v_and_b32_e32 v221, 0xffff, v52
	v_mul_i32_i24_e32 v240, v43, v75
	v_mul_i32_i24_e32 v49, v6, v71
	v_add3_u32 v20, v20, v228, v21
	v_fma_mix_f32 v117, v0, v101, 0 op_sel:[1,0,0] op_sel_hi:[1,0,0]
	v_cvt_f32_ubyte1_e32 v222, v50
	s_clause 0x1
	scratch_store_b32 off, v6, off offset:968
	scratch_store_b32 off, v221, off offset:972
	v_add3_u32 v20, v20, v48, v229
	v_cvt_f32_i32_e32 v14, v14
	v_fma_mix_f32 v47, v1, v222, v117 op_sel:[1,0,0] op_sel_hi:[1,0,0]
	s_clause 0x6
	scratch_store_b32 off, v83, off offset:908
	scratch_store_b32 off, v82, off offset:912
	scratch_store_b32 off, v66, off offset:916
	scratch_store_b32 off, v61, off offset:920
	scratch_store_b32 off, v60, off offset:924
	scratch_store_b32 off, v58, off offset:928
	scratch_store_b32 off, v57, off offset:932
	v_add3_u32 v20, v20, v230, v231
	v_fma_mix_f32 v116, v0, v14, 0 op_sel_hi:[1,0,0]
	s_clause 0x7
	scratch_store_b32 off, v56, off offset:936
	scratch_store_b32 off, v54, off offset:940
	scratch_store_b32 off, v53, off offset:944
	scratch_store_b32 off, v34, off offset:948
	scratch_store_b32 off, v22, off offset:952
	scratch_store_b32 off, v11, off offset:956
	scratch_store_b32 off, v10, off offset:960
	scratch_store_b32 off, v43, off offset:964
	v_add3_u32 v20, v20, v238, v232
	v_mov_b32_e32 v226, v100
	s_delay_alu instid0(VALU_DEP_2) | instskip(NEXT) | instid1(VALU_DEP_1)
	v_add3_u32 v20, v20, v233, v234
	v_add3_u32 v20, v20, v235, v236
	s_delay_alu instid0(VALU_DEP_1) | instskip(NEXT) | instid1(VALU_DEP_1)
	v_add3_u32 v20, v20, v237, v239
	v_add3_u32 v21, v20, v240, v49
	s_delay_alu instid0(VALU_DEP_1) | instskip(NEXT) | instid1(VALU_DEP_1)
	v_mul_lo_u32 v21, v21, v221
	v_cvt_f32_i32_e32 v21, v21
	s_delay_alu instid0(VALU_DEP_1)
	v_fma_mix_f32 v46, v1, v21, v116 op_sel_hi:[1,0,0]
	s_waitcnt vmcnt(3)
	v_mul_f32_e32 v47, v47, v142
	s_waitcnt vmcnt(2)
	v_add3_u32 v50, v13, s17, v213
	s_waitcnt vmcnt(1)
	s_delay_alu instid0(VALU_DEP_2) | instskip(SKIP_1) | instid1(VALU_DEP_1)
	v_fma_f32 v46, v46, v141, -v47
	s_waitcnt vmcnt(0)
	v_add_f32_e32 v5, v5, v46
	scratch_store_b32 off, v5, off offset:1076 ; 4-byte Folded Spill
	scratch_load_b32 v5, off, off           ; 4-byte Folded Reload
	s_waitcnt vmcnt(0)
	v_add_nc_u32_e32 v46, 0x2100, v5
	ds_load_2addr_b32 v[46:47], v46 offset1:1
	s_waitcnt lgkmcnt(0)
	v_and_b32_e32 v5, 15, v46
	v_and_b32_e32 v104, 15, v47
	scratch_store_b32 off, v5, off offset:212 ; 4-byte Folded Spill
	v_mul_i32_i24_e32 v52, v5, v211
	v_bfe_u32 v5, v46, 8, 4
	s_delay_alu instid0(VALU_DEP_2)
	v_mad_i32_i24 v52, v104, v174, v52
	scratch_store_b32 off, v5, off offset:208 ; 4-byte Folded Spill
	v_mul_i32_i24_e32 v212, v5, v4
	v_bfe_u32 v5, v46, 16, 4
	scratch_store_b32 off, v5, off offset:24 ; 4-byte Folded Spill
	v_mul_i32_i24_e32 v227, v5, v210
	v_bfe_u32 v5, v46, 24, 4
	v_ashrrev_i32_e32 v46, 4, v46
	scratch_store_b32 off, v5, off offset:216 ; 4-byte Folded Spill
	v_mul_i32_i24_e32 v228, v5, v209
	v_bfe_u32 v5, v47, 8, 4
	scratch_store_b32 off, v5, off offset:748 ; 4-byte Folded Spill
	v_mul_i32_i24_e32 v229, v5, v208
	v_bfe_u32 v5, v47, 16, 4
	;; [unrolled: 3-line block ×3, first 2 shown]
	scratch_store_b32 off, v5, off offset:752 ; 4-byte Folded Spill
	v_mul_i32_i24_e32 v231, v5, v206
	scratch_load_b32 v5, off, off           ; 4-byte Folded Reload
	s_waitcnt vmcnt(0)
	v_add_nc_u32_e32 v48, 0x2108, v5
	ds_load_2addr_b32 v[48:49], v48 offset1:1
	s_waitcnt lgkmcnt(0)
	v_and_b32_e32 v5, 15, v48
	s_clause 0x1
	scratch_store_b32 off, v222, off offset:976
	scratch_store_b32 off, v5, off offset:980
	v_mul_i32_i24_e32 v232, v5, v205
	v_bfe_u32 v5, v48, 8, 4
	s_delay_alu instid0(VALU_DEP_2)
	v_add3_u32 v52, v52, v232, v212
	scratch_store_b32 off, v5, off offset:44 ; 4-byte Folded Spill
	v_mul_i32_i24_e32 v233, v5, v204
	v_bfe_u32 v5, v48, 16, 4
	v_add3_u32 v52, v52, v227, v228
	v_mov_b32_e32 v227, v95
	s_clause 0x1
	scratch_store_b32 off, v104, off offset:4
	scratch_store_b32 off, v5, off offset:48
	v_mul_i32_i24_e32 v234, v5, v203
	v_bfe_u32 v5, v48, 24, 4
	scratch_store_b32 off, v5, off offset:56 ; 4-byte Folded Spill
	v_mul_i32_i24_e32 v235, v5, v202
	v_and_b32_e32 v5, 15, v49
	scratch_store_b32 off, v5, off offset:52 ; 4-byte Folded Spill
	v_mul_i32_i24_e32 v236, v5, v201
	v_bfe_u32 v5, v49, 8, 4
	s_delay_alu instid0(VALU_DEP_2)
	v_add3_u32 v52, v52, v236, v229
	scratch_store_b32 off, v5, off offset:60 ; 4-byte Folded Spill
	v_mul_i32_i24_e32 v237, v5, v200
	v_bfe_u32 v5, v49, 16, 4
	v_add3_u32 v52, v52, v230, v231
	scratch_store_b32 off, v5, off offset:64 ; 4-byte Folded Spill
	v_mul_i32_i24_e32 v238, v5, v199
	v_bfe_u32 v5, v49, 24, 4
	scratch_store_b32 off, v5, off offset:396 ; 4-byte Folded Spill
	v_mul_i32_i24_e32 v239, v5, v198
	scratch_load_b32 v5, off, off           ; 4-byte Folded Reload
	s_waitcnt vmcnt(0)
	v_add_nc_u32_e32 v116, 0x2110, v5
	ds_load_2addr_b32 v[248:249], v116 offset1:1
	s_waitcnt lgkmcnt(0)
	v_and_b32_e32 v5, 15, v248
	scratch_store_b32 off, v5, off offset:756 ; 4-byte Folded Spill
	v_mul_i32_i24_e32 v240, v5, v197
	v_bfe_u32 v5, v248, 8, 4
	s_delay_alu instid0(VALU_DEP_2)
	v_add3_u32 v52, v52, v240, v233
	scratch_store_b32 off, v5, off offset:488 ; 4-byte Folded Spill
	v_mul_i32_i24_e32 v241, v5, v196
	v_bfe_u32 v5, v248, 16, 4
	v_add3_u32 v52, v52, v234, v235
	scratch_store_b32 off, v5, off offset:492 ; 4-byte Folded Spill
	v_mul_i32_i24_e32 v242, v5, v195
	v_bfe_u32 v5, v248, 24, 4
	scratch_store_b32 off, v5, off offset:496 ; 4-byte Folded Spill
	v_mul_i32_i24_e32 v243, v5, v194
	v_and_b32_e32 v5, 15, v249
	scratch_store_b32 off, v5, off offset:760 ; 4-byte Folded Spill
	v_mul_i32_i24_e32 v244, v5, v193
	v_bfe_u32 v5, v249, 8, 4
	s_delay_alu instid0(VALU_DEP_2)
	v_add3_u32 v52, v52, v244, v237
	scratch_store_b32 off, v5, off offset:500 ; 4-byte Folded Spill
	v_mul_i32_i24_e32 v245, v5, v192
	v_bfe_u32 v5, v249, 16, 4
	v_add3_u32 v52, v52, v238, v239
	scratch_store_b32 off, v5, off offset:192 ; 4-byte Folded Spill
	v_mul_i32_i24_e32 v246, v5, v191
	v_bfe_u32 v5, v249, 24, 4
	scratch_store_b32 off, v5, off offset:400 ; 4-byte Folded Spill
	v_mul_i32_i24_e32 v247, v5, v190
	scratch_load_b32 v5, off, off           ; 4-byte Folded Reload
	s_waitcnt vmcnt(0)
	v_add_nc_u32_e32 v116, 0x2118, v5
	ds_load_2addr_b32 v[116:117], v116 offset1:1
	s_waitcnt lgkmcnt(0)
	v_and_b32_e32 v5, 15, v116
	scratch_store_b32 off, v5, off offset:68 ; 4-byte Folded Spill
	v_mul_i32_i24_e32 v250, v5, v189
	v_bfe_u32 v5, v116, 8, 4
	s_delay_alu instid0(VALU_DEP_2)
	v_add3_u32 v52, v52, v250, v241
	scratch_store_b32 off, v5, off offset:72 ; 4-byte Folded Spill
	v_mul_i32_i24_e32 v251, v5, v188
	v_bfe_u32 v5, v116, 16, 4
	v_add3_u32 v52, v52, v242, v243
	scratch_store_b32 off, v5, off offset:764 ; 4-byte Folded Spill
	v_mul_i32_i24_e32 v252, v5, v187
	v_bfe_u32 v5, v116, 24, 4
	scratch_store_b32 off, v5, off offset:504 ; 4-byte Folded Spill
	v_mul_i32_i24_e32 v253, v5, v186
	v_and_b32_e32 v5, 15, v117
	s_delay_alu instid0(VALU_DEP_1)
	v_mul_i32_i24_e32 v254, v5, v185
	scratch_store_b32 off, v5, off offset:76 ; 4-byte Folded Spill
	v_bfe_u32 v5, v117, 8, 4
	v_add3_u32 v52, v52, v254, v245
	scratch_store_b32 off, v5, off offset:12 ; 4-byte Folded Spill
	v_mul_i32_i24_e32 v255, v5, v184
	v_bfe_u32 v5, v117, 16, 4
	v_add3_u32 v52, v52, v246, v247
	scratch_store_b32 off, v5, off offset:16 ; 4-byte Folded Spill
	v_mul_i32_i24_e32 v214, v5, v183
	v_bfe_u32 v5, v117, 24, 4
	v_add3_u32 v52, v52, v251, v252
	s_delay_alu instid0(VALU_DEP_2) | instskip(NEXT) | instid1(VALU_DEP_2)
	v_mul_i32_i24_e32 v70, v5, v182
	v_add3_u32 v52, v52, v253, v255
	scratch_store_b32 off, v5, off offset:80 ; 4-byte Folded Spill
	v_add3_u32 v52, v52, v214, v70
	ds_load_u16 v70, v50 offset:26112
	ds_load_u16 v214, v50 offset:26120
	s_waitcnt lgkmcnt(1)
	v_and_b32_e32 v5, 0xff, v70
	v_lshrrev_b16 v50, 8, v70
	s_waitcnt lgkmcnt(0)
	v_cvt_f32_ubyte1_e32 v17, v214
	scratch_store_b32 off, v5, off offset:508 ; 4-byte Folded Spill
	v_mul_lo_u32 v52, v52, v5
	v_cvt_f32_ubyte0_e32 v5, v214
	v_and_b32_e32 v16, 0xffff, v50
	scratch_store_b32 off, v5, off offset:84 ; 4-byte Folded Spill
	v_fma_mix_f32 v70, v0, v5, 0 op_sel:[1,0,0] op_sel_hi:[1,0,0]
	v_and_b32_e32 v5, 15, v46
	scratch_store_b32 off, v16, off offset:8 ; 4-byte Folded Spill
	v_cvt_f32_i32_e32 v52, v52
	v_fma_mix_f32 v70, v1, v17, v70 op_sel:[1,0,0] op_sel_hi:[1,0,0]
	scratch_store_b32 off, v5, off offset:92 ; 4-byte Folded Spill
	v_mul_i32_i24_e32 v72, v5, v181
	v_bfe_u32 v5, v46, 8, 4
	v_fma_mix_f32 v52, v0, v52, 0 op_sel_hi:[1,0,0]
	scratch_store_b32 off, v5, off offset:88 ; 4-byte Folded Spill
	v_mul_i32_i24_e32 v73, v5, v180
	v_bfe_u32 v5, v46, 16, 4
	scratch_store_b32 off, v5, off offset:96 ; 4-byte Folded Spill
	v_mul_i32_i24_e32 v74, v5, v179
	v_bfe_u32 v5, v46, 24, 4
	v_ashrrev_i32_e32 v46, 4, v47
	scratch_store_b32 off, v5, off offset:768 ; 4-byte Folded Spill
	v_mul_i32_i24_e32 v76, v5, v178
	v_bfe_u32 v5, v46, 8, 4
	v_and_b32_e32 v13, 15, v46
	scratch_store_b32 off, v5, off offset:772 ; 4-byte Folded Spill
	v_mul_i32_i24_e32 v77, v5, v177
	v_bfe_u32 v5, v46, 16, 4
	v_mov_b32_e32 v35, v13
	v_mad_i32_i24 v72, v13, v69, v72
	scratch_store_b32 off, v5, off offset:196 ; 4-byte Folded Spill
	v_mul_i32_i24_e32 v80, v5, v176
	v_bfe_u32 v5, v46, 24, 4
	v_ashrrev_i32_e32 v46, 4, v48
	s_clause 0x1
	scratch_store_b32 off, v35, off offset:28
	scratch_store_b32 off, v5, off offset:404
	v_mul_i32_i24_e32 v81, v5, v175
	v_and_b32_e32 v5, 15, v46
	scratch_store_b32 off, v5, off offset:100 ; 4-byte Folded Spill
	v_mul_i32_i24_e32 v113, v5, v173
	v_bfe_u32 v5, v46, 8, 4
	s_delay_alu instid0(VALU_DEP_2)
	v_add3_u32 v72, v72, v113, v73
	scratch_store_b32 off, v5, off offset:104 ; 4-byte Folded Spill
	v_mul_i32_i24_e32 v114, v5, v172
	v_bfe_u32 v5, v46, 16, 4
	v_add3_u32 v72, v72, v74, v76
	scratch_store_b32 off, v5, off offset:108 ; 4-byte Folded Spill
	v_mul_i32_i24_e32 v78, v5, v171
	v_bfe_u32 v5, v46, 24, 4
	v_ashrrev_i32_e32 v46, 4, v49
	v_ashrrev_i32_e32 v49, 4, v117
	scratch_store_b32 off, v5, off offset:112 ; 4-byte Folded Spill
	v_mul_i32_i24_e32 v79, v5, v170
	v_and_b32_e32 v5, 15, v46
	scratch_store_b32 off, v5, off offset:116 ; 4-byte Folded Spill
	v_mul_i32_i24_e32 v111, v5, v169
	v_bfe_u32 v5, v46, 8, 4
	s_delay_alu instid0(VALU_DEP_2)
	v_add3_u32 v72, v72, v111, v77
	scratch_store_b32 off, v5, off offset:120 ; 4-byte Folded Spill
	v_mul_i32_i24_e32 v112, v5, v168
	v_bfe_u32 v5, v46, 16, 4
	v_add3_u32 v72, v72, v80, v81
	scratch_store_b32 off, v5, off offset:124 ; 4-byte Folded Spill
	v_mul_i32_i24_e32 v105, v5, v167
	v_bfe_u32 v5, v46, 24, 4
	v_ashrrev_i32_e32 v46, 4, v248
	scratch_store_b32 off, v5, off offset:128 ; 4-byte Folded Spill
	v_mul_i32_i24_e32 v115, v5, v166
	v_and_b32_e32 v5, 15, v46
	scratch_store_b32 off, v5, off offset:132 ; 4-byte Folded Spill
	v_mul_i32_i24_e32 v106, v5, v165
	v_bfe_u32 v5, v46, 8, 4
	s_delay_alu instid0(VALU_DEP_2)
	v_add3_u32 v72, v72, v106, v114
	scratch_store_b32 off, v5, off offset:136 ; 4-byte Folded Spill
	v_mul_i32_i24_e32 v107, v5, v164
	v_bfe_u32 v5, v46, 16, 4
	v_add3_u32 v72, v72, v78, v79
	scratch_store_b32 off, v5, off offset:140 ; 4-byte Folded Spill
	v_mul_i32_i24_e32 v108, v5, v163
	v_bfe_u32 v5, v46, 24, 4
	;; [unrolled: 16-line block ×4, first 2 shown]
	scratch_store_b32 off, v5, off offset:176 ; 4-byte Folded Spill
	v_mul_i32_i24_e32 v123, v5, v154
	v_and_b32_e32 v5, 15, v49
	scratch_store_b32 off, v5, off offset:180 ; 4-byte Folded Spill
	v_mul_i32_i24_e32 v117, v5, v153
	v_bfe_u32 v5, v49, 8, 4
	s_delay_alu instid0(VALU_DEP_2)
	v_add3_u32 v72, v72, v117, v118
	scratch_store_b32 off, v5, off offset:184 ; 4-byte Folded Spill
	v_mul_i32_i24_e32 v124, v5, v126
	v_bfe_u32 v5, v49, 16, 4
	v_add3_u32 v72, v72, v119, v120
	scratch_store_b32 off, v5, off offset:20 ; 4-byte Folded Spill
	v_mul_i32_i24_e32 v125, v5, v75
	v_bfe_u32 v5, v49, 24, 4
	v_add3_u32 v72, v72, v121, v122
	scratch_store_b32 off, v5, off offset:188 ; 4-byte Folded Spill
	v_mul_i32_i24_e32 v23, v5, v71
	s_clause 0x9
	scratch_load_b32 v36, off, off offset:1108
	scratch_load_b32 v127, off, off offset:1080
	;; [unrolled: 1-line block ×10, first 2 shown]
	v_add3_u32 v72, v72, v123, v124
	scratch_store_b32 off, v17, off offset:40 ; 4-byte Folded Spill
	v_add3_u32 v23, v72, v125, v23
	s_delay_alu instid0(VALU_DEP_1) | instskip(NEXT) | instid1(VALU_DEP_1)
	v_mul_lo_u32 v23, v23, v16
	v_cvt_f32_i32_e32 v23, v23
	s_delay_alu instid0(VALU_DEP_1) | instskip(SKIP_3) | instid1(VALU_DEP_1)
	v_fma_mix_f32 v23, v1, v23, v52 op_sel_hi:[1,0,0]
	s_waitcnt vmcnt(1)
	v_mul_f32_e32 v70, v70, v5
	s_waitcnt vmcnt(0)
	v_fma_f32 v23, v23, v47, -v70
	s_delay_alu instid0(VALU_DEP_1)
	v_add_f32_e32 v8, v8, v23
	v_add3_u32 v23, v62, s17, v213
	scratch_store_b32 off, v8, off offset:1072 ; 4-byte Folded Spill
	scratch_load_b32 v8, off, off           ; 4-byte Folded Reload
	s_waitcnt vmcnt(0)
	v_add_nc_u32_e32 v70, 0x3180, v8
	ds_load_2addr_b32 v[116:117], v70 offset1:1
	s_waitcnt lgkmcnt(0)
	v_and_b32_e32 v8, 15, v116
	v_and_b32_e32 v13, 15, v117
	v_bfe_u32 v48, v116, 16, 4
	scratch_store_b32 off, v8, off offset:480 ; 4-byte Folded Spill
	v_mul_i32_i24_e32 v70, v8, v211
	v_bfe_u32 v8, v116, 8, 4
	scratch_store_b32 off, v48, off offset:228 ; 4-byte Folded Spill
	v_mul_i32_i24_e32 v72, v48, v210
	v_mad_i32_i24 v70, v13, v174, v70
	scratch_store_b32 off, v8, off offset:204 ; 4-byte Folded Spill
	v_mul_i32_i24_e32 v4, v8, v4
	v_bfe_u32 v8, v116, 24, 4
	scratch_store_b32 off, v8, off offset:484 ; 4-byte Folded Spill
	v_mul_i32_i24_e32 v73, v8, v209
	v_bfe_u32 v8, v117, 8, 4
	scratch_store_b32 off, v8, off offset:440 ; 4-byte Folded Spill
	v_mul_i32_i24_e32 v74, v8, v208
	v_bfe_u32 v8, v117, 16, 4
	scratch_store_b32 off, v8, off offset:444 ; 4-byte Folded Spill
	v_mul_i32_i24_e32 v76, v8, v207
	v_bfe_u32 v8, v117, 24, 4
	scratch_store_b32 off, v8, off offset:456 ; 4-byte Folded Spill
	v_mul_i32_i24_e32 v77, v8, v206
	scratch_load_b32 v8, off, off           ; 4-byte Folded Reload
	s_waitcnt vmcnt(0)
	v_add_nc_u32_e32 v78, 0x3188, v8
	ds_load_2addr_b32 v[206:207], v78 offset1:1
	s_waitcnt lgkmcnt(0)
	v_bfe_u32 v8, v206, 8, 4
	v_and_b32_e32 v223, 15, v206
	v_and_b32_e32 v18, 15, v207
	scratch_store_b32 off, v8, off offset:736 ; 4-byte Folded Spill
	v_mul_i32_i24_e32 v79, v8, v204
	v_bfe_u32 v8, v206, 16, 4
	v_mul_i32_i24_e32 v78, v223, v205
	scratch_store_b32 off, v223, off offset:584 ; 4-byte Folded Spill
	v_mul_i32_i24_e32 v105, v18, v201
	scratch_store_b32 off, v8, off offset:744 ; 4-byte Folded Spill
	v_mul_i32_i24_e32 v80, v8, v203
	v_bfe_u32 v8, v206, 24, 4
	v_add3_u32 v4, v70, v78, v4
	scratch_store_b32 off, v8, off offset:424 ; 4-byte Folded Spill
	v_mul_i32_i24_e32 v81, v8, v202
	v_bfe_u32 v8, v207, 8, 4
	v_add3_u32 v4, v4, v72, v73
	scratch_store_b32 off, v8, off offset:740 ; 4-byte Folded Spill
	v_mul_i32_i24_e32 v106, v8, v200
	v_bfe_u32 v8, v207, 16, 4
	v_add3_u32 v4, v4, v105, v74
	scratch_store_b32 off, v8, off offset:412 ; 4-byte Folded Spill
	v_mul_i32_i24_e32 v107, v8, v199
	v_bfe_u32 v8, v207, 24, 4
	v_add3_u32 v4, v4, v76, v77
	v_ashrrev_i32_e32 v77, 4, v117
	scratch_store_b32 off, v8, off offset:420 ; 4-byte Folded Spill
	v_mul_i32_i24_e32 v108, v8, v198
	scratch_load_b32 v8, off, off           ; 4-byte Folded Reload
	v_and_b32_e32 v14, 15, v77
	v_bfe_u32 v231, v77, 24, 4
	s_waitcnt vmcnt(0)
	v_add_nc_u32_e32 v109, 0x3190, v8
	ds_load_2addr_b32 v[198:199], v109 offset1:1
	s_waitcnt lgkmcnt(0)
	v_and_b32_e32 v8, 15, v198
	scratch_store_b32 off, v8, off offset:416 ; 4-byte Folded Spill
	v_mul_i32_i24_e32 v109, v8, v197
	v_bfe_u32 v8, v198, 8, 4
	s_delay_alu instid0(VALU_DEP_2)
	v_add3_u32 v4, v4, v109, v79
	scratch_store_b32 off, v8, off offset:428 ; 4-byte Folded Spill
	v_mul_i32_i24_e32 v110, v8, v196
	v_bfe_u32 v8, v198, 16, 4
	v_add3_u32 v4, v4, v80, v81
	v_ashrrev_i32_e32 v80, 4, v206
	scratch_store_b32 off, v8, off offset:432 ; 4-byte Folded Spill
	v_mul_i32_i24_e32 v111, v8, v195
	v_bfe_u32 v8, v198, 24, 4
	scratch_store_b32 off, v8, off offset:448 ; 4-byte Folded Spill
	v_mul_i32_i24_e32 v112, v8, v194
	v_and_b32_e32 v8, 15, v199
	scratch_store_b32 off, v8, off offset:436 ; 4-byte Folded Spill
	v_mul_i32_i24_e32 v113, v8, v193
	v_bfe_u32 v8, v199, 8, 4
	s_delay_alu instid0(VALU_DEP_2)
	v_add3_u32 v4, v4, v113, v106
	scratch_store_b32 off, v8, off offset:452 ; 4-byte Folded Spill
	v_mul_i32_i24_e32 v114, v8, v192
	v_bfe_u32 v8, v199, 16, 4
	v_add3_u32 v4, v4, v107, v108
	v_ashrrev_i32_e32 v107, 4, v207
	scratch_store_b32 off, v8, off offset:460 ; 4-byte Folded Spill
	v_mul_i32_i24_e32 v115, v8, v191
	v_bfe_u32 v8, v199, 24, 4
	scratch_store_b32 off, v8, off offset:464 ; 4-byte Folded Spill
	v_mul_i32_i24_e32 v118, v8, v190
	scratch_load_b32 v8, off, off           ; 4-byte Folded Reload
	s_waitcnt vmcnt(0)
	v_add_nc_u32_e32 v119, 0x3198, v8
	ds_load_2addr_b32 v[190:191], v119 offset1:1
	s_waitcnt lgkmcnt(0)
	v_and_b32_e32 v8, 15, v190
	v_bfe_u32 v213, v190, 8, 4
	v_bfe_u32 v217, v190, 16, 4
	v_and_b32_e32 v218, 15, v191
	v_bfe_u32 v212, v191, 8, 4
	scratch_store_b32 off, v8, off offset:468 ; 4-byte Folded Spill
	v_mul_i32_i24_e32 v119, v8, v189
	v_bfe_u32 v8, v190, 24, 4
	v_bfe_u32 v219, v191, 16, 4
	;; [unrolled: 1-line block ×3, first 2 shown]
	s_clause 0x8
	scratch_store_b32 off, v13, off offset:476
	scratch_store_b32 off, v18, off offset:988
	;; [unrolled: 1-line block ×9, first 2 shown]
	ds_load_u16 v70, v23 offset:26624
	ds_load_u16 v23, v23 offset:26632
	v_mul_i32_i24_e32 v122, v8, v186
	s_clause 0x6
	scratch_load_b32 v228, off, off offset:268
	scratch_load_b32 v236, off, off offset:468
	;; [unrolled: 1-line block ×7, first 2 shown]
	v_add3_u32 v4, v4, v119, v110
	v_mul_i32_i24_e32 v123, v218, v185
	v_ashrrev_i32_e32 v119, 4, v190
	v_mul_i32_i24_e32 v120, v213, v188
	v_mul_i32_i24_e32 v121, v217, v187
	v_add3_u32 v4, v4, v111, v112
	v_ashrrev_i32_e32 v111, 4, v198
	v_mul_i32_i24_e32 v124, v212, v184
	v_mul_i32_i24_e32 v125, v219, v183
	;; [unrolled: 1-line block ×3, first 2 shown]
	s_waitcnt lgkmcnt(1)
	v_lshrrev_b16 v72, 8, v70
	v_and_b32_e32 v50, 0xff, v70
	v_ashrrev_i32_e32 v70, 4, v116
	v_add3_u32 v4, v4, v123, v114
	v_ashrrev_i32_e32 v123, 4, v191
	s_waitcnt lgkmcnt(0)
	v_cvt_f32_ubyte0_e32 v49, v23
	s_clause 0x5
	scratch_load_b32 v245, off, off offset:488
	scratch_load_b32 v240, off, off offset:492
	scratch_load_b32 v238, off, off offset:496
	scratch_load_b32 v247, off, off offset:500
	scratch_load_b32 v237, off, off offset:504
	scratch_load_b32 v239, off, off offset:508
	v_and_b32_e32 v8, 15, v70
	v_bfe_u32 v244, v70, 8, 4
	v_add3_u32 v4, v4, v115, v118
	v_bfe_u32 v224, v70, 24, 4
	v_ashrrev_i32_e32 v115, 4, v199
	scratch_store_b32 off, v8, off offset:904 ; 4-byte Folded Spill
	v_mul_i32_i24_e32 v73, v8, v181
	v_bfe_u32 v8, v70, 16, 4
	v_mul_i32_i24_e32 v74, v244, v180
	v_mul_i32_i24_e32 v70, v224, v178
	v_add3_u32 v4, v4, v120, v121
	v_mad_i32_i24 v69, v14, v69, v73
	scratch_store_b32 off, v8, off offset:408 ; 4-byte Folded Spill
	v_mul_i32_i24_e32 v76, v8, v179
	v_bfe_u32 v8, v77, 8, 4
	v_add3_u32 v4, v4, v122, v124
	v_and_b32_e32 v13, 0xffff, v72
	s_clause 0x6
	scratch_load_b32 v220, off, off offset:632
	scratch_load_b32 v246, off, off offset:700
	;; [unrolled: 1-line block ×7, first 2 shown]
	scratch_store_b32 off, v8, off offset:784 ; 4-byte Folded Spill
	v_mul_i32_i24_e32 v78, v8, v177
	v_bfe_u32 v8, v77, 16, 4
	v_mul_i32_i24_e32 v77, v231, v175
	v_add3_u32 v4, v4, v125, v182
	s_clause 0x1
	scratch_load_b32 v91, off, off offset:512
	scratch_load_b32 v62, off, off offset:32
	scratch_store_b32 off, v8, off offset:788 ; 4-byte Folded Spill
	v_mul_i32_i24_e32 v79, v8, v176
	v_and_b32_e32 v8, 15, v80
	v_mul_lo_u32 v4, v4, v50
	s_clause 0x6
	scratch_load_b32 v249, off, off offset:748
	scratch_load_b32 v253, off, off offset:752
	;; [unrolled: 1-line block ×7, first 2 shown]
	scratch_store_b32 off, v8, off offset:896 ; 4-byte Folded Spill
	v_mul_i32_i24_e32 v81, v8, v173
	v_bfe_u32 v8, v80, 8, 4
	v_cvt_f32_i32_e32 v4, v4
	s_clause 0x2
	scratch_load_b32 v242, off, off offset:980
	scratch_load_b32 v233, off, off offset:480
	;; [unrolled: 1-line block ×3, first 2 shown]
	scratch_store_b32 off, v8, off offset:1220 ; 4-byte Folded Spill
	v_mul_i32_i24_e32 v105, v8, v172
	v_bfe_u32 v8, v80, 16, 4
	v_add3_u32 v69, v69, v81, v74
	v_fma_mix_f32 v4, v0, v4, 0 op_sel_hi:[1,0,0]
	v_fma_mix_f32 v0, v0, v49, 0 op_sel:[1,0,0] op_sel_hi:[1,0,0]
	scratch_load_b32 v230, off, off offset:904 ; 4-byte Folded Reload
	scratch_store_b32 off, v8, off offset:1224 ; 4-byte Folded Spill
	v_mul_i32_i24_e32 v106, v8, v171
	v_bfe_u32 v8, v80, 24, 4
	v_add3_u32 v69, v69, v76, v70
	s_clause 0x3
	scratch_store_b32 off, v50, off offset:1012
	scratch_store_b32 off, v49, off offset:1016
	;; [unrolled: 1-line block ×4, first 2 shown]
	v_mul_i32_i24_e32 v80, v8, v170
	v_and_b32_e32 v8, 15, v107
	scratch_store_b32 off, v8, off offset:1208 ; 4-byte Folded Spill
	v_mul_i32_i24_e32 v108, v8, v169
	v_bfe_u32 v8, v107, 8, 4
	s_delay_alu instid0(VALU_DEP_2)
	v_add3_u32 v69, v69, v108, v78
	scratch_store_b32 off, v8, off offset:1204 ; 4-byte Folded Spill
	v_mul_i32_i24_e32 v109, v8, v168
	v_bfe_u32 v8, v107, 16, 4
	v_add3_u32 v69, v69, v79, v77
	v_mov_b32_e32 v79, v13
	scratch_store_b32 off, v8, off offset:1212 ; 4-byte Folded Spill
	v_mul_i32_i24_e32 v110, v8, v167
	v_bfe_u32 v8, v107, 24, 4
	scratch_store_b32 off, v8, off offset:1216 ; 4-byte Folded Spill
	v_mul_i32_i24_e32 v107, v8, v166
	v_and_b32_e32 v8, 15, v111
	scratch_store_b32 off, v8, off offset:1200 ; 4-byte Folded Spill
	v_mul_i32_i24_e32 v112, v8, v165
	v_bfe_u32 v8, v111, 8, 4
	s_delay_alu instid0(VALU_DEP_2)
	v_add3_u32 v69, v69, v112, v105
	scratch_store_b32 off, v8, off offset:1196 ; 4-byte Folded Spill
	v_mul_i32_i24_e32 v113, v8, v164
	v_bfe_u32 v8, v111, 16, 4
	v_add3_u32 v69, v69, v106, v80
	scratch_store_b32 off, v8, off offset:888 ; 4-byte Folded Spill
	v_mul_i32_i24_e32 v114, v8, v163
	v_bfe_u32 v8, v111, 24, 4
	scratch_store_b32 off, v8, off offset:892 ; 4-byte Folded Spill
	v_mul_i32_i24_e32 v111, v8, v162
	v_and_b32_e32 v8, 15, v115
	scratch_store_b32 off, v8, off offset:876 ; 4-byte Folded Spill
	v_mul_i32_i24_e32 v116, v8, v161
	v_bfe_u32 v8, v115, 8, 4
	s_delay_alu instid0(VALU_DEP_2)
	v_add3_u32 v69, v69, v116, v109
	scratch_store_b32 off, v8, off offset:872 ; 4-byte Folded Spill
	v_mul_i32_i24_e32 v117, v8, v160
	v_bfe_u32 v8, v115, 16, 4
	v_add3_u32 v69, v69, v110, v107
	;; [unrolled: 15-line block ×3, first 2 shown]
	scratch_store_b32 off, v8, off offset:868 ; 4-byte Folded Spill
	v_mul_i32_i24_e32 v122, v8, v155
	v_bfe_u32 v8, v119, 24, 4
	scratch_store_b32 off, v8, off offset:728 ; 4-byte Folded Spill
	v_mul_i32_i24_e32 v119, v8, v154
	v_and_b32_e32 v8, 15, v123
	s_delay_alu instid0(VALU_DEP_1)
	v_mul_i32_i24_e32 v124, v8, v153
	scratch_store_b32 off, v8, off offset:832 ; 4-byte Folded Spill
	v_bfe_u32 v8, v123, 8, 4
	ds_load_b128 v[153:156], v216 offset:1024
	v_add3_u32 v69, v69, v124, v117
	scratch_store_b32 off, v8, off offset:236 ; 4-byte Folded Spill
	v_mul_i32_i24_e32 v125, v8, v126
	v_bfe_u32 v8, v123, 16, 4
	v_add3_u32 v69, v69, v118, v115
	scratch_store_b32 off, v8, off offset:836 ; 4-byte Folded Spill
	v_mul_i32_i24_e32 v75, v8, v75
	v_bfe_u32 v8, v123, 24, 4
	v_add3_u32 v69, v69, v121, v122
	v_mov_b32_e32 v123, v14
	scratch_load_b32 v14, off, off offset:1252 ; 4-byte Folded Reload
	scratch_store_b32 off, v244, off offset:1048 ; 4-byte Folded Spill
	v_mul_i32_i24_e32 v71, v8, v71
	v_add3_u32 v69, v69, v119, v125
	scratch_store_b32 off, v123, off offset:1052 ; 4-byte Folded Spill
	s_waitcnt lgkmcnt(0)
	v_bfe_i32 v208, v153, 0, 8
	v_bfe_i32 v207, v153, 8, 8
	;; [unrolled: 1-line block ×3, first 2 shown]
	v_add3_u32 v69, v69, v75, v71
	v_ashrrev_i32_e32 v210, 24, v153
	v_bfe_i32 v190, v154, 0, 8
	v_bfe_i32 v187, v154, 8, 8
	v_mul_i32_i24_e32 v70, v209, v59
	v_mul_lo_u32 v69, v69, v13
	v_cvt_f32_ubyte1_e32 v13, v23
	v_mul_i32_i24_e32 v72, v210, v134
	v_bfe_i32 v188, v154, 16, 8
	v_ashrrev_i32_e32 v189, 24, v154
	v_bfe_i32 v183, v155, 0, 8
	v_fma_mix_f32 v0, v1, v13, v0 op_sel:[1,0,0] op_sel_hi:[1,0,0]
	v_mov_b32_e32 v78, v13
	scratch_load_b32 v13, off, off offset:1236 ; 4-byte Folded Reload
	v_cvt_f32_i32_e32 v69, v69
	v_bfe_i32 v184, v155, 8, 8
	v_bfe_i32 v185, v155, 16, 8
	v_ashrrev_i32_e32 v186, 24, v155
	v_bfe_i32 v167, v156, 0, 8
	v_fma_mix_f32 v4, v1, v69, v4 op_sel_hi:[1,0,0]
	v_bfe_i32 v180, v156, 8, 8
	v_bfe_i32 v181, v156, 16, 8
	v_ashrrev_i32_e32 v182, 24, v156
	ds_load_b128 v[153:156], v216 offset:1040
	v_mul_i32_i24_e32 v73, v188, v63
	v_mul_i32_i24_e32 v74, v189, v64
	s_clause 0x3
	scratch_load_b32 v59, off, off offset:636
	scratch_load_b32 v64, off, off offset:352
	scratch_load_b32 v134, off, off offset:372
	scratch_load_b32 v63, off, off offset:244
	s_clause 0x1
	scratch_store_b32 off, v8, off offset:232
	scratch_store_b32 off, v231, off offset:1056
	s_waitcnt lgkmcnt(0)
	v_bfe_i32 v203, v153, 0, 8
	v_bfe_i32 v204, v153, 8, 8
	v_bfe_i32 v205, v153, 16, 8
	v_ashrrev_i32_e32 v206, 24, v153
	v_bfe_i32 v199, v154, 0, 8
	v_bfe_i32 v200, v154, 8, 8
	v_bfe_i32 v201, v154, 16, 8
	v_ashrrev_i32_e32 v202, 24, v154
	;; [unrolled: 4-line block ×4, first 2 shown]
	ds_load_b128 v[153:156], v216 offset:1056
	s_waitcnt lgkmcnt(0)
	v_bfe_i32 v177, v153, 0, 8
	v_bfe_i32 v176, v153, 8, 8
	;; [unrolled: 1-line block ×3, first 2 shown]
	v_ashrrev_i32_e32 v179, 24, v153
	v_bfe_i32 v175, v154, 0, 8
	v_bfe_i32 v172, v154, 8, 8
	;; [unrolled: 1-line block ×3, first 2 shown]
	v_ashrrev_i32_e32 v174, 24, v154
	v_bfe_i32 v168, v155, 8, 8
	v_bfe_i32 v171, v155, 0, 8
	;; [unrolled: 1-line block ×3, first 2 shown]
	v_mul_i32_i24_e32 v76, v173, v32
	v_mul_i32_i24_e32 v77, v174, v30
	v_ashrrev_i32_e32 v170, 24, v155
	v_ashrrev_i32_e32 v165, 24, v156
	v_bfe_i32 v166, v156, 0, 8
	v_bfe_i32 v163, v156, 8, 8
	;; [unrolled: 1-line block ×3, first 2 shown]
	ds_load_b128 v[153:156], v216 offset:1072
	s_waitcnt lgkmcnt(0)
	v_bfe_i32 v162, v153, 0, 8
	v_bfe_i32 v159, v153, 8, 8
	;; [unrolled: 1-line block ×3, first 2 shown]
	v_ashrrev_i32_e32 v161, 24, v153
	v_bfe_i32 v158, v154, 0, 8
	v_bfe_i32 v81, v154, 8, 8
	;; [unrolled: 1-line block ×3, first 2 shown]
	v_ashrrev_i32_e32 v157, 24, v154
	v_bfe_i32 v153, v155, 0, 8
	v_bfe_i32 v75, v155, 8, 8
	;; [unrolled: 1-line block ×5, first 2 shown]
	v_ashrrev_i32_e32 v71, 24, v156
	s_waitcnt vmcnt(5)
	v_mul_f32_e32 v0, v0, v14
	s_waitcnt vmcnt(4)
	s_delay_alu instid0(VALU_DEP_1)
	v_fma_f32 v0, v4, v13, -v0
	v_mov_b32_e32 v80, v13
	scratch_load_b32 v13, off, off offset:332 ; 4-byte Folded Reload
	v_ashrrev_i32_e32 v4, 24, v155
	v_add_f32_e32 v51, v51, v0
	v_bfe_i32 v0, v156, 0, 8
	scratch_store_b32 off, v51, off offset:1068 ; 4-byte Folded Spill
	scratch_load_b32 v51, off, off offset:336 ; 4-byte Folded Reload
	s_waitcnt vmcnt(0)
	v_mul_i32_i24_e32 v23, v208, v51
	s_delay_alu instid0(VALU_DEP_1) | instskip(SKIP_1) | instid1(VALU_DEP_2)
	v_mad_i32_i24 v23, v207, v129, v23
	v_mov_b32_e32 v129, v94
	v_add3_u32 v23, v23, v70, v72
	v_mul_i32_i24_e32 v70, v190, v13
	v_mul_i32_i24_e32 v72, v187, v55
	s_delay_alu instid0(VALU_DEP_1)
	v_add3_u32 v23, v23, v70, v72
	v_mul_i32_i24_e32 v70, v183, v65
	v_mul_i32_i24_e32 v72, v184, v67
	v_mov_b32_e32 v67, v37
	v_mov_b32_e32 v65, v32
	v_add3_u32 v23, v23, v73, v74
	v_mul_i32_i24_e32 v73, v185, v130
	v_mul_i32_i24_e32 v74, v186, v132
	s_clause 0x1
	scratch_load_b32 v130, off, off offset:356
	scratch_load_b32 v132, off, off offset:364
	v_add3_u32 v23, v23, v70, v72
	v_mul_i32_i24_e32 v70, v167, v131
	v_mul_i32_i24_e32 v72, v180, v133
	s_clause 0x1
	scratch_load_b32 v131, off, off offset:360
	scratch_load_b32 v133, off, off offset:368
	;; [unrolled: 6-line block ×3, first 2 shown]
	v_add3_u32 v23, v23, v70, v72
	v_mul_i32_i24_e32 v70, v203, v137
	v_mul_i32_i24_e32 v72, v204, v138
	scratch_load_b32 v32, off, off offset:36 ; 4-byte Folded Reload
	v_mov_b32_e32 v138, v19
	v_add3_u32 v23, v23, v73, v74
	v_mul_i32_i24_e32 v73, v205, v139
	v_mul_i32_i24_e32 v74, v206, v143
	v_mov_b32_e32 v143, v90
	s_delay_alu instid0(VALU_DEP_4)
	v_add3_u32 v23, v23, v70, v72
	v_mul_i32_i24_e32 v70, v199, v140
	v_mul_i32_i24_e32 v72, v200, v144
	scratch_load_b32 v140, off, off offset:640 ; 4-byte Folded Reload
	v_add3_u32 v23, v23, v73, v74
	v_mul_i32_i24_e32 v73, v201, v145
	v_mul_i32_i24_e32 v74, v202, v146
	scratch_load_b32 v146, off, off offset:720 ; 4-byte Folded Reload
	v_mov_b32_e32 v145, v98
	v_add3_u32 v23, v23, v70, v72
	v_mul_i32_i24_e32 v70, v195, v149
	v_mul_i32_i24_e32 v72, v196, v150
	v_dual_mov_b32 v150, v39 :: v_dual_mov_b32 v149, v38
	s_delay_alu instid0(VALU_DEP_4)
	v_add3_u32 v23, v23, v73, v74
	v_mul_i32_i24_e32 v73, v197, v151
	v_mul_i32_i24_e32 v74, v198, v215
	v_mov_b32_e32 v215, v152
	v_mov_b32_e32 v151, v42
	v_add3_u32 v23, v23, v70, v72
	v_mul_i32_i24_e32 v70, v191, v152
	v_mul_i32_i24_e32 v72, v192, v220
	v_mov_b32_e32 v152, v44
	s_delay_alu instid0(VALU_DEP_4) | instskip(SKIP_1) | instid1(VALU_DEP_2)
	v_add3_u32 v23, v23, v73, v74
	v_mul_i32_i24_e32 v73, v193, v59
	v_add3_u32 v23, v23, v70, v72
	v_mul_i32_i24_e32 v72, v177, v29
	scratch_load_b32 v29, off, off offset:392 ; 4-byte Folded Reload
	v_fma_mix_f32 v70, v25, v2, 0 op_sel:[0,1,0] op_sel_hi:[0,1,0]
	scratch_load_b32 v25, off, off offset:252 ; 4-byte Folded Reload
	v_mad_i32_i24 v72, v176, v45, v72
	scratch_load_b32 v45, off, off offset:600 ; 4-byte Folded Reload
	v_fma_mix_f32 v70, v7, v3, v70 op_sel:[0,1,0] op_sel_hi:[0,1,0]
	scratch_load_b32 v7, off, off offset:560 ; 4-byte Folded Reload
	v_mul_f32_e32 v70, v70, v24
	s_waitcnt vmcnt(5)
	v_mul_i32_i24_e32 v74, v194, v140
	s_delay_alu instid0(VALU_DEP_1)
	v_add3_u32 v23, v23, v73, v74
	v_mul_i32_i24_e32 v73, v178, v28
	v_mul_i32_i24_e32 v74, v179, v27
	scratch_load_b32 v27, off, off offset:776 ; 4-byte Folded Reload
	v_mul_lo_u32 v23, v23, v26
	scratch_load_b32 v26, off, off offset:256 ; 4-byte Folded Reload
	v_add3_u32 v72, v72, v73, v74
	v_mul_i32_i24_e32 v74, v172, v33
	v_cvt_f32_i32_e32 v23, v23
	s_delay_alu instid0(VALU_DEP_1) | instskip(SKIP_2) | instid1(VALU_DEP_1)
	v_fma_mix_f32 v23, v2, v23, 0 op_sel_hi:[1,0,0]
	s_waitcnt vmcnt(5)
	v_mul_i32_i24_e32 v73, v175, v29
	v_add3_u32 v72, v72, v73, v74
	v_mul_i32_i24_e32 v74, v168, v37
	scratch_load_b32 v37, off, off offset:696 ; 4-byte Folded Reload
	v_mul_i32_i24_e32 v73, v171, v31
	v_add3_u32 v72, v72, v76, v77
	v_mul_i32_i24_e32 v76, v169, v38
	v_mul_i32_i24_e32 v77, v170, v39
	s_clause 0x1
	scratch_load_b32 v38, off, off offset:780
	scratch_load_b32 v39, off, off offset:520
	v_add3_u32 v72, v72, v73, v74
	v_mul_i32_i24_e32 v73, v166, v40
	v_mul_i32_i24_e32 v74, v163, v41
	s_clause 0x1
	scratch_load_b32 v40, off, off offset:524
	scratch_load_b32 v41, off, off offset:528
	v_add3_u32 v72, v72, v76, v77
	v_mul_i32_i24_e32 v77, v165, v44
	scratch_load_b32 v44, off, off offset:348 ; 4-byte Folded Reload
	v_mul_i32_i24_e32 v76, v164, v42
	scratch_load_b32 v42, off, off offset:516 ; 4-byte Folded Reload
	v_add3_u32 v72, v72, v73, v74
	v_mul_i32_i24_e32 v74, v159, v246
	s_delay_alu instid0(VALU_DEP_2) | instskip(SKIP_4) | instid1(VALU_DEP_1)
	v_add3_u32 v72, v72, v76, v77
	v_mul_i32_i24_e32 v76, v160, v248
	v_mul_i32_i24_e32 v77, v161, v250
	s_waitcnt vmcnt(6)
	v_mul_i32_i24_e32 v73, v162, v37
	v_add3_u32 v72, v72, v73, v74
	v_mul_i32_i24_e32 v73, v158, v252
	v_mul_i32_i24_e32 v74, v81, v254
	s_delay_alu instid0(VALU_DEP_3) | instskip(SKIP_3) | instid1(VALU_DEP_3)
	v_add3_u32 v72, v72, v76, v77
	v_mul_i32_i24_e32 v77, v157, v146
	s_waitcnt vmcnt(1)
	v_mul_i32_i24_e32 v76, v105, v44
	v_add3_u32 v72, v72, v73, v74
	v_mul_i32_i24_e32 v73, v153, v64
	v_mul_i32_i24_e32 v74, v75, v130
	s_delay_alu instid0(VALU_DEP_3) | instskip(SKIP_2) | instid1(VALU_DEP_3)
	v_add3_u32 v72, v72, v76, v77
	v_mul_i32_i24_e32 v76, v126, v131
	v_mul_i32_i24_e32 v77, v4, v132
	v_add3_u32 v72, v72, v73, v74
	v_mul_i32_i24_e32 v73, v0, v133
	v_mul_i32_i24_e32 v74, v1, v134
	s_delay_alu instid0(VALU_DEP_3) | instskip(SKIP_2) | instid1(VALU_DEP_3)
	v_add3_u32 v72, v72, v76, v77
	v_mul_i32_i24_e32 v76, v69, v135
	v_mul_i32_i24_e32 v77, v71, v136
	v_add3_u32 v72, v72, v73, v74
	v_mul_i32_i24_e32 v74, v189, v7
	scratch_load_b32 v7, off, off offset:224 ; 4-byte Folded Reload
	v_mul_i32_i24_e32 v73, v188, v25
	v_add3_u32 v72, v72, v76, v77
	v_mul_i32_i24_e32 v76, v173, v94
	v_mul_i32_i24_e32 v77, v174, v93
	v_mov_b32_e32 v94, v86
	s_delay_alu instid0(VALU_DEP_4) | instskip(NEXT) | instid1(VALU_DEP_1)
	v_mul_lo_u32 v72, v72, v9
	v_cvt_f32_i32_e32 v72, v72
	s_delay_alu instid0(VALU_DEP_1) | instskip(SKIP_1) | instid1(VALU_DEP_2)
	v_fma_mix_f32 v23, v3, v72, v23 op_sel_hi:[1,0,0]
	v_mul_i32_i24_e32 v72, v210, v89
	v_fma_f32 v23, v23, v12, -v70
	v_mul_i32_i24_e32 v70, v209, v228
	s_delay_alu instid0(VALU_DEP_2) | instskip(SKIP_1) | instid1(VALU_DEP_1)
	v_add_f32_e32 v102, v102, v23
	v_mul_i32_i24_e32 v23, v208, v91
	v_mad_i32_i24 v23, v207, v21, v23
	s_delay_alu instid0(VALU_DEP_1) | instskip(SKIP_2) | instid1(VALU_DEP_1)
	v_add3_u32 v23, v23, v70, v72
	v_mul_i32_i24_e32 v70, v190, v32
	v_mul_i32_i24_e32 v72, v187, v46
	v_add3_u32 v23, v23, v70, v72
	v_mul_i32_i24_e32 v70, v183, v26
	s_delay_alu instid0(VALU_DEP_2)
	v_add3_u32 v23, v23, v73, v74
	v_mul_i32_i24_e32 v73, v185, v27
	s_waitcnt vmcnt(0)
	v_mul_i32_i24_e32 v72, v184, v7
	scratch_load_b32 v7, off, off offset:572 ; 4-byte Folded Reload
	v_add3_u32 v23, v23, v70, v72
	s_waitcnt vmcnt(0)
	v_mul_i32_i24_e32 v74, v186, v7
	scratch_load_b32 v7, off, off offset:564 ; 4-byte Folded Reload
	v_add3_u32 v23, v23, v73, v74
	s_waitcnt vmcnt(0)
	v_mul_i32_i24_e32 v70, v167, v7
	scratch_load_b32 v7, off, off offset:568 ; 4-byte Folded Reload
	s_waitcnt vmcnt(0)
	v_mul_i32_i24_e32 v72, v180, v7
	scratch_load_b32 v7, off, off offset:576 ; 4-byte Folded Reload
	v_add3_u32 v23, v23, v70, v72
	s_waitcnt vmcnt(0)
	v_mul_i32_i24_e32 v73, v181, v7
	scratch_load_b32 v7, off, off offset:580 ; 4-byte Folded Reload
	s_waitcnt vmcnt(0)
	v_mul_i32_i24_e32 v74, v182, v7
	scratch_load_b32 v7, off, off offset:812 ; 4-byte Folded Reload
	v_add3_u32 v23, v23, v73, v74
	v_mul_i32_i24_e32 v74, v206, v62
	s_waitcnt vmcnt(0)
	v_mul_i32_i24_e32 v70, v203, v7
	scratch_load_b32 v7, off, off offset:816 ; 4-byte Folded Reload
	s_waitcnt vmcnt(0)
	v_mul_i32_i24_e32 v72, v204, v7
	scratch_load_b32 v7, off, off offset:824 ; 4-byte Folded Reload
	v_add3_u32 v23, v23, v70, v72
	s_waitcnt vmcnt(0)
	v_mul_i32_i24_e32 v73, v205, v7
	scratch_load_b32 v7, off, off offset:820 ; 4-byte Folded Reload
	v_add3_u32 v23, v23, v73, v74
	v_mul_i32_i24_e32 v73, v201, v148
	v_mul_i32_i24_e32 v74, v202, v147
	s_waitcnt vmcnt(0)
	v_mul_i32_i24_e32 v70, v199, v7
	scratch_load_b32 v7, off, off offset:828 ; 4-byte Folded Reload
	s_waitcnt vmcnt(0)
	v_mul_i32_i24_e32 v72, v200, v7
	scratch_load_b32 v7, off, off offset:1220 ; 4-byte Folded Reload
	v_add3_u32 v23, v23, v70, v72
	v_mul_i32_i24_e32 v70, v195, v92
	v_mul_i32_i24_e32 v72, v196, v45
	s_delay_alu instid0(VALU_DEP_3) | instskip(SKIP_2) | instid1(VALU_DEP_3)
	v_add3_u32 v23, v23, v73, v74
	v_mul_i32_i24_e32 v73, v197, v63
	v_mul_i32_i24_e32 v74, v198, v38
	v_add3_u32 v23, v23, v70, v72
	v_mul_i32_i24_e32 v70, v191, v42
	v_mul_i32_i24_e32 v72, v192, v39
	s_delay_alu instid0(VALU_DEP_3) | instskip(SKIP_2) | instid1(VALU_DEP_3)
	v_add3_u32 v23, v23, v73, v74
	v_mul_i32_i24_e32 v73, v193, v40
	v_mul_i32_i24_e32 v74, v194, v41
	v_add3_u32 v23, v23, v70, v72
	v_mul_i32_i24_e32 v72, v177, v99
	v_fma_mix_f32 v70, v101, v2, 0 op_sel:[0,1,0] op_sel_hi:[0,1,0]
	s_delay_alu instid0(VALU_DEP_3)
	v_add3_u32 v23, v23, v73, v74
	v_mul_i32_i24_e32 v73, v178, v98
	v_mul_i32_i24_e32 v74, v179, v97
	v_mad_i32_i24 v72, v176, v100, v72
	v_fma_mix_f32 v70, v222, v3, v70 op_sel:[0,1,0] op_sel_hi:[0,1,0]
	v_mov_b32_e32 v222, v140
	v_mul_lo_u32 v23, v23, v103
	v_mov_b32_e32 v137, v15
	v_add3_u32 v72, v72, v73, v74
	v_mul_i32_i24_e32 v73, v175, v96
	v_mul_i32_i24_e32 v74, v172, v95
	v_mul_f32_e32 v70, v70, v142
	v_mov_b32_e32 v98, v85
	v_mov_b32_e32 v100, v84
	v_cvt_f32_i32_e32 v23, v23
	v_add3_u32 v72, v72, v73, v74
	v_mul_i32_i24_e32 v73, v171, v15
	v_mul_i32_i24_e32 v74, v168, v90
	v_mov_b32_e32 v90, v5
	v_fma_mix_f32 v23, v2, v23, 0 op_sel_hi:[1,0,0]
	v_add3_u32 v72, v72, v76, v77
	v_mul_i32_i24_e32 v76, v169, v19
	v_mul_i32_i24_e32 v77, v170, v87
	scratch_load_b32 v15, off, off offset:744 ; 4-byte Folded Reload
	v_add3_u32 v72, v72, v73, v74
	v_mul_i32_i24_e32 v73, v166, v88
	v_mul_i32_i24_e32 v74, v163, v86
	s_delay_alu instid0(VALU_DEP_3)
	v_add3_u32 v72, v72, v76, v77
	v_mul_i32_i24_e32 v76, v164, v85
	v_mul_i32_i24_e32 v77, v165, v84
	v_mov_b32_e32 v84, v63
	v_mov_b32_e32 v63, v87
	v_add3_u32 v72, v72, v73, v74
	v_mul_i32_i24_e32 v73, v162, v83
	v_mul_i32_i24_e32 v74, v159, v82
	v_mov_b32_e32 v83, v45
	v_mov_b32_e32 v87, v88
	;; [unrolled: 5-line block ×3, first 2 shown]
	v_add3_u32 v72, v72, v73, v74
	v_mul_i32_i24_e32 v73, v158, v60
	v_mul_i32_i24_e32 v74, v81, v58
	v_dual_mov_b32 v58, v65 :: v_dual_mov_b32 v65, v67
	s_delay_alu instid0(VALU_DEP_4) | instskip(SKIP_3) | instid1(VALU_DEP_4)
	v_add3_u32 v72, v72, v76, v77
	v_mul_i32_i24_e32 v76, v105, v57
	v_mul_i32_i24_e32 v77, v157, v56
	v_mov_b32_e32 v45, v138
	v_add3_u32 v72, v72, v73, v74
	v_mul_i32_i24_e32 v73, v153, v54
	v_mul_i32_i24_e32 v74, v75, v53
	s_delay_alu instid0(VALU_DEP_3) | instskip(SKIP_3) | instid1(VALU_DEP_4)
	v_add3_u32 v72, v72, v76, v77
	v_mul_i32_i24_e32 v76, v126, v34
	v_mul_i32_i24_e32 v77, v4, v22
	v_mov_b32_e32 v22, v93
	v_add3_u32 v72, v72, v73, v74
	v_mul_i32_i24_e32 v73, v0, v11
	v_mul_i32_i24_e32 v74, v1, v10
	s_delay_alu instid0(VALU_DEP_3)
	v_add3_u32 v72, v72, v76, v77
	v_mul_i32_i24_e32 v77, v71, v6
	scratch_load_b32 v6, off, off offset:212 ; 4-byte Folded Reload
	v_mul_i32_i24_e32 v76, v69, v43
	v_mov_b32_e32 v43, v142
	v_add3_u32 v72, v72, v73, v74
	v_mul_i32_i24_e32 v74, v189, v253
	s_delay_alu instid0(VALU_DEP_2) | instskip(NEXT) | instid1(VALU_DEP_1)
	v_add3_u32 v72, v72, v76, v77
	v_mul_lo_u32 v72, v72, v221
	v_mov_b32_e32 v221, v59
	s_delay_alu instid0(VALU_DEP_2) | instskip(NEXT) | instid1(VALU_DEP_1)
	v_cvt_f32_i32_e32 v72, v72
	v_fma_mix_f32 v23, v3, v72, v23 op_sel_hi:[1,0,0]
	s_delay_alu instid0(VALU_DEP_1) | instskip(NEXT) | instid1(VALU_DEP_1)
	v_fma_f32 v23, v23, v141, -v70
	v_add_f32_e32 v68, v68, v23
	s_waitcnt vmcnt(0)
	v_mul_i32_i24_e32 v23, v208, v6
	scratch_load_b32 v6, off, off offset:24 ; 4-byte Folded Reload
	v_mad_i32_i24 v23, v207, v255, v23
	s_waitcnt vmcnt(0)
	v_mul_i32_i24_e32 v70, v209, v6
	scratch_load_b32 v6, off, off offset:216 ; 4-byte Folded Reload
	s_waitcnt vmcnt(0)
	v_mul_i32_i24_e32 v72, v210, v6
	scratch_load_b32 v6, off, off offset:200 ; 4-byte Folded Reload
	v_add3_u32 v23, v23, v70, v72
	v_mul_i32_i24_e32 v70, v190, v104
	v_mul_i32_i24_e32 v72, v187, v249
	s_delay_alu instid0(VALU_DEP_1)
	v_add3_u32 v23, v23, v70, v72
	v_mul_i32_i24_e32 v70, v183, v242
	s_waitcnt vmcnt(0)
	v_mul_i32_i24_e32 v73, v188, v6
	scratch_load_b32 v6, off, off offset:44 ; 4-byte Folded Reload
	v_add3_u32 v23, v23, v73, v74
	s_waitcnt vmcnt(0)
	v_mul_i32_i24_e32 v72, v184, v6
	scratch_load_b32 v6, off, off offset:48 ; 4-byte Folded Reload
	v_add3_u32 v23, v23, v70, v72
	s_waitcnt vmcnt(0)
	v_mul_i32_i24_e32 v73, v185, v6
	scratch_load_b32 v6, off, off offset:56 ; 4-byte Folded Reload
	s_waitcnt vmcnt(0)
	v_mul_i32_i24_e32 v74, v186, v6
	scratch_load_b32 v6, off, off offset:52 ; 4-byte Folded Reload
	v_add3_u32 v23, v23, v73, v74
	s_waitcnt vmcnt(0)
	v_mul_i32_i24_e32 v70, v167, v6
	scratch_load_b32 v6, off, off offset:60 ; 4-byte Folded Reload
	s_waitcnt vmcnt(0)
	v_mul_i32_i24_e32 v72, v180, v6
	scratch_load_b32 v6, off, off offset:64 ; 4-byte Folded Reload
	v_add3_u32 v23, v23, v70, v72
	v_mul_i32_i24_e32 v70, v203, v243
	v_mul_i32_i24_e32 v72, v204, v245
	s_waitcnt vmcnt(0)
	v_mul_i32_i24_e32 v73, v181, v6
	scratch_load_b32 v6, off, off offset:396 ; 4-byte Folded Reload
	s_waitcnt vmcnt(0)
	v_mul_i32_i24_e32 v74, v182, v6
	scratch_load_b32 v6, off, off offset:192 ; 4-byte Folded Reload
	v_add3_u32 v23, v23, v73, v74
	v_mul_i32_i24_e32 v73, v205, v240
	v_mul_i32_i24_e32 v74, v206, v238
	s_delay_alu instid0(VALU_DEP_3) | instskip(SKIP_2) | instid1(VALU_DEP_3)
	v_add3_u32 v23, v23, v70, v72
	v_mul_i32_i24_e32 v70, v199, v241
	v_mul_i32_i24_e32 v72, v200, v247
	v_add3_u32 v23, v23, v73, v74
	s_delay_alu instid0(VALU_DEP_1)
	v_add3_u32 v23, v23, v70, v72
	s_waitcnt vmcnt(0)
	v_mul_i32_i24_e32 v73, v201, v6
	scratch_load_b32 v6, off, off offset:400 ; 4-byte Folded Reload
	s_waitcnt vmcnt(0)
	v_mul_i32_i24_e32 v74, v202, v6
	scratch_load_b32 v6, off, off offset:68 ; 4-byte Folded Reload
	v_add3_u32 v23, v23, v73, v74
	v_mul_i32_i24_e32 v73, v197, v251
	v_mul_i32_i24_e32 v74, v198, v237
	s_waitcnt vmcnt(0)
	v_mul_i32_i24_e32 v70, v195, v6
	scratch_load_b32 v6, off, off offset:72 ; 4-byte Folded Reload
	s_waitcnt vmcnt(0)
	v_mul_i32_i24_e32 v72, v196, v6
	scratch_load_b32 v6, off, off offset:76 ; 4-byte Folded Reload
	v_add3_u32 v23, v23, v70, v72
	s_delay_alu instid0(VALU_DEP_1)
	v_add3_u32 v23, v23, v73, v74
	s_waitcnt vmcnt(0)
	v_mul_i32_i24_e32 v70, v191, v6
	scratch_load_b32 v6, off, off offset:12 ; 4-byte Folded Reload
	s_waitcnt vmcnt(0)
	v_mul_i32_i24_e32 v72, v192, v6
	scratch_load_b32 v6, off, off offset:16 ; 4-byte Folded Reload
	v_add3_u32 v23, v23, v70, v72
	s_waitcnt vmcnt(0)
	v_mul_i32_i24_e32 v73, v193, v6
	scratch_load_b32 v6, off, off offset:80 ; 4-byte Folded Reload
	s_waitcnt vmcnt(0)
	v_mul_i32_i24_e32 v74, v194, v6
	scratch_load_b32 v6, off, off offset:84 ; 4-byte Folded Reload
	v_add3_u32 v23, v23, v73, v74
	v_mul_i32_i24_e32 v74, v179, v234
	s_delay_alu instid0(VALU_DEP_2) | instskip(NEXT) | instid1(VALU_DEP_1)
	v_mul_lo_u32 v23, v23, v239
	v_cvt_f32_i32_e32 v23, v23
	s_delay_alu instid0(VALU_DEP_1) | instskip(SKIP_4) | instid1(VALU_DEP_1)
	v_fma_mix_f32 v23, v2, v23, 0 op_sel_hi:[1,0,0]
	s_waitcnt vmcnt(0)
	v_fma_mix_f32 v70, v6, v2, 0 op_sel:[0,1,0] op_sel_hi:[0,1,0]
	scratch_load_b32 v6, off, off offset:92 ; 4-byte Folded Reload
	v_fma_mix_f32 v70, v17, v3, v70 op_sel:[0,1,0] op_sel_hi:[0,1,0]
	v_mul_f32_e32 v70, v70, v5
	scratch_load_b32 v5, off, off offset:484 ; 4-byte Folded Reload
	s_waitcnt vmcnt(1)
	v_mul_i32_i24_e32 v72, v177, v6
	scratch_load_b32 v6, off, off offset:96 ; 4-byte Folded Reload
	s_waitcnt vmcnt(0)
	v_mul_i32_i24_e32 v73, v178, v6
	scratch_load_b32 v6, off, off offset:88 ; 4-byte Folded Reload
	s_waitcnt vmcnt(0)
	v_mad_i32_i24 v72, v176, v6, v72
	scratch_load_b32 v6, off, off offset:196 ; 4-byte Folded Reload
	v_add3_u32 v72, v72, v73, v74
	v_mul_i32_i24_e32 v73, v175, v35
	v_mul_i32_i24_e32 v74, v172, v235
	s_delay_alu instid0(VALU_DEP_1)
	v_add3_u32 v72, v72, v73, v74
	s_waitcnt vmcnt(0)
	v_mul_i32_i24_e32 v76, v173, v6
	scratch_load_b32 v6, off, off offset:404 ; 4-byte Folded Reload
	s_waitcnt vmcnt(0)
	v_mul_i32_i24_e32 v77, v174, v6
	scratch_load_b32 v6, off, off offset:100 ; 4-byte Folded Reload
	v_add3_u32 v72, v72, v76, v77
	s_waitcnt vmcnt(0)
	v_mul_i32_i24_e32 v73, v171, v6
	scratch_load_b32 v6, off, off offset:104 ; 4-byte Folded Reload
	s_waitcnt vmcnt(0)
	v_mul_i32_i24_e32 v74, v168, v6
	scratch_load_b32 v6, off, off offset:108 ; 4-byte Folded Reload
	;; [unrolled: 7-line block ×13, first 2 shown]
	v_add3_u32 v72, v72, v76, v77
	s_delay_alu instid0(VALU_DEP_1) | instskip(SKIP_2) | instid1(VALU_DEP_1)
	v_mul_lo_u32 v72, v72, v16
	scratch_load_b32 v16, off, off offset:736 ; 4-byte Folded Reload
	v_cvt_f32_i32_e32 v72, v72
	v_fma_mix_f32 v23, v3, v72, v23 op_sel_hi:[1,0,0]
	v_mul_i32_i24_e32 v72, v210, v5
	s_clause 0x1
	scratch_load_b32 v5, off, off offset:204
	scratch_load_b32 v210, off, off offset:1196
	v_fma_f32 v23, v23, v47, -v70
	v_mul_i32_i24_e32 v70, v209, v48
	scratch_load_b32 v209, off, off offset:884 ; 4-byte Folded Reload
	v_add_f32_e32 v128, v128, v23
	v_mul_i32_i24_e32 v23, v208, v233
	scratch_load_b32 v208, off, off offset:880 ; 4-byte Folded Reload
	s_waitcnt vmcnt(3)
	v_mad_i32_i24 v23, v207, v5, v23
	s_clause 0x1
	scratch_load_b32 v5, off, off offset:476
	scratch_load_b32 v207, off, off offset:872
	v_add3_u32 v23, v23, v70, v72
	s_waitcnt vmcnt(1)
	v_mul_i32_i24_e32 v70, v190, v5
	s_clause 0x1
	scratch_load_b32 v5, off, off offset:440
	scratch_load_b32 v190, off, off offset:1204
	s_waitcnt vmcnt(1)
	v_mul_i32_i24_e32 v72, v187, v5
	s_clause 0x1
	scratch_load_b32 v5, off, off offset:444
	scratch_load_b32 v187, off, off offset:888
	v_add3_u32 v23, v23, v70, v72
	v_mul_i32_i24_e32 v70, v183, v223
	v_mul_i32_i24_e32 v72, v184, v16
	s_waitcnt vmcnt(1)
	v_mul_i32_i24_e32 v73, v188, v5
	s_clause 0x1
	scratch_load_b32 v5, off, off offset:456
	scratch_load_b32 v188, off, off offset:892
	s_waitcnt vmcnt(1)
	v_mul_i32_i24_e32 v74, v189, v5
	s_clause 0x1
	scratch_load_b32 v5, off, off offset:424
	scratch_load_b32 v189, off, off offset:1200
	v_add3_u32 v23, v23, v73, v74
	v_mul_i32_i24_e32 v73, v185, v15
	s_delay_alu instid0(VALU_DEP_2)
	v_add3_u32 v23, v23, v70, v72
	v_mul_i32_i24_e32 v70, v167, v18
	v_mul_i32_i24_e32 v72, v180, v211
	s_waitcnt vmcnt(1)
	v_mul_i32_i24_e32 v74, v186, v5
	scratch_load_b32 v5, off, off offset:412 ; 4-byte Folded Reload
	v_add3_u32 v23, v23, v73, v74
	s_delay_alu instid0(VALU_DEP_1)
	v_add3_u32 v23, v23, v70, v72
	s_waitcnt vmcnt(0)
	v_mul_i32_i24_e32 v73, v181, v5
	scratch_load_b32 v5, off, off offset:420 ; 4-byte Folded Reload
	s_waitcnt vmcnt(0)
	v_mul_i32_i24_e32 v74, v182, v5
	scratch_load_b32 v5, off, off offset:416 ; 4-byte Folded Reload
	v_add3_u32 v23, v23, v73, v74
	s_waitcnt vmcnt(0)
	v_mul_i32_i24_e32 v70, v203, v5
	s_clause 0x1
	scratch_load_b32 v5, off, off offset:428
	scratch_load_b32 v203, off, off offset:604
	s_waitcnt vmcnt(1)
	v_mul_i32_i24_e32 v72, v204, v5
	s_clause 0x1
	scratch_load_b32 v5, off, off offset:432
	scratch_load_b32 v204, off, off offset:868
	v_add3_u32 v23, v23, v70, v72
	s_waitcnt vmcnt(1)
	v_mul_i32_i24_e32 v73, v205, v5
	s_clause 0x1
	scratch_load_b32 v5, off, off offset:448
	scratch_load_b32 v205, off, off offset:728
	s_waitcnt vmcnt(1)
	v_mul_i32_i24_e32 v74, v206, v5
	s_clause 0x1
	scratch_load_b32 v5, off, off offset:436
	scratch_load_b32 v206, off, off offset:876
	s_waitcnt vmcnt(2)
	v_mul_i32_i24_e32 v4, v4, v205
	v_add3_u32 v23, v23, v73, v74
	s_waitcnt vmcnt(1)
	v_mul_i32_i24_e32 v70, v199, v5
	s_clause 0x1
	scratch_load_b32 v5, off, off offset:452
	scratch_load_b32 v199, off, off offset:236
	s_waitcnt vmcnt(1)
	v_mul_i32_i24_e32 v72, v200, v5
	s_clause 0x1
	scratch_load_b32 v5, off, off offset:460
	scratch_load_b32 v200, off, off offset:836
	s_waitcnt vmcnt(2)
	v_mul_i32_i24_e32 v1, v1, v199
	v_add3_u32 v23, v23, v70, v72
	v_mul_i32_i24_e32 v70, v195, v236
	v_mul_i32_i24_e32 v72, v196, v213
	scratch_load_b32 v213, off, off offset:896 ; 4-byte Folded Reload
	v_dual_mov_b32 v195, v14 :: v_dual_mov_b32 v196, v80
	s_waitcnt vmcnt(2)
	v_mul_i32_i24_e32 v73, v201, v5
	s_clause 0x1
	scratch_load_b32 v5, off, off offset:464
	scratch_load_b32 v201, off, off offset:232
	s_waitcnt vmcnt(1)
	v_mul_i32_i24_e32 v74, v202, v5
	s_clause 0x1
	scratch_load_b32 v5, off, off offset:408
	scratch_load_b32 v202, off, off offset:724
	v_add3_u32 v23, v23, v73, v74
	v_mul_i32_i24_e32 v73, v197, v217
	v_mul_i32_i24_e32 v74, v198, v20
	scratch_load_b32 v198, off, off offset:832 ; 4-byte Folded Reload
	v_mov_b32_e32 v197, v79
	v_add3_u32 v23, v23, v70, v72
	v_mul_i32_i24_e32 v70, v191, v218
	v_mul_i32_i24_e32 v72, v192, v212
	s_clause 0x1
	scratch_load_b32 v191, off, off offset:1212
	scratch_load_b32 v192, off, off offset:1216
	v_add3_u32 v23, v23, v73, v74
	v_mul_i32_i24_e32 v73, v193, v219
	v_mul_i32_i24_e32 v74, v194, v52
	scratch_load_b32 v193, off, off offset:1208 ; 4-byte Folded Reload
	v_mov_b32_e32 v194, v78
	v_add3_u32 v23, v23, v70, v72
	v_mul_i32_i24_e32 v72, v179, v224
	scratch_store_b32 off, v197, off offset:588 ; 4-byte Folded Spill
	v_mov_b32_e32 v218, v215
	scratch_store_b32 off, v194, off offset:984 ; 4-byte Folded Spill
	v_add3_u32 v23, v23, v73, v74
	v_mul_i32_i24_e32 v74, v174, v231
	s_delay_alu instid0(VALU_DEP_2) | instskip(NEXT) | instid1(VALU_DEP_1)
	v_mul_lo_u32 v23, v23, v50
	v_cvt_f32_i32_e32 v23, v23
	s_delay_alu instid0(VALU_DEP_1) | instskip(SKIP_2) | instid1(VALU_DEP_2)
	v_fma_mix_f32 v167, v2, v23, 0 op_sel_hi:[1,0,0]
	v_mul_i32_i24_e32 v23, v177, v230
	v_fma_mix_f32 v2, v49, v2, 0 op_sel:[0,1,0] op_sel_hi:[0,1,0]
	v_mad_i32_i24 v23, v176, v244, v23
	v_mov_b32_e32 v244, v37
	s_waitcnt vmcnt(5)
	v_mul_i32_i24_e32 v70, v178, v5
	scratch_load_b32 v5, off, off offset:784 ; 4-byte Folded Reload
	v_add3_u32 v23, v23, v70, v72
	v_mul_i32_i24_e32 v70, v175, v123
	s_waitcnt vmcnt(4)
	v_mul_i32_i24_e32 v0, v0, v198
	s_waitcnt vmcnt(0)
	v_mul_i32_i24_e32 v72, v172, v5
	scratch_load_b32 v5, off, off offset:788 ; 4-byte Folded Reload
	v_add3_u32 v23, v23, v70, v72
	v_mul_i32_i24_e32 v70, v171, v213
	v_mul_i32_i24_e32 v72, v168, v7
	s_waitcnt vmcnt(0)
	v_mul_i32_i24_e32 v73, v173, v5
	scratch_load_b32 v5, off, off offset:900 ; 4-byte Folded Reload
	v_add3_u32 v23, v23, v73, v74
	v_mul_i32_i24_e32 v73, v169, v6
	s_delay_alu instid0(VALU_DEP_2) | instskip(SKIP_4) | instid1(VALU_DEP_1)
	v_add3_u32 v23, v23, v70, v72
	v_mul_i32_i24_e32 v70, v166, v193
	v_mul_i32_i24_e32 v72, v163, v190
	s_waitcnt vmcnt(0)
	v_mul_i32_i24_e32 v74, v170, v5
	v_add3_u32 v23, v23, v73, v74
	v_mul_i32_i24_e32 v73, v164, v191
	v_mul_i32_i24_e32 v74, v165, v192
	s_delay_alu instid0(VALU_DEP_3) | instskip(SKIP_2) | instid1(VALU_DEP_3)
	v_add3_u32 v23, v23, v70, v72
	v_mul_i32_i24_e32 v70, v162, v189
	v_mul_i32_i24_e32 v72, v159, v210
	v_add3_u32 v23, v23, v73, v74
	v_mul_i32_i24_e32 v73, v160, v187
	v_mul_i32_i24_e32 v74, v161, v188
	s_delay_alu instid0(VALU_DEP_3) | instskip(SKIP_2) | instid1(VALU_DEP_3)
	v_add3_u32 v23, v23, v70, v72
	v_mul_i32_i24_e32 v70, v158, v206
	;; [unrolled: 7-line block ×3, first 2 shown]
	v_mul_i32_i24_e32 v72, v75, v203
	v_add3_u32 v23, v23, v73, v74
	v_mul_i32_i24_e32 v73, v126, v204
	s_delay_alu instid0(VALU_DEP_2) | instskip(NEXT) | instid1(VALU_DEP_1)
	v_add3_u32 v23, v23, v70, v72
	v_add3_u32 v4, v23, v73, v4
	v_mul_i32_i24_e32 v23, v69, v200
	v_mul_i32_i24_e32 v69, v71, v201
	s_delay_alu instid0(VALU_DEP_3) | instskip(SKIP_1) | instid1(VALU_DEP_2)
	v_add3_u32 v0, v4, v0, v1
	v_fma_mix_f32 v1, v194, v3, v2 op_sel:[0,1,0] op_sel_hi:[0,1,0]
	v_add3_u32 v0, v0, v23, v69
	s_delay_alu instid0(VALU_DEP_2) | instskip(NEXT) | instid1(VALU_DEP_2)
	v_mul_f32_e32 v1, v1, v195
	v_mul_lo_u32 v0, v0, v197
	s_delay_alu instid0(VALU_DEP_1) | instskip(NEXT) | instid1(VALU_DEP_1)
	v_cvt_f32_i32_e32 v0, v0
	v_fma_mix_f32 v0, v3, v0, v167 op_sel_hi:[1,0,0]
	s_delay_alu instid0(VALU_DEP_1) | instskip(NEXT) | instid1(VALU_DEP_1)
	v_fma_f32 v0, v0, v196, -v1
	v_add_f32_e32 v127, v127, v0
	ds_load_b128 v[0:3], v216 offset:2048
	s_clause 0x3
	scratch_store_b32 off, v102, off offset:1092
	scratch_store_b32 off, v68, off offset:1088
	;; [unrolled: 1-line block ×4, first 2 shown]
	v_mov_b32_e32 v68, v44
	s_waitcnt lgkmcnt(0)
	v_bfe_i32 v161, v0, 0, 8
	v_bfe_i32 v156, v0, 8, 8
	v_bfe_i32 v162, v0, 16, 8
	v_ashrrev_i32_e32 v163, 24, v0
	v_bfe_i32 v157, v1, 0, 8
	v_bfe_i32 v158, v1, 8, 8
	v_bfe_i32 v159, v1, 16, 8
	v_ashrrev_i32_e32 v160, 24, v1
	;; [unrolled: 4-line block ×4, first 2 shown]
	ds_load_b128 v[0:3], v216 offset:2064
	v_mul_i32_i24_e32 v180, v161, v51
	s_waitcnt lgkmcnt(0)
	v_bfe_i32 v23, v0, 0, 8
	v_bfe_i32 v70, v0, 8, 8
	;; [unrolled: 1-line block ×3, first 2 shown]
	v_ashrrev_i32_e32 v73, 24, v0
	scratch_load_b32 v0, off, off offset:220 ; 4-byte Folded Reload
	v_bfe_i32 v74, v1, 0, 8
	v_bfe_i32 v76, v1, 8, 8
	v_bfe_i32 v77, v1, 16, 8
	v_ashrrev_i32_e32 v78, 24, v1
	v_bfe_i32 v79, v2, 0, 8
	v_bfe_i32 v80, v2, 8, 8
	v_bfe_i32 v81, v2, 16, 8
	v_ashrrev_i32_e32 v105, 24, v2
	;; [unrolled: 4-line block ×3, first 2 shown]
	s_waitcnt vmcnt(0)
	ds_load_2addr_b64 v[0:3], v0 offset0:32 offset1:48
	ds_load_b128 v[164:167], v216 offset:2080
	s_clause 0x1f
	scratch_load_b32 v147, off, off offset:340
	scratch_load_b32 v33, off, off offset:328
	scratch_load_b32 v56, off, off offset:324
	scratch_load_b32 v55, off, off offset:732
	scratch_load_b32 v47, off, off offset:820
	scratch_load_b32 v95, off, off offset:908
	scratch_load_b32 v127, off, off offset:932
	scratch_load_b32 v128, off, off offset:936
	scratch_load_b32 v139, off, off offset:948
	scratch_load_b32 v14, off, off offset:660
	scratch_load_b32 v49, off, off offset:664
	scratch_load_b32 v85, off, off offset:668
	scratch_load_b32 v86, off, off offset:672
	scratch_load_b32 v48, off, off offset:676
	scratch_load_b32 v57, off, off offset:680
	scratch_load_b32 v60, off, off offset:684
	scratch_load_b32 v142, off, off offset:656
	scratch_load_b32 v148, off, off offset:652
	scratch_load_b32 v224, off, off offset:648
	scratch_load_b32 v8, off, off offset:272
	scratch_load_b32 v11, off, off offset:276
	scratch_load_b32 v17, off, off offset:280
	scratch_load_b32 v10, off, off offset:288
	scratch_load_b32 v35, off, off offset:292
	scratch_load_b32 v50, off, off offset:296
	scratch_load_b32 v52, off, off offset:300
	scratch_load_b32 v9, off, off offset:284
	scratch_load_b32 v53, off, off offset:304
	scratch_load_b32 v54, off, off offset:308
	scratch_load_b32 v28, off, off offset:312
	scratch_load_b32 v30, off, off offset:316
	scratch_load_b32 v31, off, off offset:320
	s_clause 0xf
	scratch_load_b32 v101, off, off offset:608
	scratch_load_b32 v82, off, off offset:596
	;; [unrolled: 1-line block ×16, first 2 shown]
	s_waitcnt lgkmcnt(0)
	v_bfe_i32 v110, v164, 0, 8
	v_bfe_i32 v111, v164, 8, 8
	v_bfe_i32 v112, v164, 16, 8
	v_ashrrev_i32_e32 v113, 24, v164
	v_bfe_i32 v114, v165, 0, 8
	v_bfe_i32 v115, v165, 8, 8
	v_bfe_i32 v116, v165, 16, 8
	v_ashrrev_i32_e32 v117, 24, v165
	;; [unrolled: 4-line block ×4, first 2 shown]
	ds_load_b128 v[164:167], v216 offset:2096
	v_mul_i32_i24_e32 v185, v116, v58
	s_clause 0x4
	scratch_load_b32 v229, off, off offset:568
	scratch_load_b32 v140, off, off offset:564
	;; [unrolled: 1-line block ×5, first 2 shown]
	v_mov_b32_e32 v93, v98
	s_clause 0x5
	scratch_load_b32 v98, off, off offset:920
	scratch_load_b32 v100, off, off offset:928
	;; [unrolled: 1-line block ×6, first 2 shown]
	s_clause 0x5
	scratch_store_b32 off, v87, off offset:792
	scratch_store_b32 off, v226, off offset:808
	;; [unrolled: 1-line block ×6, first 2 shown]
	s_waitcnt lgkmcnt(0)
	v_bfe_i32 v168, v164, 0, 8
	v_bfe_i32 v169, v164, 8, 8
	v_bfe_i32 v170, v164, 16, 8
	v_ashrrev_i32_e32 v164, 24, v164
	v_bfe_i32 v171, v165, 0, 8
	v_bfe_i32 v172, v165, 8, 8
	v_bfe_i32 v173, v165, 16, 8
	v_ashrrev_i32_e32 v165, 24, v165
	;; [unrolled: 4-line block ×4, first 2 shown]
	scratch_store_b32 off, v22, off offset:1028 ; 4-byte Folded Spill
	s_waitcnt vmcnt(58)
	v_mul_i32_i24_e32 v181, v162, v147
	s_waitcnt vmcnt(57)
	v_mul_i32_i24_e32 v184, v160, v33
	;; [unrolled: 2-line block ×3, first 2 shown]
	s_waitcnt vmcnt(49)
	v_mad_i32_i24 v180, v156, v14, v180
	s_delay_alu instid0(VALU_DEP_1)
	v_add3_u32 v180, v180, v181, v182
	v_mul_i32_i24_e32 v181, v157, v13
	s_waitcnt vmcnt(42)
	v_mul_i32_i24_e32 v182, v158, v142
	s_waitcnt vmcnt(41)
	v_mul_i32_i24_e32 v183, v159, v148
	v_mul_i32_i24_e32 v186, v117, v60
	s_delay_alu instid0(VALU_DEP_3)
	v_add3_u32 v180, v180, v181, v182
	s_waitcnt vmcnt(39)
	v_mul_i32_i24_e32 v181, v126, v8
	s_waitcnt vmcnt(38)
	v_mul_i32_i24_e32 v182, v153, v11
	v_add3_u32 v180, v180, v183, v184
	s_waitcnt vmcnt(37)
	v_mul_i32_i24_e32 v183, v154, v17
	s_waitcnt vmcnt(36)
	v_mul_i32_i24_e32 v184, v155, v10
	v_add3_u32 v180, v180, v181, v182
	s_waitcnt vmcnt(32)
	v_mul_i32_i24_e32 v181, v4, v9
	v_mul_i32_i24_e32 v182, v69, v35
	s_delay_alu instid0(VALU_DEP_3) | instskip(SKIP_2) | instid1(VALU_DEP_3)
	v_add3_u32 v180, v180, v183, v184
	v_mul_i32_i24_e32 v183, v71, v50
	v_mul_i32_i24_e32 v184, v75, v52
	v_add3_u32 v180, v180, v181, v182
	s_waitcnt vmcnt(31)
	v_mul_i32_i24_e32 v181, v23, v53
	s_waitcnt vmcnt(30)
	v_mul_i32_i24_e32 v182, v70, v54
	v_add3_u32 v180, v180, v183, v184
	s_waitcnt vmcnt(29)
	v_mul_i32_i24_e32 v183, v72, v28
	s_waitcnt vmcnt(27)
	v_mul_i32_i24_e32 v184, v73, v31
	v_add3_u32 v180, v180, v181, v182
	v_mul_i32_i24_e32 v181, v74, v30
	v_mul_i32_i24_e32 v182, v76, v56
	s_delay_alu instid0(VALU_DEP_3)
	v_add3_u32 v180, v180, v183, v184
	s_waitcnt vmcnt(26)
	v_mul_i32_i24_e32 v183, v77, v101
	s_waitcnt vmcnt(24)
	v_mul_i32_i24_e32 v184, v78, v102
	v_add3_u32 v180, v180, v181, v182
	s_waitcnt vmcnt(23)
	v_mul_i32_i24_e32 v181, v79, v104
	s_waitcnt vmcnt(22)
	v_mul_i32_i24_e32 v182, v80, v212
	;; [unrolled: 5-line block ×3, first 2 shown]
	v_add3_u32 v180, v180, v181, v182
	v_mul_i32_i24_e32 v181, v106, v218
	v_mul_i32_i24_e32 v182, v107, v220
	s_delay_alu instid0(VALU_DEP_3) | instskip(SKIP_2) | instid1(VALU_DEP_3)
	v_add3_u32 v180, v180, v183, v184
	v_mul_i32_i24_e32 v183, v108, v221
	v_mul_i32_i24_e32 v184, v109, v222
	v_add3_u32 v180, v180, v181, v182
	v_mul_i32_i24_e32 v182, v110, v49
	v_fma_mix_f32 v181, v224, v0, 0 op_sel:[0,1,0] op_sel_hi:[0,1,0]
	s_delay_alu instid0(VALU_DEP_3)
	v_add3_u32 v180, v180, v183, v184
	v_mul_i32_i24_e32 v183, v112, v85
	v_mul_i32_i24_e32 v184, v113, v86
	v_mad_i32_i24 v182, v111, v48, v182
	s_waitcnt vmcnt(14)
	v_fma_mix_f32 v181, v18, v1, v181 op_sel:[0,1,0] op_sel_hi:[0,1,0]
	v_mul_lo_u32 v180, v180, v223
	s_delay_alu instid0(VALU_DEP_3) | instskip(SKIP_4) | instid1(VALU_DEP_3)
	v_add3_u32 v182, v182, v183, v184
	v_mul_i32_i24_e32 v183, v114, v29
	v_mul_i32_i24_e32 v184, v115, v57
	v_mul_f32_e32 v181, v181, v24
	v_cvt_f32_i32_e32 v180, v180
	v_add3_u32 v182, v182, v183, v184
	v_mul_i32_i24_e32 v183, v118, v61
	v_mul_i32_i24_e32 v184, v119, v65
	s_delay_alu instid0(VALU_DEP_4) | instskip(NEXT) | instid1(VALU_DEP_4)
	v_fma_mix_f32 v180, v0, v180, 0 op_sel_hi:[1,0,0]
	v_add3_u32 v182, v182, v185, v186
	v_mul_i32_i24_e32 v185, v120, v149
	v_mul_i32_i24_e32 v186, v121, v150
	s_delay_alu instid0(VALU_DEP_3) | instskip(SKIP_2) | instid1(VALU_DEP_3)
	v_add3_u32 v182, v182, v183, v184
	v_mul_i32_i24_e32 v183, v122, v66
	v_mul_i32_i24_e32 v184, v123, v67
	v_add3_u32 v182, v182, v185, v186
	v_mul_i32_i24_e32 v185, v124, v151
	v_mul_i32_i24_e32 v186, v125, v152
	s_delay_alu instid0(VALU_DEP_3) | instskip(SKIP_2) | instid1(VALU_DEP_3)
	v_add3_u32 v182, v182, v183, v184
	v_mul_i32_i24_e32 v183, v168, v244
	v_mul_i32_i24_e32 v184, v169, v246
	;; [unrolled: 7-line block ×5, first 2 shown]
	v_add3_u32 v182, v182, v185, v186
	v_mul_i32_i24_e32 v185, v179, v135
	v_mul_i32_i24_e32 v186, v167, v136
	s_delay_alu instid0(VALU_DEP_3)
	v_add3_u32 v182, v182, v183, v184
	v_mul_i32_i24_e32 v183, v159, v25
	scratch_load_b32 v25, off, off offset:224 ; 4-byte Folded Reload
	s_waitcnt vmcnt(14)
	v_mul_i32_i24_e32 v184, v160, v34
	v_add3_u32 v182, v182, v185, v186
	v_mul_i32_i24_e32 v186, v117, v22
	s_delay_alu instid0(VALU_DEP_2) | instskip(NEXT) | instid1(VALU_DEP_1)
	v_mul_lo_u32 v182, v182, v19
	v_cvt_f32_i32_e32 v182, v182
	s_delay_alu instid0(VALU_DEP_1)
	v_fma_mix_f32 v180, v1, v182, v180 op_sel_hi:[1,0,0]
	v_mul_i32_i24_e32 v182, v163, v89
	v_mov_b32_e32 v89, v96
	scratch_load_b32 v96, off, off offset:912 ; 4-byte Folded Reload
	v_fma_f32 v180, v180, v12, -v181
	v_mul_i32_i24_e32 v181, v162, v228
	v_mov_b32_e32 v228, v129
	scratch_load_b32 v129, off, off offset:968 ; 4-byte Folded Reload
	v_add_f32_e32 v36, v36, v180
	v_mul_i32_i24_e32 v180, v161, v91
	v_dual_mov_b32 v91, v38 :: v_dual_mov_b32 v38, v41
	v_mov_b32_e32 v41, v97
	scratch_load_b32 v97, off, off offset:916 ; 4-byte Folded Reload
	v_mad_i32_i24 v180, v156, v21, v180
	scratch_store_b32 off, v36, off offset:1108 ; 4-byte Folded Spill
	v_mov_b32_e32 v36, v42
	v_mov_b32_e32 v42, v137
	scratch_load_b32 v137, off, off offset:940 ; 4-byte Folded Reload
	v_add3_u32 v180, v180, v181, v182
	v_mul_i32_i24_e32 v181, v157, v32
	scratch_load_b32 v32, off, off offset:580 ; 4-byte Folded Reload
	v_mul_i32_i24_e32 v182, v158, v46
	s_clause 0x1
	scratch_load_b32 v46, off, off offset:824
	scratch_load_b32 v21, off, off offset:976
	v_mul_i32_i24_e32 v185, v116, v228
	s_clause 0x1
	scratch_store_b32 off, v41, off offset:536
	scratch_store_b32 off, v228, off offset:540
	v_add3_u32 v180, v180, v181, v182
	v_mul_i32_i24_e32 v181, v126, v26
	v_mov_b32_e32 v26, v39
	v_mov_b32_e32 v39, v99
	scratch_load_b32 v99, off, off offset:924 ; 4-byte Folded Reload
	v_add3_u32 v180, v180, v183, v184
	v_mul_i32_i24_e32 v183, v154, v27
	s_waitcnt vmcnt(21)
	v_mul_i32_i24_e32 v184, v155, v231
	v_dual_mov_b32 v27, v40 :: v_dual_mov_b32 v40, v145
	scratch_load_b32 v145, off, off offset:960 ; 4-byte Folded Reload
	s_clause 0x1
	scratch_store_b32 off, v39, off offset:1020
	scratch_store_b32 off, v40, off offset:1024
	s_waitcnt vmcnt(9)
	v_mul_i32_i24_e32 v182, v153, v25
	s_delay_alu instid0(VALU_DEP_1) | instskip(SKIP_2) | instid1(VALU_DEP_3)
	v_add3_u32 v180, v180, v181, v182
	v_mul_i32_i24_e32 v181, v4, v140
	v_mul_i32_i24_e32 v182, v69, v229
	v_add3_u32 v180, v180, v183, v184
	v_mul_i32_i24_e32 v183, v71, v232
	s_delay_alu instid0(VALU_DEP_2) | instskip(SKIP_4) | instid1(VALU_DEP_1)
	v_add3_u32 v180, v180, v181, v182
	v_mul_i32_i24_e32 v181, v23, v37
	v_mul_i32_i24_e32 v182, v70, v44
	s_waitcnt vmcnt(4)
	v_mul_i32_i24_e32 v184, v75, v32
	v_add3_u32 v180, v180, v183, v184
	v_mul_i32_i24_e32 v184, v73, v62
	scratch_load_b32 v62, off, off offset:592 ; 4-byte Folded Reload
	s_waitcnt vmcnt(4)
	v_mul_i32_i24_e32 v183, v72, v46
	v_add3_u32 v180, v180, v181, v182
	v_mul_i32_i24_e32 v181, v74, v47
	v_mul_i32_i24_e32 v182, v76, v59
	s_delay_alu instid0(VALU_DEP_3) | instskip(SKIP_1) | instid1(VALU_DEP_2)
	v_add3_u32 v180, v180, v183, v184
	v_mul_i32_i24_e32 v184, v78, v82
	v_add3_u32 v180, v180, v181, v182
	v_mul_i32_i24_e32 v181, v79, v92
	v_mov_b32_e32 v92, v103
	v_mov_b32_e32 v103, v143
	scratch_load_b32 v143, off, off offset:952 ; 4-byte Folded Reload
	v_mul_i32_i24_e32 v182, v80, v83
	s_clause 0x1
	scratch_store_b32 off, v42, off offset:544
	scratch_store_b32 off, v103, off offset:548
	s_waitcnt vmcnt(1)
	v_mul_i32_i24_e32 v183, v77, v62
	s_delay_alu instid0(VALU_DEP_1) | instskip(SKIP_2) | instid1(VALU_DEP_3)
	v_add3_u32 v180, v180, v183, v184
	v_mul_i32_i24_e32 v183, v81, v84
	v_mul_i32_i24_e32 v184, v105, v91
	v_add3_u32 v180, v180, v181, v182
	v_mul_i32_i24_e32 v181, v106, v36
	v_mul_i32_i24_e32 v182, v107, v26
	s_delay_alu instid0(VALU_DEP_3) | instskip(SKIP_2) | instid1(VALU_DEP_3)
	v_add3_u32 v180, v180, v183, v184
	v_mul_i32_i24_e32 v183, v108, v27
	v_mul_i32_i24_e32 v184, v109, v38
	v_add3_u32 v180, v180, v181, v182
	v_mul_i32_i24_e32 v182, v110, v39
	v_fma_mix_f32 v181, v225, v0, 0 op_sel:[0,1,0] op_sel_hi:[0,1,0]
	s_delay_alu instid0(VALU_DEP_3)
	v_add3_u32 v180, v180, v183, v184
	v_mul_i32_i24_e32 v183, v112, v40
	v_mul_i32_i24_e32 v184, v113, v41
	v_mad_i32_i24 v182, v111, v226, v182
	v_fma_mix_f32 v181, v21, v1, v181 op_sel:[0,1,0] op_sel_hi:[0,1,0]
	v_mul_lo_u32 v180, v180, v92
	s_delay_alu instid0(VALU_DEP_3) | instskip(SKIP_4) | instid1(VALU_DEP_3)
	v_add3_u32 v182, v182, v183, v184
	v_mul_i32_i24_e32 v183, v114, v89
	v_mul_i32_i24_e32 v184, v115, v227
	v_mul_f32_e32 v181, v181, v43
	v_cvt_f32_i32_e32 v180, v180
	v_add3_u32 v182, v182, v183, v184
	v_mul_i32_i24_e32 v183, v118, v42
	v_mul_i32_i24_e32 v184, v119, v103
	s_delay_alu instid0(VALU_DEP_4) | instskip(NEXT) | instid1(VALU_DEP_4)
	v_fma_mix_f32 v180, v0, v180, 0 op_sel_hi:[1,0,0]
	v_add3_u32 v182, v182, v185, v186
	v_mul_i32_i24_e32 v185, v120, v45
	v_mul_i32_i24_e32 v186, v121, v63
	s_delay_alu instid0(VALU_DEP_3) | instskip(SKIP_2) | instid1(VALU_DEP_3)
	v_add3_u32 v182, v182, v183, v184
	v_mul_i32_i24_e32 v183, v122, v87
	v_mul_i32_i24_e32 v184, v123, v88
	v_add3_u32 v182, v182, v185, v186
	v_mul_i32_i24_e32 v185, v124, v93
	v_mul_i32_i24_e32 v186, v125, v94
	s_delay_alu instid0(VALU_DEP_3) | instskip(SKIP_2) | instid1(VALU_DEP_3)
	v_add3_u32 v182, v182, v183, v184
	v_mul_i32_i24_e32 v183, v168, v95
	v_mul_i32_i24_e32 v184, v169, v96
	;; [unrolled: 7-line block ×4, first 2 shown]
	v_add3_u32 v182, v182, v185, v186
	v_mul_i32_i24_e32 v185, v176, v139
	s_waitcnt vmcnt(0)
	v_mul_i32_i24_e32 v186, v166, v143
	s_delay_alu instid0(VALU_DEP_3) | instskip(SKIP_2) | instid1(VALU_DEP_3)
	v_add3_u32 v182, v182, v183, v184
	v_mul_i32_i24_e32 v183, v177, v144
	v_mul_i32_i24_e32 v184, v178, v145
	v_add3_u32 v182, v182, v185, v186
	v_mul_i32_i24_e32 v185, v179, v214
	v_mul_i32_i24_e32 v186, v167, v129
	s_delay_alu instid0(VALU_DEP_3)
	v_add3_u32 v182, v182, v183, v184
	scratch_load_b32 v183, off, off offset:200 ; 4-byte Folded Reload
	v_mul_i32_i24_e32 v184, v160, v253
	v_add3_u32 v182, v182, v185, v186
	s_clause 0x1
	scratch_load_b32 v185, off, off offset:88
	scratch_load_b32 v186, off, off offset:404
	v_mul_lo_u32 v182, v182, v215
	s_delay_alu instid0(VALU_DEP_1) | instskip(NEXT) | instid1(VALU_DEP_1)
	v_cvt_f32_i32_e32 v182, v182
	v_fma_mix_f32 v180, v1, v182, v180 op_sel_hi:[1,0,0]
	scratch_load_b32 v182, off, off offset:216 ; 4-byte Folded Reload
	v_fma_f32 v180, v180, v141, -v181
	scratch_load_b32 v181, off, off offset:1104 ; 4-byte Folded Reload
	s_waitcnt vmcnt(4)
	v_mul_i32_i24_e32 v183, v159, v183
	s_waitcnt vmcnt(2)
	v_mul_i32_i24_e32 v186, v117, v186
	;; [unrolled: 2-line block ×3, first 2 shown]
	s_waitcnt vmcnt(0)
	v_add_f32_e32 v181, v181, v180
	scratch_load_b32 v180, off, off offset:212 ; 4-byte Folded Reload
	scratch_store_b32 off, v181, off offset:1104 ; 4-byte Folded Spill
	scratch_load_b32 v181, off, off offset:24 ; 4-byte Folded Reload
	s_waitcnt vmcnt(1)
	v_mul_i32_i24_e32 v180, v161, v180
	v_mul_i32_i24_e32 v161, v161, v233
	v_mov_b32_e32 v233, v200
	s_waitcnt vmcnt(0)
	v_mul_i32_i24_e32 v181, v162, v181
	v_mad_i32_i24 v180, v156, v255, v180
	s_delay_alu instid0(VALU_DEP_1) | instskip(SKIP_4) | instid1(VALU_DEP_1)
	v_add3_u32 v180, v180, v181, v182
	scratch_load_b32 v181, off, off offset:4 ; 4-byte Folded Reload
	v_mul_i32_i24_e32 v182, v158, v249
	s_waitcnt vmcnt(0)
	v_mul_i32_i24_e32 v181, v157, v181
	v_add3_u32 v180, v180, v181, v182
	scratch_load_b32 v182, off, off offset:44 ; 4-byte Folded Reload
	v_mul_i32_i24_e32 v181, v126, v242
	v_add3_u32 v180, v180, v183, v184
	s_clause 0x1
	scratch_load_b32 v183, off, off offset:48
	scratch_load_b32 v184, off, off offset:56
	s_waitcnt vmcnt(2)
	v_mul_i32_i24_e32 v182, v153, v182
	v_mul_i32_i24_e32 v153, v153, v16
	v_mov_b32_e32 v16, v61
	s_waitcnt vmcnt(1)
	v_mul_i32_i24_e32 v183, v154, v183
	s_waitcnt vmcnt(0)
	v_mul_i32_i24_e32 v184, v155, v184
	v_add3_u32 v180, v180, v181, v182
	s_clause 0x1
	scratch_load_b32 v181, off, off offset:52
	scratch_load_b32 v182, off, off offset:60
	v_mul_i32_i24_e32 v154, v154, v15
	scratch_load_b32 v15, off, off offset:424 ; 4-byte Folded Reload
	v_add3_u32 v180, v180, v183, v184
	s_clause 0x1
	scratch_load_b32 v183, off, off offset:64
	scratch_load_b32 v184, off, off offset:396
	s_waitcnt vmcnt(4)
	v_mul_i32_i24_e32 v181, v4, v181
	s_waitcnt vmcnt(3)
	v_mul_i32_i24_e32 v182, v69, v182
	v_mul_i32_i24_e32 v69, v69, v211
	s_waitcnt vmcnt(2)
	v_mul_i32_i24_e32 v155, v155, v15
	scratch_load_b32 v15, off, off offset:412 ; 4-byte Folded Reload
	s_waitcnt vmcnt(2)
	v_mul_i32_i24_e32 v183, v71, v183
	s_waitcnt vmcnt(1)
	v_mul_i32_i24_e32 v184, v75, v184
	v_add3_u32 v180, v180, v181, v182
	v_mul_i32_i24_e32 v181, v23, v243
	v_mul_i32_i24_e32 v182, v70, v245
	v_mov_b32_e32 v245, v251
	v_mov_b32_e32 v243, v20
	v_add3_u32 v180, v180, v183, v184
	v_mul_i32_i24_e32 v183, v72, v240
	v_mul_i32_i24_e32 v184, v73, v238
	v_mov_b32_e32 v240, v14
	v_mov_b32_e32 v238, v55
	;; [unrolled: 5-line block ×3, first 2 shown]
	v_add3_u32 v180, v180, v183, v184
	s_clause 0x1
	scratch_load_b32 v183, off, off offset:192
	scratch_load_b32 v184, off, off offset:400
	v_add3_u32 v180, v180, v181, v182
	s_clause 0x1
	scratch_load_b32 v181, off, off offset:68
	scratch_load_b32 v182, off, off offset:72
	s_waitcnt vmcnt(4)
	v_mul_i32_i24_e32 v71, v71, v15
	scratch_load_b32 v15, off, off offset:420 ; 4-byte Folded Reload
	s_waitcnt vmcnt(4)
	v_mul_i32_i24_e32 v183, v77, v183
	s_waitcnt vmcnt(3)
	v_mul_i32_i24_e32 v184, v78, v184
	;; [unrolled: 2-line block ×3, first 2 shown]
	s_delay_alu instid0(VALU_DEP_2)
	v_add3_u32 v180, v180, v183, v184
	s_waitcnt vmcnt(1)
	v_mul_i32_i24_e32 v182, v80, v182
	v_mul_i32_i24_e32 v183, v81, v251
	v_mul_i32_i24_e32 v184, v105, v237
	v_mov_b32_e32 v237, v90
	v_mov_b32_e32 v251, v204
	v_add3_u32 v180, v180, v181, v182
	s_clause 0x1
	scratch_load_b32 v181, off, off offset:76
	scratch_load_b32 v182, off, off offset:12
	v_add3_u32 v180, v180, v183, v184
	s_clause 0x1
	scratch_load_b32 v183, off, off offset:16
	scratch_load_b32 v184, off, off offset:80
	s_waitcnt vmcnt(4)
	v_mul_i32_i24_e32 v75, v75, v15
	scratch_load_b32 v15, off, off offset:416 ; 4-byte Folded Reload
	s_waitcnt vmcnt(4)
	v_mul_i32_i24_e32 v181, v106, v181
	s_waitcnt vmcnt(3)
	v_mul_i32_i24_e32 v182, v107, v182
	;; [unrolled: 2-line block ×4, first 2 shown]
	v_add3_u32 v180, v180, v181, v182
	s_clause 0x1
	scratch_load_b32 v181, off, off offset:84
	scratch_load_b32 v182, off, off offset:92
	v_add3_u32 v180, v180, v183, v184
	scratch_load_b32 v183, off, off offset:96 ; 4-byte Folded Reload
	v_mul_i32_i24_e32 v184, v113, v234
	v_mul_lo_u32 v180, v180, v239
	scratch_load_b32 v239, off, off offset:28 ; 4-byte Folded Reload
	v_cvt_f32_i32_e32 v180, v180
	s_delay_alu instid0(VALU_DEP_1)
	v_fma_mix_f32 v180, v0, v180, 0 op_sel_hi:[1,0,0]
	s_waitcnt vmcnt(4)
	v_mul_i32_i24_e32 v23, v23, v15
	scratch_load_b32 v15, off, off offset:428 ; 4-byte Folded Reload
	s_waitcnt vmcnt(4)
	v_fma_mix_f32 v181, v181, v0, 0 op_sel:[0,1,0] op_sel_hi:[0,1,0]
	s_waitcnt vmcnt(3)
	v_mul_i32_i24_e32 v182, v110, v182
	s_waitcnt vmcnt(2)
	v_mul_i32_i24_e32 v183, v112, v183
	s_delay_alu instid0(VALU_DEP_2)
	v_mad_i32_i24 v182, v111, v185, v182
	scratch_load_b32 v185, off, off offset:196 ; 4-byte Folded Reload
	v_add3_u32 v182, v182, v183, v184
	s_waitcnt vmcnt(2)
	v_mul_i32_i24_e32 v183, v114, v239
	v_mul_i32_i24_e32 v184, v115, v235
	scratch_load_b32 v235, off, off offset:988 ; 4-byte Folded Reload
	v_add3_u32 v182, v182, v183, v184
	s_clause 0x1
	scratch_load_b32 v183, off, off offset:100
	scratch_load_b32 v184, off, off offset:104
	s_waitcnt vmcnt(3)
	v_mul_i32_i24_e32 v185, v116, v185
	s_delay_alu instid0(VALU_DEP_1)
	v_add3_u32 v182, v182, v185, v186
	s_clause 0x1
	scratch_load_b32 v185, off, off offset:108
	scratch_load_b32 v186, off, off offset:112
	s_waitcnt vmcnt(4)
	v_mul_i32_i24_e32 v4, v4, v235
	s_waitcnt vmcnt(3)
	v_mul_i32_i24_e32 v183, v118, v183
	;; [unrolled: 2-line block ×3, first 2 shown]
	s_delay_alu instid0(VALU_DEP_1)
	v_add3_u32 v182, v182, v183, v184
	s_clause 0x1
	scratch_load_b32 v183, off, off offset:116
	scratch_load_b32 v184, off, off offset:120
	s_waitcnt vmcnt(3)
	v_mul_i32_i24_e32 v185, v120, v185
	s_waitcnt vmcnt(2)
	v_mul_i32_i24_e32 v186, v121, v186
	s_delay_alu instid0(VALU_DEP_1)
	v_add3_u32 v182, v182, v185, v186
	s_clause 0x1
	scratch_load_b32 v185, off, off offset:124
	scratch_load_b32 v186, off, off offset:128
	s_waitcnt vmcnt(3)
	v_mul_i32_i24_e32 v183, v122, v183
	s_waitcnt vmcnt(2)
	v_mul_i32_i24_e32 v184, v123, v184
	;; [unrolled: 9-line block ×10, first 2 shown]
	s_delay_alu instid0(VALU_DEP_1)
	v_add3_u32 v182, v182, v183, v184
	scratch_load_b32 v183, off, off offset:8 ; 4-byte Folded Reload
	s_waitcnt vmcnt(2)
	v_mul_i32_i24_e32 v185, v179, v185
	s_waitcnt vmcnt(1)
	v_mul_i32_i24_e32 v186, v167, v186
	s_delay_alu instid0(VALU_DEP_1) | instskip(SKIP_1) | instid1(VALU_DEP_1)
	v_add3_u32 v182, v182, v185, v186
	s_waitcnt vmcnt(0)
	v_mul_lo_u32 v182, v182, v183
	s_delay_alu instid0(VALU_DEP_1) | instskip(NEXT) | instid1(VALU_DEP_1)
	v_cvt_f32_i32_e32 v182, v182
	v_fma_mix_f32 v180, v1, v182, v180 op_sel_hi:[1,0,0]
	scratch_load_b32 v182, off, off offset:40 ; 4-byte Folded Reload
	s_waitcnt vmcnt(0)
	v_fma_mix_f32 v181, v182, v1, v181 op_sel:[0,1,0] op_sel_hi:[0,1,0]
	s_delay_alu instid0(VALU_DEP_1)
	v_mul_f32_e32 v181, v181, v90
	scratch_load_b32 v90, off, off offset:1064 ; 4-byte Folded Reload
	s_waitcnt vmcnt(0)
	v_fma_f32 v180, v180, v90, -v181
	scratch_load_b32 v181, off, off offset:1100 ; 4-byte Folded Reload
	s_waitcnt vmcnt(0)
	v_add_f32_e32 v181, v181, v180
	scratch_load_b32 v180, off, off offset:228 ; 4-byte Folded Reload
	scratch_store_b32 off, v181, off offset:1100 ; 4-byte Folded Spill
	s_waitcnt vmcnt(0)
	v_mul_i32_i24_e32 v162, v162, v180
	scratch_load_b32 v180, off, off offset:484 ; 4-byte Folded Reload
	s_waitcnt vmcnt(0)
	v_mul_i32_i24_e32 v163, v163, v180
	scratch_load_b32 v180, off, off offset:204 ; 4-byte Folded Reload
	s_waitcnt vmcnt(0)
	v_mad_i32_i24 v156, v156, v180, v161
	scratch_load_b32 v161, off, off offset:476 ; 4-byte Folded Reload
	v_add3_u32 v156, v156, v162, v163
	s_waitcnt vmcnt(0)
	v_mul_i32_i24_e32 v157, v157, v161
	scratch_load_b32 v161, off, off offset:440 ; 4-byte Folded Reload
	s_waitcnt vmcnt(0)
	v_mul_i32_i24_e32 v158, v158, v161
	scratch_load_b32 v161, off, off offset:444 ; 4-byte Folded Reload
	v_add3_u32 v156, v156, v157, v158
	scratch_load_b32 v157, off, off offset:584 ; 4-byte Folded Reload
	s_waitcnt vmcnt(1)
	v_mul_i32_i24_e32 v159, v159, v161
	scratch_load_b32 v161, off, off offset:456 ; 4-byte Folded Reload
	s_waitcnt vmcnt(1)
	v_mul_i32_i24_e32 v126, v126, v157
	s_waitcnt vmcnt(0)
	v_mul_i32_i24_e32 v160, v160, v161
	s_delay_alu instid0(VALU_DEP_1) | instskip(NEXT) | instid1(VALU_DEP_1)
	v_add3_u32 v156, v156, v159, v160
	v_add3_u32 v126, v156, v126, v153
	s_delay_alu instid0(VALU_DEP_1)
	v_add3_u32 v126, v126, v154, v155
	ds_load_b128 v[153:156], v216 offset:3072
	v_add3_u32 v4, v126, v4, v69
	v_mul_i32_i24_e32 v69, v70, v15
	scratch_load_b32 v15, off, off offset:432 ; 4-byte Folded Reload
	v_add3_u32 v4, v4, v71, v75
	s_delay_alu instid0(VALU_DEP_1)
	v_add3_u32 v4, v4, v23, v69
	s_waitcnt lgkmcnt(0)
	v_bfe_i32 v183, v155, 0, 8
	v_bfe_i32 v184, v155, 8, 8
	;; [unrolled: 1-line block ×3, first 2 shown]
	v_ashrrev_i32_e32 v186, 24, v155
	v_bfe_i32 v163, v156, 0, 8
	v_bfe_i32 v180, v156, 8, 8
	;; [unrolled: 1-line block ×3, first 2 shown]
	v_ashrrev_i32_e32 v182, 24, v156
	s_waitcnt vmcnt(0)
	v_mul_i32_i24_e32 v70, v72, v15
	scratch_load_b32 v15, off, off offset:448 ; 4-byte Folded Reload
	s_waitcnt vmcnt(0)
	v_mul_i32_i24_e32 v71, v73, v15
	scratch_load_b32 v15, off, off offset:436 ; 4-byte Folded Reload
	v_add3_u32 v4, v4, v70, v71
	s_waitcnt vmcnt(0)
	v_mul_i32_i24_e32 v23, v74, v15
	scratch_load_b32 v15, off, off offset:452 ; 4-byte Folded Reload
	s_waitcnt vmcnt(0)
	v_mul_i32_i24_e32 v69, v76, v15
	scratch_load_b32 v15, off, off offset:460 ; 4-byte Folded Reload
	v_add3_u32 v4, v4, v23, v69
	v_mul_i32_i24_e32 v23, v79, v236
	scratch_load_b32 v79, off, off offset:992 ; 4-byte Folded Reload
	s_waitcnt vmcnt(1)
	v_mul_i32_i24_e32 v70, v77, v15
	scratch_load_b32 v15, off, off offset:464 ; 4-byte Folded Reload
	s_waitcnt vmcnt(1)
	;; [unrolled: 3-line block ×3, first 2 shown]
	v_mul_i32_i24_e32 v71, v78, v15
	s_clause 0x1
	scratch_load_b32 v15, off, off offset:408
	scratch_load_b32 v78, off, off offset:784
	v_add3_u32 v4, v4, v70, v71
	s_waitcnt vmcnt(2)
	v_mul_i32_i24_e32 v70, v81, v80
	v_mul_i32_i24_e32 v71, v105, v20
	s_clause 0x1
	scratch_load_b32 v81, off, off offset:532
	scratch_load_b32 v105, off, off offset:1000
	v_add3_u32 v4, v4, v23, v69
	v_mov_b32_e32 v20, v198
	s_delay_alu instid0(VALU_DEP_2)
	v_add3_u32 v4, v4, v70, v71
	s_waitcnt vmcnt(1)
	v_mul_i32_i24_e32 v23, v106, v81
	s_waitcnt vmcnt(0)
	v_mul_i32_i24_e32 v69, v107, v105
	s_clause 0x1
	scratch_load_b32 v106, off, off offset:1004
	scratch_load_b32 v107, off, off offset:1008
	v_add3_u32 v4, v4, v23, v69
	v_mul_i32_i24_e32 v23, v110, v230
	v_mul_i32_i24_e32 v69, v112, v15
	s_clause 0x2
	scratch_load_b32 v112, off, off offset:1044
	scratch_load_b32 v15, off, off offset:1052
	;; [unrolled: 1-line block ×3, first 2 shown]
	s_waitcnt vmcnt(4)
	v_mul_i32_i24_e32 v70, v108, v106
	s_waitcnt vmcnt(3)
	v_mul_i32_i24_e32 v71, v109, v107
	s_clause 0x1
	scratch_load_b32 v108, off, off offset:1012
	scratch_load_b32 v109, off, off offset:1016
	v_add3_u32 v4, v4, v70, v71
	s_waitcnt vmcnt(4)
	v_mul_i32_i24_e32 v70, v113, v112
	scratch_load_b32 v113, off, off offset:1056 ; 4-byte Folded Reload
	s_waitcnt vmcnt(3)
	v_mad_i32_i24 v23, v111, v110, v23
	scratch_load_b32 v111, off, off offset:788 ; 4-byte Folded Reload
	v_add3_u32 v23, v23, v69, v70
	v_mul_i32_i24_e32 v69, v114, v15
	v_mul_i32_i24_e32 v70, v115, v78
	v_mov_b32_e32 v115, v195
	v_mov_b32_e32 v114, v15
	s_delay_alu instid0(VALU_DEP_3)
	v_add3_u32 v23, v23, v69, v70
	v_mul_i32_i24_e32 v69, v118, v213
	v_mul_i32_i24_e32 v70, v119, v7
	v_dual_mov_b32 v119, v6 :: v_dual_mov_b32 v118, v5
	s_waitcnt vmcnt(3)
	v_mul_lo_u32 v4, v4, v108
	s_waitcnt vmcnt(1)
	v_mul_i32_i24_e32 v72, v117, v113
	v_mov_b32_e32 v117, v7
	s_waitcnt vmcnt(0)
	v_mul_i32_i24_e32 v71, v116, v111
	s_delay_alu instid0(VALU_DEP_4)
	v_cvt_f32_i32_e32 v4, v4
	v_mov_b32_e32 v116, v196
	scratch_load_b32 v7, off, off offset:212 ; 4-byte Folded Reload
	v_add3_u32 v23, v23, v71, v72
	v_mul_i32_i24_e32 v71, v120, v6
	v_mul_i32_i24_e32 v72, v121, v5
	v_fma_mix_f32 v4, v0, v4, 0 op_sel_hi:[1,0,0]
	v_fma_mix_f32 v0, v109, v0, 0 op_sel:[0,1,0] op_sel_hi:[0,1,0]
	v_add3_u32 v23, v23, v69, v70
	v_mul_i32_i24_e32 v69, v122, v193
	v_mul_i32_i24_e32 v70, v123, v190
	v_mov_b32_e32 v121, v190
	v_fma_mix_f32 v0, v194, v1, v0 op_sel:[0,1,0] op_sel_hi:[0,1,0]
	v_add3_u32 v23, v23, v71, v72
	v_mul_i32_i24_e32 v71, v124, v191
	v_mul_i32_i24_e32 v72, v125, v192
	v_dual_mov_b32 v125, v210 :: v_dual_mov_b32 v124, v189
	s_delay_alu instid0(VALU_DEP_4)
	v_add3_u32 v23, v23, v69, v70
	v_mul_i32_i24_e32 v69, v168, v189
	v_mul_i32_i24_e32 v70, v169, v210
	v_ashrrev_i32_e32 v210, 24, v153
	v_bfe_i32 v189, v154, 16, 8
	v_add3_u32 v23, v23, v71, v72
	v_mul_i32_i24_e32 v71, v170, v187
	v_mul_i32_i24_e32 v72, v164, v188
	v_bfe_i32 v187, v154, 0, 8
	v_bfe_i32 v188, v154, 8, 8
	v_add3_u32 v23, v23, v69, v70
	v_mul_i32_i24_e32 v69, v171, v206
	v_mul_i32_i24_e32 v70, v172, v207
	v_bfe_i32 v207, v153, 8, 8
	v_ashrrev_i32_e32 v190, 24, v154
	v_add3_u32 v23, v23, v71, v72
	v_mul_i32_i24_e32 v71, v173, v208
	v_mul_i32_i24_e32 v72, v165, v209
	v_bfe_i32 v208, v153, 0, 8
	v_bfe_i32 v209, v153, 16, 8
	v_add3_u32 v23, v23, v69, v70
	v_mul_i32_i24_e32 v69, v174, v202
	v_mul_i32_i24_e32 v70, v175, v203
	ds_load_b128 v[153:156], v216 offset:3088
	v_mul_i32_i24_e32 v73, v189, v148
	v_add3_u32 v23, v23, v71, v72
	v_mul_i32_i24_e32 v71, v176, v204
	v_mul_i32_i24_e32 v72, v166, v205
	v_mul_i32_i24_e32 v74, v190, v33
	v_mul_f32_e32 v0, v0, v195
	v_add3_u32 v23, v23, v69, v70
	v_mul_i32_i24_e32 v69, v177, v198
	v_mul_i32_i24_e32 v70, v178, v199
	v_mov_b32_e32 v120, v193
	v_mov_b32_e32 v122, v191
	v_add3_u32 v23, v23, v71, v72
	v_mul_i32_i24_e32 v71, v179, v200
	v_mul_i32_i24_e32 v72, v167, v201
	v_dual_mov_b32 v123, v192 :: v_dual_mov_b32 v6, v34
	s_delay_alu instid0(VALU_DEP_4)
	v_add3_u32 v23, v23, v69, v70
	v_mul_i32_i24_e32 v70, v209, v147
	s_waitcnt lgkmcnt(0)
	v_bfe_i32 v203, v153, 0, 8
	v_bfe_i32 v204, v153, 8, 8
	v_add3_u32 v23, v23, v71, v72
	v_mul_i32_i24_e32 v72, v210, v55
	v_bfe_i32 v205, v153, 16, 8
	v_ashrrev_i32_e32 v206, 24, v153
	v_bfe_i32 v199, v154, 0, 8
	v_mul_lo_u32 v23, v23, v197
	v_bfe_i32 v200, v154, 8, 8
	v_bfe_i32 v201, v154, 16, 8
	v_ashrrev_i32_e32 v202, 24, v154
	v_bfe_i32 v195, v155, 0, 8
	v_bfe_i32 v197, v155, 16, 8
	v_ashrrev_i32_e32 v198, 24, v155
	v_bfe_i32 v191, v156, 0, 8
	v_cvt_f32_i32_e32 v23, v23
	v_bfe_i32 v192, v156, 8, 8
	v_bfe_i32 v193, v156, 16, 8
	v_ashrrev_i32_e32 v194, 24, v156
	scratch_load_b32 v55, off, off offset:436 ; 4-byte Folded Reload
	v_fma_mix_f32 v4, v1, v23, v4 op_sel_hi:[1,0,0]
	scratch_load_b32 v1, off, off offset:1096 ; 4-byte Folded Reload
	v_mul_i32_i24_e32 v23, v208, v51
	scratch_load_b32 v51, off, off offset:432 ; 4-byte Folded Reload
	v_fma_f32 v0, v4, v196, -v0
	v_bfe_i32 v196, v155, 8, 8
	v_mad_i32_i24 v23, v207, v14, v23
	ds_load_b128 v[153:156], v216 offset:3104
	v_mov_b32_e32 v14, v49
	s_clause 0x1
	scratch_store_b32 off, v88, off offset:796
	scratch_store_b32 off, v93, off offset:800
	v_add3_u32 v23, v23, v70, v72
	v_mul_i32_i24_e32 v70, v187, v13
	v_mul_i32_i24_e32 v72, v188, v142
	scratch_load_b32 v142, off, off offset:256 ; 4-byte Folded Reload
	scratch_store_b32 off, v92, off offset:804 ; 4-byte Folded Spill
	v_add3_u32 v23, v23, v70, v72
	v_mul_i32_i24_e32 v70, v183, v8
	scratch_load_b32 v8, off, off offset:1124 ; 4-byte Folded Reload
	v_mul_i32_i24_e32 v72, v184, v11
	v_add3_u32 v23, v23, v73, v74
	v_mul_i32_i24_e32 v73, v185, v17
	v_mul_i32_i24_e32 v74, v186, v10
	v_mov_b32_e32 v10, v65
	s_waitcnt lgkmcnt(0)
	v_bfe_i32 v177, v153, 0, 8
	v_add3_u32 v23, v23, v70, v72
	v_mul_i32_i24_e32 v70, v163, v9
	v_mul_i32_i24_e32 v72, v180, v35
	v_bfe_i32 v176, v153, 8, 8
	v_bfe_i32 v178, v153, 16, 8
	v_add3_u32 v23, v23, v73, v74
	v_mul_i32_i24_e32 v73, v181, v50
	v_mul_i32_i24_e32 v74, v182, v52
	v_ashrrev_i32_e32 v179, 24, v153
	v_bfe_i32 v172, v154, 0, 8
	v_add3_u32 v23, v23, v70, v72
	v_mul_i32_i24_e32 v70, v203, v53
	v_mul_i32_i24_e32 v72, v204, v54
	v_bfe_i32 v173, v154, 8, 8
	v_bfe_i32 v174, v154, 16, 8
	v_add3_u32 v23, v23, v73, v74
	v_mul_i32_i24_e32 v73, v205, v28
	v_mul_i32_i24_e32 v74, v206, v31
	v_ashrrev_i32_e32 v175, 24, v154
	;; [unrolled: 10-line block ×4, first 2 shown]
	ds_load_b128 v[153:156], v216 offset:3120
	v_add3_u32 v23, v23, v70, v72
	v_mul_i32_i24_e32 v70, v191, v218
	v_mul_i32_i24_e32 v72, v192, v220
	v_mul_i32_i24_e32 v76, v174, v58
	v_mul_i32_i24_e32 v77, v175, v60
	v_add3_u32 v23, v23, v73, v74
	v_mul_i32_i24_e32 v73, v193, v221
	v_mul_i32_i24_e32 v74, v194, v222
	s_clause 0x1
	scratch_load_b32 v50, off, off offset:268
	scratch_load_b32 v35, off, off offset:260
	v_add3_u32 v23, v23, v70, v72
	v_mul_i32_i24_e32 v72, v177, v49
	v_fma_mix_f32 v70, v224, v2, 0 op_sel:[0,1,0] op_sel_hi:[0,1,0]
	scratch_load_b32 v49, off, off offset:264 ; 4-byte Folded Reload
	v_mov_b32_e32 v255, v148
	v_add3_u32 v23, v23, v73, v74
	v_mul_i32_i24_e32 v73, v178, v85
	v_mul_i32_i24_e32 v74, v179, v86
	v_mad_i32_i24 v72, v176, v48, v72
	s_waitcnt lgkmcnt(0)
	v_bfe_i32 v162, v153, 0, 8
	v_bfe_i32 v159, v153, 8, 8
	;; [unrolled: 1-line block ×3, first 2 shown]
	v_ashrrev_i32_e32 v161, 24, v153
	v_add3_u32 v72, v72, v73, v74
	v_mul_i32_i24_e32 v73, v172, v29
	v_mul_i32_i24_e32 v74, v173, v57
	v_bfe_i32 v211, v154, 0, 8
	v_bfe_i32 v213, v154, 8, 8
	;; [unrolled: 1-line block ×3, first 2 shown]
	v_ashrrev_i32_e32 v158, 24, v154
	v_add3_u32 v72, v72, v73, v74
	v_mul_i32_i24_e32 v73, v168, v61
	v_mul_i32_i24_e32 v74, v169, v65
	v_bfe_i32 v75, v155, 0, 8
	v_bfe_i32 v126, v155, 8, 8
	v_add3_u32 v72, v72, v76, v77
	v_mul_i32_i24_e32 v76, v170, v149
	v_mul_i32_i24_e32 v77, v171, v150
	v_bfe_i32 v4, v155, 16, 8
	v_ashrrev_i32_e32 v153, 24, v155
	v_add3_u32 v72, v72, v73, v74
	v_mul_i32_i24_e32 v73, v164, v66
	v_mul_i32_i24_e32 v74, v165, v67
	v_bfe_i32 v69, v156, 16, 8
	v_ashrrev_i32_e32 v71, 24, v156
	v_add3_u32 v72, v72, v76, v77
	v_mul_i32_i24_e32 v76, v166, v151
	v_mul_i32_i24_e32 v77, v167, v152
	v_mul_lo_u32 v23, v23, v223
	v_fma_mix_f32 v70, v18, v3, v70 op_sel:[0,1,0] op_sel_hi:[0,1,0]
	v_add3_u32 v72, v72, v73, v74
	v_mul_i32_i24_e32 v73, v162, v244
	v_mul_i32_i24_e32 v74, v159, v246
	scratch_load_b32 v65, off, off offset:252 ; 4-byte Folded Reload
	v_mul_f32_e32 v70, v70, v24
	v_add3_u32 v72, v72, v76, v77
	v_mul_i32_i24_e32 v76, v160, v248
	v_mul_i32_i24_e32 v77, v161, v250
	v_cvt_f32_i32_e32 v23, v23
	scratch_load_b32 v148, off, off offset:776 ; 4-byte Folded Reload
	v_add3_u32 v72, v72, v73, v74
	v_mul_i32_i24_e32 v73, v211, v252
	v_mul_i32_i24_e32 v74, v213, v254
	v_fma_mix_f32 v23, v2, v23, 0 op_sel_hi:[1,0,0]
	v_mov_b32_e32 v61, v82
	v_add3_u32 v72, v72, v76, v77
	v_mul_i32_i24_e32 v76, v157, v68
	v_mul_i32_i24_e32 v77, v158, v146
	v_mov_b32_e32 v67, v21
	scratch_load_b32 v29, off, off offset:756 ; 4-byte Folded Reload
	v_add3_u32 v72, v72, v73, v74
	v_mul_i32_i24_e32 v73, v75, v64
	v_mul_i32_i24_e32 v74, v126, v130
	s_clause 0x1
	scratch_load_b32 v64, off, off offset:248
	scratch_load_b32 v30, off, off offset:760
	v_add3_u32 v72, v72, v76, v77
	v_mul_i32_i24_e32 v76, v4, v131
	v_mul_i32_i24_e32 v77, v153, v132
	scratch_load_b32 v31, off, off offset:772 ; 4-byte Folded Reload
	v_mov_b32_e32 v56, v47
	v_add3_u32 v72, v72, v73, v74
	v_dual_mov_b32 v5, v60 :: v_dual_mov_b32 v60, v62
	v_mov_b32_e32 v54, v46
	scratch_load_b32 v68, off, off offset:460 ; 4-byte Folded Reload
	v_add3_u32 v72, v72, v76, v77
	v_mul_i32_i24_e32 v76, v69, v135
	v_mul_i32_i24_e32 v77, v71, v136
	v_dual_mov_b32 v11, v66 :: v_dual_mov_b32 v66, v83
	v_dual_mov_b32 v52, v37 :: v_dual_mov_b32 v147, v24
	v_mov_b32_e32 v28, v12
	s_waitcnt vmcnt(13)
	v_dual_mov_b32 v130, v240 :: v_dual_add_f32 v1, v1, v0
	v_bfe_i32 v0, v156, 0, 8
	scratch_store_b32 off, v1, off offset:1096 ; 4-byte Folded Spill
	v_bfe_i32 v1, v156, 8, 8
	v_mul_i32_i24_e32 v73, v0, v133
	s_delay_alu instid0(VALU_DEP_2) | instskip(NEXT) | instid1(VALU_DEP_1)
	v_mul_i32_i24_e32 v74, v1, v134
	v_add3_u32 v72, v72, v73, v74
	v_mul_i32_i24_e32 v74, v190, v34
	scratch_load_b32 v34, off, off offset:228 ; 4-byte Folded Reload
	v_add3_u32 v72, v72, v76, v77
	v_mul_i32_i24_e32 v76, v174, v228
	v_mul_i32_i24_e32 v77, v175, v22
	s_delay_alu instid0(VALU_DEP_3) | instskip(NEXT) | instid1(VALU_DEP_1)
	v_mul_lo_u32 v72, v72, v19
	v_cvt_f32_i32_e32 v72, v72
	s_delay_alu instid0(VALU_DEP_1) | instskip(NEXT) | instid1(VALU_DEP_1)
	v_fma_mix_f32 v23, v3, v72, v23 op_sel_hi:[1,0,0]
	v_fma_f32 v23, v23, v12, -v70
	s_waitcnt vmcnt(11)
	s_delay_alu instid0(VALU_DEP_1)
	v_add_f32_e32 v8, v8, v23
	scratch_store_b32 off, v8, off offset:1124 ; 4-byte Folded Spill
	scratch_load_b32 v8, off, off offset:512 ; 4-byte Folded Reload
	s_waitcnt vmcnt(11)
	v_mul_i32_i24_e32 v70, v209, v50
	s_waitcnt vmcnt(10)
	v_dual_mov_b32 v21, v50 :: v_dual_mov_b32 v24, v35
	s_waitcnt vmcnt(9)
	v_mul_i32_i24_e32 v72, v210, v49
	s_waitcnt vmcnt(8)
	v_mul_i32_i24_e32 v73, v189, v65
	s_waitcnt vmcnt(0)
	v_mul_i32_i24_e32 v23, v208, v8
	scratch_load_b32 v8, off, off offset:36 ; 4-byte Folded Reload
	v_mad_i32_i24 v23, v207, v35, v23
	s_delay_alu instid0(VALU_DEP_1)
	v_add3_u32 v23, v23, v70, v72
	v_mul_i32_i24_e32 v72, v188, v64
	s_waitcnt vmcnt(0)
	v_mul_i32_i24_e32 v70, v187, v8
	scratch_load_b32 v8, off, off offset:32 ; 4-byte Folded Reload
	v_add3_u32 v23, v23, v70, v72
	v_mul_i32_i24_e32 v70, v183, v142
	v_mul_i32_i24_e32 v72, v184, v25
	s_delay_alu instid0(VALU_DEP_3) | instskip(SKIP_2) | instid1(VALU_DEP_3)
	v_add3_u32 v23, v23, v73, v74
	v_mul_i32_i24_e32 v73, v185, v148
	v_mul_i32_i24_e32 v74, v186, v231
	v_add3_u32 v23, v23, v70, v72
	v_mul_i32_i24_e32 v70, v163, v140
	v_mul_i32_i24_e32 v72, v180, v229
	v_mov_b32_e32 v229, v91
	s_delay_alu instid0(VALU_DEP_4)
	v_add3_u32 v23, v23, v73, v74
	v_mul_i32_i24_e32 v73, v181, v232
	v_mul_i32_i24_e32 v74, v182, v32
	v_mov_b32_e32 v32, v57
	v_mov_b32_e32 v232, v26
	v_add3_u32 v23, v23, v70, v72
	v_mul_i32_i24_e32 v70, v203, v37
	v_mul_i32_i24_e32 v72, v204, v44
	s_delay_alu instid0(VALU_DEP_3)
	v_add3_u32 v23, v23, v73, v74
	v_mul_i32_i24_e32 v73, v205, v46
	scratch_load_b32 v46, off, off offset:428 ; 4-byte Folded Reload
	v_add3_u32 v23, v23, v70, v72
	v_mul_i32_i24_e32 v70, v199, v47
	v_mul_i32_i24_e32 v72, v200, v59
	s_waitcnt vmcnt(1)
	v_mul_i32_i24_e32 v74, v206, v8
	scratch_load_b32 v8, off, off offset:1120 ; 4-byte Folded Reload
	v_add3_u32 v23, v23, v73, v74
	v_mul_i32_i24_e32 v74, v202, v82
	scratch_load_b32 v82, off, off offset:240 ; 4-byte Folded Reload
	v_mul_i32_i24_e32 v73, v201, v62
	scratch_load_b32 v62, off, off offset:744 ; 4-byte Folded Reload
	v_add3_u32 v23, v23, v70, v72
	v_mul_i32_i24_e32 v72, v196, v83
	v_mov_b32_e32 v83, v235
	s_delay_alu instid0(VALU_DEP_3)
	v_add3_u32 v23, v23, v73, v74
	v_mul_i32_i24_e32 v73, v197, v84
	v_mul_i32_i24_e32 v74, v198, v91
	s_clause 0x1
	scratch_load_b32 v91, off, off offset:440
	scratch_load_b32 v84, off, off offset:584
	s_waitcnt vmcnt(3)
	v_mul_i32_i24_e32 v70, v195, v82
	s_delay_alu instid0(VALU_DEP_1) | instskip(SKIP_2) | instid1(VALU_DEP_3)
	v_add3_u32 v23, v23, v70, v72
	v_mul_i32_i24_e32 v70, v191, v36
	v_mul_i32_i24_e32 v72, v192, v26
	v_add3_u32 v23, v23, v73, v74
	v_mul_i32_i24_e32 v73, v193, v27
	v_mul_i32_i24_e32 v74, v194, v38
	scratch_load_b32 v38, off, off offset:448 ; 4-byte Folded Reload
	v_add3_u32 v23, v23, v70, v72
	v_mul_i32_i24_e32 v72, v177, v39
	v_fma_mix_f32 v70, v225, v2, 0 op_sel:[0,1,0] op_sel_hi:[0,1,0]
	scratch_load_b32 v39, off, off offset:464 ; 4-byte Folded Reload
	v_add3_u32 v23, v23, v73, v74
	v_mul_i32_i24_e32 v73, v178, v40
	v_mul_i32_i24_e32 v74, v179, v41
	v_mad_i32_i24 v72, v176, v226, v72
	v_mov_b32_e32 v226, v89
	v_mul_lo_u32 v23, v23, v92
	s_clause 0x1
	scratch_load_b32 v92, off, off offset:476
	scratch_load_b32 v40, off, off offset:424
	v_add3_u32 v72, v72, v73, v74
	v_mul_i32_i24_e32 v73, v172, v89
	v_mul_i32_i24_e32 v74, v173, v227
	s_clause 0x1
	scratch_load_b32 v89, off, off offset:444
	scratch_load_b32 v41, off, off offset:420
	v_cvt_f32_i32_e32 v23, v23
	v_add3_u32 v72, v72, v73, v74
	v_mul_i32_i24_e32 v73, v168, v42
	v_mul_i32_i24_e32 v74, v169, v103
	s_delay_alu instid0(VALU_DEP_4)
	v_fma_mix_f32 v23, v2, v23, 0 op_sel_hi:[1,0,0]
	scratch_load_b32 v42, off, off offset:412 ; 4-byte Folded Reload
	v_add3_u32 v72, v72, v76, v77
	v_mul_i32_i24_e32 v76, v170, v45
	v_mul_i32_i24_e32 v77, v171, v63
	s_clause 0x1
	scratch_load_b32 v45, off, off offset:416
	scratch_load_b32 v63, off, off offset:452
	v_add3_u32 v72, v72, v73, v74
	v_mul_i32_i24_e32 v73, v164, v87
	v_mul_i32_i24_e32 v74, v165, v88
	s_clause 0x1
	scratch_load_b32 v88, off, off offset:456
	scratch_load_b32 v87, off, off offset:740
	v_add3_u32 v72, v72, v76, v77
	v_mul_i32_i24_e32 v76, v166, v93
	v_mul_i32_i24_e32 v77, v167, v94
	scratch_load_b32 v93, off, off offset:204 ; 4-byte Folded Reload
	v_add3_u32 v72, v72, v73, v74
	v_mul_i32_i24_e32 v73, v162, v95
	v_mul_i32_i24_e32 v74, v159, v96
	s_delay_alu instid0(VALU_DEP_3) | instskip(SKIP_2) | instid1(VALU_DEP_3)
	v_add3_u32 v72, v72, v76, v77
	v_mul_i32_i24_e32 v76, v160, v97
	v_mul_i32_i24_e32 v77, v161, v98
	v_add3_u32 v72, v72, v73, v74
	v_mul_i32_i24_e32 v73, v211, v99
	v_mul_i32_i24_e32 v74, v213, v100
	s_delay_alu instid0(VALU_DEP_3)
	v_add3_u32 v72, v72, v76, v77
	v_mul_i32_i24_e32 v76, v157, v127
	v_mul_i32_i24_e32 v77, v158, v128
	v_mov_b32_e32 v128, v10
	v_fma_mix_f32 v70, v67, v3, v70 op_sel:[0,1,0] op_sel_hi:[0,1,0]
	v_add3_u32 v72, v72, v73, v74
	v_mul_i32_i24_e32 v73, v75, v137
	v_mul_i32_i24_e32 v74, v126, v138
	s_delay_alu instid0(VALU_DEP_4) | instskip(NEXT) | instid1(VALU_DEP_4)
	v_mul_f32_e32 v70, v70, v43
	v_add3_u32 v72, v72, v76, v77
	v_mul_i32_i24_e32 v76, v4, v139
	v_mul_i32_i24_e32 v77, v153, v143
	s_delay_alu instid0(VALU_DEP_3) | instskip(SKIP_2) | instid1(VALU_DEP_3)
	v_add3_u32 v72, v72, v73, v74
	v_mul_i32_i24_e32 v73, v0, v144
	v_mul_i32_i24_e32 v74, v1, v145
	v_add3_u32 v72, v72, v76, v77
	v_mul_i32_i24_e32 v76, v69, v214
	v_mul_i32_i24_e32 v77, v71, v129
	v_dual_mov_b32 v214, v237 :: v_dual_mov_b32 v53, v44
	v_mov_b32_e32 v132, v255
	v_add3_u32 v72, v72, v73, v74
	v_mul_i32_i24_e32 v74, v190, v253
	scratch_load_b32 v44, off, off offset:736 ; 4-byte Folded Reload
	v_add3_u32 v72, v72, v76, v77
	s_delay_alu instid0(VALU_DEP_1) | instskip(NEXT) | instid1(VALU_DEP_1)
	v_mul_lo_u32 v72, v72, v215
	v_cvt_f32_i32_e32 v72, v72
	s_delay_alu instid0(VALU_DEP_1) | instskip(NEXT) | instid1(VALU_DEP_1)
	v_fma_mix_f32 v23, v3, v72, v23 op_sel_hi:[1,0,0]
	v_fma_f32 v23, v23, v141, -v70
	s_delay_alu instid0(VALU_DEP_1)
	v_add_f32_e32 v8, v8, v23
	v_mul_i32_i24_e32 v23, v208, v7
	scratch_load_b32 v7, off, off offset:24 ; 4-byte Folded Reload
	scratch_store_b32 off, v8, off offset:1120 ; 4-byte Folded Spill
	scratch_load_b32 v8, off, off offset:4  ; 4-byte Folded Reload
	s_waitcnt vmcnt(1)
	v_mul_i32_i24_e32 v70, v209, v7
	scratch_load_b32 v7, off, off offset:216 ; 4-byte Folded Reload
	s_waitcnt vmcnt(0)
	v_mul_i32_i24_e32 v72, v210, v7
	scratch_load_b32 v7, off, off offset:208 ; 4-byte Folded Reload
	s_waitcnt vmcnt(0)
	v_mad_i32_i24 v23, v207, v7, v23
	scratch_load_b32 v7, off, off offset:488 ; 4-byte Folded Reload
	v_add3_u32 v23, v23, v70, v72
	v_mul_i32_i24_e32 v70, v187, v8
	scratch_load_b32 v8, off, off offset:200 ; 4-byte Folded Reload
	v_mul_i32_i24_e32 v72, v188, v249
	s_delay_alu instid0(VALU_DEP_1)
	v_add3_u32 v23, v23, v70, v72
	v_mul_i32_i24_e32 v70, v183, v242
	s_waitcnt vmcnt(0)
	v_mul_i32_i24_e32 v73, v189, v8
	scratch_load_b32 v8, off, off offset:44 ; 4-byte Folded Reload
	v_add3_u32 v23, v23, v73, v74
	s_waitcnt vmcnt(0)
	v_mul_i32_i24_e32 v72, v184, v8
	scratch_load_b32 v8, off, off offset:48 ; 4-byte Folded Reload
	v_add3_u32 v23, v23, v70, v72
	s_waitcnt vmcnt(0)
	v_mul_i32_i24_e32 v73, v185, v8
	scratch_load_b32 v8, off, off offset:56 ; 4-byte Folded Reload
	s_waitcnt vmcnt(0)
	v_mul_i32_i24_e32 v74, v186, v8
	scratch_load_b32 v8, off, off offset:52 ; 4-byte Folded Reload
	v_add3_u32 v23, v23, v73, v74
	s_waitcnt vmcnt(0)
	v_mul_i32_i24_e32 v70, v163, v8
	scratch_load_b32 v8, off, off offset:60 ; 4-byte Folded Reload
	s_waitcnt vmcnt(0)
	v_mul_i32_i24_e32 v72, v180, v8
	scratch_load_b32 v8, off, off offset:64 ; 4-byte Folded Reload
	v_add3_u32 v23, v23, v70, v72
	v_mul_i32_i24_e32 v72, v204, v7
	scratch_load_b32 v7, off, off offset:492 ; 4-byte Folded Reload
	v_mul_i32_i24_e32 v70, v203, v29
	s_waitcnt vmcnt(1)
	v_mul_i32_i24_e32 v73, v181, v8
	scratch_load_b32 v8, off, off offset:396 ; 4-byte Folded Reload
	s_waitcnt vmcnt(0)
	v_mul_i32_i24_e32 v74, v182, v8
	scratch_load_b32 v8, off, off offset:192 ; 4-byte Folded Reload
	v_add3_u32 v23, v23, v73, v74
	v_mul_i32_i24_e32 v73, v205, v7
	scratch_load_b32 v7, off, off offset:496 ; 4-byte Folded Reload
	v_add3_u32 v23, v23, v70, v72
	v_mul_i32_i24_e32 v70, v199, v30
	s_waitcnt vmcnt(0)
	v_mul_i32_i24_e32 v74, v206, v7
	scratch_load_b32 v7, off, off offset:500 ; 4-byte Folded Reload
	v_add3_u32 v23, v23, v73, v74
	v_mul_i32_i24_e32 v73, v201, v8
	scratch_load_b32 v8, off, off offset:400 ; 4-byte Folded Reload
	s_waitcnt vmcnt(1)
	v_mul_i32_i24_e32 v72, v200, v7
	scratch_load_b32 v7, off, off offset:504 ; 4-byte Folded Reload
	v_add3_u32 v23, v23, v70, v72
	s_waitcnt vmcnt(1)
	v_mul_i32_i24_e32 v74, v202, v8
	scratch_load_b32 v8, off, off offset:68 ; 4-byte Folded Reload
	v_add3_u32 v23, v23, v73, v74
	v_mul_i32_i24_e32 v73, v197, v245
	s_waitcnt vmcnt(1)
	v_mul_i32_i24_e32 v74, v198, v7
	scratch_load_b32 v7, off, off offset:508 ; 4-byte Folded Reload
	s_waitcnt vmcnt(1)
	v_mul_i32_i24_e32 v70, v195, v8
	scratch_load_b32 v8, off, off offset:72 ; 4-byte Folded Reload
	s_waitcnt vmcnt(0)
	v_mul_i32_i24_e32 v72, v196, v8
	scratch_load_b32 v8, off, off offset:76 ; 4-byte Folded Reload
	v_add3_u32 v23, v23, v70, v72
	s_delay_alu instid0(VALU_DEP_1)
	v_add3_u32 v23, v23, v73, v74
	s_waitcnt vmcnt(0)
	v_mul_i32_i24_e32 v70, v191, v8
	scratch_load_b32 v8, off, off offset:12 ; 4-byte Folded Reload
	s_waitcnt vmcnt(0)
	v_mul_i32_i24_e32 v72, v192, v8
	scratch_load_b32 v8, off, off offset:16 ; 4-byte Folded Reload
	v_add3_u32 v23, v23, v70, v72
	s_waitcnt vmcnt(0)
	v_mul_i32_i24_e32 v73, v193, v8
	scratch_load_b32 v8, off, off offset:80 ; 4-byte Folded Reload
	s_waitcnt vmcnt(0)
	v_mul_i32_i24_e32 v74, v194, v8
	scratch_load_b32 v8, off, off offset:84 ; 4-byte Folded Reload
	v_add3_u32 v23, v23, v73, v74
	v_mul_i32_i24_e32 v74, v179, v234
	s_delay_alu instid0(VALU_DEP_2) | instskip(SKIP_2) | instid1(VALU_DEP_1)
	v_mul_lo_u32 v23, v23, v7
	scratch_load_b32 v7, off, off offset:40 ; 4-byte Folded Reload
	v_cvt_f32_i32_e32 v23, v23
	v_fma_mix_f32 v23, v2, v23, 0 op_sel_hi:[1,0,0]
	s_waitcnt vmcnt(1)
	v_fma_mix_f32 v70, v8, v2, 0 op_sel:[0,1,0] op_sel_hi:[0,1,0]
	scratch_load_b32 v8, off, off offset:92 ; 4-byte Folded Reload
	s_waitcnt vmcnt(1)
	v_fma_mix_f32 v70, v7, v3, v70 op_sel:[0,1,0] op_sel_hi:[0,1,0]
	scratch_load_b32 v7, off, off offset:480 ; 4-byte Folded Reload
	v_mov_b32_e32 v13, v48
	v_mov_b32_e32 v48, v140
	v_mul_f32_e32 v70, v70, v214
	s_waitcnt vmcnt(1)
	v_mul_i32_i24_e32 v72, v177, v8
	scratch_load_b32 v8, off, off offset:96 ; 4-byte Folded Reload
	s_waitcnt vmcnt(0)
	v_mul_i32_i24_e32 v73, v178, v8
	scratch_load_b32 v8, off, off offset:88 ; 4-byte Folded Reload
	s_waitcnt vmcnt(0)
	v_mad_i32_i24 v72, v176, v8, v72
	scratch_load_b32 v8, off, off offset:196 ; 4-byte Folded Reload
	v_add3_u32 v72, v72, v73, v74
	v_mul_i32_i24_e32 v73, v172, v239
	v_mul_i32_i24_e32 v74, v173, v31
	s_delay_alu instid0(VALU_DEP_1)
	v_add3_u32 v72, v72, v73, v74
	s_waitcnt vmcnt(0)
	v_mul_i32_i24_e32 v76, v174, v8
	scratch_load_b32 v8, off, off offset:404 ; 4-byte Folded Reload
	s_waitcnt vmcnt(0)
	v_mul_i32_i24_e32 v77, v175, v8
	scratch_load_b32 v8, off, off offset:100 ; 4-byte Folded Reload
	v_add3_u32 v72, v72, v76, v77
	s_waitcnt vmcnt(0)
	v_mul_i32_i24_e32 v73, v168, v8
	scratch_load_b32 v8, off, off offset:104 ; 4-byte Folded Reload
	s_waitcnt vmcnt(0)
	v_mul_i32_i24_e32 v74, v169, v8
	scratch_load_b32 v8, off, off offset:108 ; 4-byte Folded Reload
	v_add3_u32 v72, v72, v73, v74
	s_waitcnt vmcnt(0)
	v_mul_i32_i24_e32 v76, v170, v8
	scratch_load_b32 v8, off, off offset:112 ; 4-byte Folded Reload
	s_waitcnt vmcnt(0)
	v_mul_i32_i24_e32 v77, v171, v8
	scratch_load_b32 v8, off, off offset:116 ; 4-byte Folded Reload
	v_add3_u32 v72, v72, v76, v77
	s_waitcnt vmcnt(0)
	v_mul_i32_i24_e32 v73, v164, v8
	scratch_load_b32 v8, off, off offset:120 ; 4-byte Folded Reload
	s_waitcnt vmcnt(0)
	v_mul_i32_i24_e32 v74, v165, v8
	scratch_load_b32 v8, off, off offset:124 ; 4-byte Folded Reload
	v_add3_u32 v72, v72, v73, v74
	s_waitcnt vmcnt(0)
	v_mul_i32_i24_e32 v76, v166, v8
	scratch_load_b32 v8, off, off offset:128 ; 4-byte Folded Reload
	s_waitcnt vmcnt(0)
	v_mul_i32_i24_e32 v77, v167, v8
	scratch_load_b32 v8, off, off offset:132 ; 4-byte Folded Reload
	v_add3_u32 v72, v72, v76, v77
	s_waitcnt vmcnt(0)
	v_mul_i32_i24_e32 v73, v162, v8
	scratch_load_b32 v8, off, off offset:136 ; 4-byte Folded Reload
	s_waitcnt vmcnt(0)
	v_mul_i32_i24_e32 v74, v159, v8
	scratch_load_b32 v8, off, off offset:140 ; 4-byte Folded Reload
	v_add3_u32 v72, v72, v73, v74
	s_waitcnt vmcnt(0)
	v_mul_i32_i24_e32 v76, v160, v8
	scratch_load_b32 v8, off, off offset:144 ; 4-byte Folded Reload
	s_waitcnt vmcnt(0)
	v_mul_i32_i24_e32 v77, v161, v8
	scratch_load_b32 v8, off, off offset:148 ; 4-byte Folded Reload
	v_add3_u32 v72, v72, v76, v77
	s_waitcnt vmcnt(0)
	v_mul_i32_i24_e32 v73, v211, v8
	scratch_load_b32 v8, off, off offset:152 ; 4-byte Folded Reload
	s_waitcnt vmcnt(0)
	v_mul_i32_i24_e32 v74, v213, v8
	scratch_load_b32 v8, off, off offset:156 ; 4-byte Folded Reload
	v_add3_u32 v72, v72, v73, v74
	s_waitcnt vmcnt(0)
	v_mul_i32_i24_e32 v76, v157, v8
	scratch_load_b32 v8, off, off offset:160 ; 4-byte Folded Reload
	s_waitcnt vmcnt(0)
	v_mul_i32_i24_e32 v77, v158, v8
	scratch_load_b32 v8, off, off offset:164 ; 4-byte Folded Reload
	v_add3_u32 v72, v72, v76, v77
	s_waitcnt vmcnt(0)
	v_mul_i32_i24_e32 v73, v75, v8
	scratch_load_b32 v8, off, off offset:168 ; 4-byte Folded Reload
	s_waitcnt vmcnt(0)
	v_mul_i32_i24_e32 v74, v126, v8
	scratch_load_b32 v8, off, off offset:172 ; 4-byte Folded Reload
	v_add3_u32 v72, v72, v73, v74
	s_waitcnt vmcnt(0)
	v_mul_i32_i24_e32 v76, v4, v8
	scratch_load_b32 v8, off, off offset:176 ; 4-byte Folded Reload
	s_waitcnt vmcnt(0)
	v_mul_i32_i24_e32 v77, v153, v8
	scratch_load_b32 v8, off, off offset:180 ; 4-byte Folded Reload
	v_add3_u32 v72, v72, v76, v77
	s_waitcnt vmcnt(0)
	v_mul_i32_i24_e32 v73, v0, v8
	scratch_load_b32 v8, off, off offset:184 ; 4-byte Folded Reload
	s_waitcnt vmcnt(0)
	v_mul_i32_i24_e32 v74, v1, v8
	scratch_load_b32 v8, off, off offset:20 ; 4-byte Folded Reload
	v_add3_u32 v72, v72, v73, v74
	v_mul_i32_i24_e32 v73, v189, v89
	v_mul_i32_i24_e32 v74, v190, v88
	scratch_load_b32 v190, off, off offset:236 ; 4-byte Folded Reload
	s_waitcnt vmcnt(1)
	v_mul_i32_i24_e32 v76, v69, v8
	scratch_load_b32 v8, off, off offset:188 ; 4-byte Folded Reload
	s_waitcnt vmcnt(1)
	v_mul_i32_i24_e32 v1, v1, v190
	s_waitcnt vmcnt(0)
	v_mul_i32_i24_e32 v77, v71, v8
	scratch_load_b32 v8, off, off offset:8  ; 4-byte Folded Reload
	v_add3_u32 v72, v72, v76, v77
	s_waitcnt vmcnt(0)
	s_delay_alu instid0(VALU_DEP_1) | instskip(SKIP_2) | instid1(VALU_DEP_1)
	v_mul_lo_u32 v72, v72, v8
	scratch_load_b32 v8, off, off offset:1116 ; 4-byte Folded Reload
	v_cvt_f32_i32_e32 v72, v72
	v_fma_mix_f32 v23, v3, v72, v23 op_sel_hi:[1,0,0]
	s_delay_alu instid0(VALU_DEP_1)
	v_fma_f32 v23, v23, v90, -v70
	v_mov_b32_e32 v33, v58
	v_mul_i32_i24_e32 v70, v209, v34
	v_dual_mov_b32 v58, v59 :: v_dual_mov_b32 v15, v146
	s_waitcnt vmcnt(0)
	v_add_f32_e32 v8, v8, v23
	v_mul_i32_i24_e32 v23, v208, v7
	scratch_load_b32 v208, off, off offset:484 ; 4-byte Folded Reload
	v_mov_b32_e32 v7, v119
	scratch_store_b32 off, v8, off offset:1116 ; 4-byte Folded Spill
	scratch_load_b32 v8, off, off offset:408 ; 4-byte Folded Reload
	v_mad_i32_i24 v23, v207, v93, v23
	s_waitcnt vmcnt(1)
	v_mul_i32_i24_e32 v72, v210, v208
	v_dual_mov_b32 v210, v123 :: v_dual_mov_b32 v209, v34
	v_mov_b32_e32 v34, v142
	s_delay_alu instid0(VALU_DEP_3)
	v_add3_u32 v23, v23, v70, v72
	v_mul_i32_i24_e32 v70, v187, v92
	v_mul_i32_i24_e32 v72, v188, v91
	s_clause 0x1
	scratch_load_b32 v188, off, off offset:588
	scratch_load_b32 v187, off, off offset:984
	v_add3_u32 v23, v23, v70, v72
	v_mul_i32_i24_e32 v70, v183, v84
	v_mul_i32_i24_e32 v72, v184, v44
	s_delay_alu instid0(VALU_DEP_3) | instskip(SKIP_2) | instid1(VALU_DEP_3)
	v_add3_u32 v23, v23, v73, v74
	v_mul_i32_i24_e32 v73, v185, v62
	v_mul_i32_i24_e32 v74, v186, v40
	v_add3_u32 v23, v23, v70, v72
	v_mul_i32_i24_e32 v70, v163, v83
	v_mul_i32_i24_e32 v72, v180, v87
	s_delay_alu instid0(VALU_DEP_3) | instskip(SKIP_2) | instid1(VALU_DEP_3)
	v_add3_u32 v23, v23, v73, v74
	v_mul_i32_i24_e32 v73, v181, v42
	v_mul_i32_i24_e32 v74, v182, v41
	v_add3_u32 v23, v23, v70, v72
	v_mul_i32_i24_e32 v70, v203, v45
	v_mul_i32_i24_e32 v72, v204, v46
	s_clause 0x1
	scratch_load_b32 v203, off, off offset:888
	scratch_load_b32 v204, off, off offset:892
	v_add3_u32 v23, v23, v73, v74
	v_mul_i32_i24_e32 v73, v205, v51
	v_mul_i32_i24_e32 v74, v206, v38
	v_dual_mov_b32 v205, v120 :: v_dual_mov_b32 v206, v121
	s_delay_alu instid0(VALU_DEP_4)
	v_add3_u32 v23, v23, v70, v72
	v_mul_i32_i24_e32 v70, v199, v55
	v_mul_i32_i24_e32 v72, v200, v63
	s_clause 0x1
	scratch_load_b32 v199, off, off offset:880
	scratch_load_b32 v200, off, off offset:884
	v_add3_u32 v23, v23, v73, v74
	v_mul_i32_i24_e32 v73, v201, v68
	v_mul_i32_i24_e32 v74, v202, v39
	v_mov_b32_e32 v202, v125
	v_mov_b32_e32 v9, v117
	v_add3_u32 v23, v23, v70, v72
	v_mul_i32_i24_e32 v70, v195, v236
	v_mul_i32_i24_e32 v72, v196, v79
	scratch_load_b32 v196, off, off offset:728 ; 4-byte Folded Reload
	v_mov_b32_e32 v189, v20
	v_add3_u32 v23, v23, v73, v74
	v_mul_i32_i24_e32 v73, v197, v80
	v_mul_i32_i24_e32 v74, v198, v243
	s_clause 0x1
	scratch_load_b32 v197, off, off offset:876
	scratch_load_b32 v198, off, off offset:872
	v_add3_u32 v23, v23, v70, v72
	v_mul_i32_i24_e32 v70, v191, v81
	v_mul_i32_i24_e32 v72, v192, v105
	scratch_load_b32 v192, off, off offset:232 ; 4-byte Folded Reload
	v_mov_b32_e32 v20, v15
	v_add3_u32 v23, v23, v73, v74
	v_mul_i32_i24_e32 v73, v193, v106
	scratch_load_b32 v193, off, off offset:724 ; 4-byte Folded Reload
	v_mul_i32_i24_e32 v74, v194, v107
	v_mov_b32_e32 v236, v226
	v_add3_u32 v23, v23, v70, v72
	s_waitcnt vmcnt(11)
	v_mul_i32_i24_e32 v70, v178, v8
	scratch_load_b32 v8, off, off offset:896 ; 4-byte Folded Reload
	v_mul_i32_i24_e32 v72, v179, v112
	v_mov_b32_e32 v207, v122
	v_add3_u32 v23, v23, v73, v74
	v_mul_i32_i24_e32 v73, v174, v111
	v_mul_i32_i24_e32 v74, v175, v113
	v_dual_mov_b32 v201, v124 :: v_dual_mov_b32 v194, v247
	s_delay_alu instid0(VALU_DEP_4)
	v_mul_lo_u32 v23, v23, v108
	v_mov_b32_e32 v195, v251
	v_mul_i32_i24_e32 v0, v0, v189
	v_mov_b32_e32 v191, v233
	v_mov_b32_e32 v59, v115
	;; [unrolled: 1-line block ×3, first 2 shown]
	v_mul_i32_i24_e32 v4, v4, v195
	scratch_store_b32 off, v94, off offset:1036 ; 4-byte Folded Spill
	v_cvt_f32_i32_e32 v23, v23
	v_dual_mov_b32 v94, v11 :: v_dual_mov_b32 v231, v36
	v_mov_b32_e32 v36, v5
	v_mov_b32_e32 v131, v241
	s_delay_alu instid0(VALU_DEP_4) | instskip(SKIP_2) | instid1(VALU_DEP_2)
	v_fma_mix_f32 v163, v2, v23, 0 op_sel_hi:[1,0,0]
	v_mul_i32_i24_e32 v23, v177, v230
	v_fma_mix_f32 v2, v109, v2, 0 op_sel:[0,1,0] op_sel_hi:[0,1,0]
	v_mad_i32_i24 v23, v176, v110, v23
	s_delay_alu instid0(VALU_DEP_1) | instskip(SKIP_2) | instid1(VALU_DEP_1)
	v_add3_u32 v23, v23, v70, v72
	v_mul_i32_i24_e32 v70, v172, v114
	v_mul_i32_i24_e32 v72, v173, v78
	v_add3_u32 v23, v23, v70, v72
	v_mul_i32_i24_e32 v72, v169, v9
	s_delay_alu instid0(VALU_DEP_2) | instskip(SKIP_4) | instid1(VALU_DEP_1)
	v_add3_u32 v23, v23, v73, v74
	v_mul_i32_i24_e32 v73, v170, v7
	v_mul_i32_i24_e32 v74, v171, v118
	s_waitcnt vmcnt(0)
	v_mul_i32_i24_e32 v70, v168, v8
	v_add3_u32 v23, v23, v70, v72
	v_mul_i32_i24_e32 v70, v164, v205
	v_mul_i32_i24_e32 v72, v165, v206
	s_delay_alu instid0(VALU_DEP_3) | instskip(SKIP_2) | instid1(VALU_DEP_3)
	v_add3_u32 v23, v23, v73, v74
	v_mul_i32_i24_e32 v73, v166, v207
	v_mul_i32_i24_e32 v74, v167, v210
	v_add3_u32 v23, v23, v70, v72
	v_mul_i32_i24_e32 v70, v162, v201
	v_mul_i32_i24_e32 v72, v159, v202
	s_delay_alu instid0(VALU_DEP_3) | instskip(SKIP_2) | instid1(VALU_DEP_3)
	v_add3_u32 v23, v23, v73, v74
	v_mul_i32_i24_e32 v73, v160, v203
	v_mul_i32_i24_e32 v74, v161, v204
	v_add3_u32 v23, v23, v70, v72
	v_mul_i32_i24_e32 v70, v211, v197
	v_mul_i32_i24_e32 v72, v213, v198
	v_mov_b32_e32 v211, v49
	s_delay_alu instid0(VALU_DEP_4) | instskip(SKIP_2) | instid1(VALU_DEP_3)
	v_add3_u32 v23, v23, v73, v74
	v_mul_i32_i24_e32 v73, v157, v199
	v_mul_i32_i24_e32 v74, v158, v200
	v_add3_u32 v23, v23, v70, v72
	v_mul_i32_i24_e32 v70, v75, v193
	v_mul_i32_i24_e32 v72, v126, v194
	s_delay_alu instid0(VALU_DEP_3) | instskip(SKIP_1) | instid1(VALU_DEP_2)
	v_add3_u32 v23, v23, v73, v74
	v_mul_i32_i24_e32 v73, v153, v196
	v_add3_u32 v23, v23, v70, v72
	s_delay_alu instid0(VALU_DEP_1) | instskip(SKIP_2) | instid1(VALU_DEP_3)
	v_add3_u32 v4, v23, v4, v73
	v_mul_i32_i24_e32 v23, v69, v191
	v_mul_i32_i24_e32 v69, v71, v192
	v_add3_u32 v0, v4, v0, v1
	v_fma_mix_f32 v1, v187, v3, v2 op_sel:[0,1,0] op_sel_hi:[0,1,0]
	s_delay_alu instid0(VALU_DEP_2) | instskip(NEXT) | instid1(VALU_DEP_2)
	v_add3_u32 v0, v0, v23, v69
	v_mul_f32_e32 v1, v1, v59
	s_delay_alu instid0(VALU_DEP_2) | instskip(NEXT) | instid1(VALU_DEP_1)
	v_mul_lo_u32 v0, v0, v188
	v_cvt_f32_i32_e32 v0, v0
	s_delay_alu instid0(VALU_DEP_1) | instskip(NEXT) | instid1(VALU_DEP_1)
	v_fma_mix_f32 v0, v3, v0, v163 op_sel_hi:[1,0,0]
	v_fma_f32 v0, v0, v47, -v1
	scratch_load_b32 v1, off, off offset:1112 ; 4-byte Folded Reload
	s_waitcnt vmcnt(0)
	v_add_f32_e32 v1, v1, v0
	scratch_store_b32 off, v1, off offset:1112 ; 4-byte Folded Spill
	ds_load_b128 v[0:3], v216 offset:4096
	s_waitcnt lgkmcnt(0)
	v_bfe_i32 v161, v0, 0, 8
	v_bfe_i32 v156, v0, 8, 8
	v_bfe_i32 v162, v0, 16, 8
	v_ashrrev_i32_e32 v163, 24, v0
	v_bfe_i32 v157, v1, 0, 8
	v_bfe_i32 v158, v1, 8, 8
	v_bfe_i32 v159, v1, 16, 8
	v_ashrrev_i32_e32 v160, 24, v1
	;; [unrolled: 4-line block ×4, first 2 shown]
	ds_load_b128 v[0:3], v216 offset:4112
	v_mul_i32_i24_e32 v183, v159, v132
	s_waitcnt lgkmcnt(0)
	v_bfe_i32 v23, v0, 0, 8
	v_bfe_i32 v70, v0, 8, 8
	;; [unrolled: 1-line block ×3, first 2 shown]
	v_ashrrev_i32_e32 v73, 24, v0
	scratch_load_b32 v0, off, off offset:220 ; 4-byte Folded Reload
	v_bfe_i32 v74, v1, 0, 8
	v_bfe_i32 v76, v1, 8, 8
	v_bfe_i32 v77, v1, 16, 8
	v_ashrrev_i32_e32 v78, 24, v1
	v_bfe_i32 v79, v2, 0, 8
	v_bfe_i32 v80, v2, 8, 8
	v_bfe_i32 v81, v2, 16, 8
	v_ashrrev_i32_e32 v105, 24, v2
	;; [unrolled: 4-line block ×3, first 2 shown]
	s_waitcnt vmcnt(0)
	ds_load_2addr_b64 v[0:3], v0 offset0:64 offset1:80
	ds_load_b128 v[164:167], v216 offset:4128
	s_clause 0x1f
	scratch_load_b32 v138, off, off offset:336
	scratch_load_b32 v235, off, off offset:340
	;; [unrolled: 1-line block ×32, first 2 shown]
	s_clause 0x3
	scratch_load_b32 v10, off, off offset:372
	scratch_load_b32 v11, off, off offset:376
	;; [unrolled: 1-line block ×4, first 2 shown]
	v_mov_b32_e32 v127, v16
	s_clause 0x9
	scratch_load_b32 v16, off, off offset:388
	scratch_load_b32 v5, off, off offset:1140
	;; [unrolled: 1-line block ×10, first 2 shown]
	v_mov_b32_e32 v37, v148
	scratch_load_b32 v148, off, off offset:572 ; 4-byte Folded Reload
	v_mov_b32_e32 v237, v238
	scratch_load_b32 v26, off, off offset:36 ; 4-byte Folded Reload
	s_waitcnt lgkmcnt(0)
	v_bfe_i32 v110, v164, 0, 8
	v_bfe_i32 v111, v164, 8, 8
	;; [unrolled: 1-line block ×3, first 2 shown]
	v_mul_i32_i24_e32 v182, v163, v237
	v_ashrrev_i32_e32 v113, 24, v164
	v_bfe_i32 v114, v165, 0, 8
	v_bfe_i32 v115, v165, 8, 8
	v_bfe_i32 v116, v165, 16, 8
	v_ashrrev_i32_e32 v117, 24, v165
	v_bfe_i32 v118, v166, 0, 8
	v_bfe_i32 v119, v166, 8, 8
	v_bfe_i32 v120, v166, 16, 8
	;; [unrolled: 4-line block ×3, first 2 shown]
	v_ashrrev_i32_e32 v125, 24, v167
	ds_load_b128 v[164:167], v216 offset:4144
	v_mul_i32_i24_e32 v185, v116, v33
	v_mul_i32_i24_e32 v186, v117, v36
	s_clause 0x3
	scratch_load_b32 v35, off, off offset:568
	scratch_load_b32 v49, off, off offset:576
	;; [unrolled: 1-line block ×4, first 2 shown]
	v_mov_b32_e32 v27, v65
	v_mov_b32_e32 v65, v82
	s_clause 0x6
	scratch_load_b32 v82, off, off offset:244
	scratch_load_b32 v230, off, off offset:1036
	;; [unrolled: 1-line block ×7, first 2 shown]
	s_clause 0x6
	scratch_store_b32 off, v218, off offset:840
	scratch_store_b32 off, v33, off offset:844
	;; [unrolled: 1-line block ×7, first 2 shown]
	s_waitcnt lgkmcnt(0)
	v_bfe_i32 v168, v164, 0, 8
	v_bfe_i32 v169, v164, 8, 8
	v_bfe_i32 v170, v164, 16, 8
	v_ashrrev_i32_e32 v164, 24, v164
	v_bfe_i32 v171, v165, 0, 8
	v_bfe_i32 v172, v165, 8, 8
	v_bfe_i32 v173, v165, 16, 8
	v_ashrrev_i32_e32 v165, 24, v165
	;; [unrolled: 4-line block ×4, first 2 shown]
	scratch_store_b32 off, v236, off offset:1040 ; 4-byte Folded Spill
	s_waitcnt vmcnt(58)
	v_mul_i32_i24_e32 v180, v161, v138
	s_waitcnt vmcnt(57)
	v_mul_i32_i24_e32 v181, v162, v235
	s_delay_alu instid0(VALU_DEP_2) | instskip(SKIP_2) | instid1(VALU_DEP_2)
	v_mad_i32_i24 v180, v156, v130, v180
	s_waitcnt vmcnt(50)
	v_mul_i32_i24_e32 v184, v160, v133
	v_add3_u32 v180, v180, v181, v182
	v_mul_i32_i24_e32 v181, v157, v129
	v_mul_i32_i24_e32 v182, v158, v131
	s_delay_alu instid0(VALU_DEP_1)
	v_add3_u32 v180, v180, v181, v182
	s_waitcnt vmcnt(48)
	v_mul_i32_i24_e32 v181, v126, v134
	s_waitcnt vmcnt(47)
	v_mul_i32_i24_e32 v182, v153, v135
	v_add3_u32 v180, v180, v183, v184
	s_waitcnt vmcnt(46)
	v_mul_i32_i24_e32 v183, v154, v136
	s_waitcnt vmcnt(45)
	v_mul_i32_i24_e32 v184, v155, v139
	v_add3_u32 v180, v180, v181, v182
	s_waitcnt vmcnt(42)
	v_mul_i32_i24_e32 v181, v4, v137
	v_mul_i32_i24_e32 v182, v69, v140
	s_delay_alu instid0(VALU_DEP_3) | instskip(SKIP_3) | instid1(VALU_DEP_3)
	v_add3_u32 v180, v180, v183, v184
	v_mul_i32_i24_e32 v183, v71, v143
	s_waitcnt vmcnt(41)
	v_mul_i32_i24_e32 v184, v75, v144
	v_add3_u32 v180, v180, v181, v182
	s_waitcnt vmcnt(40)
	v_mul_i32_i24_e32 v181, v23, v145
	s_waitcnt vmcnt(39)
	v_mul_i32_i24_e32 v182, v70, v96
	v_add3_u32 v180, v180, v183, v184
	s_waitcnt vmcnt(38)
	v_mul_i32_i24_e32 v183, v72, v97
	s_waitcnt vmcnt(36)
	v_mul_i32_i24_e32 v184, v73, v99
	v_add3_u32 v180, v180, v181, v182
	v_mul_i32_i24_e32 v181, v74, v98
	v_mul_i32_i24_e32 v182, v76, v100
	s_delay_alu instid0(VALU_DEP_3) | instskip(SKIP_2) | instid1(VALU_DEP_3)
	v_add3_u32 v180, v180, v183, v184
	v_mul_i32_i24_e32 v183, v77, v101
	v_mul_i32_i24_e32 v184, v78, v102
	v_add3_u32 v180, v180, v181, v182
	v_mul_i32_i24_e32 v181, v79, v104
	v_mul_i32_i24_e32 v182, v80, v212
	s_delay_alu instid0(VALU_DEP_3) | instskip(SKIP_2) | instid1(VALU_DEP_3)
	v_add3_u32 v180, v180, v183, v184
	v_mul_i32_i24_e32 v183, v81, v217
	;; [unrolled: 7-line block ×3, first 2 shown]
	v_mul_i32_i24_e32 v184, v109, v222
	v_add3_u32 v180, v180, v181, v182
	v_mul_i32_i24_e32 v182, v110, v14
	v_fma_mix_f32 v181, v224, v0, 0 op_sel:[0,1,0] op_sel_hi:[0,1,0]
	s_delay_alu instid0(VALU_DEP_3)
	v_add3_u32 v180, v180, v183, v184
	v_mul_i32_i24_e32 v183, v112, v85
	v_mul_i32_i24_e32 v184, v113, v86
	v_mad_i32_i24 v182, v111, v13, v182
	s_waitcnt vmcnt(22)
	v_fma_mix_f32 v181, v16, v1, v181 op_sel:[0,1,0] op_sel_hi:[0,1,0]
	v_mul_lo_u32 v180, v180, v223
	s_delay_alu instid0(VALU_DEP_3) | instskip(SKIP_4) | instid1(VALU_DEP_3)
	v_add3_u32 v182, v182, v183, v184
	v_mul_i32_i24_e32 v183, v114, v17
	v_mul_i32_i24_e32 v184, v115, v32
	v_mul_f32_e32 v181, v181, v147
	v_cvt_f32_i32_e32 v180, v180
	v_add3_u32 v182, v182, v183, v184
	v_mul_i32_i24_e32 v183, v118, v127
	v_mul_i32_i24_e32 v184, v119, v128
	s_delay_alu instid0(VALU_DEP_4) | instskip(NEXT) | instid1(VALU_DEP_4)
	v_fma_mix_f32 v180, v0, v180, 0 op_sel_hi:[1,0,0]
	v_add3_u32 v182, v182, v185, v186
	v_mul_i32_i24_e32 v185, v120, v149
	v_mul_i32_i24_e32 v186, v121, v150
	s_delay_alu instid0(VALU_DEP_3) | instskip(SKIP_2) | instid1(VALU_DEP_3)
	v_add3_u32 v182, v182, v183, v184
	v_mul_i32_i24_e32 v183, v122, v94
	v_mul_i32_i24_e32 v184, v123, v95
	v_add3_u32 v182, v182, v185, v186
	v_mul_i32_i24_e32 v185, v124, v151
	v_mul_i32_i24_e32 v186, v125, v152
	s_delay_alu instid0(VALU_DEP_3) | instskip(SKIP_2) | instid1(VALU_DEP_3)
	v_add3_u32 v182, v182, v183, v184
	v_mul_i32_i24_e32 v183, v168, v244
	v_mul_i32_i24_e32 v184, v169, v246
	v_add3_u32 v182, v182, v185, v186
	v_mul_i32_i24_e32 v185, v170, v248
	v_mul_i32_i24_e32 v186, v164, v250
	s_delay_alu instid0(VALU_DEP_3) | instskip(SKIP_2) | instid1(VALU_DEP_3)
	v_add3_u32 v182, v182, v183, v184
	v_mul_i32_i24_e32 v183, v171, v252
	v_mul_i32_i24_e32 v184, v172, v254
	v_add3_u32 v182, v182, v185, v186
	v_mul_i32_i24_e32 v185, v173, v146
	v_mul_i32_i24_e32 v186, v165, v20
	s_delay_alu instid0(VALU_DEP_3) | instskip(SKIP_2) | instid1(VALU_DEP_3)
	v_add3_u32 v182, v182, v183, v184
	v_mul_i32_i24_e32 v183, v174, v57
	v_mul_i32_i24_e32 v184, v175, v103
	v_add3_u32 v182, v182, v185, v186
	v_mul_i32_i24_e32 v185, v176, v18
	v_mul_i32_i24_e32 v186, v166, v213
	s_delay_alu instid0(VALU_DEP_3) | instskip(SKIP_2) | instid1(VALU_DEP_3)
	v_add3_u32 v182, v182, v183, v184
	v_mul_i32_i24_e32 v183, v177, v19
	v_mul_i32_i24_e32 v184, v178, v10
	v_add3_u32 v182, v182, v185, v186
	v_mul_i32_i24_e32 v185, v179, v11
	v_mul_i32_i24_e32 v186, v167, v12
	s_delay_alu instid0(VALU_DEP_3) | instskip(SKIP_2) | instid1(VALU_DEP_3)
	v_add3_u32 v182, v182, v183, v184
	v_mul_i32_i24_e32 v183, v159, v27
	v_mul_i32_i24_e32 v184, v160, v6
	v_add3_u32 v182, v182, v185, v186
	s_delay_alu instid0(VALU_DEP_1) | instskip(NEXT) | instid1(VALU_DEP_1)
	v_mul_lo_u32 v182, v182, v15
	v_cvt_f32_i32_e32 v182, v182
	s_delay_alu instid0(VALU_DEP_1) | instskip(SKIP_1) | instid1(VALU_DEP_2)
	v_fma_mix_f32 v180, v1, v182, v180 op_sel_hi:[1,0,0]
	v_mul_i32_i24_e32 v182, v163, v211
	v_fma_f32 v180, v180, v28, -v181
	v_mul_i32_i24_e32 v181, v162, v21
	s_waitcnt vmcnt(21)
	s_delay_alu instid0(VALU_DEP_2)
	v_add_f32_e32 v5, v5, v180
	v_mul_i32_i24_e32 v180, v161, v22
	scratch_store_b32 off, v5, off offset:1140 ; 4-byte Folded Spill
	v_mov_b32_e32 v5, v25
	scratch_load_b32 v25, off, off offset:528 ; 4-byte Folded Reload
	v_mad_i32_i24 v180, v156, v24, v180
	s_delay_alu instid0(VALU_DEP_1) | instskip(SKIP_3) | instid1(VALU_DEP_1)
	v_add3_u32 v180, v180, v181, v182
	s_waitcnt vmcnt(12)
	v_mul_i32_i24_e32 v181, v157, v26
	v_mul_i32_i24_e32 v182, v158, v64
	v_add3_u32 v180, v180, v181, v182
	v_mul_i32_i24_e32 v181, v126, v34
	v_mul_i32_i24_e32 v182, v153, v5
	s_delay_alu instid0(VALU_DEP_3) | instskip(SKIP_2) | instid1(VALU_DEP_3)
	v_add3_u32 v180, v180, v183, v184
	v_mul_i32_i24_e32 v183, v154, v37
	v_mul_i32_i24_e32 v184, v155, v148
	v_add3_u32 v180, v180, v181, v182
	v_mul_i32_i24_e32 v181, v4, v48
	s_waitcnt vmcnt(11)
	v_mul_i32_i24_e32 v182, v69, v35
	s_delay_alu instid0(VALU_DEP_3) | instskip(SKIP_3) | instid1(VALU_DEP_3)
	v_add3_u32 v180, v180, v183, v184
	s_waitcnt vmcnt(10)
	v_mul_i32_i24_e32 v183, v71, v49
	v_mul_i32_i24_e32 v184, v75, v50
	v_add3_u32 v180, v180, v181, v182
	v_mul_i32_i24_e32 v181, v23, v52
	v_mul_i32_i24_e32 v182, v70, v53
	s_delay_alu instid0(VALU_DEP_3) | instskip(SKIP_3) | instid1(VALU_DEP_3)
	v_add3_u32 v180, v180, v183, v184
	v_mul_i32_i24_e32 v183, v72, v54
	s_waitcnt vmcnt(9)
	v_mul_i32_i24_e32 v184, v73, v142
	v_add3_u32 v180, v180, v181, v182
	v_mul_i32_i24_e32 v181, v74, v56
	v_mul_i32_i24_e32 v182, v76, v58
	s_delay_alu instid0(VALU_DEP_3) | instskip(SKIP_2) | instid1(VALU_DEP_3)
	v_add3_u32 v180, v180, v183, v184
	v_mul_i32_i24_e32 v183, v77, v60
	v_mul_i32_i24_e32 v184, v78, v61
	v_add3_u32 v180, v180, v181, v182
	v_mul_i32_i24_e32 v181, v79, v65
	v_mul_i32_i24_e32 v182, v80, v66
	s_delay_alu instid0(VALU_DEP_3)
	v_add3_u32 v180, v180, v183, v184
	s_waitcnt vmcnt(7)
	v_mul_i32_i24_e32 v183, v81, v82
	v_mul_i32_i24_e32 v184, v105, v229
	scratch_load_b32 v229, off, off offset:800 ; 4-byte Folded Reload
	v_add3_u32 v180, v180, v181, v182
	v_mul_i32_i24_e32 v181, v106, v231
	v_mul_i32_i24_e32 v182, v107, v232
	s_clause 0x1
	scratch_load_b32 v231, off, off offset:908
	scratch_load_b32 v232, off, off offset:912
	v_add3_u32 v180, v180, v183, v184
	v_mul_i32_i24_e32 v183, v108, v225
	s_delay_alu instid0(VALU_DEP_2)
	v_add3_u32 v180, v180, v181, v182
	s_waitcnt vmcnt(3)
	v_mul_i32_i24_e32 v184, v109, v25
	scratch_load_b32 v25, off, off offset:804 ; 4-byte Folded Reload
	v_add3_u32 v180, v180, v183, v184
	s_waitcnt vmcnt(0)
	s_delay_alu instid0(VALU_DEP_1) | instskip(SKIP_2) | instid1(VALU_DEP_1)
	v_mul_lo_u32 v180, v180, v25
	scratch_load_b32 v25, off, off offset:556 ; 4-byte Folded Reload
	v_cvt_f32_i32_e32 v180, v180
	v_fma_mix_f32 v180, v0, v180, 0 op_sel_hi:[1,0,0]
	s_waitcnt vmcnt(0)
	v_fma_mix_f32 v181, v25, v0, 0 op_sel:[0,1,0] op_sel_hi:[0,1,0]
	scratch_load_b32 v25, off, off offset:1020 ; 4-byte Folded Reload
	v_fma_mix_f32 v181, v67, v1, v181 op_sel:[0,1,0] op_sel_hi:[0,1,0]
	s_delay_alu instid0(VALU_DEP_1)
	v_mul_f32_e32 v181, v181, v43
	s_waitcnt vmcnt(0)
	v_mul_i32_i24_e32 v182, v110, v25
	scratch_load_b32 v25, off, off offset:1024 ; 4-byte Folded Reload
	s_waitcnt vmcnt(0)
	v_mul_i32_i24_e32 v183, v112, v25
	scratch_load_b32 v25, off, off offset:536 ; 4-byte Folded Reload
	s_waitcnt vmcnt(0)
	v_mul_i32_i24_e32 v184, v113, v25
	scratch_load_b32 v25, off, off offset:808 ; 4-byte Folded Reload
	s_waitcnt vmcnt(0)
	v_mad_i32_i24 v182, v111, v25, v182
	scratch_load_b32 v25, off, off offset:1060 ; 4-byte Folded Reload
	v_add3_u32 v182, v182, v183, v184
	v_mul_i32_i24_e32 v183, v114, v236
	s_waitcnt vmcnt(0)
	v_mul_i32_i24_e32 v184, v115, v25
	scratch_load_b32 v25, off, off offset:540 ; 4-byte Folded Reload
	v_add3_u32 v182, v182, v183, v184
	s_waitcnt vmcnt(0)
	v_mul_i32_i24_e32 v185, v116, v25
	scratch_load_b32 v25, off, off offset:1028 ; 4-byte Folded Reload
	s_waitcnt vmcnt(0)
	v_mul_i32_i24_e32 v186, v117, v25
	scratch_load_b32 v25, off, off offset:544 ; 4-byte Folded Reload
	v_add3_u32 v182, v182, v185, v186
	v_mul_i32_i24_e32 v186, v121, v226
	s_waitcnt vmcnt(0)
	v_mul_i32_i24_e32 v183, v118, v25
	scratch_load_b32 v25, off, off offset:548 ; 4-byte Folded Reload
	s_waitcnt vmcnt(0)
	v_mul_i32_i24_e32 v184, v119, v25
	scratch_load_b32 v25, off, off offset:552 ; 4-byte Folded Reload
	v_add3_u32 v182, v182, v183, v184
	v_mul_i32_i24_e32 v183, v122, v227
	v_mul_i32_i24_e32 v184, v123, v228
	s_waitcnt vmcnt(0)
	v_mul_i32_i24_e32 v185, v120, v25
	scratch_load_b32 v25, off, off offset:1136 ; 4-byte Folded Reload
	v_add3_u32 v182, v182, v185, v186
	v_mul_i32_i24_e32 v185, v124, v229
	v_mul_i32_i24_e32 v186, v125, v230
	s_delay_alu instid0(VALU_DEP_3) | instskip(SKIP_2) | instid1(VALU_DEP_3)
	v_add3_u32 v182, v182, v183, v184
	v_mul_i32_i24_e32 v183, v168, v231
	v_mul_i32_i24_e32 v184, v169, v232
	v_add3_u32 v182, v182, v185, v186
	v_mul_i32_i24_e32 v185, v170, v233
	v_mul_i32_i24_e32 v186, v164, v234
	s_delay_alu instid0(VALU_DEP_3) | instskip(SKIP_2) | instid1(VALU_DEP_3)
	v_add3_u32 v182, v182, v183, v184
	v_mul_i32_i24_e32 v183, v171, v238
	v_mul_i32_i24_e32 v184, v172, v239
	;; [unrolled: 7-line block ×4, first 2 shown]
	v_add3_u32 v182, v182, v185, v186
	v_mul_i32_i24_e32 v185, v179, v253
	v_mul_i32_i24_e32 v186, v167, v255
	s_delay_alu instid0(VALU_DEP_3) | instskip(NEXT) | instid1(VALU_DEP_1)
	v_add3_u32 v182, v182, v183, v184
	v_add3_u32 v182, v182, v185, v186
	s_delay_alu instid0(VALU_DEP_1) | instskip(SKIP_4) | instid1(VALU_DEP_1)
	v_mul_lo_u32 v182, v182, v215
	v_mov_b32_e32 v215, v43
	scratch_load_b32 v43, off, off offset:980 ; 4-byte Folded Reload
	v_mov_b32_e32 v67, v141
	v_cvt_f32_i32_e32 v182, v182
	v_fma_mix_f32 v180, v1, v182, v180 op_sel_hi:[1,0,0]
	s_delay_alu instid0(VALU_DEP_1)
	v_fma_f32 v180, v180, v141, -v181
	scratch_load_b32 v141, off, off offset:396 ; 4-byte Folded Reload
	s_waitcnt vmcnt(2)
	v_add_f32_e32 v25, v25, v180
	scratch_store_b32 off, v25, off offset:1136 ; 4-byte Folded Spill
	scratch_load_b32 v25, off, off offset:212 ; 4-byte Folded Reload
	s_waitcnt vmcnt(0)
	v_mul_i32_i24_e32 v180, v161, v25
	scratch_load_b32 v25, off, off offset:24 ; 4-byte Folded Reload
	s_waitcnt vmcnt(0)
	v_mul_i32_i24_e32 v181, v162, v25
	scratch_load_b32 v25, off, off offset:216 ; 4-byte Folded Reload
	v_mul_i32_i24_e32 v162, v162, v209
	s_waitcnt vmcnt(0)
	v_mul_i32_i24_e32 v182, v163, v25
	scratch_load_b32 v25, off, off offset:208 ; 4-byte Folded Reload
	v_mul_i32_i24_e32 v163, v163, v208
	s_waitcnt vmcnt(0)
	v_mad_i32_i24 v180, v156, v25, v180
	scratch_load_b32 v25, off, off offset:4 ; 4-byte Folded Reload
	v_add3_u32 v180, v180, v181, v182
	s_waitcnt vmcnt(0)
	v_mul_i32_i24_e32 v181, v157, v25
	scratch_load_b32 v25, off, off offset:748 ; 4-byte Folded Reload
	v_mul_i32_i24_e32 v157, v157, v92
	scratch_load_b32 v92, off, off offset:136 ; 4-byte Folded Reload
	s_waitcnt vmcnt(1)
	v_mul_i32_i24_e32 v182, v158, v25
	scratch_load_b32 v25, off, off offset:200 ; 4-byte Folded Reload
	v_mul_i32_i24_e32 v158, v158, v91
	scratch_load_b32 v91, off, off offset:132 ; 4-byte Folded Reload
	v_add3_u32 v180, v180, v181, v182
	v_mul_i32_i24_e32 v181, v126, v43
	v_mul_i32_i24_e32 v126, v126, v84
	scratch_load_b32 v84, off, off offset:1048 ; 4-byte Folded Reload
	s_waitcnt vmcnt(2)
	v_mul_i32_i24_e32 v183, v159, v25
	scratch_load_b32 v25, off, off offset:752 ; 4-byte Folded Reload
	v_mul_i32_i24_e32 v159, v159, v89
	scratch_load_b32 v89, off, off offset:1052 ; 4-byte Folded Reload
	s_waitcnt vmcnt(1)
	v_mul_i32_i24_e32 v184, v160, v25
	scratch_load_b32 v25, off, off offset:44 ; 4-byte Folded Reload
	v_mul_i32_i24_e32 v160, v160, v88
	scratch_load_b32 v88, off, off offset:128 ; 4-byte Folded Reload
	v_add3_u32 v180, v180, v183, v184
	s_waitcnt vmcnt(1)
	v_mul_i32_i24_e32 v182, v153, v25
	scratch_load_b32 v25, off, off offset:48 ; 4-byte Folded Reload
	v_mul_i32_i24_e32 v153, v153, v44
	scratch_load_b32 v44, off, off offset:528 ; 4-byte Folded Reload
	v_add3_u32 v180, v180, v181, v182
	s_waitcnt vmcnt(1)
	v_mul_i32_i24_e32 v183, v154, v25
	scratch_load_b32 v25, off, off offset:56 ; 4-byte Folded Reload
	v_mul_i32_i24_e32 v154, v154, v62
	s_waitcnt vmcnt(0)
	v_mul_i32_i24_e32 v184, v155, v25
	scratch_load_b32 v25, off, off offset:52 ; 4-byte Folded Reload
	v_mul_i32_i24_e32 v155, v155, v40
	scratch_load_b32 v40, off, off offset:1008 ; 4-byte Folded Reload
	v_add3_u32 v180, v180, v183, v184
	v_mul_i32_i24_e32 v184, v75, v141
	v_mul_i32_i24_e32 v75, v75, v41
	scratch_load_b32 v41, off, off offset:1012 ; 4-byte Folded Reload
	s_waitcnt vmcnt(2)
	v_mul_i32_i24_e32 v181, v4, v25
	scratch_load_b32 v25, off, off offset:60 ; 4-byte Folded Reload
	v_mul_i32_i24_e32 v4, v4, v83
	scratch_load_b32 v83, off, off offset:904 ; 4-byte Folded Reload
	s_waitcnt vmcnt(1)
	v_mul_i32_i24_e32 v182, v69, v25
	scratch_load_b32 v25, off, off offset:64 ; 4-byte Folded Reload
	v_mul_i32_i24_e32 v69, v69, v87
	scratch_load_b32 v87, off, off offset:124 ; 4-byte Folded Reload
	v_add3_u32 v180, v180, v181, v182
	v_mul_i32_i24_e32 v181, v23, v29
	scratch_load_b32 v29, off, off offset:400 ; 4-byte Folded Reload
	v_mul_i32_i24_e32 v23, v23, v45
	scratch_load_b32 v45, off, off offset:804 ; 4-byte Folded Reload
	s_waitcnt vmcnt(3)
	v_mul_i32_i24_e32 v183, v71, v25
	scratch_load_b32 v25, off, off offset:488 ; 4-byte Folded Reload
	v_mul_i32_i24_e32 v71, v71, v42
	scratch_load_b32 v42, off, off offset:1016 ; 4-byte Folded Reload
	v_add3_u32 v180, v180, v183, v184
	s_waitcnt vmcnt(1)
	v_mul_i32_i24_e32 v182, v70, v25
	scratch_load_b32 v25, off, off offset:492 ; 4-byte Folded Reload
	v_add3_u32 v180, v180, v181, v182
	v_mul_i32_i24_e32 v181, v74, v30
	scratch_load_b32 v30, off, off offset:40 ; 4-byte Folded Reload
	s_waitcnt vmcnt(1)
	v_mul_i32_i24_e32 v183, v72, v25
	scratch_load_b32 v25, off, off offset:496 ; 4-byte Folded Reload
	s_waitcnt vmcnt(0)
	v_mul_i32_i24_e32 v184, v73, v25
	scratch_load_b32 v25, off, off offset:500 ; 4-byte Folded Reload
	v_add3_u32 v180, v180, v183, v184
	v_mul_i32_i24_e32 v184, v78, v29
	s_waitcnt vmcnt(0)
	v_mul_i32_i24_e32 v182, v76, v25
	scratch_load_b32 v25, off, off offset:192 ; 4-byte Folded Reload
	v_add3_u32 v180, v180, v181, v182
	s_waitcnt vmcnt(0)
	v_mul_i32_i24_e32 v183, v77, v25
	scratch_load_b32 v25, off, off offset:68 ; 4-byte Folded Reload
	v_add3_u32 v180, v180, v183, v184
	s_waitcnt vmcnt(0)
	v_mul_i32_i24_e32 v181, v79, v25
	scratch_load_b32 v25, off, off offset:72 ; 4-byte Folded Reload
	s_waitcnt vmcnt(0)
	v_mul_i32_i24_e32 v182, v80, v25
	scratch_load_b32 v25, off, off offset:764 ; 4-byte Folded Reload
	v_add3_u32 v180, v180, v181, v182
	s_waitcnt vmcnt(0)
	v_mul_i32_i24_e32 v183, v81, v25
	scratch_load_b32 v25, off, off offset:504 ; 4-byte Folded Reload
	;; [unrolled: 7-line block ×4, first 2 shown]
	s_waitcnt vmcnt(0)
	v_mul_i32_i24_e32 v184, v109, v25
	scratch_load_b32 v25, off, off offset:508 ; 4-byte Folded Reload
	v_add3_u32 v180, v180, v183, v184
	s_waitcnt vmcnt(0)
	s_delay_alu instid0(VALU_DEP_1) | instskip(SKIP_2) | instid1(VALU_DEP_1)
	v_mul_lo_u32 v180, v180, v25
	scratch_load_b32 v25, off, off offset:84 ; 4-byte Folded Reload
	v_cvt_f32_i32_e32 v180, v180
	v_fma_mix_f32 v180, v0, v180, 0 op_sel_hi:[1,0,0]
	s_waitcnt vmcnt(0)
	v_fma_mix_f32 v181, v25, v0, 0 op_sel:[0,1,0] op_sel_hi:[0,1,0]
	scratch_load_b32 v25, off, off offset:92 ; 4-byte Folded Reload
	v_fma_mix_f32 v181, v30, v1, v181 op_sel:[0,1,0] op_sel_hi:[0,1,0]
	s_delay_alu instid0(VALU_DEP_1)
	v_mul_f32_e32 v181, v181, v214
	s_waitcnt vmcnt(0)
	v_mul_i32_i24_e32 v182, v110, v25
	scratch_load_b32 v25, off, off offset:96 ; 4-byte Folded Reload
	s_waitcnt vmcnt(0)
	v_mul_i32_i24_e32 v183, v112, v25
	scratch_load_b32 v25, off, off offset:768 ; 4-byte Folded Reload
	;; [unrolled: 3-line block ×3, first 2 shown]
	s_waitcnt vmcnt(0)
	v_mad_i32_i24 v182, v111, v25, v182
	scratch_load_b32 v25, off, off offset:28 ; 4-byte Folded Reload
	v_add3_u32 v182, v182, v183, v184
	v_mul_i32_i24_e32 v184, v115, v31
	scratch_load_b32 v31, off, off offset:404 ; 4-byte Folded Reload
	s_waitcnt vmcnt(1)
	v_mul_i32_i24_e32 v183, v114, v25
	scratch_load_b32 v25, off, off offset:196 ; 4-byte Folded Reload
	v_add3_u32 v182, v182, v183, v184
	s_waitcnt vmcnt(1)
	v_mul_i32_i24_e32 v186, v117, v31
	s_waitcnt vmcnt(0)
	v_mul_i32_i24_e32 v185, v116, v25
	scratch_load_b32 v25, off, off offset:100 ; 4-byte Folded Reload
	v_add3_u32 v182, v182, v185, v186
	s_waitcnt vmcnt(0)
	v_mul_i32_i24_e32 v183, v118, v25
	scratch_load_b32 v25, off, off offset:104 ; 4-byte Folded Reload
	s_waitcnt vmcnt(0)
	v_mul_i32_i24_e32 v184, v119, v25
	scratch_load_b32 v25, off, off offset:108 ; 4-byte Folded Reload
	v_add3_u32 v182, v182, v183, v184
	s_waitcnt vmcnt(0)
	v_mul_i32_i24_e32 v185, v120, v25
	scratch_load_b32 v25, off, off offset:112 ; 4-byte Folded Reload
	;; [unrolled: 7-line block ×12, first 2 shown]
	s_waitcnt vmcnt(0)
	v_mul_i32_i24_e32 v186, v167, v25
	scratch_load_b32 v25, off, off offset:8 ; 4-byte Folded Reload
	v_add3_u32 v182, v182, v185, v186
	s_waitcnt vmcnt(0)
	s_delay_alu instid0(VALU_DEP_1) | instskip(SKIP_2) | instid1(VALU_DEP_1)
	v_mul_lo_u32 v182, v182, v25
	scratch_load_b32 v25, off, off offset:1132 ; 4-byte Folded Reload
	v_cvt_f32_i32_e32 v182, v182
	v_fma_mix_f32 v180, v1, v182, v180 op_sel_hi:[1,0,0]
	s_delay_alu instid0(VALU_DEP_1) | instskip(SKIP_1) | instid1(VALU_DEP_1)
	v_fma_f32 v180, v180, v90, -v181
	s_waitcnt vmcnt(0)
	v_add_f32_e32 v25, v25, v180
	scratch_store_b32 off, v25, off offset:1132 ; 4-byte Folded Spill
	scratch_load_b32 v25, off, off offset:480 ; 4-byte Folded Reload
	s_waitcnt vmcnt(0)
	v_mul_i32_i24_e32 v161, v161, v25
	scratch_load_b32 v25, off, off offset:468 ; 4-byte Folded Reload
	v_mad_i32_i24 v156, v156, v93, v161
	scratch_load_b32 v93, off, off offset:140 ; 4-byte Folded Reload
	v_add3_u32 v156, v156, v162, v163
	s_delay_alu instid0(VALU_DEP_1) | instskip(NEXT) | instid1(VALU_DEP_1)
	v_add3_u32 v156, v156, v157, v158
	v_add3_u32 v156, v156, v159, v160
	s_delay_alu instid0(VALU_DEP_1) | instskip(NEXT) | instid1(VALU_DEP_1)
	v_add3_u32 v126, v156, v126, v153
	v_add3_u32 v126, v126, v154, v155
	ds_load_b128 v[153:156], v216 offset:5120
	v_add3_u32 v4, v126, v4, v69
	v_mul_i32_i24_e32 v69, v70, v46
	v_mul_i32_i24_e32 v70, v72, v51
	scratch_load_b32 v51, off, off offset:480 ; 4-byte Folded Reload
	v_add3_u32 v4, v4, v71, v75
	v_mul_i32_i24_e32 v71, v73, v38
	scratch_load_b32 v38, off, off offset:1000 ; 4-byte Folded Reload
	v_add3_u32 v4, v4, v23, v69
	v_mul_i32_i24_e32 v23, v74, v55
	scratch_load_b32 v55, off, off offset:992 ; 4-byte Folded Reload
	v_mul_i32_i24_e32 v69, v76, v63
	scratch_load_b32 v63, off, off offset:532 ; 4-byte Folded Reload
	v_add3_u32 v4, v4, v70, v71
	v_mul_i32_i24_e32 v71, v78, v39
	s_clause 0x1
	scratch_load_b32 v78, off, off offset:472
	scratch_load_b32 v39, off, off offset:1004
	v_mul_i32_i24_e32 v70, v77, v68
	v_add3_u32 v4, v4, v23, v69
	s_waitcnt lgkmcnt(0)
	v_bfe_i32 v208, v153, 0, 8
	v_bfe_i32 v209, v153, 16, 8
	;; [unrolled: 1-line block ×4, first 2 shown]
	v_add3_u32 v4, v4, v70, v71
	v_bfe_i32 v185, v155, 16, 8
	v_ashrrev_i32_e32 v186, 24, v155
	v_bfe_i32 v180, v156, 8, 8
	v_bfe_i32 v181, v156, 16, 8
	v_ashrrev_i32_e32 v182, 24, v156
	v_mov_b32_e32 v68, v90
	s_waitcnt vmcnt(7)
	v_mul_i32_i24_e32 v23, v79, v25
	scratch_load_b32 v79, off, off offset:996 ; 4-byte Folded Reload
	s_waitcnt vmcnt(4)
	v_mul_i32_i24_e32 v69, v80, v55
	scratch_load_b32 v80, off, off offset:408 ; 4-byte Folded Reload
	v_add3_u32 v4, v4, v23, v69
	v_mul_i32_i24_e32 v69, v107, v38
	scratch_load_b32 v107, off, off offset:784 ; 4-byte Folded Reload
	s_waitcnt vmcnt(4)
	v_mul_i32_i24_e32 v71, v105, v78
	v_mul_i32_i24_e32 v23, v106, v63
	s_clause 0x1
	scratch_load_b32 v106, off, off offset:788
	scratch_load_b32 v105, off, off offset:1056
	s_waitcnt vmcnt(4)
	v_mul_i32_i24_e32 v70, v81, v79
	scratch_load_b32 v81, off, off offset:1044 ; 4-byte Folded Reload
	v_add3_u32 v4, v4, v70, v71
	v_mul_i32_i24_e32 v70, v108, v39
	v_mul_i32_i24_e32 v71, v109, v40
	v_mov_b32_e32 v109, v8
	s_delay_alu instid0(VALU_DEP_4) | instskip(SKIP_2) | instid1(VALU_DEP_3)
	v_add3_u32 v4, v4, v23, v69
	v_mul_i32_i24_e32 v23, v110, v83
	v_mov_b32_e32 v110, v9
	v_add3_u32 v4, v4, v70, v71
	s_delay_alu instid0(VALU_DEP_3) | instskip(SKIP_1) | instid1(VALU_DEP_3)
	v_mad_i32_i24 v23, v111, v84, v23
	v_mov_b32_e32 v111, v7
	v_mul_lo_u32 v4, v4, v41
	s_delay_alu instid0(VALU_DEP_1) | instskip(NEXT) | instid1(VALU_DEP_1)
	v_cvt_f32_i32_e32 v4, v4
	v_fma_mix_f32 v4, v0, v4, 0 op_sel_hi:[1,0,0]
	v_fma_mix_f32 v0, v42, v0, 0 op_sel:[0,1,0] op_sel_hi:[0,1,0]
	s_delay_alu instid0(VALU_DEP_1)
	v_fma_mix_f32 v0, v187, v1, v0 op_sel:[0,1,0] op_sel_hi:[0,1,0]
	v_bfe_i32 v187, v154, 0, 8
	s_waitcnt vmcnt(4)
	v_mul_i32_i24_e32 v69, v112, v80
	scratch_load_b32 v112, off, off offset:900 ; 4-byte Folded Reload
	s_waitcnt vmcnt(3)
	v_mul_i32_i24_e32 v71, v116, v106
	s_waitcnt vmcnt(2)
	v_mul_i32_i24_e32 v72, v117, v105
	v_dual_mov_b32 v116, v202 :: v_dual_mov_b32 v117, v203
	s_waitcnt vmcnt(1)
	v_mul_i32_i24_e32 v70, v113, v81
	s_delay_alu instid0(VALU_DEP_1) | instskip(SKIP_3) | instid1(VALU_DEP_2)
	v_add3_u32 v23, v23, v69, v70
	v_mul_i32_i24_e32 v69, v114, v89
	v_mul_i32_i24_e32 v70, v115, v107
	v_mov_b32_e32 v114, v200
	v_add3_u32 v23, v23, v69, v70
	v_mul_i32_i24_e32 v69, v118, v8
	v_mul_i32_i24_e32 v70, v119, v9
	v_dual_mov_b32 v118, v204 :: v_dual_mov_b32 v119, v205
	s_delay_alu instid0(VALU_DEP_4)
	v_add3_u32 v23, v23, v71, v72
	v_mul_i32_i24_e32 v71, v120, v7
	v_dual_mov_b32 v120, v206 :: v_dual_mov_b32 v115, v201
	scratch_load_b32 v8, off, off offset:76 ; 4-byte Folded Reload
	v_add3_u32 v23, v23, v69, v70
	v_mul_i32_i24_e32 v69, v122, v205
	v_mul_i32_i24_e32 v70, v123, v206
	v_mov_b32_e32 v122, v210
	s_clause 0x1
	scratch_load_b32 v9, off, off offset:484
	scratch_load_b32 v7, off, off offset:204
	s_waitcnt vmcnt(3)
	v_mul_i32_i24_e32 v72, v121, v112
	v_mov_b32_e32 v121, v207
	s_delay_alu instid0(VALU_DEP_2)
	v_add3_u32 v23, v23, v71, v72
	v_mul_i32_i24_e32 v71, v124, v207
	v_mul_i32_i24_e32 v72, v125, v210
	v_bfe_i32 v207, v153, 8, 8
	v_ashrrev_i32_e32 v210, 24, v153
	v_add3_u32 v23, v23, v69, v70
	v_mul_i32_i24_e32 v69, v168, v201
	v_mul_i32_i24_e32 v70, v169, v202
	v_mov_b32_e32 v124, v198
	v_mul_f32_e32 v0, v0, v59
	v_add3_u32 v23, v23, v71, v72
	v_mul_i32_i24_e32 v71, v170, v203
	v_mul_i32_i24_e32 v72, v164, v204
	v_mov_b32_e32 v108, v59
	scratch_load_b32 v59, off, off offset:764 ; 4-byte Folded Reload
	v_add3_u32 v23, v23, v69, v70
	v_mul_i32_i24_e32 v69, v171, v197
	v_mul_i32_i24_e32 v70, v172, v198
	v_bfe_i32 v171, v156, 0, 8
	v_mov_b32_e32 v90, v108
	v_add3_u32 v23, v23, v71, v72
	v_mul_i32_i24_e32 v71, v173, v199
	v_mul_i32_i24_e32 v72, v165, v200
	s_delay_alu instid0(VALU_DEP_3) | instskip(SKIP_2) | instid1(VALU_DEP_3)
	v_add3_u32 v23, v23, v69, v70
	v_mul_i32_i24_e32 v69, v174, v193
	v_mul_i32_i24_e32 v70, v175, v194
	v_add3_u32 v23, v23, v71, v72
	v_mul_i32_i24_e32 v71, v176, v195
	v_mul_i32_i24_e32 v72, v166, v196
	s_delay_alu instid0(VALU_DEP_3)
	v_add3_u32 v23, v23, v69, v70
	v_mul_i32_i24_e32 v69, v177, v189
	v_mul_i32_i24_e32 v70, v178, v190
	v_bfe_i32 v189, v154, 16, 8
	v_ashrrev_i32_e32 v190, 24, v154
	v_add3_u32 v23, v23, v71, v72
	v_mul_i32_i24_e32 v71, v179, v191
	v_mul_i32_i24_e32 v72, v167, v192
	;; [unrolled: 1-line block ×4, first 2 shown]
	v_add3_u32 v23, v23, v69, v70
	v_mul_i32_i24_e32 v70, v209, v235
	v_mov_b32_e32 v132, v242
	s_clause 0x1
	scratch_load_b32 v242, off, off offset:492
	scratch_load_b32 v235, off, off offset:412
	v_add3_u32 v23, v23, v71, v72
	v_mul_i32_i24_e32 v72, v210, v237
	scratch_load_b32 v237, off, off offset:420 ; 4-byte Folded Reload
	v_mul_lo_u32 v23, v23, v188
	v_bfe_i32 v188, v154, 8, 8
	ds_load_b128 v[153:156], v216 offset:5136
	v_cvt_f32_i32_e32 v23, v23
	s_delay_alu instid0(VALU_DEP_1)
	v_fma_mix_f32 v4, v1, v23, v4 op_sel_hi:[1,0,0]
	v_mul_i32_i24_e32 v23, v208, v138
	v_mov_b32_e32 v138, v253
	scratch_load_b32 v1, off, off offset:1128 ; 4-byte Folded Reload
	v_mov_b32_e32 v125, v47
	v_fma_f32 v0, v4, v47, -v0
	v_mad_i32_i24 v23, v207, v130, v23
	scratch_load_b32 v47, off, off offset:1024 ; 4-byte Folded Reload
	v_mov_b32_e32 v130, v240
	s_waitcnt lgkmcnt(0)
	v_bfe_i32 v203, v153, 0, 8
	v_bfe_i32 v204, v153, 8, 8
	v_add3_u32 v23, v23, v70, v72
	v_mul_i32_i24_e32 v70, v187, v129
	v_mul_i32_i24_e32 v72, v188, v131
	v_bfe_i32 v205, v153, 16, 8
	v_ashrrev_i32_e32 v206, 24, v153
	v_bfe_i32 v200, v154, 8, 8
	v_bfe_i32 v201, v154, 16, 8
	v_add3_u32 v23, v23, v70, v72
	v_mul_i32_i24_e32 v70, v183, v134
	v_mul_i32_i24_e32 v72, v184, v135
	v_dual_mov_b32 v134, v245 :: v_dual_mov_b32 v113, v199
	s_delay_alu instid0(VALU_DEP_4)
	v_add3_u32 v23, v23, v73, v74
	v_mul_i32_i24_e32 v73, v185, v136
	v_mul_i32_i24_e32 v74, v186, v139
	v_bfe_i32 v199, v154, 0, 8
	v_ashrrev_i32_e32 v202, 24, v154
	v_add3_u32 v23, v23, v70, v72
	v_mul_i32_i24_e32 v70, v171, v137
	v_mul_i32_i24_e32 v72, v180, v140
	v_bfe_i32 v195, v155, 0, 8
	v_bfe_i32 v196, v155, 8, 8
	v_add3_u32 v23, v23, v73, v74
	v_mul_i32_i24_e32 v73, v181, v143
	v_mul_i32_i24_e32 v74, v182, v144
	v_ashrrev_i32_e32 v198, 24, v155
	v_bfe_i32 v191, v156, 0, 8
	v_add3_u32 v23, v23, v70, v72
	v_mul_i32_i24_e32 v70, v203, v145
	v_mul_i32_i24_e32 v72, v204, v96
	v_bfe_i32 v192, v156, 8, 8
	v_bfe_i32 v193, v156, 16, 8
	v_add3_u32 v23, v23, v73, v74
	v_mul_i32_i24_e32 v73, v205, v97
	v_mul_i32_i24_e32 v74, v206, v99
	v_ashrrev_i32_e32 v194, 24, v156
	v_mov_b32_e32 v136, v249
	v_add3_u32 v23, v23, v70, v72
	v_mov_b32_e32 v123, v197
	v_bfe_i32 v197, v155, 16, 8
	ds_load_b128 v[153:156], v216 offset:5152
	v_mul_i32_i24_e32 v70, v199, v98
	v_add3_u32 v23, v23, v73, v74
	v_mul_i32_i24_e32 v72, v200, v100
	v_mul_i32_i24_e32 v73, v201, v101
	;; [unrolled: 1-line block ×3, first 2 shown]
	v_mov_b32_e32 v144, v226
	scratch_load_b32 v145, off, off offset:1028 ; 4-byte Folded Reload
	v_add3_u32 v23, v23, v70, v72
	v_mul_i32_i24_e32 v70, v195, v104
	v_mul_i32_i24_e32 v72, v196, v212
	s_clause 0x1
	scratch_load_b32 v212, off, off offset:1060
	scratch_load_b32 v143, off, off offset:976
	v_add3_u32 v23, v23, v73, v74
	v_mul_i32_i24_e32 v73, v197, v217
	v_mul_i32_i24_e32 v74, v198, v219
	s_clause 0x1
	scratch_load_b32 v217, off, off offset:1020
	scratch_load_b32 v140, off, off offset:972
	v_add3_u32 v23, v23, v70, v72
	v_mul_i32_i24_e32 v70, v191, v218
	s_waitcnt lgkmcnt(0)
	v_bfe_i32 v177, v153, 0, 8
	v_mul_i32_i24_e32 v72, v192, v220
	v_bfe_i32 v176, v153, 8, 8
	v_add3_u32 v23, v23, v73, v74
	v_bfe_i32 v178, v153, 16, 8
	v_ashrrev_i32_e32 v179, 24, v153
	v_mul_i32_i24_e32 v73, v193, v221
	v_mul_i32_i24_e32 v74, v194, v222
	v_add3_u32 v23, v23, v70, v72
	v_mul_i32_i24_e32 v72, v177, v14
	v_bfe_i32 v172, v154, 0, 8
	v_bfe_i32 v173, v154, 8, 8
	;; [unrolled: 1-line block ×3, first 2 shown]
	v_add3_u32 v23, v23, v73, v74
	v_mad_i32_i24 v72, v176, v13, v72
	scratch_load_b32 v13, off, off offset:1156 ; 4-byte Folded Reload
	v_mul_i32_i24_e32 v73, v178, v85
	v_mul_i32_i24_e32 v74, v179, v86
	v_ashrrev_i32_e32 v175, 24, v154
	v_bfe_i32 v167, v155, 0, 8
	v_bfe_i32 v168, v155, 8, 8
	;; [unrolled: 1-line block ×3, first 2 shown]
	v_add3_u32 v72, v72, v73, v74
	v_mul_i32_i24_e32 v73, v172, v17
	v_mul_i32_i24_e32 v74, v173, v32
	v_ashrrev_i32_e32 v170, 24, v155
	v_bfe_i32 v163, v156, 0, 8
	v_bfe_i32 v164, v156, 8, 8
	;; [unrolled: 1-line block ×3, first 2 shown]
	v_ashrrev_i32_e32 v166, 24, v156
	ds_load_b128 v[153:156], v216 offset:5168
	v_mul_i32_i24_e32 v76, v174, v33
	v_mul_i32_i24_e32 v77, v175, v36
	v_add3_u32 v72, v72, v73, v74
	v_mul_i32_i24_e32 v74, v168, v128
	v_mov_b32_e32 v14, v50
	v_mul_i32_i24_e32 v73, v167, v127
	v_mul_lo_u32 v23, v23, v223
	v_add3_u32 v72, v72, v76, v77
	v_mul_i32_i24_e32 v76, v169, v149
	v_mul_i32_i24_e32 v77, v170, v150
	v_fma_mix_f32 v70, v224, v2, 0 op_sel:[0,1,0] op_sel_hi:[0,1,0]
	v_mov_b32_e32 v36, v58
	v_add3_u32 v72, v72, v73, v74
	v_mul_i32_i24_e32 v73, v163, v94
	v_mul_i32_i24_e32 v74, v164, v95
	v_cvt_f32_i32_e32 v23, v23
	v_fma_mix_f32 v70, v16, v3, v70 op_sel:[0,1,0] op_sel_hi:[0,1,0]
	v_add3_u32 v72, v72, v76, v77
	v_mul_i32_i24_e32 v76, v165, v151
	s_waitcnt lgkmcnt(0)
	v_bfe_i32 v159, v153, 0, 8
	v_bfe_i32 v160, v153, 8, 8
	v_mul_i32_i24_e32 v77, v166, v152
	v_add3_u32 v72, v72, v73, v74
	v_bfe_i32 v161, v153, 16, 8
	v_ashrrev_i32_e32 v162, 24, v153
	v_mul_i32_i24_e32 v73, v159, v244
	v_mul_i32_i24_e32 v74, v160, v246
	v_add3_u32 v72, v72, v76, v77
	v_bfe_i32 v62, v154, 0, 8
	v_bfe_i32 v46, v154, 8, 8
	v_mul_i32_i24_e32 v76, v161, v248
	v_mul_i32_i24_e32 v77, v162, v250
	v_add3_u32 v72, v72, v73, v74
	v_bfe_i32 v157, v154, 16, 8
	v_ashrrev_i32_e32 v158, 24, v154
	v_mul_i32_i24_e32 v73, v62, v252
	v_mul_i32_i24_e32 v74, v46, v254
	v_add3_u32 v72, v72, v76, v77
	v_bfe_i32 v75, v155, 0, 8
	v_bfe_i32 v126, v155, 8, 8
	v_mul_i32_i24_e32 v76, v157, v146
	v_mul_i32_i24_e32 v77, v158, v20
	v_add3_u32 v72, v72, v73, v74
	v_bfe_i32 v4, v155, 16, 8
	v_ashrrev_i32_e32 v153, 24, v155
	v_mul_i32_i24_e32 v73, v75, v57
	v_mul_i32_i24_e32 v74, v126, v103
	v_add3_u32 v72, v72, v76, v77
	v_mul_i32_i24_e32 v76, v4, v18
	v_mul_i32_i24_e32 v77, v153, v213
	v_bfe_i32 v69, v156, 16, 8
	v_ashrrev_i32_e32 v71, 24, v156
	v_add3_u32 v72, v72, v73, v74
	v_fma_mix_f32 v23, v2, v23, 0 op_sel_hi:[1,0,0]
	v_mul_f32_e32 v70, v70, v147
	v_dual_mov_b32 v128, v231 :: v_dual_mov_b32 v213, v48
	s_delay_alu instid0(VALU_DEP_4)
	v_add3_u32 v72, v72, v76, v77
	v_mul_i32_i24_e32 v76, v69, v11
	v_mul_i32_i24_e32 v77, v71, v12
	v_mov_b32_e32 v150, v234
	v_mov_b32_e32 v152, v232
	s_clause 0x2
	scratch_load_b32 v33, off, off offset:780
	scratch_load_b32 v127, off, off offset:808
	;; [unrolled: 1-line block ×3, first 2 shown]
	v_mov_b32_e32 v149, v233
	scratch_load_b32 v226, off, off offset:748 ; 4-byte Folded Reload
	v_mov_b32_e32 v131, v241
	scratch_load_b32 v231, off, off offset:44 ; 4-byte Folded Reload
	v_mov_b32_e32 v133, v243
	s_clause 0x2
	scratch_load_b32 v232, off, off offset:48
	scratch_load_b32 v234, off, off offset:56
	;; [unrolled: 1-line block ×3, first 2 shown]
	v_mov_b32_e32 v139, v255
	s_clause 0x8
	scratch_load_b32 v240, off, off offset:756
	scratch_load_b32 v241, off, off offset:488
	;; [unrolled: 1-line block ×9, first 2 shown]
	v_mov_b32_e32 v17, v53
	s_clause 0xd
	scratch_load_b32 v57, off, off offset:96
	scratch_load_b32 v85, off, off offset:116
	;; [unrolled: 1-line block ×14, first 2 shown]
	v_mov_b32_e32 v12, v148
	scratch_load_b32 v32, off, off offset:20 ; 4-byte Folded Reload
	v_mov_b32_e32 v18, v52
	s_clause 0xe
	scratch_load_b32 v48, off, off offset:228
	scratch_load_b32 v20, off, off offset:476
	;; [unrolled: 1-line block ×15, first 2 shown]
	s_waitcnt vmcnt(54)
	v_add_f32_e32 v1, v1, v0
	v_bfe_i32 v0, v156, 0, 8
	scratch_store_b32 off, v1, off offset:1128 ; 4-byte Folded Spill
	v_bfe_i32 v1, v156, 8, 8
	v_mul_i32_i24_e32 v73, v0, v19
	v_mov_b32_e32 v19, v54
	s_delay_alu instid0(VALU_DEP_3)
	v_mul_i32_i24_e32 v74, v1, v10
	scratch_load_b32 v10, off, off offset:16 ; 4-byte Folded Reload
	v_add3_u32 v72, v72, v73, v74
	v_mul_i32_i24_e32 v73, v189, v27
	v_mul_i32_i24_e32 v74, v190, v6
	scratch_load_b32 v27, off, off offset:588 ; 4-byte Folded Reload
	v_add3_u32 v72, v72, v76, v77
	s_delay_alu instid0(VALU_DEP_1) | instskip(NEXT) | instid1(VALU_DEP_1)
	v_mul_lo_u32 v72, v72, v15
	v_cvt_f32_i32_e32 v72, v72
	s_delay_alu instid0(VALU_DEP_1) | instskip(SKIP_1) | instid1(VALU_DEP_2)
	v_fma_mix_f32 v23, v3, v72, v23 op_sel_hi:[1,0,0]
	v_mul_i32_i24_e32 v72, v210, v211
	v_fma_f32 v23, v23, v28, -v70
	v_mul_i32_i24_e32 v70, v209, v21
	scratch_load_b32 v21, off, off offset:440 ; 4-byte Folded Reload
	s_waitcnt vmcnt(55)
	v_mul_i32_i24_e32 v77, v175, v145
	s_waitcnt vmcnt(50)
	v_add_f32_e32 v13, v13, v23
	v_mul_i32_i24_e32 v23, v208, v22
	scratch_load_b32 v22, off, off offset:444 ; 4-byte Folded Reload
	v_mad_i32_i24 v23, v207, v24, v23
	scratch_load_b32 v24, off, off offset:208 ; 4-byte Folded Reload
	v_add3_u32 v23, v23, v70, v72
	v_mul_i32_i24_e32 v70, v187, v26
	v_mul_i32_i24_e32 v72, v188, v64
	s_clause 0x1
	scratch_load_b32 v26, off, off offset:108
	scratch_load_b32 v64, off, off offset:868
	v_add3_u32 v23, v23, v70, v72
	v_mul_i32_i24_e32 v72, v184, v5
	scratch_load_b32 v5, off, off offset:516 ; 4-byte Folded Reload
	v_mul_i32_i24_e32 v70, v183, v34
	v_mov_b32_e32 v34, v56
	v_add3_u32 v23, v23, v73, v74
	v_mul_i32_i24_e32 v73, v185, v37
	v_mul_i32_i24_e32 v74, v186, v148
	v_mov_b32_e32 v129, v239
	scratch_load_b32 v148, off, off offset:188 ; 4-byte Folded Reload
	v_add3_u32 v23, v23, v70, v72
	v_mul_i32_i24_e32 v70, v171, v213
	v_mul_i32_i24_e32 v72, v180, v35
	v_mov_b32_e32 v37, v81
	s_delay_alu instid0(VALU_DEP_4)
	v_add3_u32 v23, v23, v73, v74
	v_mul_i32_i24_e32 v73, v181, v49
	v_mul_i32_i24_e32 v74, v182, v50
	scratch_load_b32 v50, off, off offset:80 ; 4-byte Folded Reload
	v_add3_u32 v23, v23, v70, v72
	v_mul_i32_i24_e32 v70, v203, v52
	v_mul_i32_i24_e32 v72, v204, v53
	s_clause 0x1
	scratch_load_b32 v53, off, off offset:88
	scratch_load_b32 v52, off, off offset:84
	v_add3_u32 v23, v23, v73, v74
	v_mul_i32_i24_e32 v73, v205, v54
	v_mul_i32_i24_e32 v74, v206, v142
	v_mov_b32_e32 v142, v230
	v_mov_b32_e32 v230, v43
	v_add3_u32 v23, v23, v70, v72
	v_mul_i32_i24_e32 v70, v199, v56
	v_mul_i32_i24_e32 v72, v200, v58
	scratch_load_b32 v43, off, off offset:1148 ; 4-byte Folded Reload
	scratch_store_b32 off, v13, off offset:1156 ; 4-byte Folded Spill
	v_add3_u32 v23, v23, v73, v74
	v_mul_i32_i24_e32 v73, v201, v60
	v_mul_i32_i24_e32 v74, v202, v61
	v_mov_b32_e32 v13, v49
	scratch_load_b32 v49, off, off offset:1152 ; 4-byte Folded Reload
	v_add3_u32 v23, v23, v70, v72
	v_mul_i32_i24_e32 v70, v195, v65
	v_mul_i32_i24_e32 v72, v196, v66
	v_mov_b32_e32 v137, v251
	scratch_load_b32 v56, off, off offset:92 ; 4-byte Folded Reload
	v_add3_u32 v23, v23, v73, v74
	v_mul_i32_i24_e32 v73, v197, v82
	s_clause 0x2
	scratch_load_b32 v58, off, off offset:768
	scratch_load_b32 v60, off, off offset:772
	;; [unrolled: 1-line block ×3, first 2 shown]
	v_add3_u32 v23, v23, v70, v72
	s_clause 0x2
	scratch_load_b32 v66, off, off offset:100
	scratch_load_b32 v82, off, off offset:104
	;; [unrolled: 1-line block ×3, first 2 shown]
	v_mov_b32_e32 v65, v31
	scratch_load_b32 v31, off, off offset:232 ; 4-byte Folded Reload
	s_waitcnt vmcnt(62)
	v_mul_i32_i24_e32 v74, v198, v33
	s_delay_alu instid0(VALU_DEP_1)
	v_add3_u32 v23, v23, v73, v74
	v_mul_i32_i24_e32 v73, v193, v225
	v_mul_i32_i24_e32 v74, v194, v44
	scratch_load_b32 v225, off, off offset:24 ; 4-byte Folded Reload
	s_waitcnt vmcnt(15)
	v_mul_i32_i24_e32 v70, v191, v5
	scratch_load_b32 v5, off, off offset:520 ; 4-byte Folded Reload
	s_waitcnt vmcnt(0)
	v_mul_i32_i24_e32 v72, v192, v5
	scratch_load_b32 v5, off, off offset:556 ; 4-byte Folded Reload
	v_add3_u32 v23, v23, v70, v72
	v_mul_i32_i24_e32 v72, v177, v217
	s_delay_alu instid0(VALU_DEP_2) | instskip(SKIP_1) | instid1(VALU_DEP_3)
	v_add3_u32 v23, v23, v73, v74
	v_mul_i32_i24_e32 v73, v178, v47
	v_mad_i32_i24 v72, v176, v127, v72
	s_delay_alu instid0(VALU_DEP_3) | instskip(NEXT) | instid1(VALU_DEP_1)
	v_mul_lo_u32 v23, v23, v45
	v_cvt_f32_i32_e32 v23, v23
	s_delay_alu instid0(VALU_DEP_1) | instskip(SKIP_4) | instid1(VALU_DEP_1)
	v_fma_mix_f32 v23, v2, v23, 0 op_sel_hi:[1,0,0]
	s_waitcnt vmcnt(0)
	v_fma_mix_f32 v70, v5, v2, 0 op_sel:[0,1,0] op_sel_hi:[0,1,0]
	scratch_load_b32 v5, off, off offset:536 ; 4-byte Folded Reload
	v_fma_mix_f32 v70, v143, v3, v70 op_sel:[0,1,0] op_sel_hi:[0,1,0]
	v_mul_f32_e32 v70, v70, v215
	v_mov_b32_e32 v151, v238
	scratch_load_b32 v238, off, off offset:64 ; 4-byte Folded Reload
	v_mov_b32_e32 v239, v141
	v_mov_b32_e32 v251, v29
	scratch_load_b32 v29, off, off offset:112 ; 4-byte Folded Reload
	v_mov_b32_e32 v141, v41
	s_waitcnt vmcnt(2)
	v_mul_i32_i24_e32 v74, v179, v5
	scratch_load_b32 v5, off, off offset:540 ; 4-byte Folded Reload
	v_add3_u32 v72, v72, v73, v74
	v_mul_i32_i24_e32 v73, v172, v236
	v_mul_i32_i24_e32 v74, v173, v212
	scratch_load_b32 v236, off, off offset:60 ; 4-byte Folded Reload
	v_add3_u32 v72, v72, v73, v74
	s_waitcnt vmcnt(1)
	v_mul_i32_i24_e32 v76, v174, v5
	scratch_load_b32 v5, off, off offset:544 ; 4-byte Folded Reload
	v_add3_u32 v72, v72, v76, v77
	v_mul_i32_i24_e32 v77, v170, v144
	s_waitcnt vmcnt(0)
	v_mul_i32_i24_e32 v73, v167, v5
	scratch_load_b32 v5, off, off offset:548 ; 4-byte Folded Reload
	s_waitcnt vmcnt(0)
	v_mul_i32_i24_e32 v74, v168, v5
	scratch_load_b32 v5, off, off offset:552 ; 4-byte Folded Reload
	v_add3_u32 v72, v72, v73, v74
	v_mul_i32_i24_e32 v73, v163, v227
	scratch_load_b32 v227, off, off offset:216 ; 4-byte Folded Reload
	v_mul_i32_i24_e32 v74, v164, v228
	scratch_load_b32 v228, off, off offset:200 ; 4-byte Folded Reload
	v_mov_b32_e32 v135, v247
	scratch_load_b32 v247, off, off offset:500 ; 4-byte Folded Reload
	s_waitcnt vmcnt(3)
	v_mul_i32_i24_e32 v76, v169, v5
	scratch_load_b32 v5, off, off offset:4  ; 4-byte Folded Reload
	v_add3_u32 v72, v72, v76, v77
	v_mul_i32_i24_e32 v76, v165, v229
	v_mul_i32_i24_e32 v77, v166, v142
	scratch_load_b32 v229, off, off offset:752 ; 4-byte Folded Reload
	v_add3_u32 v72, v72, v73, v74
	v_mul_i32_i24_e32 v73, v159, v128
	v_mul_i32_i24_e32 v74, v160, v152
	s_delay_alu instid0(VALU_DEP_3) | instskip(SKIP_2) | instid1(VALU_DEP_3)
	v_add3_u32 v72, v72, v76, v77
	v_mul_i32_i24_e32 v76, v161, v149
	v_mul_i32_i24_e32 v77, v162, v150
	v_add3_u32 v72, v72, v73, v74
	v_mul_i32_i24_e32 v73, v62, v151
	v_mul_i32_i24_e32 v74, v46, v129
	s_delay_alu instid0(VALU_DEP_3) | instskip(SKIP_2) | instid1(VALU_DEP_3)
	v_add3_u32 v72, v72, v76, v77
	v_mul_i32_i24_e32 v76, v157, v130
	v_mul_i32_i24_e32 v77, v158, v131
	;; [unrolled: 7-line block ×4, first 2 shown]
	v_add3_u32 v72, v72, v73, v74
	s_waitcnt vmcnt(3)
	v_mul_i32_i24_e32 v73, v189, v228
	s_delay_alu instid0(VALU_DEP_2) | instskip(SKIP_2) | instid1(VALU_DEP_3)
	v_add3_u32 v72, v72, v76, v77
	v_mul_i32_i24_e32 v76, v174, v61
	v_mul_i32_i24_e32 v77, v175, v65
	v_mul_lo_u32 v72, v72, v140
	s_delay_alu instid0(VALU_DEP_1) | instskip(NEXT) | instid1(VALU_DEP_1)
	v_cvt_f32_i32_e32 v72, v72
	v_fma_mix_f32 v23, v3, v72, v23 op_sel_hi:[1,0,0]
	v_mul_i32_i24_e32 v72, v210, v227
	s_delay_alu instid0(VALU_DEP_2) | instskip(SKIP_1) | instid1(VALU_DEP_2)
	v_fma_f32 v23, v23, v67, -v70
	v_mul_i32_i24_e32 v70, v209, v225
	v_add_f32_e32 v49, v49, v23
	v_mul_i32_i24_e32 v23, v208, v146
	s_delay_alu instid0(VALU_DEP_1) | instskip(NEXT) | instid1(VALU_DEP_1)
	v_mad_i32_i24 v23, v207, v24, v23
	v_add3_u32 v23, v23, v70, v72
	v_mul_i32_i24_e32 v72, v188, v226
	s_waitcnt vmcnt(1)
	v_mul_i32_i24_e32 v70, v187, v5
	scratch_load_b32 v5, off, off offset:28 ; 4-byte Folded Reload
	v_add3_u32 v23, v23, v70, v72
	v_mul_i32_i24_e32 v70, v183, v230
	s_waitcnt vmcnt(1)
	v_mul_i32_i24_e32 v74, v190, v229
	v_mul_i32_i24_e32 v72, v184, v231
	s_delay_alu instid0(VALU_DEP_2) | instskip(SKIP_2) | instid1(VALU_DEP_3)
	v_add3_u32 v23, v23, v73, v74
	v_mul_i32_i24_e32 v73, v185, v232
	v_mul_i32_i24_e32 v74, v186, v234
	v_add3_u32 v23, v23, v70, v72
	v_mul_i32_i24_e32 v70, v171, v233
	v_mul_i32_i24_e32 v72, v180, v236
	s_delay_alu instid0(VALU_DEP_3) | instskip(SKIP_2) | instid1(VALU_DEP_3)
	v_add3_u32 v23, v23, v73, v74
	v_mul_i32_i24_e32 v73, v181, v238
	v_mul_i32_i24_e32 v74, v182, v239
	v_add3_u32 v23, v23, v70, v72
	v_mul_i32_i24_e32 v70, v203, v240
	v_mul_i32_i24_e32 v72, v204, v241
	s_delay_alu instid0(VALU_DEP_3) | instskip(SKIP_2) | instid1(VALU_DEP_3)
	;; [unrolled: 7-line block ×5, first 2 shown]
	v_add3_u32 v23, v23, v73, v74
	v_mul_i32_i24_e32 v73, v193, v10
	v_mul_i32_i24_e32 v74, v194, v50
	v_add3_u32 v23, v23, v70, v72
	v_mul_i32_i24_e32 v72, v177, v56
	v_fma_mix_f32 v70, v52, v2, 0 op_sel:[0,1,0] op_sel_hi:[0,1,0]
	s_delay_alu instid0(VALU_DEP_3)
	v_add3_u32 v23, v23, v73, v74
	v_mul_i32_i24_e32 v73, v178, v57
	v_mul_i32_i24_e32 v74, v179, v58
	v_mad_i32_i24 v72, v176, v53, v72
	v_fma_mix_f32 v70, v30, v3, v70 op_sel:[0,1,0] op_sel_hi:[0,1,0]
	v_mul_lo_u32 v23, v23, v54
	v_mov_b32_e32 v30, v105
	s_delay_alu instid0(VALU_DEP_4) | instskip(SKIP_3) | instid1(VALU_DEP_1)
	v_add3_u32 v72, v72, v73, v74
	v_mul_i32_i24_e32 v74, v173, v60
	v_mul_f32_e32 v70, v70, v214
	v_cvt_f32_i32_e32 v23, v23
	v_fma_mix_f32 v23, v2, v23, 0 op_sel_hi:[1,0,0]
	s_waitcnt vmcnt(0)
	v_mul_i32_i24_e32 v73, v172, v5
	scratch_load_b32 v5, off, off offset:8  ; 4-byte Folded Reload
	v_add3_u32 v72, v72, v73, v74
	v_mul_i32_i24_e32 v73, v167, v66
	v_mul_i32_i24_e32 v74, v168, v82
	s_delay_alu instid0(VALU_DEP_3) | instskip(SKIP_2) | instid1(VALU_DEP_3)
	v_add3_u32 v72, v72, v76, v77
	v_mul_i32_i24_e32 v76, v169, v26
	v_mul_i32_i24_e32 v77, v170, v29
	v_add3_u32 v72, v72, v73, v74
	v_mul_i32_i24_e32 v73, v163, v85
	v_mul_i32_i24_e32 v74, v164, v86
	s_delay_alu instid0(VALU_DEP_3) | instskip(SKIP_2) | instid1(VALU_DEP_3)
	v_add3_u32 v72, v72, v76, v77
	v_mul_i32_i24_e32 v76, v165, v87
	v_mul_i32_i24_e32 v77, v166, v88
	;; [unrolled: 7-line block ×4, first 2 shown]
	v_add3_u32 v72, v72, v73, v74
	v_mul_i32_i24_e32 v73, v75, v99
	v_mul_i32_i24_e32 v74, v126, v100
	s_delay_alu instid0(VALU_DEP_3) | instskip(SKIP_3) | instid1(VALU_DEP_4)
	v_add3_u32 v72, v72, v76, v77
	v_mul_i32_i24_e32 v76, v4, v101
	v_mul_i32_i24_e32 v77, v153, v102
	;; [unrolled: 1-line block ×3, first 2 shown]
	v_add3_u32 v72, v72, v73, v74
	v_mul_i32_i24_e32 v73, v0, v103
	v_mul_i32_i24_e32 v74, v1, v104
	s_delay_alu instid0(VALU_DEP_3) | instskip(SKIP_2) | instid1(VALU_DEP_3)
	v_add3_u32 v72, v72, v76, v77
	v_mul_i32_i24_e32 v76, v69, v32
	v_mul_i32_i24_e32 v77, v71, v148
	v_add3_u32 v72, v72, v73, v74
	v_mul_i32_i24_e32 v73, v189, v22
	v_mul_i32_i24_e32 v74, v190, v218
	v_mov_b32_e32 v190, v83
	scratch_load_b32 v189, off, off offset:836 ; 4-byte Folded Reload
	v_add3_u32 v72, v72, v76, v77
	s_waitcnt vmcnt(1)
	s_delay_alu instid0(VALU_DEP_1) | instskip(SKIP_2) | instid1(VALU_DEP_1)
	v_mul_lo_u32 v72, v72, v5
	scratch_load_b32 v5, off, off offset:464 ; 4-byte Folded Reload
	v_cvt_f32_i32_e32 v72, v72
	v_fma_mix_f32 v23, v3, v72, v23 op_sel_hi:[1,0,0]
	v_mul_i32_i24_e32 v72, v210, v9
	v_mov_b32_e32 v210, v107
	s_delay_alu instid0(VALU_DEP_3) | instskip(SKIP_2) | instid1(VALU_DEP_3)
	v_fma_f32 v23, v23, v68, -v70
	v_mul_i32_i24_e32 v70, v209, v48
	v_mov_b32_e32 v209, v112
	v_add_f32_e32 v43, v43, v23
	scratch_store_b32 off, v49, off offset:1152 ; 4-byte Folded Spill
	v_mul_i32_i24_e32 v23, v208, v51
	v_mov_b32_e32 v208, v111
	v_mov_b32_e32 v49, v79
	scratch_store_b32 off, v43, off offset:1148 ; 4-byte Folded Spill
	scratch_load_b32 v43, off, off offset:460 ; 4-byte Folded Reload
	v_mad_i32_i24 v23, v207, v7, v23
	v_mov_b32_e32 v207, v110
	s_delay_alu instid0(VALU_DEP_2)
	v_add3_u32 v23, v23, v70, v72
	v_mul_i32_i24_e32 v70, v187, v20
	v_mul_i32_i24_e32 v72, v188, v21
	scratch_load_b32 v188, off, off offset:832 ; 4-byte Folded Reload
	v_mov_b32_e32 v187, v84
	v_add3_u32 v23, v23, v70, v72
	v_mul_i32_i24_e32 v70, v183, v219
	v_mul_i32_i24_e32 v72, v184, v220
	s_delay_alu instid0(VALU_DEP_3) | instskip(SKIP_2) | instid1(VALU_DEP_3)
	v_add3_u32 v23, v23, v73, v74
	v_mul_i32_i24_e32 v73, v185, v221
	v_mul_i32_i24_e32 v74, v186, v223
	v_add3_u32 v23, v23, v70, v72
	v_mul_i32_i24_e32 v70, v171, v222
	v_mul_i32_i24_e32 v72, v180, v224
	s_delay_alu instid0(VALU_DEP_3) | instskip(SKIP_2) | instid1(VALU_DEP_3)
	v_add3_u32 v23, v23, v73, v74
	v_mul_i32_i24_e32 v73, v181, v235
	v_mul_i32_i24_e32 v74, v182, v237
	v_add3_u32 v23, v23, v70, v72
	v_mul_i32_i24_e32 v70, v203, v244
	v_mul_i32_i24_e32 v72, v204, v246
	v_dual_mov_b32 v203, v120 :: v_dual_mov_b32 v204, v121
	s_delay_alu instid0(VALU_DEP_4) | instskip(SKIP_3) | instid1(VALU_DEP_4)
	v_add3_u32 v23, v23, v73, v74
	v_mul_i32_i24_e32 v73, v205, v248
	v_mul_i32_i24_e32 v74, v206, v252
	v_dual_mov_b32 v206, v109 :: v_dual_mov_b32 v205, v122
	v_add3_u32 v23, v23, v70, v72
	v_mul_i32_i24_e32 v70, v199, v250
	v_mul_i32_i24_e32 v72, v200, v254
	v_dual_mov_b32 v199, v116 :: v_dual_mov_b32 v200, v117
	s_delay_alu instid0(VALU_DEP_4) | instskip(NEXT) | instid1(VALU_DEP_1)
	v_add3_u32 v23, v23, v73, v74
	v_add3_u32 v23, v23, v70, v72
	v_mul_i32_i24_e32 v70, v195, v25
	v_mul_i32_i24_e32 v72, v196, v55
	v_mov_b32_e32 v196, v113
	v_mov_b32_e32 v25, v89
	s_waitcnt vmcnt(2)
	v_mul_i32_i24_e32 v74, v202, v5
	v_dual_mov_b32 v202, v119 :: v_dual_mov_b32 v195, v124
	s_waitcnt vmcnt(1)
	v_mul_i32_i24_e32 v73, v201, v43
	v_mov_b32_e32 v201, v118
	s_delay_alu instid0(VALU_DEP_2) | instskip(SKIP_3) | instid1(VALU_DEP_4)
	v_add3_u32 v23, v23, v73, v74
	v_mul_i32_i24_e32 v73, v197, v79
	v_mul_i32_i24_e32 v74, v198, v78
	v_dual_mov_b32 v198, v115 :: v_dual_mov_b32 v197, v114
	v_add3_u32 v23, v23, v70, v72
	v_mul_i32_i24_e32 v70, v191, v63
	v_mul_i32_i24_e32 v72, v192, v38
	s_clause 0x1
	scratch_load_b32 v191, off, off offset:724
	scratch_load_b32 v63, off, off offset:236
	v_add3_u32 v23, v23, v73, v74
	v_mul_i32_i24_e32 v73, v193, v39
	v_mul_i32_i24_e32 v74, v194, v40
	s_clause 0x1
	scratch_load_b32 v192, off, off offset:604
	scratch_load_b32 v193, off, off offset:728
	v_add3_u32 v23, v23, v70, v72
	v_mul_i32_i24_e32 v70, v178, v80
	v_mul_i32_i24_e32 v72, v179, v81
	v_mov_b32_e32 v194, v123
	s_waitcnt vmcnt(4)
	v_mul_i32_i24_e32 v0, v0, v188
	v_add3_u32 v23, v23, v73, v74
	v_mul_i32_i24_e32 v73, v174, v106
	v_mul_i32_i24_e32 v74, v175, v105
	v_mov_b32_e32 v211, v125
	s_delay_alu instid0(VALU_DEP_4) | instskip(NEXT) | instid1(VALU_DEP_1)
	v_mul_lo_u32 v23, v23, v41
	v_cvt_f32_i32_e32 v23, v23
	s_delay_alu instid0(VALU_DEP_1) | instskip(SKIP_3) | instid1(VALU_DEP_3)
	v_fma_mix_f32 v171, v2, v23, 0 op_sel_hi:[1,0,0]
	v_mul_i32_i24_e32 v23, v177, v83
	v_fma_mix_f32 v2, v42, v2, 0 op_sel:[0,1,0] op_sel_hi:[0,1,0]
	v_mov_b32_e32 v83, v80
	v_mad_i32_i24 v23, v176, v84, v23
	v_mov_b32_e32 v84, v29
	s_delay_alu instid0(VALU_DEP_2) | instskip(SKIP_3) | instid1(VALU_DEP_2)
	v_add3_u32 v23, v23, v70, v72
	v_mul_i32_i24_e32 v70, v172, v89
	v_mul_i32_i24_e32 v72, v173, v210
	v_mov_b32_e32 v89, v106
	v_add3_u32 v23, v23, v70, v72
	v_mul_i32_i24_e32 v70, v167, v206
	v_mul_i32_i24_e32 v72, v168, v207
	s_delay_alu instid0(VALU_DEP_3) | instskip(SKIP_2) | instid1(VALU_DEP_3)
	v_add3_u32 v23, v23, v73, v74
	v_mul_i32_i24_e32 v73, v169, v208
	v_mul_i32_i24_e32 v74, v170, v209
	v_add3_u32 v23, v23, v70, v72
	v_mul_i32_i24_e32 v70, v163, v202
	v_mul_i32_i24_e32 v72, v164, v203
	s_delay_alu instid0(VALU_DEP_3) | instskip(SKIP_2) | instid1(VALU_DEP_3)
	v_add3_u32 v23, v23, v73, v74
	v_mul_i32_i24_e32 v73, v165, v204
	v_mul_i32_i24_e32 v74, v166, v205
	;; [unrolled: 7-line block ×3, first 2 shown]
	v_add3_u32 v23, v23, v70, v72
	v_mul_i32_i24_e32 v70, v62, v194
	scratch_load_b32 v62, off, off offset:984 ; 4-byte Folded Reload
	v_mul_i32_i24_e32 v72, v46, v195
	v_mov_b32_e32 v46, v28
	v_add3_u32 v23, v23, v73, v74
	v_mul_i32_i24_e32 v73, v157, v196
	v_mul_i32_i24_e32 v74, v158, v197
	s_delay_alu instid0(VALU_DEP_3) | instskip(NEXT) | instid1(VALU_DEP_1)
	v_add3_u32 v23, v23, v70, v72
	v_add3_u32 v23, v23, v73, v74
	s_waitcnt vmcnt(4)
	v_mul_i32_i24_e32 v70, v75, v191
	s_waitcnt vmcnt(3)
	v_mul_i32_i24_e32 v1, v1, v63
	;; [unrolled: 2-line block ×4, first 2 shown]
	s_delay_alu instid0(VALU_DEP_2) | instskip(NEXT) | instid1(VALU_DEP_1)
	v_add3_u32 v23, v23, v70, v72
	v_add3_u32 v4, v23, v4, v73
	v_mul_i32_i24_e32 v23, v69, v189
	v_mul_i32_i24_e32 v69, v71, v31
	s_delay_alu instid0(VALU_DEP_3) | instskip(NEXT) | instid1(VALU_DEP_1)
	v_add3_u32 v0, v4, v0, v1
	v_add3_u32 v0, v0, v23, v69
	s_delay_alu instid0(VALU_DEP_1) | instskip(NEXT) | instid1(VALU_DEP_1)
	v_mul_lo_u32 v0, v0, v27
	v_cvt_f32_i32_e32 v0, v0
	s_delay_alu instid0(VALU_DEP_1) | instskip(SKIP_2) | instid1(VALU_DEP_1)
	v_fma_mix_f32 v0, v3, v0, v171 op_sel_hi:[1,0,0]
	s_waitcnt vmcnt(0)
	v_fma_mix_f32 v1, v62, v3, v2 op_sel:[0,1,0] op_sel_hi:[0,1,0]
	v_mul_f32_e32 v1, v1, v90
	s_delay_alu instid0(VALU_DEP_1)
	v_fma_f32 v0, v0, v211, -v1
	scratch_load_b32 v1, off, off offset:1144 ; 4-byte Folded Reload
	s_waitcnt vmcnt(0)
	v_add_f32_e32 v1, v1, v0
	scratch_store_b32 off, v1, off offset:1144 ; 4-byte Folded Spill
	ds_load_b128 v[0:3], v216 offset:6144
	s_waitcnt lgkmcnt(0)
	v_bfe_i32 v4, v0, 0, 8
	v_bfe_i32 v23, v0, 8, 8
	v_bfe_i32 v69, v0, 16, 8
	v_ashrrev_i32_e32 v70, 24, v0
	v_bfe_i32 v71, v1, 0, 8
	v_bfe_i32 v72, v1, 8, 8
	v_bfe_i32 v73, v1, 16, 8
	v_ashrrev_i32_e32 v74, 24, v1
	;; [unrolled: 4-line block ×4, first 2 shown]
	ds_load_b128 v[0:3], v216 offset:6160
	s_waitcnt lgkmcnt(0)
	v_bfe_i32 v106, v0, 0, 8
	v_bfe_i32 v107, v0, 8, 8
	;; [unrolled: 1-line block ×3, first 2 shown]
	v_ashrrev_i32_e32 v109, 24, v0
	scratch_load_b32 v0, off, off offset:220 ; 4-byte Folded Reload
	v_bfe_i32 v110, v1, 0, 8
	v_bfe_i32 v111, v1, 8, 8
	v_bfe_i32 v112, v1, 16, 8
	v_ashrrev_i32_e32 v113, 24, v1
	v_bfe_i32 v114, v2, 0, 8
	v_bfe_i32 v115, v2, 8, 8
	v_bfe_i32 v116, v2, 16, 8
	v_ashrrev_i32_e32 v117, 24, v2
	;; [unrolled: 4-line block ×3, first 2 shown]
	s_waitcnt vmcnt(0)
	ds_load_2addr_b64 v[0:3], v0 offset0:96 offset1:112
	ds_load_b128 v[153:156], v216 offset:6176
	s_clause 0x1
	scratch_load_b32 v15, off, off offset:336
	scratch_load_b32 v41, off, off offset:268
	s_waitcnt lgkmcnt(0)
	v_bfe_i32 v122, v153, 0, 8
	v_bfe_i32 v124, v153, 16, 8
	v_ashrrev_i32_e32 v125, 24, v153
	v_bfe_i32 v123, v153, 8, 8
	v_bfe_i32 v126, v154, 0, 8
	;; [unrolled: 1-line block ×4, first 2 shown]
	v_ashrrev_i32_e32 v159, 24, v154
	v_bfe_i32 v160, v155, 0, 8
	v_bfe_i32 v161, v155, 8, 8
	;; [unrolled: 1-line block ×3, first 2 shown]
	v_ashrrev_i32_e32 v163, 24, v155
	v_bfe_i32 v164, v156, 0, 8
	v_bfe_i32 v165, v156, 8, 8
	;; [unrolled: 1-line block ×3, first 2 shown]
	v_ashrrev_i32_e32 v167, 24, v156
	ds_load_b128 v[153:156], v216 offset:6192
	s_waitcnt lgkmcnt(0)
	v_bfe_i32 v168, v153, 0, 8
	v_bfe_i32 v169, v153, 8, 8
	v_bfe_i32 v170, v153, 16, 8
	v_ashrrev_i32_e32 v153, 24, v153
	v_bfe_i32 v171, v154, 0, 8
	v_bfe_i32 v172, v154, 8, 8
	v_bfe_i32 v173, v154, 16, 8
	v_ashrrev_i32_e32 v154, 24, v154
	;; [unrolled: 4-line block ×4, first 2 shown]
	s_waitcnt vmcnt(1)
	v_mul_i32_i24_e32 v180, v4, v15
	scratch_load_b32 v15, off, off offset:340 ; 4-byte Folded Reload
	s_waitcnt vmcnt(0)
	v_mul_i32_i24_e32 v181, v69, v15
	scratch_load_b32 v15, off, off offset:732 ; 4-byte Folded Reload
	;; [unrolled: 3-line block ×3, first 2 shown]
	s_waitcnt vmcnt(0)
	v_mad_i32_i24 v180, v23, v15, v180
	scratch_load_b32 v15, off, off offset:332 ; 4-byte Folded Reload
	v_add3_u32 v180, v180, v181, v182
	s_waitcnt vmcnt(0)
	v_mul_i32_i24_e32 v181, v71, v15
	scratch_load_b32 v15, off, off offset:656 ; 4-byte Folded Reload
	s_waitcnt vmcnt(0)
	v_mul_i32_i24_e32 v182, v72, v15
	scratch_load_b32 v15, off, off offset:652 ; 4-byte Folded Reload
	v_add3_u32 v180, v180, v181, v182
	s_waitcnt vmcnt(0)
	v_mul_i32_i24_e32 v183, v73, v15
	scratch_load_b32 v15, off, off offset:328 ; 4-byte Folded Reload
	s_waitcnt vmcnt(0)
	v_mul_i32_i24_e32 v184, v74, v15
	scratch_load_b32 v15, off, off offset:272 ; 4-byte Folded Reload
	v_add3_u32 v180, v180, v183, v184
	s_waitcnt vmcnt(0)
	v_mul_i32_i24_e32 v181, v75, v15
	scratch_load_b32 v15, off, off offset:276 ; 4-byte Folded Reload
	s_waitcnt vmcnt(0)
	v_mul_i32_i24_e32 v182, v76, v15
	scratch_load_b32 v15, off, off offset:280 ; 4-byte Folded Reload
	v_add3_u32 v180, v180, v181, v182
	s_waitcnt vmcnt(0)
	v_mul_i32_i24_e32 v183, v77, v15
	scratch_load_b32 v15, off, off offset:288 ; 4-byte Folded Reload
	s_waitcnt vmcnt(0)
	v_mul_i32_i24_e32 v184, v78, v15
	scratch_load_b32 v15, off, off offset:284 ; 4-byte Folded Reload
	v_add3_u32 v180, v180, v183, v184
	s_waitcnt vmcnt(0)
	v_mul_i32_i24_e32 v181, v79, v15
	scratch_load_b32 v15, off, off offset:292 ; 4-byte Folded Reload
	s_waitcnt vmcnt(0)
	v_mul_i32_i24_e32 v182, v80, v15
	scratch_load_b32 v15, off, off offset:296 ; 4-byte Folded Reload
	v_add3_u32 v180, v180, v181, v182
	s_waitcnt vmcnt(0)
	v_mul_i32_i24_e32 v183, v81, v15
	scratch_load_b32 v15, off, off offset:300 ; 4-byte Folded Reload
	s_waitcnt vmcnt(0)
	v_mul_i32_i24_e32 v184, v105, v15
	scratch_load_b32 v15, off, off offset:304 ; 4-byte Folded Reload
	v_add3_u32 v180, v180, v183, v184
	s_waitcnt vmcnt(0)
	v_mul_i32_i24_e32 v181, v106, v15
	scratch_load_b32 v15, off, off offset:308 ; 4-byte Folded Reload
	s_waitcnt vmcnt(0)
	v_mul_i32_i24_e32 v182, v107, v15
	scratch_load_b32 v15, off, off offset:312 ; 4-byte Folded Reload
	v_add3_u32 v180, v180, v181, v182
	s_waitcnt vmcnt(0)
	v_mul_i32_i24_e32 v183, v108, v15
	scratch_load_b32 v15, off, off offset:320 ; 4-byte Folded Reload
	s_waitcnt vmcnt(0)
	v_mul_i32_i24_e32 v184, v109, v15
	scratch_load_b32 v15, off, off offset:316 ; 4-byte Folded Reload
	v_add3_u32 v180, v180, v183, v184
	s_waitcnt vmcnt(0)
	v_mul_i32_i24_e32 v181, v110, v15
	scratch_load_b32 v15, off, off offset:324 ; 4-byte Folded Reload
	s_waitcnt vmcnt(0)
	v_mul_i32_i24_e32 v182, v111, v15
	scratch_load_b32 v15, off, off offset:608 ; 4-byte Folded Reload
	v_add3_u32 v180, v180, v181, v182
	s_waitcnt vmcnt(0)
	v_mul_i32_i24_e32 v183, v112, v15
	scratch_load_b32 v15, off, off offset:612 ; 4-byte Folded Reload
	s_waitcnt vmcnt(0)
	v_mul_i32_i24_e32 v184, v113, v15
	scratch_load_b32 v15, off, off offset:616 ; 4-byte Folded Reload
	v_add3_u32 v180, v180, v183, v184
	s_waitcnt vmcnt(0)
	v_mul_i32_i24_e32 v181, v114, v15
	scratch_load_b32 v15, off, off offset:620 ; 4-byte Folded Reload
	s_waitcnt vmcnt(0)
	v_mul_i32_i24_e32 v182, v115, v15
	scratch_load_b32 v15, off, off offset:624 ; 4-byte Folded Reload
	v_add3_u32 v180, v180, v181, v182
	s_waitcnt vmcnt(0)
	v_mul_i32_i24_e32 v183, v116, v15
	scratch_load_b32 v15, off, off offset:628 ; 4-byte Folded Reload
	s_waitcnt vmcnt(0)
	v_mul_i32_i24_e32 v184, v117, v15
	scratch_load_b32 v15, off, off offset:840 ; 4-byte Folded Reload
	v_add3_u32 v180, v180, v183, v184
	s_waitcnt vmcnt(0)
	v_mul_i32_i24_e32 v181, v118, v15
	scratch_load_b32 v15, off, off offset:632 ; 4-byte Folded Reload
	s_waitcnt vmcnt(0)
	v_mul_i32_i24_e32 v182, v119, v15
	scratch_load_b32 v15, off, off offset:636 ; 4-byte Folded Reload
	v_add3_u32 v180, v180, v181, v182
	s_waitcnt vmcnt(0)
	v_mul_i32_i24_e32 v183, v120, v15
	scratch_load_b32 v15, off, off offset:640 ; 4-byte Folded Reload
	s_waitcnt vmcnt(0)
	v_mul_i32_i24_e32 v184, v121, v15
	scratch_load_b32 v15, off, off offset:644 ; 4-byte Folded Reload
	v_add3_u32 v180, v180, v183, v184
	s_waitcnt vmcnt(0)
	s_delay_alu instid0(VALU_DEP_1) | instskip(SKIP_2) | instid1(VALU_DEP_1)
	v_mul_lo_u32 v180, v180, v15
	scratch_load_b32 v15, off, off offset:648 ; 4-byte Folded Reload
	v_cvt_f32_i32_e32 v180, v180
	v_fma_mix_f32 v180, v0, v180, 0 op_sel_hi:[1,0,0]
	s_waitcnt vmcnt(0)
	v_fma_mix_f32 v181, v15, v0, 0 op_sel:[0,1,0] op_sel_hi:[0,1,0]
	scratch_load_b32 v15, off, off offset:664 ; 4-byte Folded Reload
	s_waitcnt vmcnt(0)
	v_mul_i32_i24_e32 v182, v122, v15
	scratch_load_b32 v15, off, off offset:668 ; 4-byte Folded Reload
	s_waitcnt vmcnt(0)
	v_mul_i32_i24_e32 v183, v124, v15
	;; [unrolled: 3-line block ×3, first 2 shown]
	scratch_load_b32 v15, off, off offset:676 ; 4-byte Folded Reload
	s_waitcnt vmcnt(0)
	v_mad_i32_i24 v182, v123, v15, v182
	scratch_load_b32 v15, off, off offset:392 ; 4-byte Folded Reload
	v_add3_u32 v182, v182, v183, v184
	s_waitcnt vmcnt(0)
	v_mul_i32_i24_e32 v183, v126, v15
	scratch_load_b32 v15, off, off offset:680 ; 4-byte Folded Reload
	s_waitcnt vmcnt(0)
	v_mul_i32_i24_e32 v184, v157, v15
	scratch_load_b32 v15, off, off offset:844 ; 4-byte Folded Reload
	v_add3_u32 v182, v182, v183, v184
	s_waitcnt vmcnt(0)
	v_mul_i32_i24_e32 v185, v158, v15
	scratch_load_b32 v15, off, off offset:684 ; 4-byte Folded Reload
	s_waitcnt vmcnt(0)
	v_mul_i32_i24_e32 v186, v159, v15
	;; [unrolled: 7-line block ×13, first 2 shown]
	scratch_load_b32 v15, off, off offset:376 ; 4-byte Folded Reload
	v_add3_u32 v182, v182, v183, v184
	v_mul_i32_i24_e32 v184, v74, v6
	scratch_load_b32 v6, off, off offset:256 ; 4-byte Folded Reload
	s_waitcnt vmcnt(1)
	v_mul_i32_i24_e32 v185, v179, v15
	scratch_load_b32 v15, off, off offset:380 ; 4-byte Folded Reload
	s_waitcnt vmcnt(0)
	v_mul_i32_i24_e32 v186, v156, v15
	scratch_load_b32 v15, off, off offset:384 ; 4-byte Folded Reload
	v_add3_u32 v182, v182, v185, v186
	v_mul_i32_i24_e32 v186, v159, v145
	s_waitcnt vmcnt(0)
	s_delay_alu instid0(VALU_DEP_2) | instskip(SKIP_2) | instid1(VALU_DEP_1)
	v_mul_lo_u32 v182, v182, v15
	scratch_load_b32 v15, off, off offset:388 ; 4-byte Folded Reload
	v_cvt_f32_i32_e32 v182, v182
	v_fma_mix_f32 v180, v1, v182, v180 op_sel_hi:[1,0,0]
	s_waitcnt vmcnt(0)
	v_fma_mix_f32 v181, v15, v1, v181 op_sel:[0,1,0] op_sel_hi:[0,1,0]
	scratch_load_b32 v15, off, off offset:1160 ; 4-byte Folded Reload
	v_mul_f32_e32 v181, v181, v147
	s_delay_alu instid0(VALU_DEP_1)
	v_fma_f32 v180, v180, v28, -v181
	v_mul_i32_i24_e32 v181, v69, v41
	s_clause 0x1
	scratch_load_b32 v41, off, off offset:264
	scratch_load_b32 v28, off, off offset:592
	s_waitcnt vmcnt(2)
	v_add_f32_e32 v15, v15, v180
	scratch_store_b32 off, v15, off offset:1160 ; 4-byte Folded Spill
	scratch_load_b32 v15, off, off offset:512 ; 4-byte Folded Reload
	s_waitcnt vmcnt(2)
	v_mul_i32_i24_e32 v182, v70, v41
	scratch_load_b32 v41, off, off offset:260 ; 4-byte Folded Reload
	s_waitcnt vmcnt(1)
	v_mul_i32_i24_e32 v180, v4, v15
	s_waitcnt vmcnt(0)
	s_delay_alu instid0(VALU_DEP_1)
	v_mad_i32_i24 v180, v23, v41, v180
	scratch_load_b32 v41, off, off offset:36 ; 4-byte Folded Reload
	v_add3_u32 v180, v180, v181, v182
	s_waitcnt vmcnt(0)
	v_mul_i32_i24_e32 v181, v71, v41
	scratch_load_b32 v41, off, off offset:248 ; 4-byte Folded Reload
	s_waitcnt vmcnt(0)
	v_mul_i32_i24_e32 v182, v72, v41
	scratch_load_b32 v41, off, off offset:252 ; 4-byte Folded Reload
	v_add3_u32 v180, v180, v181, v182
	v_mul_i32_i24_e32 v181, v75, v6
	scratch_load_b32 v6, off, off offset:224 ; 4-byte Folded Reload
	s_waitcnt vmcnt(1)
	v_mul_i32_i24_e32 v183, v73, v41
	scratch_load_b32 v41, off, off offset:776 ; 4-byte Folded Reload
	v_add3_u32 v180, v180, v183, v184
	s_waitcnt vmcnt(1)
	v_mul_i32_i24_e32 v182, v76, v6
	scratch_load_b32 v6, off, off offset:32 ; 4-byte Folded Reload
	v_mul_i32_i24_e32 v184, v78, v12
	v_add3_u32 v180, v180, v181, v182
	v_mul_i32_i24_e32 v181, v79, v213
	v_mul_i32_i24_e32 v182, v80, v35
	v_mov_b32_e32 v213, v36
	s_waitcnt vmcnt(1)
	v_mul_i32_i24_e32 v183, v77, v41
	s_delay_alu instid0(VALU_DEP_1) | instskip(SKIP_2) | instid1(VALU_DEP_3)
	v_add3_u32 v180, v180, v183, v184
	v_mul_i32_i24_e32 v183, v81, v13
	v_mul_i32_i24_e32 v184, v105, v14
	v_add3_u32 v180, v180, v181, v182
	v_mul_i32_i24_e32 v181, v106, v18
	v_mul_i32_i24_e32 v182, v107, v17
	s_delay_alu instid0(VALU_DEP_3)
	v_add3_u32 v180, v180, v183, v184
	v_mul_i32_i24_e32 v183, v108, v19
	s_waitcnt vmcnt(0)
	v_mul_i32_i24_e32 v184, v109, v6
	v_mov_b32_e32 v6, v34
	v_add3_u32 v180, v180, v181, v182
	v_mul_i32_i24_e32 v182, v111, v213
	s_delay_alu instid0(VALU_DEP_3) | instskip(NEXT) | instid1(VALU_DEP_3)
	v_mul_i32_i24_e32 v181, v110, v6
	v_add3_u32 v180, v180, v183, v184
	v_mul_i32_i24_e32 v183, v112, v28
	scratch_load_b32 v28, off, off offset:596 ; 4-byte Folded Reload
	v_add3_u32 v180, v180, v181, v182
	s_waitcnt vmcnt(0)
	v_mul_i32_i24_e32 v184, v113, v28
	scratch_load_b32 v28, off, off offset:240 ; 4-byte Folded Reload
	v_add3_u32 v180, v180, v183, v184
	v_mul_i32_i24_e32 v184, v117, v33
	s_waitcnt vmcnt(0)
	v_mul_i32_i24_e32 v181, v114, v28
	scratch_load_b32 v28, off, off offset:600 ; 4-byte Folded Reload
	s_waitcnt vmcnt(0)
	v_mul_i32_i24_e32 v182, v115, v28
	scratch_load_b32 v28, off, off offset:244 ; 4-byte Folded Reload
	v_add3_u32 v180, v180, v181, v182
	s_waitcnt vmcnt(0)
	v_mul_i32_i24_e32 v183, v116, v28
	scratch_load_b32 v28, off, off offset:516 ; 4-byte Folded Reload
	v_add3_u32 v180, v180, v183, v184
	v_mul_i32_i24_e32 v184, v121, v44
	v_mov_b32_e32 v44, v26
	s_waitcnt vmcnt(0)
	v_mul_i32_i24_e32 v181, v118, v28
	scratch_load_b32 v28, off, off offset:520 ; 4-byte Folded Reload
	s_waitcnt vmcnt(0)
	v_mul_i32_i24_e32 v182, v119, v28
	scratch_load_b32 v28, off, off offset:524 ; 4-byte Folded Reload
	v_add3_u32 v180, v180, v181, v182
	v_mul_i32_i24_e32 v182, v122, v217
	s_delay_alu instid0(VALU_DEP_1)
	v_mad_i32_i24 v182, v123, v127, v182
	v_mov_b32_e32 v127, v68
	s_waitcnt vmcnt(0)
	v_mul_i32_i24_e32 v183, v120, v28
	scratch_load_b32 v28, off, off offset:556 ; 4-byte Folded Reload
	v_add3_u32 v180, v180, v183, v184
	v_mul_i32_i24_e32 v183, v124, v47
	s_delay_alu instid0(VALU_DEP_2) | instskip(NEXT) | instid1(VALU_DEP_1)
	v_mul_lo_u32 v180, v180, v45
	v_cvt_f32_i32_e32 v180, v180
	s_delay_alu instid0(VALU_DEP_1) | instskip(SKIP_4) | instid1(VALU_DEP_1)
	v_fma_mix_f32 v180, v0, v180, 0 op_sel_hi:[1,0,0]
	s_waitcnt vmcnt(0)
	v_fma_mix_f32 v181, v28, v0, 0 op_sel:[0,1,0] op_sel_hi:[0,1,0]
	scratch_load_b32 v28, off, off offset:536 ; 4-byte Folded Reload
	v_fma_mix_f32 v181, v143, v1, v181 op_sel:[0,1,0] op_sel_hi:[0,1,0]
	v_mul_f32_e32 v181, v181, v215
	s_waitcnt vmcnt(0)
	v_mul_i32_i24_e32 v184, v125, v28
	scratch_load_b32 v28, off, off offset:1040 ; 4-byte Folded Reload
	v_add3_u32 v182, v182, v183, v184
	v_mul_i32_i24_e32 v184, v157, v212
	s_waitcnt vmcnt(0)
	v_mul_i32_i24_e32 v183, v126, v28
	scratch_load_b32 v28, off, off offset:540 ; 4-byte Folded Reload
	v_add3_u32 v182, v182, v183, v184
	s_waitcnt vmcnt(0)
	v_mul_i32_i24_e32 v185, v158, v28
	scratch_load_b32 v28, off, off offset:544 ; 4-byte Folded Reload
	v_add3_u32 v182, v182, v185, v186
	v_mul_i32_i24_e32 v186, v163, v144
	v_mov_b32_e32 v144, v146
	s_waitcnt vmcnt(0)
	v_mul_i32_i24_e32 v183, v160, v28
	scratch_load_b32 v28, off, off offset:548 ; 4-byte Folded Reload
	s_waitcnt vmcnt(0)
	v_mul_i32_i24_e32 v184, v161, v28
	scratch_load_b32 v28, off, off offset:552 ; 4-byte Folded Reload
	v_add3_u32 v182, v182, v183, v184
	s_waitcnt vmcnt(0)
	v_mul_i32_i24_e32 v185, v162, v28
	scratch_load_b32 v28, off, off offset:792 ; 4-byte Folded Reload
	v_add3_u32 v182, v182, v185, v186
	v_mul_i32_i24_e32 v186, v167, v142
	v_mov_b32_e32 v142, v67
	s_waitcnt vmcnt(0)
	v_mul_i32_i24_e32 v183, v164, v28
	scratch_load_b32 v28, off, off offset:796 ; 4-byte Folded Reload
	s_waitcnt vmcnt(0)
	v_mul_i32_i24_e32 v184, v165, v28
	scratch_load_b32 v28, off, off offset:800 ; 4-byte Folded Reload
	v_add3_u32 v182, v182, v183, v184
	v_mul_i32_i24_e32 v183, v168, v128
	v_mul_i32_i24_e32 v184, v169, v152
	s_waitcnt vmcnt(0)
	v_mul_i32_i24_e32 v185, v166, v28
	s_delay_alu instid0(VALU_DEP_1) | instskip(SKIP_2) | instid1(VALU_DEP_3)
	v_add3_u32 v182, v182, v185, v186
	v_mul_i32_i24_e32 v185, v170, v149
	v_mul_i32_i24_e32 v186, v153, v150
	v_add3_u32 v182, v182, v183, v184
	v_mul_i32_i24_e32 v183, v171, v151
	v_mul_i32_i24_e32 v184, v172, v129
	s_delay_alu instid0(VALU_DEP_3) | instskip(SKIP_2) | instid1(VALU_DEP_3)
	v_add3_u32 v182, v182, v185, v186
	v_mul_i32_i24_e32 v185, v173, v130
	v_mul_i32_i24_e32 v186, v154, v131
	v_add3_u32 v182, v182, v183, v184
	v_mul_i32_i24_e32 v183, v174, v132
	v_mul_i32_i24_e32 v184, v175, v133
	s_delay_alu instid0(VALU_DEP_3) | instskip(SKIP_2) | instid1(VALU_DEP_3)
	;; [unrolled: 7-line block ×3, first 2 shown]
	v_add3_u32 v182, v182, v185, v186
	v_mul_i32_i24_e32 v185, v179, v138
	v_mul_i32_i24_e32 v186, v156, v139
	v_add3_u32 v182, v182, v183, v184
	v_mul_i32_i24_e32 v183, v73, v228
	v_mul_i32_i24_e32 v184, v74, v229
	s_delay_alu instid0(VALU_DEP_3) | instskip(SKIP_1) | instid1(VALU_DEP_2)
	v_add3_u32 v182, v182, v185, v186
	v_mul_i32_i24_e32 v185, v158, v61
	v_mul_lo_u32 v182, v182, v140
	s_delay_alu instid0(VALU_DEP_1) | instskip(NEXT) | instid1(VALU_DEP_1)
	v_cvt_f32_i32_e32 v182, v182
	v_fma_mix_f32 v180, v1, v182, v180 op_sel_hi:[1,0,0]
	v_mul_i32_i24_e32 v182, v70, v227
	v_mul_i32_i24_e32 v70, v70, v9
	s_delay_alu instid0(VALU_DEP_3)
	v_fma_f32 v180, v180, v67, -v181
	scratch_load_b32 v67, off, off offset:1192 ; 4-byte Folded Reload
	v_mul_i32_i24_e32 v181, v69, v225
	v_mov_b32_e32 v225, v227
	v_mov_b32_e32 v227, v229
	v_mov_b32_e32 v229, v231
	v_mul_i32_i24_e32 v69, v69, v48
	s_waitcnt vmcnt(0)
	v_dual_mov_b32 v48, v9 :: v_dual_add_f32 v67, v67, v180
	v_mul_i32_i24_e32 v180, v4, v146
	v_mov_b32_e32 v146, v226
	v_mul_i32_i24_e32 v4, v4, v51
	s_delay_alu instid0(VALU_DEP_3)
	v_mad_i32_i24 v180, v23, v24, v180
	scratch_load_b32 v24, off, off offset:4 ; 4-byte Folded Reload
	v_mad_i32_i24 v4, v23, v7, v4
	v_mul_i32_i24_e32 v23, v71, v20
	v_add3_u32 v180, v180, v181, v182
	v_mul_i32_i24_e32 v182, v72, v226
	v_mov_b32_e32 v226, v228
	v_mov_b32_e32 v228, v230
	v_add3_u32 v4, v4, v69, v70
	v_mul_i32_i24_e32 v69, v72, v21
	v_mul_i32_i24_e32 v70, v73, v22
	;; [unrolled: 1-line block ×3, first 2 shown]
	s_delay_alu instid0(VALU_DEP_3)
	v_add3_u32 v4, v4, v23, v69
	v_mul_i32_i24_e32 v23, v75, v219
	v_mul_i32_i24_e32 v69, v76, v220
	s_waitcnt vmcnt(0)
	v_mul_i32_i24_e32 v181, v71, v24
	v_mul_i32_i24_e32 v71, v74, v218
	scratch_load_b32 v74, off, off offset:1180 ; 4-byte Folded Reload
	v_add3_u32 v180, v180, v181, v182
	v_mul_i32_i24_e32 v181, v75, v230
	v_mul_i32_i24_e32 v182, v76, v231
	v_dual_mov_b32 v230, v232 :: v_dual_mov_b32 v231, v233
	s_delay_alu instid0(VALU_DEP_4)
	v_add3_u32 v180, v180, v183, v184
	v_mul_i32_i24_e32 v183, v77, v232
	v_mul_i32_i24_e32 v184, v78, v234
	v_mov_b32_e32 v232, v234
	v_mov_b32_e32 v234, v238
	v_add3_u32 v180, v180, v181, v182
	v_mul_i32_i24_e32 v181, v79, v233
	v_mul_i32_i24_e32 v182, v80, v236
	v_dual_mov_b32 v233, v236 :: v_dual_mov_b32 v236, v239
	s_delay_alu instid0(VALU_DEP_4)
	v_add3_u32 v180, v180, v183, v184
	v_mul_i32_i24_e32 v183, v81, v238
	v_mul_i32_i24_e32 v184, v105, v239
	v_mov_b32_e32 v238, v240
	v_add3_u32 v4, v4, v70, v71
	v_add3_u32 v180, v180, v181, v182
	v_mul_i32_i24_e32 v181, v106, v240
	v_mul_i32_i24_e32 v182, v107, v241
	v_mov_b32_e32 v240, v242
	v_mul_i32_i24_e32 v70, v77, v221
	v_add3_u32 v180, v180, v183, v184
	v_mul_i32_i24_e32 v183, v108, v242
	v_mul_i32_i24_e32 v184, v109, v245
	v_mov_b32_e32 v242, v245
	v_mov_b32_e32 v245, v249
	v_add3_u32 v180, v180, v181, v182
	v_mul_i32_i24_e32 v181, v110, v243
	v_mul_i32_i24_e32 v182, v111, v247
	;; [unrolled: 1-line block ×3, first 2 shown]
	v_add3_u32 v4, v4, v23, v69
	v_add3_u32 v180, v180, v183, v184
	v_mul_i32_i24_e32 v183, v112, v249
	v_mul_i32_i24_e32 v184, v113, v251
	v_mov_b32_e32 v249, v253
	v_add3_u32 v4, v4, v70, v71
	v_add3_u32 v180, v180, v181, v182
	v_mul_i32_i24_e32 v181, v114, v253
	v_mul_i32_i24_e32 v182, v115, v255
	v_mov_b32_e32 v253, v59
	v_mul_i32_i24_e32 v23, v79, v222
	v_add3_u32 v180, v180, v183, v184
	v_mul_i32_i24_e32 v183, v116, v59
	v_mov_b32_e32 v59, v8
	v_mul_i32_i24_e32 v69, v80, v224
	v_mul_i32_i24_e32 v70, v81, v235
	v_add3_u32 v180, v180, v181, v182
	v_mul_i32_i24_e32 v181, v118, v8
	scratch_load_b32 v8, off, off offset:28 ; 4-byte Folded Reload
	v_mul_i32_i24_e32 v71, v105, v237
	v_add3_u32 v4, v4, v23, v69
	v_mul_i32_i24_e32 v23, v106, v244
	v_mul_i32_i24_e32 v69, v107, v246
	v_mov_b32_e32 v76, v43
	v_mul_i32_i24_e32 v184, v117, v11
	v_add3_u32 v4, v4, v70, v71
	v_mul_i32_i24_e32 v70, v108, v248
	v_mul_i32_i24_e32 v71, v109, v252
	;; [unrolled: 1-line block ×3, first 2 shown]
	v_add3_u32 v180, v180, v183, v184
	v_add3_u32 v4, v4, v23, v69
	v_mul_i32_i24_e32 v183, v120, v10
	v_mul_i32_i24_e32 v184, v121, v50
	;; [unrolled: 1-line block ×3, first 2 shown]
	v_add3_u32 v180, v180, v181, v182
	v_add3_u32 v4, v4, v70, v71
	v_mul_i32_i24_e32 v70, v112, v43
	v_mul_i32_i24_e32 v71, v113, v5
	v_mov_b32_e32 v43, v5
	scratch_load_b32 v5, off, off offset:468 ; 4-byte Folded Reload
	v_mul_i32_i24_e32 v182, v122, v56
	v_add3_u32 v180, v180, v183, v184
	v_mul_i32_i24_e32 v183, v124, v57
	v_mul_i32_i24_e32 v184, v125, v58
	;; [unrolled: 1-line block ×3, first 2 shown]
	v_mad_i32_i24 v182, v123, v53, v182
	v_mul_i32_i24_e32 v186, v159, v65
	v_mul_lo_u32 v180, v180, v54
	v_fma_mix_f32 v181, v52, v0, 0 op_sel:[0,1,0] op_sel_hi:[0,1,0]
	v_add3_u32 v4, v4, v23, v69
	v_add3_u32 v182, v182, v183, v184
	v_mul_i32_i24_e32 v184, v157, v60
	v_mul_i32_i24_e32 v69, v115, v55
	v_mov_b32_e32 v78, v187
	v_add3_u32 v4, v4, v70, v71
	v_cvt_f32_i32_e32 v180, v180
	v_mul_i32_i24_e32 v70, v116, v49
	v_mov_b32_e32 v80, v30
	v_mov_b32_e32 v116, v204
	;; [unrolled: 1-line block ×3, first 2 shown]
	v_fma_mix_f32 v180, v0, v180, 0 op_sel_hi:[1,0,0]
	v_mov_b32_e32 v108, v196
	v_dual_mov_b32 v106, v194 :: v_dual_mov_b32 v81, v64
	v_mov_b32_e32 v77, v190
	v_mov_b32_e32 v115, v203
	;; [unrolled: 1-line block ×3, first 2 shown]
	v_dual_mov_b32 v109, v197 :: v_dual_mov_b32 v110, v198
	v_mov_b32_e32 v105, v193
	v_mov_b32_e32 v239, v241
	;; [unrolled: 1-line block ×8, first 2 shown]
	s_waitcnt vmcnt(1)
	v_mul_i32_i24_e32 v183, v126, v8
	scratch_load_b32 v8, off, off offset:8  ; 4-byte Folded Reload
	v_add3_u32 v182, v182, v183, v184
	v_mul_i32_i24_e32 v183, v160, v66
	v_mul_i32_i24_e32 v184, v161, v82
	s_delay_alu instid0(VALU_DEP_3) | instskip(SKIP_2) | instid1(VALU_DEP_3)
	v_add3_u32 v182, v182, v185, v186
	v_mul_i32_i24_e32 v185, v162, v26
	v_mul_i32_i24_e32 v186, v163, v29
	v_add3_u32 v182, v182, v183, v184
	v_mul_i32_i24_e32 v183, v164, v85
	v_mul_i32_i24_e32 v184, v165, v86
	s_delay_alu instid0(VALU_DEP_3)
	v_add3_u32 v182, v182, v185, v186
	s_waitcnt vmcnt(1)
	v_mul_i32_i24_e32 v23, v114, v5
	scratch_load_b32 v5, off, off offset:472 ; 4-byte Folded Reload
	v_mul_i32_i24_e32 v185, v166, v87
	v_mul_i32_i24_e32 v186, v167, v88
	v_add3_u32 v182, v182, v183, v184
	v_mul_i32_i24_e32 v183, v168, v91
	v_mul_i32_i24_e32 v184, v169, v92
	v_add3_u32 v4, v4, v23, v69
	v_mul_i32_i24_e32 v69, v119, v38
	v_add3_u32 v182, v182, v185, v186
	v_mul_i32_i24_e32 v185, v170, v93
	v_mul_i32_i24_e32 v186, v153, v94
	v_dual_mov_b32 v114, v202 :: v_dual_mov_b32 v107, v195
	s_delay_alu instid0(VALU_DEP_4) | instskip(SKIP_2) | instid1(VALU_DEP_3)
	v_add3_u32 v182, v182, v183, v184
	v_mul_i32_i24_e32 v183, v171, v95
	v_mul_i32_i24_e32 v184, v172, v96
	v_add3_u32 v182, v182, v185, v186
	v_mul_i32_i24_e32 v185, v173, v97
	v_mul_i32_i24_e32 v186, v154, v98
	s_delay_alu instid0(VALU_DEP_3) | instskip(SKIP_2) | instid1(VALU_DEP_3)
	v_add3_u32 v182, v182, v183, v184
	v_mul_i32_i24_e32 v183, v174, v99
	v_mul_i32_i24_e32 v184, v175, v100
	v_add3_u32 v182, v182, v185, v186
	v_mul_i32_i24_e32 v185, v176, v101
	v_mul_i32_i24_e32 v186, v155, v102
	s_delay_alu instid0(VALU_DEP_3) | instskip(SKIP_2) | instid1(VALU_DEP_3)
	v_add3_u32 v182, v182, v183, v184
	v_mul_i32_i24_e32 v183, v177, v103
	v_mul_i32_i24_e32 v184, v178, v104
	v_add3_u32 v182, v182, v185, v186
	v_mul_i32_i24_e32 v185, v179, v32
	v_mul_i32_i24_e32 v186, v156, v148
	s_delay_alu instid0(VALU_DEP_3) | instskip(NEXT) | instid1(VALU_DEP_1)
	v_add3_u32 v182, v182, v183, v184
	v_add3_u32 v182, v182, v185, v186
	s_waitcnt vmcnt(1)
	s_delay_alu instid0(VALU_DEP_1) | instskip(SKIP_2) | instid1(VALU_DEP_1)
	v_mul_lo_u32 v182, v182, v8
	scratch_load_b32 v8, off, off offset:40 ; 4-byte Folded Reload
	v_cvt_f32_i32_e32 v182, v182
	v_fma_mix_f32 v180, v1, v182, v180 op_sel_hi:[1,0,0]
	s_waitcnt vmcnt(1)
	v_mul_i32_i24_e32 v71, v117, v5
	scratch_load_b32 v5, off, off offset:532 ; 4-byte Folded Reload
	v_mov_b32_e32 v117, v205
	v_add3_u32 v4, v4, v70, v71
	v_mul_i32_i24_e32 v70, v120, v39
	v_mul_i32_i24_e32 v71, v121, v40
	v_dual_mov_b32 v120, v208 :: v_dual_mov_b32 v119, v207
	s_waitcnt vmcnt(1)
	v_fma_mix_f32 v181, v8, v1, v181 op_sel:[0,1,0] op_sel_hi:[0,1,0]
	s_delay_alu instid0(VALU_DEP_1) | instskip(NEXT) | instid1(VALU_DEP_1)
	v_mul_f32_e32 v181, v181, v214
	v_fma_f32 v180, v180, v68, -v181
	scratch_load_b32 v68, off, off offset:1188 ; 4-byte Folded Reload
	s_waitcnt vmcnt(1)
	v_mul_i32_i24_e32 v23, v118, v5
	scratch_load_b32 v5, off, off offset:340 ; 4-byte Folded Reload
	v_dual_mov_b32 v118, v206 :: v_dual_mov_b32 v111, v199
	v_add3_u32 v4, v4, v23, v69
	v_mul_i32_i24_e32 v23, v122, v190
	v_mul_i32_i24_e32 v69, v124, v83
	v_dual_mov_b32 v122, v210 :: v_dual_mov_b32 v121, v209
	s_delay_alu instid0(VALU_DEP_4) | instskip(NEXT) | instid1(VALU_DEP_4)
	v_add3_u32 v4, v4, v70, v71
	v_mad_i32_i24 v23, v123, v187, v23
	v_mul_i32_i24_e32 v71, v158, v89
	v_dual_mov_b32 v123, v191 :: v_dual_mov_b32 v124, v90
	s_delay_alu instid0(VALU_DEP_4) | instskip(NEXT) | instid1(VALU_DEP_1)
	v_mul_lo_u32 v4, v4, v141
	v_cvt_f32_i32_e32 v4, v4
	s_delay_alu instid0(VALU_DEP_1) | instskip(SKIP_1) | instid1(VALU_DEP_1)
	v_fma_mix_f32 v4, v0, v4, 0 op_sel_hi:[1,0,0]
	v_fma_mix_f32 v0, v42, v0, 0 op_sel:[0,1,0] op_sel_hi:[0,1,0]
	v_fma_mix_f32 v0, v62, v1, v0 op_sel:[0,1,0] op_sel_hi:[0,1,0]
	s_delay_alu instid0(VALU_DEP_1)
	v_mul_f32_e32 v0, v0, v90
	v_mov_b32_e32 v90, v211
	s_waitcnt vmcnt(1)
	v_add_f32_e32 v68, v68, v180
	v_mul_i32_i24_e32 v70, v125, v37
	v_mov_b32_e32 v125, v25
	s_delay_alu instid0(VALU_DEP_2) | instskip(SKIP_2) | instid1(VALU_DEP_1)
	v_add3_u32 v23, v23, v69, v70
	v_mul_i32_i24_e32 v69, v126, v25
	v_mul_i32_i24_e32 v70, v157, v210
	v_add3_u32 v23, v23, v69, v70
	v_mul_i32_i24_e32 v69, v160, v206
	v_mul_i32_i24_e32 v70, v161, v207
	s_delay_alu instid0(VALU_DEP_3) | instskip(SKIP_2) | instid1(VALU_DEP_3)
	v_add3_u32 v23, v23, v71, v72
	v_mul_i32_i24_e32 v71, v162, v208
	v_mul_i32_i24_e32 v72, v163, v209
	v_add3_u32 v23, v23, v69, v70
	v_mul_i32_i24_e32 v69, v164, v202
	v_mul_i32_i24_e32 v70, v165, v203
	s_delay_alu instid0(VALU_DEP_3) | instskip(SKIP_2) | instid1(VALU_DEP_3)
	v_add3_u32 v23, v23, v71, v72
	v_mul_i32_i24_e32 v71, v166, v204
	v_mul_i32_i24_e32 v72, v167, v205
	v_add3_u32 v23, v23, v69, v70
	v_mul_i32_i24_e32 v69, v168, v198
	v_mul_i32_i24_e32 v70, v169, v199
	s_delay_alu instid0(VALU_DEP_3) | instskip(SKIP_2) | instid1(VALU_DEP_3)
	v_add3_u32 v23, v23, v71, v72
	v_mul_i32_i24_e32 v71, v170, v200
	v_mul_i32_i24_e32 v72, v153, v201
	v_add3_u32 v23, v23, v69, v70
	v_mul_i32_i24_e32 v69, v171, v194
	v_mul_i32_i24_e32 v70, v172, v195
	s_delay_alu instid0(VALU_DEP_3) | instskip(SKIP_2) | instid1(VALU_DEP_3)
	v_add3_u32 v23, v23, v71, v72
	v_mul_i32_i24_e32 v71, v173, v196
	v_mul_i32_i24_e32 v72, v154, v197
	v_add3_u32 v23, v23, v69, v70
	v_mul_i32_i24_e32 v69, v174, v191
	v_mul_i32_i24_e32 v70, v175, v192
	s_delay_alu instid0(VALU_DEP_3) | instskip(SKIP_3) | instid1(VALU_DEP_4)
	v_add3_u32 v23, v23, v71, v72
	v_mul_i32_i24_e32 v71, v176, v64
	v_mul_i32_i24_e32 v72, v155, v193
	v_mov_b32_e32 v64, v188
	v_add3_u32 v23, v23, v69, v70
	v_mul_i32_i24_e32 v69, v177, v188
	v_mul_i32_i24_e32 v70, v178, v63
	v_mov_b32_e32 v63, v189
	s_delay_alu instid0(VALU_DEP_4) | instskip(SKIP_4) | instid1(VALU_DEP_1)
	v_add3_u32 v23, v23, v71, v72
	v_mul_i32_i24_e32 v72, v156, v31
	ds_load_b128 v[153:156], v216 offset:7168
	v_mul_i32_i24_e32 v71, v179, v189
	v_add3_u32 v23, v23, v69, v70
	v_add3_u32 v23, v23, v71, v72
	s_delay_alu instid0(VALU_DEP_1) | instskip(SKIP_2) | instid1(VALU_DEP_2)
	v_mul_lo_u32 v23, v23, v27
	s_waitcnt lgkmcnt(0)
	v_bfe_i32 v209, v153, 16, 8
	v_cvt_f32_i32_e32 v23, v23
	v_ashrrev_i32_e32 v210, 24, v153
	v_bfe_i32 v208, v153, 0, 8
	v_bfe_i32 v207, v153, 8, 8
	;; [unrolled: 1-line block ×3, first 2 shown]
	v_fma_mix_f32 v4, v1, v23, v4 op_sel_hi:[1,0,0]
	s_waitcnt vmcnt(0)
	v_mul_i32_i24_e32 v23, v209, v5
	scratch_load_b32 v5, off, off offset:732 ; 4-byte Folded Reload
	v_bfe_i32 v188, v154, 8, 8
	v_bfe_i32 v189, v154, 16, 8
	v_fma_f32 v0, v4, v211, -v0
	scratch_load_b32 v4, off, off offset:336 ; 4-byte Folded Reload
	v_ashrrev_i32_e32 v190, 24, v154
	v_bfe_i32 v183, v155, 0, 8
	v_bfe_i32 v184, v155, 8, 8
	;; [unrolled: 1-line block ×3, first 2 shown]
	v_ashrrev_i32_e32 v186, 24, v155
	v_bfe_i32 v179, v156, 0, 8
	v_bfe_i32 v180, v156, 8, 8
	;; [unrolled: 1-line block ×3, first 2 shown]
	v_ashrrev_i32_e32 v182, 24, v156
	ds_load_b128 v[153:156], v216 offset:7184
	v_add_f32_e32 v74, v74, v0
	s_waitcnt lgkmcnt(0)
	v_bfe_i32 v203, v153, 0, 8
	v_bfe_i32 v204, v153, 8, 8
	v_bfe_i32 v205, v153, 16, 8
	v_ashrrev_i32_e32 v206, 24, v153
	v_bfe_i32 v199, v154, 0, 8
	v_bfe_i32 v200, v154, 8, 8
	v_bfe_i32 v201, v154, 16, 8
	v_ashrrev_i32_e32 v202, 24, v154
	;; [unrolled: 4-line block ×4, first 2 shown]
	ds_load_b128 v[153:156], v216 offset:7200
	s_waitcnt lgkmcnt(0)
	v_bfe_i32 v176, v153, 0, 8
	v_bfe_i32 v177, v153, 16, 8
	v_ashrrev_i32_e32 v178, 24, v153
	v_bfe_i32 v175, v153, 8, 8
	v_bfe_i32 v171, v154, 0, 8
	v_bfe_i32 v172, v154, 8, 8
	v_bfe_i32 v173, v154, 16, 8
	v_ashrrev_i32_e32 v174, 24, v154
	v_bfe_i32 v167, v155, 0, 8
	v_bfe_i32 v168, v155, 8, 8
	;; [unrolled: 1-line block ×3, first 2 shown]
	v_ashrrev_i32_e32 v170, 24, v155
	v_bfe_i32 v163, v156, 0, 8
	v_bfe_i32 v164, v156, 8, 8
	;; [unrolled: 1-line block ×3, first 2 shown]
	v_ashrrev_i32_e32 v166, 24, v156
	ds_load_b128 v[153:156], v216 offset:7216
	v_add_nc_u32_e32 v216, 64, v216
	s_waitcnt lgkmcnt(0)
	v_bfe_i32 v159, v153, 0, 8
	v_bfe_i32 v160, v153, 8, 8
	v_bfe_i32 v161, v153, 16, 8
	v_ashrrev_i32_e32 v162, 24, v153
	v_bfe_i32 v211, v154, 0, 8
	v_bfe_i32 v16, v154, 8, 8
	v_bfe_i32 v157, v154, 16, 8
	v_ashrrev_i32_e32 v158, 24, v154
	;; [unrolled: 4-line block ×4, first 2 shown]
	s_waitcnt vmcnt(1)
	v_mul_i32_i24_e32 v70, v210, v5
	scratch_load_b32 v5, off, off offset:660 ; 4-byte Folded Reload
	s_waitcnt vmcnt(1)
	v_mul_i32_i24_e32 v4, v208, v4
	s_waitcnt vmcnt(0)
	s_delay_alu instid0(VALU_DEP_1)
	v_mad_i32_i24 v4, v207, v5, v4
	scratch_load_b32 v5, off, off offset:332 ; 4-byte Folded Reload
	v_add3_u32 v4, v4, v23, v70
	s_waitcnt vmcnt(0)
	v_mul_i32_i24_e32 v23, v187, v5
	scratch_load_b32 v5, off, off offset:656 ; 4-byte Folded Reload
	s_waitcnt vmcnt(0)
	v_mul_i32_i24_e32 v70, v188, v5
	scratch_load_b32 v5, off, off offset:652 ; 4-byte Folded Reload
	v_add3_u32 v4, v4, v23, v70
	s_waitcnt vmcnt(0)
	v_mul_i32_i24_e32 v72, v189, v5
	scratch_load_b32 v5, off, off offset:328 ; 4-byte Folded Reload
	s_waitcnt vmcnt(0)
	v_mul_i32_i24_e32 v73, v190, v5
	scratch_load_b32 v5, off, off offset:272 ; 4-byte Folded Reload
	v_add3_u32 v4, v4, v72, v73
	s_waitcnt vmcnt(0)
	v_mul_i32_i24_e32 v23, v183, v5
	scratch_load_b32 v5, off, off offset:276 ; 4-byte Folded Reload
	s_waitcnt vmcnt(0)
	v_mul_i32_i24_e32 v70, v184, v5
	scratch_load_b32 v5, off, off offset:280 ; 4-byte Folded Reload
	v_add3_u32 v4, v4, v23, v70
	s_waitcnt vmcnt(0)
	v_mul_i32_i24_e32 v72, v185, v5
	scratch_load_b32 v5, off, off offset:288 ; 4-byte Folded Reload
	s_waitcnt vmcnt(0)
	v_mul_i32_i24_e32 v73, v186, v5
	scratch_load_b32 v5, off, off offset:284 ; 4-byte Folded Reload
	v_add3_u32 v4, v4, v72, v73
	s_waitcnt vmcnt(0)
	v_mul_i32_i24_e32 v23, v179, v5
	scratch_load_b32 v5, off, off offset:292 ; 4-byte Folded Reload
	s_waitcnt vmcnt(0)
	v_mul_i32_i24_e32 v70, v180, v5
	scratch_load_b32 v5, off, off offset:296 ; 4-byte Folded Reload
	v_add3_u32 v4, v4, v23, v70
	s_waitcnt vmcnt(0)
	v_mul_i32_i24_e32 v72, v181, v5
	scratch_load_b32 v5, off, off offset:300 ; 4-byte Folded Reload
	s_waitcnt vmcnt(0)
	v_mul_i32_i24_e32 v73, v182, v5
	scratch_load_b32 v5, off, off offset:304 ; 4-byte Folded Reload
	v_add3_u32 v4, v4, v72, v73
	s_waitcnt vmcnt(0)
	v_mul_i32_i24_e32 v23, v203, v5
	scratch_load_b32 v5, off, off offset:308 ; 4-byte Folded Reload
	s_waitcnt vmcnt(0)
	v_mul_i32_i24_e32 v70, v204, v5
	scratch_load_b32 v5, off, off offset:312 ; 4-byte Folded Reload
	v_add3_u32 v4, v4, v23, v70
	s_waitcnt vmcnt(0)
	v_mul_i32_i24_e32 v72, v205, v5
	scratch_load_b32 v5, off, off offset:320 ; 4-byte Folded Reload
	s_waitcnt vmcnt(0)
	v_mul_i32_i24_e32 v73, v206, v5
	scratch_load_b32 v5, off, off offset:316 ; 4-byte Folded Reload
	v_add3_u32 v4, v4, v72, v73
	s_waitcnt vmcnt(0)
	v_mul_i32_i24_e32 v23, v199, v5
	scratch_load_b32 v5, off, off offset:324 ; 4-byte Folded Reload
	s_waitcnt vmcnt(0)
	v_mul_i32_i24_e32 v70, v200, v5
	scratch_load_b32 v5, off, off offset:608 ; 4-byte Folded Reload
	v_add3_u32 v4, v4, v23, v70
	s_waitcnt vmcnt(0)
	v_mul_i32_i24_e32 v72, v201, v5
	scratch_load_b32 v5, off, off offset:612 ; 4-byte Folded Reload
	s_waitcnt vmcnt(0)
	v_mul_i32_i24_e32 v73, v202, v5
	scratch_load_b32 v5, off, off offset:616 ; 4-byte Folded Reload
	v_add3_u32 v4, v4, v72, v73
	s_waitcnt vmcnt(0)
	v_mul_i32_i24_e32 v23, v195, v5
	scratch_load_b32 v5, off, off offset:620 ; 4-byte Folded Reload
	s_waitcnt vmcnt(0)
	v_mul_i32_i24_e32 v70, v196, v5
	scratch_load_b32 v5, off, off offset:624 ; 4-byte Folded Reload
	v_add3_u32 v4, v4, v23, v70
	s_waitcnt vmcnt(0)
	v_mul_i32_i24_e32 v72, v197, v5
	scratch_load_b32 v5, off, off offset:628 ; 4-byte Folded Reload
	s_waitcnt vmcnt(0)
	v_mul_i32_i24_e32 v73, v198, v5
	scratch_load_b32 v5, off, off offset:840 ; 4-byte Folded Reload
	v_add3_u32 v4, v4, v72, v73
	s_waitcnt vmcnt(0)
	v_mul_i32_i24_e32 v23, v191, v5
	scratch_load_b32 v5, off, off offset:632 ; 4-byte Folded Reload
	s_waitcnt vmcnt(0)
	v_mul_i32_i24_e32 v70, v192, v5
	scratch_load_b32 v5, off, off offset:636 ; 4-byte Folded Reload
	v_add3_u32 v4, v4, v23, v70
	scratch_load_b32 v70, off, off offset:1184 ; 4-byte Folded Reload
	s_waitcnt vmcnt(1)
	v_mul_i32_i24_e32 v72, v193, v5
	scratch_load_b32 v5, off, off offset:640 ; 4-byte Folded Reload
	s_waitcnt vmcnt(0)
	v_mul_i32_i24_e32 v73, v194, v5
	scratch_load_b32 v5, off, off offset:644 ; 4-byte Folded Reload
	v_add3_u32 v4, v4, v72, v73
	s_waitcnt vmcnt(0)
	s_delay_alu instid0(VALU_DEP_1) | instskip(SKIP_2) | instid1(VALU_DEP_1)
	v_mul_lo_u32 v4, v4, v5
	scratch_load_b32 v5, off, off offset:648 ; 4-byte Folded Reload
	v_cvt_f32_i32_e32 v4, v4
	v_fma_mix_f32 v4, v2, v4, 0 op_sel_hi:[1,0,0]
	s_waitcnt vmcnt(0)
	v_fma_mix_f32 v23, v5, v2, 0 op_sel:[0,1,0] op_sel_hi:[0,1,0]
	scratch_load_b32 v5, off, off offset:664 ; 4-byte Folded Reload
	s_waitcnt vmcnt(0)
	v_mul_i32_i24_e32 v24, v176, v5
	scratch_load_b32 v5, off, off offset:668 ; 4-byte Folded Reload
	s_waitcnt vmcnt(0)
	v_mul_i32_i24_e32 v25, v177, v5
	scratch_load_b32 v5, off, off offset:672 ; 4-byte Folded Reload
	s_waitcnt vmcnt(0)
	v_mul_i32_i24_e32 v27, v178, v5
	scratch_load_b32 v5, off, off offset:676 ; 4-byte Folded Reload
	s_waitcnt vmcnt(0)
	v_mad_i32_i24 v24, v175, v5, v24
	scratch_load_b32 v5, off, off offset:392 ; 4-byte Folded Reload
	v_add3_u32 v24, v24, v25, v27
	s_waitcnt vmcnt(0)
	v_mul_i32_i24_e32 v25, v171, v5
	s_clause 0x1
	scratch_load_b32 v30, off, off offset:1164
	scratch_load_b32 v5, off, off offset:680
	s_waitcnt vmcnt(0)
	v_mul_i32_i24_e32 v26, v172, v5
	s_clause 0x1
	scratch_load_b32 v31, off, off offset:1168
	scratch_load_b32 v5, off, off offset:844
	v_add3_u32 v24, v24, v25, v26
	s_waitcnt vmcnt(0)
	v_mul_i32_i24_e32 v27, v173, v5
	s_clause 0x2
	scratch_load_b32 v32, off, off offset:1172
	scratch_load_b32 v5, off, off offset:684
	;; [unrolled: 1-line block ×3, first 2 shown]
	s_waitcnt vmcnt(1)
	v_mul_i32_i24_e32 v28, v174, v5
	scratch_load_b32 v5, off, off offset:688 ; 4-byte Folded Reload
	v_add3_u32 v24, v24, v27, v28
	s_waitcnt vmcnt(0)
	v_mul_i32_i24_e32 v25, v167, v5
	scratch_load_b32 v5, off, off offset:848 ; 4-byte Folded Reload
	s_waitcnt vmcnt(0)
	v_mul_i32_i24_e32 v26, v168, v5
	scratch_load_b32 v5, off, off offset:852 ; 4-byte Folded Reload
	v_add3_u32 v24, v24, v25, v26
	s_waitcnt vmcnt(0)
	v_mul_i32_i24_e32 v27, v169, v5
	scratch_load_b32 v5, off, off offset:856 ; 4-byte Folded Reload
	;; [unrolled: 7-line block ×10, first 2 shown]
	s_waitcnt vmcnt(0)
	v_mul_i32_i24_e32 v28, v154, v5
	scratch_load_b32 v5, off, off offset:368 ; 4-byte Folded Reload
	v_add3_u32 v24, v24, v27, v28
	s_waitcnt vmcnt(0)
	v_mul_i32_i24_e32 v25, v0, v5
	s_clause 0x1
	scratch_load_b32 v36, off, off offset:1260
	scratch_load_b32 v5, off, off offset:372
	s_waitcnt vmcnt(0)
	v_mul_i32_i24_e32 v26, v1, v5
	scratch_load_b32 v5, off, off offset:376 ; 4-byte Folded Reload
	v_add3_u32 v24, v24, v25, v26
	s_waitcnt vmcnt(0)
	v_mul_i32_i24_e32 v27, v69, v5
	scratch_load_b32 v5, off, off offset:380 ; 4-byte Folded Reload
	s_waitcnt vmcnt(0)
	v_mul_i32_i24_e32 v28, v71, v5
	scratch_load_b32 v5, off, off offset:384 ; 4-byte Folded Reload
	v_add3_u32 v24, v24, v27, v28
	s_waitcnt vmcnt(0)
	s_delay_alu instid0(VALU_DEP_1) | instskip(SKIP_2) | instid1(VALU_DEP_1)
	v_mul_lo_u32 v24, v24, v5
	scratch_load_b32 v5, off, off offset:388 ; 4-byte Folded Reload
	v_cvt_f32_i32_e32 v24, v24
	v_fma_mix_f32 v4, v3, v24, v4 op_sel_hi:[1,0,0]
	s_waitcnt vmcnt(0)
	v_fma_mix_f32 v23, v5, v3, v23 op_sel:[0,1,0] op_sel_hi:[0,1,0]
	scratch_load_b32 v5, off, off offset:268 ; 4-byte Folded Reload
	v_mul_f32_e32 v23, v23, v147
	s_delay_alu instid0(VALU_DEP_1) | instskip(NEXT) | instid1(VALU_DEP_1)
	v_fma_f32 v4, v4, v46, -v23
	v_add_f32_e32 v33, v33, v4
	v_mul_i32_i24_e32 v4, v208, v15
	s_waitcnt vmcnt(0)
	v_mul_i32_i24_e32 v23, v209, v5
	scratch_load_b32 v5, off, off offset:264 ; 4-byte Folded Reload
	s_waitcnt vmcnt(0)
	v_mul_i32_i24_e32 v24, v210, v5
	scratch_load_b32 v5, off, off offset:260 ; 4-byte Folded Reload
	s_waitcnt vmcnt(0)
	v_mad_i32_i24 v4, v207, v5, v4
	scratch_load_b32 v5, off, off offset:36 ; 4-byte Folded Reload
	v_add3_u32 v4, v4, v23, v24
	s_waitcnt vmcnt(0)
	v_mul_i32_i24_e32 v23, v187, v5
	scratch_load_b32 v5, off, off offset:248 ; 4-byte Folded Reload
	s_waitcnt vmcnt(0)
	v_mul_i32_i24_e32 v24, v188, v5
	scratch_load_b32 v5, off, off offset:252 ; 4-byte Folded Reload
	v_add3_u32 v4, v4, v23, v24
	s_waitcnt vmcnt(0)
	v_mul_i32_i24_e32 v25, v189, v5
	scratch_load_b32 v5, off, off offset:560 ; 4-byte Folded Reload
	s_waitcnt vmcnt(0)
	v_mul_i32_i24_e32 v26, v190, v5
	scratch_load_b32 v5, off, off offset:256 ; 4-byte Folded Reload
	v_add3_u32 v4, v4, v25, v26
	v_mul_i32_i24_e32 v25, v185, v41
	v_mul_i32_i24_e32 v26, v186, v12
	;; [unrolled: 1-line block ×3, first 2 shown]
	s_waitcnt vmcnt(0)
	v_mul_i32_i24_e32 v23, v183, v5
	scratch_load_b32 v5, off, off offset:224 ; 4-byte Folded Reload
	s_waitcnt vmcnt(0)
	v_mul_i32_i24_e32 v24, v184, v5
	scratch_load_b32 v5, off, off offset:564 ; 4-byte Folded Reload
	v_add3_u32 v4, v4, v23, v24
	v_mul_i32_i24_e32 v24, v180, v35
	scratch_load_b32 v35, off, off offset:1256 ; 4-byte Folded Reload
	v_add3_u32 v4, v4, v25, v26
	v_mul_i32_i24_e32 v25, v181, v13
	v_mul_i32_i24_e32 v26, v182, v14
	s_waitcnt vmcnt(1)
	v_mul_i32_i24_e32 v23, v179, v5
	scratch_load_b32 v5, off, off offset:32 ; 4-byte Folded Reload
	v_add3_u32 v4, v4, v23, v24
	v_mul_i32_i24_e32 v23, v203, v18
	v_mul_i32_i24_e32 v24, v204, v17
	s_clause 0x1
	scratch_load_b32 v18, off, off
	scratch_load_b32 v17, off, off offset:220
	v_add3_u32 v4, v4, v25, v26
	v_mul_i32_i24_e32 v25, v205, v19
	s_delay_alu instid0(VALU_DEP_2)
	v_add3_u32 v4, v4, v23, v24
	v_mul_i32_i24_e32 v23, v199, v6
	v_mul_i32_i24_e32 v24, v200, v213
	;; [unrolled: 1-line block ×3, first 2 shown]
	s_waitcnt vmcnt(2)
	v_mul_i32_i24_e32 v26, v206, v5
	scratch_load_b32 v5, off, off offset:592 ; 4-byte Folded Reload
	v_add3_u32 v4, v4, v25, v26
	s_waitcnt vmcnt(2)
	v_add_nc_u32_e32 v18, 32, v18
	s_waitcnt vmcnt(1)
	v_add_nc_u32_e32 v17, 8, v17
	v_add3_u32 v4, v4, v23, v24
	s_waitcnt vmcnt(0)
	v_mul_i32_i24_e32 v25, v201, v5
	scratch_load_b32 v5, off, off offset:596 ; 4-byte Folded Reload
	s_waitcnt vmcnt(0)
	v_mul_i32_i24_e32 v26, v202, v5
	scratch_load_b32 v5, off, off offset:240 ; 4-byte Folded Reload
	v_add3_u32 v4, v4, v25, v26
	s_waitcnt vmcnt(0)
	v_mul_i32_i24_e32 v23, v195, v5
	scratch_load_b32 v5, off, off offset:600 ; 4-byte Folded Reload
	s_waitcnt vmcnt(0)
	v_mul_i32_i24_e32 v24, v196, v5
	scratch_load_b32 v5, off, off offset:244 ; 4-byte Folded Reload
	;; [unrolled: 7-line block ×4, first 2 shown]
	v_add3_u32 v4, v4, v7, v8
	v_mul_i32_i24_e32 v8, v176, v217
	s_waitcnt vmcnt(0)
	v_mul_i32_i24_e32 v9, v193, v5
	scratch_load_b32 v5, off, off offset:528 ; 4-byte Folded Reload
	s_waitcnt vmcnt(0)
	v_mul_i32_i24_e32 v10, v194, v5
	scratch_load_b32 v5, off, off offset:804 ; 4-byte Folded Reload
	v_add3_u32 v4, v4, v9, v10
	v_mul_i32_i24_e32 v9, v177, v47
	s_waitcnt vmcnt(0)
	s_delay_alu instid0(VALU_DEP_2) | instskip(SKIP_2) | instid1(VALU_DEP_1)
	v_mul_lo_u32 v4, v4, v5
	scratch_load_b32 v5, off, off offset:556 ; 4-byte Folded Reload
	v_cvt_f32_i32_e32 v4, v4
	v_fma_mix_f32 v4, v2, v4, 0 op_sel_hi:[1,0,0]
	s_waitcnt vmcnt(0)
	v_fma_mix_f32 v7, v5, v2, 0 op_sel:[0,1,0] op_sel_hi:[0,1,0]
	scratch_load_b32 v5, off, off offset:536 ; 4-byte Folded Reload
	s_waitcnt vmcnt(0)
	v_mul_i32_i24_e32 v10, v178, v5
	scratch_load_b32 v5, off, off offset:808 ; 4-byte Folded Reload
	s_waitcnt vmcnt(0)
	v_mad_i32_i24 v8, v175, v5, v8
	scratch_load_b32 v5, off, off offset:1040 ; 4-byte Folded Reload
	v_add3_u32 v8, v8, v9, v10
	v_mul_i32_i24_e32 v10, v172, v212
	s_waitcnt vmcnt(0)
	v_mul_i32_i24_e32 v9, v171, v5
	scratch_load_b32 v5, off, off offset:540 ; 4-byte Folded Reload
	v_add3_u32 v8, v8, v9, v10
	s_waitcnt vmcnt(0)
	v_mul_i32_i24_e32 v11, v173, v5
	scratch_load_b32 v5, off, off offset:544 ; 4-byte Folded Reload
	v_add3_u32 v8, v8, v11, v12
	s_waitcnt vmcnt(0)
	v_mul_i32_i24_e32 v9, v167, v5
	scratch_load_b32 v5, off, off offset:548 ; 4-byte Folded Reload
	s_waitcnt vmcnt(0)
	v_mul_i32_i24_e32 v10, v168, v5
	scratch_load_b32 v5, off, off offset:552 ; 4-byte Folded Reload
	v_add3_u32 v8, v8, v9, v10
	s_waitcnt vmcnt(0)
	v_mul_i32_i24_e32 v11, v169, v5
	scratch_load_b32 v5, off, off offset:1032 ; 4-byte Folded Reload
	;; [unrolled: 7-line block ×3, first 2 shown]
	s_waitcnt vmcnt(0)
	v_mul_i32_i24_e32 v10, v164, v5
	scratch_load_b32 v5, off, off offset:800 ; 4-byte Folded Reload
	v_add3_u32 v8, v8, v9, v10
	v_mul_i32_i24_e32 v9, v159, v128
	v_mul_i32_i24_e32 v10, v160, v152
	s_waitcnt vmcnt(0)
	v_mul_i32_i24_e32 v11, v165, v5
	scratch_load_b32 v5, off, off offset:1036 ; 4-byte Folded Reload
	s_waitcnt vmcnt(0)
	v_mul_i32_i24_e32 v12, v166, v5
	v_mul_i32_i24_e32 v5, v71, v139
	s_delay_alu instid0(VALU_DEP_2) | instskip(SKIP_2) | instid1(VALU_DEP_3)
	v_add3_u32 v8, v8, v11, v12
	v_mul_i32_i24_e32 v11, v161, v149
	v_mul_i32_i24_e32 v12, v162, v150
	v_add3_u32 v8, v8, v9, v10
	v_mul_i32_i24_e32 v9, v211, v151
	v_mul_i32_i24_e32 v10, v16, v129
	s_delay_alu instid0(VALU_DEP_3) | instskip(SKIP_2) | instid1(VALU_DEP_3)
	v_add3_u32 v8, v8, v11, v12
	v_mul_i32_i24_e32 v11, v157, v130
	v_mul_i32_i24_e32 v12, v158, v131
	v_add3_u32 v8, v8, v9, v10
	v_mul_i32_i24_e32 v9, v75, v132
	v_mul_i32_i24_e32 v10, v126, v133
	s_delay_alu instid0(VALU_DEP_3) | instskip(SKIP_2) | instid1(VALU_DEP_3)
	v_add3_u32 v8, v8, v11, v12
	v_mul_i32_i24_e32 v11, v153, v134
	v_mul_i32_i24_e32 v12, v154, v135
	v_add3_u32 v8, v8, v9, v10
	v_mul_i32_i24_e32 v9, v0, v136
	v_mul_i32_i24_e32 v10, v1, v137
	s_delay_alu instid0(VALU_DEP_3) | instskip(NEXT) | instid1(VALU_DEP_1)
	v_add3_u32 v8, v8, v11, v12
	v_add3_u32 v8, v8, v9, v10
	v_mul_i32_i24_e32 v9, v173, v61
	v_mul_i32_i24_e32 v10, v174, v65
	s_delay_alu instid0(VALU_DEP_3) | instskip(SKIP_1) | instid1(VALU_DEP_2)
	v_add3_u32 v5, v8, v6, v5
	v_mul_i32_i24_e32 v8, v190, v227
	v_mul_lo_u32 v5, v5, v140
	s_delay_alu instid0(VALU_DEP_1) | instskip(NEXT) | instid1(VALU_DEP_1)
	v_cvt_f32_i32_e32 v5, v5
	v_fma_mix_f32 v4, v3, v5, v4 op_sel_hi:[1,0,0]
	v_fma_mix_f32 v5, v143, v3, v7 op_sel:[0,1,0] op_sel_hi:[0,1,0]
	scratch_load_b32 v7, off, off offset:208 ; 4-byte Folded Reload
	v_mul_f32_e32 v5, v5, v215
	s_delay_alu instid0(VALU_DEP_1)
	v_fma_f32 v4, v4, v142, -v5
	scratch_load_b32 v5, off, off offset:24 ; 4-byte Folded Reload
	v_add_f32_e32 v32, v32, v4
	v_mul_i32_i24_e32 v4, v208, v144
	v_mul_i32_i24_e32 v6, v210, v225
	s_waitcnt vmcnt(1)
	s_delay_alu instid0(VALU_DEP_2) | instskip(SKIP_3) | instid1(VALU_DEP_1)
	v_mad_i32_i24 v4, v207, v7, v4
	v_mul_i32_i24_e32 v7, v189, v226
	s_waitcnt vmcnt(0)
	v_mul_i32_i24_e32 v5, v209, v5
	v_add3_u32 v4, v4, v5, v6
	scratch_load_b32 v5, off, off offset:4  ; 4-byte Folded Reload
	v_mul_i32_i24_e32 v6, v188, v146
	s_waitcnt vmcnt(0)
	v_mul_i32_i24_e32 v5, v187, v5
	s_delay_alu instid0(VALU_DEP_1) | instskip(SKIP_2) | instid1(VALU_DEP_3)
	v_add3_u32 v4, v4, v5, v6
	v_mul_i32_i24_e32 v5, v183, v228
	v_mul_i32_i24_e32 v6, v184, v229
	v_add3_u32 v4, v4, v7, v8
	v_mul_i32_i24_e32 v7, v185, v230
	v_mul_i32_i24_e32 v8, v186, v232
	s_delay_alu instid0(VALU_DEP_3) | instskip(SKIP_2) | instid1(VALU_DEP_3)
	v_add3_u32 v4, v4, v5, v6
	v_mul_i32_i24_e32 v5, v179, v231
	v_mul_i32_i24_e32 v6, v180, v233
	v_add3_u32 v4, v4, v7, v8
	v_mul_i32_i24_e32 v7, v181, v234
	v_mul_i32_i24_e32 v8, v182, v236
	s_delay_alu instid0(VALU_DEP_3) | instskip(SKIP_2) | instid1(VALU_DEP_3)
	;; [unrolled: 7-line block ×4, first 2 shown]
	v_add3_u32 v4, v4, v5, v6
	v_mul_i32_i24_e32 v5, v195, v249
	v_mul_i32_i24_e32 v6, v196, v251
	v_add3_u32 v4, v4, v7, v8
	v_mul_i32_i24_e32 v7, v197, v253
	v_mul_i32_i24_e32 v8, v198, v255
	s_delay_alu instid0(VALU_DEP_3)
	v_add3_u32 v4, v4, v5, v6
	scratch_load_b32 v6, off, off offset:12 ; 4-byte Folded Reload
	v_mul_i32_i24_e32 v5, v191, v59
	v_add3_u32 v4, v4, v7, v8
	scratch_load_b32 v7, off, off offset:16 ; 4-byte Folded Reload
	v_mul_i32_i24_e32 v8, v194, v50
	s_waitcnt vmcnt(1)
	v_mul_i32_i24_e32 v6, v192, v6
	s_waitcnt vmcnt(0)
	v_mul_i32_i24_e32 v7, v193, v7
	s_delay_alu instid0(VALU_DEP_2) | instskip(SKIP_2) | instid1(VALU_DEP_3)
	v_add3_u32 v4, v4, v5, v6
	v_mul_i32_i24_e32 v6, v176, v56
	v_fma_mix_f32 v5, v52, v2, 0 op_sel:[0,1,0] op_sel_hi:[0,1,0]
	v_add3_u32 v4, v4, v7, v8
	v_mul_i32_i24_e32 v7, v177, v57
	v_mul_i32_i24_e32 v8, v178, v58
	v_mad_i32_i24 v6, v175, v53, v6
	s_delay_alu instid0(VALU_DEP_4) | instskip(NEXT) | instid1(VALU_DEP_2)
	v_mul_lo_u32 v4, v4, v54
	v_add3_u32 v6, v6, v7, v8
	scratch_load_b32 v7, off, off offset:28 ; 4-byte Folded Reload
	v_mul_i32_i24_e32 v8, v172, v60
	v_cvt_f32_i32_e32 v4, v4
	s_delay_alu instid0(VALU_DEP_1) | instskip(SKIP_2) | instid1(VALU_DEP_1)
	v_fma_mix_f32 v4, v2, v4, 0 op_sel_hi:[1,0,0]
	s_waitcnt vmcnt(0)
	v_mul_i32_i24_e32 v7, v171, v7
	v_add3_u32 v6, v6, v7, v8
	v_mul_i32_i24_e32 v7, v167, v66
	v_mul_i32_i24_e32 v8, v168, v82
	s_delay_alu instid0(VALU_DEP_3) | instskip(SKIP_2) | instid1(VALU_DEP_3)
	v_add3_u32 v6, v6, v9, v10
	v_mul_i32_i24_e32 v9, v169, v44
	v_mul_i32_i24_e32 v10, v170, v84
	v_add3_u32 v6, v6, v7, v8
	v_mul_i32_i24_e32 v7, v163, v85
	v_mul_i32_i24_e32 v8, v164, v86
	s_delay_alu instid0(VALU_DEP_3) | instskip(SKIP_2) | instid1(VALU_DEP_3)
	v_add3_u32 v6, v6, v9, v10
	v_mul_i32_i24_e32 v9, v165, v87
	;; [unrolled: 7-line block ×5, first 2 shown]
	v_mul_i32_i24_e32 v10, v154, v102
	v_add3_u32 v6, v6, v7, v8
	v_mul_i32_i24_e32 v7, v0, v103
	v_mul_i32_i24_e32 v8, v1, v104
	;; [unrolled: 1-line block ×3, first 2 shown]
	s_delay_alu instid0(VALU_DEP_4)
	v_add3_u32 v6, v6, v9, v10
	scratch_load_b32 v9, off, off offset:20 ; 4-byte Folded Reload
	v_mul_i32_i24_e32 v10, v71, v148
	v_add3_u32 v6, v6, v7, v8
	scratch_load_b32 v7, off, off offset:8  ; 4-byte Folded Reload
	v_mul_i32_i24_e32 v8, v190, v218
	s_waitcnt vmcnt(1)
	v_mul_i32_i24_e32 v9, v69, v9
	s_delay_alu instid0(VALU_DEP_1) | instskip(SKIP_2) | instid1(VALU_DEP_2)
	v_add3_u32 v6, v6, v9, v10
	v_mul_i32_i24_e32 v9, v174, v80
	s_waitcnt vmcnt(0)
	v_mul_lo_u32 v6, v6, v7
	scratch_load_b32 v7, off, off offset:204 ; 4-byte Folded Reload
	v_cvt_f32_i32_e32 v6, v6
	s_delay_alu instid0(VALU_DEP_1) | instskip(SKIP_4) | instid1(VALU_DEP_2)
	v_fma_mix_f32 v4, v3, v6, v4 op_sel_hi:[1,0,0]
	scratch_load_b32 v6, off, off offset:40 ; 4-byte Folded Reload
	s_waitcnt vmcnt(0)
	v_fma_mix_f32 v5, v6, v3, v5 op_sel:[0,1,0] op_sel_hi:[0,1,0]
	v_mul_i32_i24_e32 v6, v210, v48
	v_mul_f32_e32 v5, v5, v214
	s_delay_alu instid0(VALU_DEP_1) | instskip(SKIP_3) | instid1(VALU_DEP_1)
	v_fma_f32 v4, v4, v127, -v5
	scratch_load_b32 v5, off, off offset:228 ; 4-byte Folded Reload
	v_add_f32_e32 v31, v31, v4
	v_mul_i32_i24_e32 v4, v208, v51
	v_mad_i32_i24 v4, v207, v7, v4
	v_mul_i32_i24_e32 v7, v189, v22
	s_waitcnt vmcnt(0)
	v_mul_i32_i24_e32 v5, v209, v5
	s_delay_alu instid0(VALU_DEP_1) | instskip(SKIP_2) | instid1(VALU_DEP_1)
	v_add3_u32 v4, v4, v5, v6
	v_mul_i32_i24_e32 v5, v187, v20
	v_mul_i32_i24_e32 v6, v188, v21
	v_add3_u32 v4, v4, v5, v6
	v_mul_i32_i24_e32 v5, v183, v219
	v_mul_i32_i24_e32 v6, v184, v220
	s_delay_alu instid0(VALU_DEP_3) | instskip(SKIP_2) | instid1(VALU_DEP_3)
	v_add3_u32 v4, v4, v7, v8
	v_mul_i32_i24_e32 v7, v185, v221
	v_mul_i32_i24_e32 v8, v186, v223
	v_add3_u32 v4, v4, v5, v6
	v_mul_i32_i24_e32 v5, v179, v222
	v_mul_i32_i24_e32 v6, v180, v224
	s_delay_alu instid0(VALU_DEP_3) | instskip(SKIP_2) | instid1(VALU_DEP_3)
	;; [unrolled: 7-line block ×4, first 2 shown]
	v_add3_u32 v4, v4, v7, v8
	v_mul_i32_i24_e32 v7, v201, v76
	v_mul_i32_i24_e32 v8, v202, v43
	v_add3_u32 v4, v4, v5, v6
	scratch_load_b32 v5, off, off offset:468 ; 4-byte Folded Reload
	v_mul_i32_i24_e32 v6, v196, v55
	v_add3_u32 v4, v4, v7, v8
	scratch_load_b32 v8, off, off offset:472 ; 4-byte Folded Reload
	v_mul_i32_i24_e32 v7, v197, v49
	s_waitcnt vmcnt(1)
	v_mul_i32_i24_e32 v5, v195, v5
	s_delay_alu instid0(VALU_DEP_1) | instskip(SKIP_4) | instid1(VALU_DEP_2)
	v_add3_u32 v4, v4, v5, v6
	scratch_load_b32 v5, off, off offset:532 ; 4-byte Folded Reload
	s_waitcnt vmcnt(1)
	v_mul_i32_i24_e32 v8, v198, v8
	v_mul_i32_i24_e32 v6, v192, v38
	v_add3_u32 v4, v4, v7, v8
	v_mul_i32_i24_e32 v7, v193, v39
	v_mul_i32_i24_e32 v8, v194, v40
	s_waitcnt vmcnt(0)
	v_mul_i32_i24_e32 v5, v191, v5
	s_delay_alu instid0(VALU_DEP_1) | instskip(SKIP_2) | instid1(VALU_DEP_3)
	v_add3_u32 v4, v4, v5, v6
	v_mul_i32_i24_e32 v5, v176, v77
	v_mul_i32_i24_e32 v6, v177, v83
	v_add3_u32 v4, v4, v7, v8
	v_mul_i32_i24_e32 v7, v178, v37
	s_delay_alu instid0(VALU_DEP_4) | instskip(SKIP_1) | instid1(VALU_DEP_4)
	v_mad_i32_i24 v5, v175, v78, v5
	v_mul_i32_i24_e32 v8, v173, v79
	v_mul_lo_u32 v4, v4, v141
	s_delay_alu instid0(VALU_DEP_3) | instskip(SKIP_2) | instid1(VALU_DEP_4)
	v_add3_u32 v5, v5, v6, v7
	v_mul_i32_i24_e32 v6, v171, v125
	v_mul_i32_i24_e32 v7, v172, v122
	v_cvt_f32_i32_e32 v4, v4
	s_delay_alu instid0(VALU_DEP_2) | instskip(SKIP_2) | instid1(VALU_DEP_4)
	v_add3_u32 v5, v5, v6, v7
	v_mul_i32_i24_e32 v6, v167, v118
	v_mul_i32_i24_e32 v7, v168, v119
	v_fma_mix_f32 v4, v2, v4, 0 op_sel_hi:[1,0,0]
	s_delay_alu instid0(VALU_DEP_4) | instskip(SKIP_3) | instid1(VALU_DEP_4)
	v_add3_u32 v5, v5, v8, v9
	v_mul_i32_i24_e32 v8, v169, v120
	v_mul_i32_i24_e32 v9, v170, v121
	v_fma_mix_f32 v2, v42, v2, 0 op_sel:[0,1,0] op_sel_hi:[0,1,0]
	v_add3_u32 v5, v5, v6, v7
	v_mul_i32_i24_e32 v6, v166, v117
	s_delay_alu instid0(VALU_DEP_2) | instskip(SKIP_3) | instid1(VALU_DEP_2)
	v_add3_u32 v7, v5, v8, v9
	v_mul_i32_i24_e32 v8, v163, v114
	v_mul_i32_i24_e32 v9, v164, v115
	;; [unrolled: 1-line block ×3, first 2 shown]
	v_add3_u32 v7, v7, v8, v9
	v_mul_i32_i24_e32 v8, v161, v112
	v_mul_i32_i24_e32 v9, v162, v113
	s_delay_alu instid0(VALU_DEP_3) | instskip(SKIP_2) | instid1(VALU_DEP_1)
	v_add3_u32 v5, v7, v5, v6
	v_mul_i32_i24_e32 v6, v159, v110
	v_mul_i32_i24_e32 v7, v160, v111
	v_add3_u32 v5, v5, v6, v7
	v_mul_i32_i24_e32 v6, v211, v106
	v_mul_i32_i24_e32 v7, v16, v107
	s_delay_alu instid0(VALU_DEP_3) | instskip(SKIP_2) | instid1(VALU_DEP_3)
	v_add3_u32 v5, v5, v8, v9
	v_mul_i32_i24_e32 v8, v157, v108
	v_mul_i32_i24_e32 v9, v158, v109
	v_add3_u32 v5, v5, v6, v7
	scratch_load_b32 v7, off, off offset:604 ; 4-byte Folded Reload
	v_mul_i32_i24_e32 v6, v75, v123
	v_add3_u32 v5, v5, v8, v9
	v_mul_i32_i24_e32 v8, v153, v81
	v_mul_i32_i24_e32 v9, v154, v105
	s_waitcnt vmcnt(0)
	v_mul_i32_i24_e32 v7, v126, v7
	s_delay_alu instid0(VALU_DEP_1)
	v_add3_u32 v5, v5, v6, v7
	s_clause 0x1
	scratch_load_b32 v6, off, off offset:236
	scratch_load_b32 v7, off, off offset:232
	v_add3_u32 v5, v5, v8, v9
	s_waitcnt vmcnt(1)
	v_mul_i32_i24_e32 v1, v1, v6
	v_mul_i32_i24_e32 v6, v69, v63
	s_waitcnt vmcnt(0)
	v_mul_i32_i24_e32 v7, v71, v7
	s_delay_alu instid0(VALU_DEP_3) | instskip(SKIP_3) | instid1(VALU_DEP_1)
	v_add3_u32 v0, v5, v0, v1
	scratch_load_b32 v1, off, off offset:588 ; 4-byte Folded Reload
	v_add3_u32 v0, v0, v6, v7
	s_waitcnt vmcnt(0)
	v_mul_lo_u32 v0, v0, v1
	v_fma_mix_f32 v1, v62, v3, v2 op_sel:[0,1,0] op_sel_hi:[0,1,0]
	s_delay_alu instid0(VALU_DEP_1) | instskip(NEXT) | instid1(VALU_DEP_3)
	v_mul_f32_e32 v1, v1, v124
	v_cvt_f32_i32_e32 v0, v0
	s_delay_alu instid0(VALU_DEP_1) | instskip(NEXT) | instid1(VALU_DEP_1)
	v_fma_mix_f32 v0, v3, v0, v4 op_sel_hi:[1,0,0]
	v_fma_f32 v0, v0, v90, -v1
	s_delay_alu instid0(VALU_DEP_1)
	v_add_f32_e32 v30, v30, v0
	s_cbranch_scc1 .LBB152_7
; %bb.8:                                ;   in Loop: Header=BB152_6 Depth=2
	s_mov_b32 s15, 1
	s_and_b32 vcc_lo, exec_lo, s14
	s_mov_b32 s14, 0
	s_waitcnt_vscnt null, 0x0
	s_barrier
	buffer_gl0_inv
	s_cbranch_vccz .LBB152_6
; %bb.9:                                ;   in Loop: Header=BB152_5 Depth=1
	s_add_i32 s5, s5, 1
	s_delay_alu instid0(SALU_CYCLE_1)
	s_cmp_eq_u32 s5, s4
	s_cbranch_scc0 .LBB152_5
; %bb.10:
	s_clause 0x2
	scratch_load_b32 v1, off, off offset:1636
	scratch_load_b32 v0, off, off offset:1280
	;; [unrolled: 1-line block ×3, first 2 shown]
.LBB152_11:
	s_mov_b32 s0, exec_lo
	s_waitcnt vmcnt(0)
	v_cmpx_gt_u32_e64 s6, v2
	s_cbranch_execz .LBB152_62
; %bb.12:
	v_add_nc_u32_e32 v0, s12, v0
	v_mul_lo_u32 v5, v2, s10
	s_delay_alu instid0(VALU_DEP_2)
	v_cmp_gt_u32_e32 vcc_lo, s10, v0
	s_and_saveexec_b32 s1, vcc_lo
	s_cbranch_execz .LBB152_14
; %bb.13:
	s_delay_alu instid0(VALU_DEP_2) | instskip(SKIP_1) | instid1(VALU_DEP_2)
	v_dual_mov_b32 v3, 0 :: v_dual_add_nc_u32 v2, v0, v5
	v_cvt_f16_f32_e32 v4, v70
	v_lshlrev_b64 v[2:3], 1, v[2:3]
	s_waitcnt lgkmcnt(0)
	s_delay_alu instid0(VALU_DEP_1) | instskip(NEXT) | instid1(VALU_DEP_1)
	v_add_co_u32 v2, s0, s8, v2
	v_add_co_ci_u32_e64 v3, s0, s9, v3, s0
	global_store_b16 v[2:3], v4, off
.LBB152_14:
	s_or_b32 exec_lo, exec_lo, s1
	v_add_nc_u32_e32 v2, 32, v0
	s_delay_alu instid0(VALU_DEP_1) | instskip(NEXT) | instid1(VALU_DEP_1)
	v_cmp_gt_u32_e64 s0, s10, v2
	s_and_saveexec_b32 s2, s0
	s_cbranch_execz .LBB152_16
; %bb.15:
	scratch_load_b32 v6, off, off offset:1076 ; 4-byte Folded Reload
	v_dual_mov_b32 v4, 0 :: v_dual_add_nc_u32 v3, v2, v5
	s_delay_alu instid0(VALU_DEP_1) | instskip(SKIP_1) | instid1(VALU_DEP_1)
	v_lshlrev_b64 v[3:4], 1, v[3:4]
	s_waitcnt lgkmcnt(0)
	v_add_co_u32 v3, s1, s8, v3
	s_delay_alu instid0(VALU_DEP_1)
	v_add_co_ci_u32_e64 v4, s1, s9, v4, s1
	s_waitcnt vmcnt(0)
	v_cvt_f16_f32_e32 v6, v6
	global_store_b16 v[3:4], v6, off
.LBB152_16:
	s_or_b32 exec_lo, exec_lo, s2
	v_add_nc_u32_e32 v3, 64, v0
	s_delay_alu instid0(VALU_DEP_1) | instskip(NEXT) | instid1(VALU_DEP_1)
	v_cmp_gt_u32_e64 s1, s10, v3
	s_and_saveexec_b32 s3, s1
	s_cbranch_execz .LBB152_18
; %bb.17:
	scratch_load_b32 v4, off, off offset:1072 ; 4-byte Folded Reload
	v_dual_mov_b32 v7, 0 :: v_dual_add_nc_u32 v6, v3, v5
	s_delay_alu instid0(VALU_DEP_1) | instskip(SKIP_1) | instid1(VALU_DEP_1)
	v_lshlrev_b64 v[6:7], 1, v[6:7]
	s_waitcnt lgkmcnt(0)
	v_add_co_u32 v6, s2, s8, v6
	s_delay_alu instid0(VALU_DEP_1)
	v_add_co_ci_u32_e64 v7, s2, s9, v7, s2
	s_waitcnt vmcnt(0)
	v_cvt_f16_f32_e32 v4, v4
	global_store_b16 v[6:7], v4, off
.LBB152_18:
	;; [unrolled: 19-line block ×3, first 2 shown]
	s_or_b32 exec_lo, exec_lo, s4
	v_add3_u32 v5, v1, s11, 8
	s_delay_alu instid0(VALU_DEP_1) | instskip(NEXT) | instid1(VALU_DEP_1)
	v_cmp_gt_u32_e64 s3, s6, v5
	s_and_b32 exec_lo, exec_lo, s3
	s_cbranch_execz .LBB152_62
; %bb.21:
	v_mul_lo_u32 v5, v5, s10
	s_and_saveexec_b32 s4, vcc_lo
	s_cbranch_execnz .LBB152_63
; %bb.22:
	s_or_b32 exec_lo, exec_lo, s4
	s_and_saveexec_b32 s4, s0
	s_cbranch_execnz .LBB152_64
.LBB152_23:
	s_or_b32 exec_lo, exec_lo, s4
	s_and_saveexec_b32 s4, s1
	s_cbranch_execnz .LBB152_65
.LBB152_24:
	s_or_b32 exec_lo, exec_lo, s4
	s_and_saveexec_b32 s4, s2
	s_cbranch_execz .LBB152_26
.LBB152_25:
	scratch_load_b32 v7, off, off offset:1080 ; 4-byte Folded Reload
	v_dual_mov_b32 v6, 0 :: v_dual_add_nc_u32 v5, v5, v4
	s_delay_alu instid0(VALU_DEP_1) | instskip(SKIP_1) | instid1(VALU_DEP_1)
	v_lshlrev_b64 v[5:6], 1, v[5:6]
	s_waitcnt lgkmcnt(0)
	v_add_co_u32 v5, s3, s8, v5
	s_delay_alu instid0(VALU_DEP_1)
	v_add_co_ci_u32_e64 v6, s3, s9, v6, s3
	s_waitcnt vmcnt(0)
	v_cvt_f16_f32_e32 v7, v7
	global_store_b16 v[5:6], v7, off
.LBB152_26:
	s_or_b32 exec_lo, exec_lo, s4
	v_add3_u32 v5, v1, s11, 16
	s_delay_alu instid0(VALU_DEP_1) | instskip(NEXT) | instid1(VALU_DEP_1)
	v_cmp_gt_u32_e64 s3, s6, v5
	s_and_b32 exec_lo, exec_lo, s3
	s_cbranch_execz .LBB152_62
; %bb.27:
	v_mul_lo_u32 v5, v5, s10
	s_and_saveexec_b32 s4, vcc_lo
	s_cbranch_execnz .LBB152_66
; %bb.28:
	s_or_b32 exec_lo, exec_lo, s4
	s_and_saveexec_b32 s4, s0
	s_cbranch_execnz .LBB152_67
.LBB152_29:
	s_or_b32 exec_lo, exec_lo, s4
	s_and_saveexec_b32 s4, s1
	s_cbranch_execnz .LBB152_68
.LBB152_30:
	s_or_b32 exec_lo, exec_lo, s4
	s_and_saveexec_b32 s4, s2
	s_cbranch_execz .LBB152_32
.LBB152_31:
	scratch_load_b32 v7, off, off offset:1096 ; 4-byte Folded Reload
	v_dual_mov_b32 v6, 0 :: v_dual_add_nc_u32 v5, v5, v4
	s_delay_alu instid0(VALU_DEP_1) | instskip(SKIP_1) | instid1(VALU_DEP_1)
	v_lshlrev_b64 v[5:6], 1, v[5:6]
	s_waitcnt lgkmcnt(0)
	v_add_co_u32 v5, s3, s8, v5
	s_delay_alu instid0(VALU_DEP_1)
	v_add_co_ci_u32_e64 v6, s3, s9, v6, s3
	s_waitcnt vmcnt(0)
	v_cvt_f16_f32_e32 v7, v7
	global_store_b16 v[5:6], v7, off
.LBB152_32:
	s_or_b32 exec_lo, exec_lo, s4
	v_add3_u32 v5, v1, s11, 24
	s_delay_alu instid0(VALU_DEP_1) | instskip(NEXT) | instid1(VALU_DEP_1)
	v_cmp_gt_u32_e64 s3, s6, v5
	s_and_b32 exec_lo, exec_lo, s3
	s_cbranch_execz .LBB152_62
; %bb.33:
	v_mul_lo_u32 v5, v5, s10
	s_and_saveexec_b32 s4, vcc_lo
	s_cbranch_execnz .LBB152_69
; %bb.34:
	s_or_b32 exec_lo, exec_lo, s4
	s_and_saveexec_b32 s4, s0
	s_cbranch_execnz .LBB152_70
.LBB152_35:
	s_or_b32 exec_lo, exec_lo, s4
	s_and_saveexec_b32 s4, s1
	s_cbranch_execnz .LBB152_71
.LBB152_36:
	s_or_b32 exec_lo, exec_lo, s4
	s_and_saveexec_b32 s4, s2
	s_cbranch_execz .LBB152_38
.LBB152_37:
	scratch_load_b32 v7, off, off offset:1112 ; 4-byte Folded Reload
	v_dual_mov_b32 v6, 0 :: v_dual_add_nc_u32 v5, v5, v4
	s_delay_alu instid0(VALU_DEP_1) | instskip(SKIP_1) | instid1(VALU_DEP_1)
	v_lshlrev_b64 v[5:6], 1, v[5:6]
	s_waitcnt lgkmcnt(0)
	v_add_co_u32 v5, s3, s8, v5
	s_delay_alu instid0(VALU_DEP_1)
	v_add_co_ci_u32_e64 v6, s3, s9, v6, s3
	s_waitcnt vmcnt(0)
	v_cvt_f16_f32_e32 v7, v7
	global_store_b16 v[5:6], v7, off
.LBB152_38:
	s_or_b32 exec_lo, exec_lo, s4
	v_add3_u32 v5, v1, s11, 32
	s_delay_alu instid0(VALU_DEP_1) | instskip(NEXT) | instid1(VALU_DEP_1)
	v_cmp_gt_u32_e64 s3, s6, v5
	s_and_b32 exec_lo, exec_lo, s3
	s_cbranch_execz .LBB152_62
; %bb.39:
	v_mul_lo_u32 v5, v5, s10
	s_and_saveexec_b32 s4, vcc_lo
	s_cbranch_execnz .LBB152_72
; %bb.40:
	s_or_b32 exec_lo, exec_lo, s4
	s_and_saveexec_b32 s4, s0
	s_cbranch_execnz .LBB152_73
.LBB152_41:
	s_or_b32 exec_lo, exec_lo, s4
	s_and_saveexec_b32 s4, s1
	s_cbranch_execnz .LBB152_74
.LBB152_42:
	s_or_b32 exec_lo, exec_lo, s4
	s_and_saveexec_b32 s4, s2
	s_cbranch_execz .LBB152_44
.LBB152_43:
	scratch_load_b32 v7, off, off offset:1128 ; 4-byte Folded Reload
	v_dual_mov_b32 v6, 0 :: v_dual_add_nc_u32 v5, v5, v4
	s_delay_alu instid0(VALU_DEP_1) | instskip(SKIP_1) | instid1(VALU_DEP_1)
	v_lshlrev_b64 v[5:6], 1, v[5:6]
	s_waitcnt lgkmcnt(0)
	v_add_co_u32 v5, s3, s8, v5
	s_delay_alu instid0(VALU_DEP_1)
	v_add_co_ci_u32_e64 v6, s3, s9, v6, s3
	s_waitcnt vmcnt(0)
	v_cvt_f16_f32_e32 v7, v7
	global_store_b16 v[5:6], v7, off
.LBB152_44:
	s_or_b32 exec_lo, exec_lo, s4
	v_add3_u32 v5, v1, s11, 40
	s_delay_alu instid0(VALU_DEP_1) | instskip(NEXT) | instid1(VALU_DEP_1)
	v_cmp_gt_u32_e64 s3, s6, v5
	s_and_b32 exec_lo, exec_lo, s3
	s_cbranch_execz .LBB152_62
; %bb.45:
	v_mul_lo_u32 v5, v5, s10
	s_and_saveexec_b32 s4, vcc_lo
	s_cbranch_execnz .LBB152_75
; %bb.46:
	s_or_b32 exec_lo, exec_lo, s4
	s_and_saveexec_b32 s4, s0
	s_cbranch_execnz .LBB152_76
.LBB152_47:
	s_or_b32 exec_lo, exec_lo, s4
	s_and_saveexec_b32 s4, s1
	s_cbranch_execnz .LBB152_77
.LBB152_48:
	s_or_b32 exec_lo, exec_lo, s4
	s_and_saveexec_b32 s4, s2
	s_cbranch_execz .LBB152_50
.LBB152_49:
	scratch_load_b32 v7, off, off offset:1144 ; 4-byte Folded Reload
	v_dual_mov_b32 v6, 0 :: v_dual_add_nc_u32 v5, v5, v4
	s_delay_alu instid0(VALU_DEP_1) | instskip(SKIP_1) | instid1(VALU_DEP_1)
	v_lshlrev_b64 v[5:6], 1, v[5:6]
	s_waitcnt lgkmcnt(0)
	v_add_co_u32 v5, s3, s8, v5
	s_delay_alu instid0(VALU_DEP_1)
	v_add_co_ci_u32_e64 v6, s3, s9, v6, s3
	s_waitcnt vmcnt(0)
	v_cvt_f16_f32_e32 v7, v7
	global_store_b16 v[5:6], v7, off
.LBB152_50:
	s_or_b32 exec_lo, exec_lo, s4
	v_add3_u32 v5, v1, s11, 48
	s_delay_alu instid0(VALU_DEP_1) | instskip(NEXT) | instid1(VALU_DEP_1)
	v_cmp_gt_u32_e64 s3, s6, v5
	s_and_b32 exec_lo, exec_lo, s3
	s_cbranch_execz .LBB152_62
; %bb.51:
	v_mul_lo_u32 v5, v5, s10
	s_and_saveexec_b32 s4, vcc_lo
	s_cbranch_execnz .LBB152_78
; %bb.52:
	s_or_b32 exec_lo, exec_lo, s4
	s_and_saveexec_b32 s4, s0
	s_cbranch_execnz .LBB152_79
.LBB152_53:
	s_or_b32 exec_lo, exec_lo, s4
	s_and_saveexec_b32 s4, s1
	s_cbranch_execnz .LBB152_80
.LBB152_54:
	s_or_b32 exec_lo, exec_lo, s4
	s_and_saveexec_b32 s4, s2
	s_cbranch_execz .LBB152_56
.LBB152_55:
	v_dual_mov_b32 v6, 0 :: v_dual_add_nc_u32 v5, v5, v4
	v_cvt_f16_f32_e32 v7, v74
	s_delay_alu instid0(VALU_DEP_2) | instskip(SKIP_1) | instid1(VALU_DEP_1)
	v_lshlrev_b64 v[5:6], 1, v[5:6]
	s_waitcnt lgkmcnt(0)
	v_add_co_u32 v5, s3, s8, v5
	s_delay_alu instid0(VALU_DEP_1)
	v_add_co_ci_u32_e64 v6, s3, s9, v6, s3
	global_store_b16 v[5:6], v7, off
.LBB152_56:
	s_or_b32 exec_lo, exec_lo, s4
	v_add3_u32 v1, v1, s11, 56
	s_delay_alu instid0(VALU_DEP_1) | instskip(NEXT) | instid1(VALU_DEP_1)
	v_cmp_gt_u32_e64 s3, s6, v1
	s_and_b32 exec_lo, exec_lo, s3
	s_cbranch_execz .LBB152_62
; %bb.57:
	v_mul_lo_u32 v1, v1, s10
	s_and_saveexec_b32 s3, vcc_lo
	s_cbranch_execnz .LBB152_81
; %bb.58:
	s_or_b32 exec_lo, exec_lo, s3
	s_and_saveexec_b32 s3, s0
	s_cbranch_execnz .LBB152_82
.LBB152_59:
	s_or_b32 exec_lo, exec_lo, s3
	s_and_saveexec_b32 s0, s1
	s_cbranch_execnz .LBB152_83
.LBB152_60:
	s_or_b32 exec_lo, exec_lo, s0
	s_delay_alu instid0(SALU_CYCLE_1)
	s_and_b32 exec_lo, exec_lo, s2
	s_cbranch_execz .LBB152_62
.LBB152_61:
	v_dual_mov_b32 v1, 0 :: v_dual_add_nc_u32 v0, v1, v4
	v_cvt_f16_f32_e32 v2, v30
	s_delay_alu instid0(VALU_DEP_2) | instskip(SKIP_1) | instid1(VALU_DEP_1)
	v_lshlrev_b64 v[0:1], 1, v[0:1]
	s_waitcnt lgkmcnt(0)
	v_add_co_u32 v0, vcc_lo, s8, v0
	s_delay_alu instid0(VALU_DEP_2)
	v_add_co_ci_u32_e32 v1, vcc_lo, s9, v1, vcc_lo
	global_store_b16 v[0:1], v2, off
.LBB152_62:
	s_endpgm
.LBB152_63:
	scratch_load_b32 v8, off, off offset:1092 ; 4-byte Folded Reload
	v_dual_mov_b32 v7, 0 :: v_dual_add_nc_u32 v6, v5, v0
	s_delay_alu instid0(VALU_DEP_1) | instskip(SKIP_1) | instid1(VALU_DEP_1)
	v_lshlrev_b64 v[6:7], 1, v[6:7]
	s_waitcnt lgkmcnt(0)
	v_add_co_u32 v6, s3, s8, v6
	s_delay_alu instid0(VALU_DEP_1)
	v_add_co_ci_u32_e64 v7, s3, s9, v7, s3
	s_waitcnt vmcnt(0)
	v_cvt_f16_f32_e32 v8, v8
	global_store_b16 v[6:7], v8, off
	s_or_b32 exec_lo, exec_lo, s4
	s_and_saveexec_b32 s4, s0
	s_cbranch_execz .LBB152_23
.LBB152_64:
	scratch_load_b32 v8, off, off offset:1088 ; 4-byte Folded Reload
	v_dual_mov_b32 v7, 0 :: v_dual_add_nc_u32 v6, v5, v2
	s_delay_alu instid0(VALU_DEP_1) | instskip(SKIP_1) | instid1(VALU_DEP_1)
	v_lshlrev_b64 v[6:7], 1, v[6:7]
	s_waitcnt lgkmcnt(0)
	v_add_co_u32 v6, s3, s8, v6
	s_delay_alu instid0(VALU_DEP_1)
	v_add_co_ci_u32_e64 v7, s3, s9, v7, s3
	s_waitcnt vmcnt(0)
	v_cvt_f16_f32_e32 v8, v8
	global_store_b16 v[6:7], v8, off
	s_or_b32 exec_lo, exec_lo, s4
	s_and_saveexec_b32 s4, s1
	s_cbranch_execz .LBB152_24
.LBB152_65:
	scratch_load_b32 v8, off, off offset:1084 ; 4-byte Folded Reload
	v_dual_mov_b32 v7, 0 :: v_dual_add_nc_u32 v6, v5, v3
	s_delay_alu instid0(VALU_DEP_1) | instskip(SKIP_1) | instid1(VALU_DEP_1)
	v_lshlrev_b64 v[6:7], 1, v[6:7]
	s_waitcnt lgkmcnt(0)
	v_add_co_u32 v6, s3, s8, v6
	s_delay_alu instid0(VALU_DEP_1)
	v_add_co_ci_u32_e64 v7, s3, s9, v7, s3
	s_waitcnt vmcnt(0)
	v_cvt_f16_f32_e32 v8, v8
	global_store_b16 v[6:7], v8, off
	s_or_b32 exec_lo, exec_lo, s4
	s_and_saveexec_b32 s4, s2
	s_cbranch_execnz .LBB152_25
	s_branch .LBB152_26
.LBB152_66:
	scratch_load_b32 v8, off, off offset:1108 ; 4-byte Folded Reload
	v_dual_mov_b32 v7, 0 :: v_dual_add_nc_u32 v6, v5, v0
	s_delay_alu instid0(VALU_DEP_1) | instskip(SKIP_1) | instid1(VALU_DEP_1)
	v_lshlrev_b64 v[6:7], 1, v[6:7]
	s_waitcnt lgkmcnt(0)
	v_add_co_u32 v6, s3, s8, v6
	s_delay_alu instid0(VALU_DEP_1)
	v_add_co_ci_u32_e64 v7, s3, s9, v7, s3
	s_waitcnt vmcnt(0)
	v_cvt_f16_f32_e32 v8, v8
	global_store_b16 v[6:7], v8, off
	s_or_b32 exec_lo, exec_lo, s4
	s_and_saveexec_b32 s4, s0
	s_cbranch_execz .LBB152_29
.LBB152_67:
	scratch_load_b32 v8, off, off offset:1104 ; 4-byte Folded Reload
	v_dual_mov_b32 v7, 0 :: v_dual_add_nc_u32 v6, v5, v2
	s_delay_alu instid0(VALU_DEP_1) | instskip(SKIP_1) | instid1(VALU_DEP_1)
	v_lshlrev_b64 v[6:7], 1, v[6:7]
	s_waitcnt lgkmcnt(0)
	v_add_co_u32 v6, s3, s8, v6
	s_delay_alu instid0(VALU_DEP_1)
	v_add_co_ci_u32_e64 v7, s3, s9, v7, s3
	s_waitcnt vmcnt(0)
	v_cvt_f16_f32_e32 v8, v8
	global_store_b16 v[6:7], v8, off
	s_or_b32 exec_lo, exec_lo, s4
	s_and_saveexec_b32 s4, s1
	s_cbranch_execz .LBB152_30
.LBB152_68:
	scratch_load_b32 v8, off, off offset:1100 ; 4-byte Folded Reload
	v_dual_mov_b32 v7, 0 :: v_dual_add_nc_u32 v6, v5, v3
	s_delay_alu instid0(VALU_DEP_1) | instskip(SKIP_1) | instid1(VALU_DEP_1)
	v_lshlrev_b64 v[6:7], 1, v[6:7]
	s_waitcnt lgkmcnt(0)
	v_add_co_u32 v6, s3, s8, v6
	s_delay_alu instid0(VALU_DEP_1)
	v_add_co_ci_u32_e64 v7, s3, s9, v7, s3
	s_waitcnt vmcnt(0)
	v_cvt_f16_f32_e32 v8, v8
	global_store_b16 v[6:7], v8, off
	s_or_b32 exec_lo, exec_lo, s4
	s_and_saveexec_b32 s4, s2
	s_cbranch_execnz .LBB152_31
	s_branch .LBB152_32
.LBB152_69:
	scratch_load_b32 v8, off, off offset:1124 ; 4-byte Folded Reload
	v_dual_mov_b32 v7, 0 :: v_dual_add_nc_u32 v6, v5, v0
	s_delay_alu instid0(VALU_DEP_1) | instskip(SKIP_1) | instid1(VALU_DEP_1)
	v_lshlrev_b64 v[6:7], 1, v[6:7]
	s_waitcnt lgkmcnt(0)
	v_add_co_u32 v6, s3, s8, v6
	s_delay_alu instid0(VALU_DEP_1)
	v_add_co_ci_u32_e64 v7, s3, s9, v7, s3
	s_waitcnt vmcnt(0)
	v_cvt_f16_f32_e32 v8, v8
	global_store_b16 v[6:7], v8, off
	s_or_b32 exec_lo, exec_lo, s4
	s_and_saveexec_b32 s4, s0
	s_cbranch_execz .LBB152_35
.LBB152_70:
	scratch_load_b32 v8, off, off offset:1120 ; 4-byte Folded Reload
	v_dual_mov_b32 v7, 0 :: v_dual_add_nc_u32 v6, v5, v2
	s_delay_alu instid0(VALU_DEP_1) | instskip(SKIP_1) | instid1(VALU_DEP_1)
	v_lshlrev_b64 v[6:7], 1, v[6:7]
	s_waitcnt lgkmcnt(0)
	v_add_co_u32 v6, s3, s8, v6
	s_delay_alu instid0(VALU_DEP_1)
	v_add_co_ci_u32_e64 v7, s3, s9, v7, s3
	s_waitcnt vmcnt(0)
	v_cvt_f16_f32_e32 v8, v8
	global_store_b16 v[6:7], v8, off
	s_or_b32 exec_lo, exec_lo, s4
	s_and_saveexec_b32 s4, s1
	s_cbranch_execz .LBB152_36
.LBB152_71:
	scratch_load_b32 v8, off, off offset:1116 ; 4-byte Folded Reload
	v_dual_mov_b32 v7, 0 :: v_dual_add_nc_u32 v6, v5, v3
	s_delay_alu instid0(VALU_DEP_1) | instskip(SKIP_1) | instid1(VALU_DEP_1)
	v_lshlrev_b64 v[6:7], 1, v[6:7]
	s_waitcnt lgkmcnt(0)
	v_add_co_u32 v6, s3, s8, v6
	s_delay_alu instid0(VALU_DEP_1)
	v_add_co_ci_u32_e64 v7, s3, s9, v7, s3
	s_waitcnt vmcnt(0)
	v_cvt_f16_f32_e32 v8, v8
	global_store_b16 v[6:7], v8, off
	s_or_b32 exec_lo, exec_lo, s4
	s_and_saveexec_b32 s4, s2
	s_cbranch_execnz .LBB152_37
	s_branch .LBB152_38
.LBB152_72:
	scratch_load_b32 v8, off, off offset:1140 ; 4-byte Folded Reload
	v_dual_mov_b32 v7, 0 :: v_dual_add_nc_u32 v6, v5, v0
	s_delay_alu instid0(VALU_DEP_1) | instskip(SKIP_1) | instid1(VALU_DEP_1)
	v_lshlrev_b64 v[6:7], 1, v[6:7]
	s_waitcnt lgkmcnt(0)
	v_add_co_u32 v6, s3, s8, v6
	s_delay_alu instid0(VALU_DEP_1)
	v_add_co_ci_u32_e64 v7, s3, s9, v7, s3
	s_waitcnt vmcnt(0)
	v_cvt_f16_f32_e32 v8, v8
	global_store_b16 v[6:7], v8, off
	s_or_b32 exec_lo, exec_lo, s4
	s_and_saveexec_b32 s4, s0
	s_cbranch_execz .LBB152_41
.LBB152_73:
	scratch_load_b32 v8, off, off offset:1136 ; 4-byte Folded Reload
	v_dual_mov_b32 v7, 0 :: v_dual_add_nc_u32 v6, v5, v2
	s_delay_alu instid0(VALU_DEP_1) | instskip(SKIP_1) | instid1(VALU_DEP_1)
	v_lshlrev_b64 v[6:7], 1, v[6:7]
	s_waitcnt lgkmcnt(0)
	v_add_co_u32 v6, s3, s8, v6
	s_delay_alu instid0(VALU_DEP_1)
	v_add_co_ci_u32_e64 v7, s3, s9, v7, s3
	s_waitcnt vmcnt(0)
	v_cvt_f16_f32_e32 v8, v8
	global_store_b16 v[6:7], v8, off
	s_or_b32 exec_lo, exec_lo, s4
	s_and_saveexec_b32 s4, s1
	s_cbranch_execz .LBB152_42
.LBB152_74:
	scratch_load_b32 v8, off, off offset:1132 ; 4-byte Folded Reload
	v_dual_mov_b32 v7, 0 :: v_dual_add_nc_u32 v6, v5, v3
	s_delay_alu instid0(VALU_DEP_1) | instskip(SKIP_1) | instid1(VALU_DEP_1)
	v_lshlrev_b64 v[6:7], 1, v[6:7]
	s_waitcnt lgkmcnt(0)
	v_add_co_u32 v6, s3, s8, v6
	s_delay_alu instid0(VALU_DEP_1)
	v_add_co_ci_u32_e64 v7, s3, s9, v7, s3
	s_waitcnt vmcnt(0)
	v_cvt_f16_f32_e32 v8, v8
	global_store_b16 v[6:7], v8, off
	s_or_b32 exec_lo, exec_lo, s4
	s_and_saveexec_b32 s4, s2
	s_cbranch_execnz .LBB152_43
	s_branch .LBB152_44
.LBB152_75:
	scratch_load_b32 v8, off, off offset:1156 ; 4-byte Folded Reload
	v_dual_mov_b32 v7, 0 :: v_dual_add_nc_u32 v6, v5, v0
	s_delay_alu instid0(VALU_DEP_1) | instskip(SKIP_1) | instid1(VALU_DEP_1)
	v_lshlrev_b64 v[6:7], 1, v[6:7]
	s_waitcnt lgkmcnt(0)
	v_add_co_u32 v6, s3, s8, v6
	s_delay_alu instid0(VALU_DEP_1)
	v_add_co_ci_u32_e64 v7, s3, s9, v7, s3
	s_waitcnt vmcnt(0)
	v_cvt_f16_f32_e32 v8, v8
	global_store_b16 v[6:7], v8, off
	s_or_b32 exec_lo, exec_lo, s4
	s_and_saveexec_b32 s4, s0
	s_cbranch_execz .LBB152_47
.LBB152_76:
	scratch_load_b32 v8, off, off offset:1152 ; 4-byte Folded Reload
	v_dual_mov_b32 v7, 0 :: v_dual_add_nc_u32 v6, v5, v2
	s_delay_alu instid0(VALU_DEP_1) | instskip(SKIP_1) | instid1(VALU_DEP_1)
	v_lshlrev_b64 v[6:7], 1, v[6:7]
	s_waitcnt lgkmcnt(0)
	v_add_co_u32 v6, s3, s8, v6
	s_delay_alu instid0(VALU_DEP_1)
	v_add_co_ci_u32_e64 v7, s3, s9, v7, s3
	s_waitcnt vmcnt(0)
	v_cvt_f16_f32_e32 v8, v8
	global_store_b16 v[6:7], v8, off
	s_or_b32 exec_lo, exec_lo, s4
	s_and_saveexec_b32 s4, s1
	s_cbranch_execz .LBB152_48
.LBB152_77:
	scratch_load_b32 v8, off, off offset:1148 ; 4-byte Folded Reload
	v_dual_mov_b32 v7, 0 :: v_dual_add_nc_u32 v6, v5, v3
	s_delay_alu instid0(VALU_DEP_1) | instskip(SKIP_1) | instid1(VALU_DEP_1)
	v_lshlrev_b64 v[6:7], 1, v[6:7]
	s_waitcnt lgkmcnt(0)
	v_add_co_u32 v6, s3, s8, v6
	s_delay_alu instid0(VALU_DEP_1)
	v_add_co_ci_u32_e64 v7, s3, s9, v7, s3
	s_waitcnt vmcnt(0)
	v_cvt_f16_f32_e32 v8, v8
	global_store_b16 v[6:7], v8, off
	s_or_b32 exec_lo, exec_lo, s4
	s_and_saveexec_b32 s4, s2
	s_cbranch_execnz .LBB152_49
	s_branch .LBB152_50
.LBB152_78:
	scratch_load_b32 v8, off, off offset:1160 ; 4-byte Folded Reload
	v_dual_mov_b32 v7, 0 :: v_dual_add_nc_u32 v6, v5, v0
	s_delay_alu instid0(VALU_DEP_1) | instskip(SKIP_1) | instid1(VALU_DEP_1)
	v_lshlrev_b64 v[6:7], 1, v[6:7]
	s_waitcnt lgkmcnt(0)
	v_add_co_u32 v6, s3, s8, v6
	s_delay_alu instid0(VALU_DEP_1)
	v_add_co_ci_u32_e64 v7, s3, s9, v7, s3
	s_waitcnt vmcnt(0)
	v_cvt_f16_f32_e32 v8, v8
	global_store_b16 v[6:7], v8, off
	s_or_b32 exec_lo, exec_lo, s4
	s_and_saveexec_b32 s4, s0
	s_cbranch_execz .LBB152_53
.LBB152_79:
	s_delay_alu instid0(VALU_DEP_1) | instskip(SKIP_1) | instid1(VALU_DEP_2)
	v_dual_mov_b32 v7, 0 :: v_dual_add_nc_u32 v6, v5, v2
	v_cvt_f16_f32_e32 v8, v67
	v_lshlrev_b64 v[6:7], 1, v[6:7]
	s_waitcnt lgkmcnt(0)
	s_delay_alu instid0(VALU_DEP_1) | instskip(NEXT) | instid1(VALU_DEP_1)
	v_add_co_u32 v6, s3, s8, v6
	v_add_co_ci_u32_e64 v7, s3, s9, v7, s3
	global_store_b16 v[6:7], v8, off
	s_or_b32 exec_lo, exec_lo, s4
	s_and_saveexec_b32 s4, s1
	s_cbranch_execz .LBB152_54
.LBB152_80:
	v_dual_mov_b32 v7, 0 :: v_dual_add_nc_u32 v6, v5, v3
	v_cvt_f16_f32_e32 v8, v68
	s_delay_alu instid0(VALU_DEP_2) | instskip(SKIP_1) | instid1(VALU_DEP_1)
	v_lshlrev_b64 v[6:7], 1, v[6:7]
	s_waitcnt lgkmcnt(0)
	v_add_co_u32 v6, s3, s8, v6
	s_delay_alu instid0(VALU_DEP_1)
	v_add_co_ci_u32_e64 v7, s3, s9, v7, s3
	global_store_b16 v[6:7], v8, off
	s_or_b32 exec_lo, exec_lo, s4
	s_and_saveexec_b32 s4, s2
	s_cbranch_execnz .LBB152_55
	s_branch .LBB152_56
.LBB152_81:
	s_delay_alu instid0(VALU_DEP_1) | instskip(SKIP_1) | instid1(VALU_DEP_2)
	v_dual_mov_b32 v6, 0 :: v_dual_add_nc_u32 v5, v1, v0
	v_cvt_f16_f32_e32 v0, v33
	v_lshlrev_b64 v[5:6], 1, v[5:6]
	s_waitcnt lgkmcnt(0)
	s_delay_alu instid0(VALU_DEP_1) | instskip(NEXT) | instid1(VALU_DEP_2)
	v_add_co_u32 v5, vcc_lo, s8, v5
	v_add_co_ci_u32_e32 v6, vcc_lo, s9, v6, vcc_lo
	global_store_b16 v[5:6], v0, off
	s_or_b32 exec_lo, exec_lo, s3
	s_and_saveexec_b32 s3, s0
	s_cbranch_execz .LBB152_59
.LBB152_82:
	s_delay_alu instid0(VALU_DEP_1) | instskip(SKIP_1) | instid1(VALU_DEP_2)
	v_dual_mov_b32 v6, 0 :: v_dual_add_nc_u32 v5, v1, v2
	v_cvt_f16_f32_e32 v0, v32
	v_lshlrev_b64 v[5:6], 1, v[5:6]
	s_waitcnt lgkmcnt(0)
	s_delay_alu instid0(VALU_DEP_1) | instskip(NEXT) | instid1(VALU_DEP_2)
	v_add_co_u32 v5, vcc_lo, s8, v5
	v_add_co_ci_u32_e32 v6, vcc_lo, s9, v6, vcc_lo
	global_store_b16 v[5:6], v0, off
	s_or_b32 exec_lo, exec_lo, s3
	s_and_saveexec_b32 s0, s1
	s_cbranch_execz .LBB152_60
.LBB152_83:
	v_dual_mov_b32 v3, 0 :: v_dual_add_nc_u32 v2, v1, v3
	v_cvt_f16_f32_e32 v0, v31
	s_delay_alu instid0(VALU_DEP_2) | instskip(SKIP_1) | instid1(VALU_DEP_1)
	v_lshlrev_b64 v[2:3], 1, v[2:3]
	s_waitcnt lgkmcnt(0)
	v_add_co_u32 v2, vcc_lo, s8, v2
	s_delay_alu instid0(VALU_DEP_2) | instskip(SKIP_2) | instid1(SALU_CYCLE_1)
	v_add_co_ci_u32_e32 v3, vcc_lo, s9, v3, vcc_lo
	global_store_b16 v[2:3], v0, off
	s_or_b32 exec_lo, exec_lo, s0
	s_and_b32 exec_lo, exec_lo, s2
	s_cbranch_execnz .LBB152_61
	s_branch .LBB152_62
	.section	.rodata,"a",@progbits
	.p2align	6, 0x0
	.amdhsa_kernel _ZL12mul_mat_q4_KIN3c104HalfELb1EEvPKvS3_PT_iiiii
		.amdhsa_group_segment_fixed_size 28752
		.amdhsa_private_segment_fixed_size 1648
		.amdhsa_kernarg_size 44
		.amdhsa_user_sgpr_count 14
		.amdhsa_user_sgpr_dispatch_ptr 0
		.amdhsa_user_sgpr_queue_ptr 0
		.amdhsa_user_sgpr_kernarg_segment_ptr 1
		.amdhsa_user_sgpr_dispatch_id 0
		.amdhsa_user_sgpr_private_segment_size 0
		.amdhsa_wavefront_size32 1
		.amdhsa_uses_dynamic_stack 0
		.amdhsa_enable_private_segment 1
		.amdhsa_system_sgpr_workgroup_id_x 1
		.amdhsa_system_sgpr_workgroup_id_y 1
		.amdhsa_system_sgpr_workgroup_id_z 0
		.amdhsa_system_sgpr_workgroup_info 0
		.amdhsa_system_vgpr_workitem_id 1
		.amdhsa_next_free_vgpr 256
		.amdhsa_next_free_sgpr 18
		.amdhsa_reserve_vcc 1
		.amdhsa_float_round_mode_32 0
		.amdhsa_float_round_mode_16_64 0
		.amdhsa_float_denorm_mode_32 3
		.amdhsa_float_denorm_mode_16_64 3
		.amdhsa_dx10_clamp 1
		.amdhsa_ieee_mode 1
		.amdhsa_fp16_overflow 0
		.amdhsa_workgroup_processor_mode 1
		.amdhsa_memory_ordered 1
		.amdhsa_forward_progress 0
		.amdhsa_shared_vgpr_count 0
		.amdhsa_exception_fp_ieee_invalid_op 0
		.amdhsa_exception_fp_denorm_src 0
		.amdhsa_exception_fp_ieee_div_zero 0
		.amdhsa_exception_fp_ieee_overflow 0
		.amdhsa_exception_fp_ieee_underflow 0
		.amdhsa_exception_fp_ieee_inexact 0
		.amdhsa_exception_int_div_zero 0
	.end_amdhsa_kernel
	.section	.text._ZL12mul_mat_q4_KIN3c104HalfELb1EEvPKvS3_PT_iiiii,"axG",@progbits,_ZL12mul_mat_q4_KIN3c104HalfELb1EEvPKvS3_PT_iiiii,comdat
.Lfunc_end152:
	.size	_ZL12mul_mat_q4_KIN3c104HalfELb1EEvPKvS3_PT_iiiii, .Lfunc_end152-_ZL12mul_mat_q4_KIN3c104HalfELb1EEvPKvS3_PT_iiiii
                                        ; -- End function
	.section	.AMDGPU.csdata,"",@progbits
; Kernel info:
; codeLenInByte = 49340
; NumSgprs: 20
; NumVgprs: 256
; ScratchSize: 1648
; MemoryBound: 0
; FloatMode: 240
; IeeeMode: 1
; LDSByteSize: 28752 bytes/workgroup (compile time only)
; SGPRBlocks: 2
; VGPRBlocks: 31
; NumSGPRsForWavesPerEU: 20
; NumVGPRsForWavesPerEU: 256
; Occupancy: 5
; WaveLimiterHint : 0
; COMPUTE_PGM_RSRC2:SCRATCH_EN: 1
; COMPUTE_PGM_RSRC2:USER_SGPR: 14
; COMPUTE_PGM_RSRC2:TRAP_HANDLER: 0
; COMPUTE_PGM_RSRC2:TGID_X_EN: 1
; COMPUTE_PGM_RSRC2:TGID_Y_EN: 1
; COMPUTE_PGM_RSRC2:TGID_Z_EN: 0
; COMPUTE_PGM_RSRC2:TIDIG_COMP_CNT: 1
	.section	.text._ZL12mul_mat_q5_KIN3c104HalfELb0EEvPKvS3_PT_iiiii,"axG",@progbits,_ZL12mul_mat_q5_KIN3c104HalfELb0EEvPKvS3_PT_iiiii,comdat
	.globl	_ZL12mul_mat_q5_KIN3c104HalfELb0EEvPKvS3_PT_iiiii ; -- Begin function _ZL12mul_mat_q5_KIN3c104HalfELb0EEvPKvS3_PT_iiiii
	.p2align	8
	.type	_ZL12mul_mat_q5_KIN3c104HalfELb0EEvPKvS3_PT_iiiii,@function
_ZL12mul_mat_q5_KIN3c104HalfELb0EEvPKvS3_PT_iiiii: ; @_ZL12mul_mat_q5_KIN3c104HalfELb0EEvPKvS3_PT_iiiii
; %bb.0:
	s_clause 0x1
	s_load_b32 s11, s[0:1], 0x18
	s_load_b128 s[4:7], s[0:1], 0x20
	v_bfe_u32 v17, v0, 10, 10
	v_and_b32_e32 v18, 0x3ff, v0
	s_waitcnt lgkmcnt(0)
	s_lshl_b32 s7, s15, 6
	s_cmpk_gt_i32 s11, 0xff
	s_cbranch_scc1 .LBB153_2
; %bb.1:
	v_bfe_u32 v1, v0, 10, 10
	v_and_b32_e32 v0, 0x3ff, v0
	s_mov_b32 s2, 0
	s_mov_b32 s3, 0
	s_delay_alu instid0(VALU_DEP_2)
	v_add_nc_u32_e32 v24, s7, v1
	s_branch .LBB153_3
.LBB153_2:
	s_mov_b32 s2, -1
                                        ; implicit-def: $sgpr3
                                        ; implicit-def: $vgpr1
                                        ; implicit-def: $vgpr0
                                        ; implicit-def: $vgpr24
.LBB153_3:
	s_load_b64 s[8:9], s[0:1], 0x10
	v_dual_mov_b32 v3, s3 :: v_dual_mov_b32 v22, s3
	v_dual_mov_b32 v7, s3 :: v_dual_mov_b32 v34, s3
	v_dual_mov_b32 v11, s3 :: v_dual_mov_b32 v4, s3
	v_dual_mov_b32 v15, s3 :: v_dual_mov_b32 v8, s3
	v_dual_mov_b32 v29, s3 :: v_dual_mov_b32 v12, s3
	v_dual_mov_b32 v47, s3 :: v_dual_mov_b32 v16, s3
	v_dual_mov_b32 v23, s3 :: v_dual_mov_b32 v32, s3
	v_dual_mov_b32 v31, s3 :: v_dual_mov_b32 v38, s3
	v_dual_mov_b32 v37, s3 :: v_dual_mov_b32 v6, s3
	v_dual_mov_b32 v51, s3 :: v_dual_mov_b32 v10, s3
	v_dual_mov_b32 v5, s3 :: v_dual_mov_b32 v14, s3
	v_dual_mov_b32 v9, s3 :: v_dual_mov_b32 v26, s3
	v_dual_mov_b32 v13, s3 :: v_dual_mov_b32 v20, s3
	v_mov_b32_e32 v19, s3
	v_mov_b32_e32 v25, s3
	;; [unrolled: 1-line block ×6, first 2 shown]
	s_and_not1_b32 vcc_lo, exec_lo, s2
	s_lshl_b32 s10, s14, 7
	s_cbranch_vccnz .LBB153_11
; %bb.4:
	s_load_b128 s[0:3], s[0:1], 0x0
	s_ashr_i32 s12, s11, 31
	s_ashr_i32 s13, s5, 31
	s_lshr_b32 s12, s12, 24
	v_dual_mov_b32 v33, 0 :: v_dual_add_nc_u32 v24, s7, v17
	s_add_i32 s11, s11, s12
	s_lshr_b32 s12, s13, 27
	s_ashr_i32 s11, s11, 8
	s_add_i32 s5, s5, s12
	s_mul_i32 s12, s11, s10
	s_ashr_i32 s13, s5, 5
	s_mul_i32 s5, s12, 0xb0
	v_add_nc_u32_e32 v5, 8, v24
	s_mul_hi_i32 s12, s12, 0xb0
	v_add_nc_u32_e32 v7, 16, v24
	v_cvt_f64_u32_e32 v[0:1], v24
	v_dual_mov_b32 v20, 0 :: v_dual_lshlrev_b32 v9, 1, v18
	v_cvt_f64_u32_e32 v[5:6], v5
	s_waitcnt lgkmcnt(0)
	s_add_u32 s5, s0, s5
	s_addc_u32 s12, s1, s12
	s_add_i32 s1, s4, -1
	v_cvt_f64_u32_e32 v[7:8], v7
	v_cvt_f64_i32_e32 v[2:3], s1
	v_dual_mov_b32 v43, 0 :: v_dual_and_b32 v10, 7, v18
	v_dual_mov_b32 v32, 0 :: v_dual_add_nc_u32 v11, 24, v24
	v_add_nc_u32_e32 v12, 32, v24
	s_delay_alu instid0(VALU_DEP_3) | instskip(SKIP_1) | instid1(VALU_DEP_4)
	v_and_or_b32 v22, v9, 48, v10
	v_add_nc_u32_e32 v13, 40, v24
	v_cvt_f64_u32_e32 v[9:10], v11
	v_mul_u32_u24_e32 v21, 0x41, v17
	v_cvt_f64_u32_e32 v[11:12], v12
	v_add_nc_u32_e32 v15, 48, v24
	v_dual_mov_b32 v34, 0 :: v_dual_add_nc_u32 v29, 56, v24
	v_cvt_f64_u32_e32 v[13:14], v13
	v_add_lshl_u32 v53, v22, v21, 2
	s_delay_alu instid0(VALU_DEP_4) | instskip(NEXT) | instid1(VALU_DEP_4)
	v_cvt_f64_u32_e32 v[15:16], v15
	v_cvt_f64_u32_e32 v[21:22], v29
	v_dual_mov_b32 v51, 0 :: v_dual_and_b32 v4, 3, v18
	v_lshrrev_b32_e32 v19, 2, v18
	v_lshlrev_b32_e32 v23, 3, v17
	s_lshl_b32 s0, s11, 3
	s_delay_alu instid0(VALU_DEP_3)
	v_add_nc_u32_e32 v26, 0xfe, v4
	v_cmp_gt_u32_e32 vcc_lo, 2, v4
	v_lshlrev_b32_e32 v35, 5, v17
	v_and_b32_e32 v44, 6, v19
	v_mad_i32_i24 v30, s11, v17, s0
	v_dual_mov_b32 v65, 0 :: v_dual_cndmask_b32 v26, v26, v4
	s_delay_alu instid0(VALU_DEP_4)
	v_add_nc_u32_e32 v25, v35, v18
	v_cmp_ne_u32_e32 vcc_lo, 0, v4
	v_add_nc_u32_e32 v85, 0x100, v35
	v_add_nc_u32_e32 v87, 0x200, v35
	v_and_b32_e32 v26, 0xff, v26
	v_and_b32_e32 v31, 0x7f, v25
	v_lshrrev_b32_e32 v25, 3, v25
	v_add_nc_u32_e32 v91, 0x300, v35
	v_min_f64 v[5:6], v[5:6], v[2:3]
	v_min_f64 v[0:1], v[0:1], v[2:3]
	;; [unrolled: 1-line block ×3, first 2 shown]
	v_and_b32_e32 v25, 12, v25
	v_lshlrev_b32_e32 v80, 1, v26
	v_add_nc_u32_e32 v94, 0x400, v35
	v_add_nc_u32_e32 v36, s0, v30
	;; [unrolled: 1-line block ×3, first 2 shown]
	v_min_f64 v[9:10], v[9:10], v[2:3]
	v_add_nc_u32_e32 v98, 0x600, v35
	v_min_f64 v[11:12], v[11:12], v[2:3]
	v_add_nc_u32_e32 v105, 0x700, v35
	v_add_nc_u32_e32 v39, s0, v36
	v_lshrrev_b32_e32 v27, 5, v18
	v_min_f64 v[13:14], v[13:14], v[2:3]
	v_mov_b32_e32 v38, 0
	v_min_f64 v[15:16], v[15:16], v[2:3]
	v_min_f64 v[2:3], v[21:22], v[2:3]
	v_add_co_ci_u32_e32 v22, vcc_lo, 0, v26, vcc_lo
	v_cmp_lt_u32_e32 vcc_lo, 1, v4
	v_lshlrev_b32_e32 v28, 2, v18
	s_delay_alu instid0(VALU_DEP_3) | instskip(SKIP_1) | instid1(VALU_DEP_3)
	v_dual_mov_b32 v26, 0 :: v_dual_lshlrev_b32 v123, 2, v22
	v_dual_mov_b32 v22, 0 :: v_dual_lshlrev_b32 v29, 2, v31
	v_and_b32_e32 v21, 4, v28
	v_mul_i32_i24_e32 v77, s11, v31
	v_lshlrev_b32_e32 v31, 2, v4
	v_mul_i32_i24_e32 v49, s11, v17
	v_add3_u32 v78, v29, v25, 0xae40
	v_cndmask_b32_e32 v79, 0, v21, vcc_lo
	v_add_nc_u32_e32 v25, v19, v23
	v_add_nc_u16 v19, v19, v23
	v_cndmask_b32_e64 v29, 0, 1, vcc_lo
	v_and_b32_e32 v41, 28, v28
	v_and_b32_e32 v40, 0x7c, v28
	;; [unrolled: 1-line block ×3, first 2 shown]
	v_cvt_i32_f64_e32 v5, v[5:6]
	v_cvt_i32_f64_e32 v23, v[0:1]
	v_lshrrev_b16 v1, 1, v19
	v_cvt_i32_f64_e32 v6, v[7:8]
	v_xor_b32_e32 v0, 64, v21
	v_lshl_or_b32 v7, v21, 4, v31
	v_mul_i32_i24_e32 v81, s11, v21
	v_and_b32_e32 v1, 60, v1
	v_cvt_i32_f64_e32 v9, v[9:10]
	v_lshrrev_b32_e32 v8, 1, v0
	v_lshl_or_b32 v10, v0, 4, v31
	v_mov_b32_e32 v21, 0
	v_add3_u32 v82, v7, v1, 0xa200
	v_cvt_i32_f64_e32 v7, v[11:12]
	v_and_b32_e32 v8, 60, v8
	v_and_b32_e32 v11, 63, v25
	v_mov_b32_e32 v25, 0
	v_cvt_i32_f64_e32 v12, v[15:16]
	v_lshlrev_b32_e32 v124, 2, v29
	v_add3_u32 v84, v10, v8, 0xa200
	v_cvt_i32_f64_e32 v8, v[13:14]
	v_or_b32_e32 v13, s7, v11
	v_and_b32_e32 v10, 31, v18
	v_cvt_i32_f64_e32 v14, v[2:3]
	v_lshl_or_b32 v11, v11, 4, v31
	v_mul_i32_i24_e32 v83, s11, v0
	v_min_i32_e32 v13, s1, v13
	v_add_nc_u32_e32 v55, 0x820, v53
	v_dual_mov_b32 v47, 0 :: v_dual_add_nc_u32 v56, 0x1040, v53
	v_add_nc_u32_e32 v57, 0x1860, v53
	v_add_nc_u32_e32 v59, 0x2080, v53
	v_dual_mov_b32 v15, 0 :: v_dual_add_nc_u32 v60, 0x28a0, v53
	v_add_nc_u32_e32 v62, 0x30c0, v53
	v_add_nc_u32_e32 v63, 0x38e0, v53
	;; [unrolled: 1-line block ×4, first 2 shown]
	v_mad_u64_u32 v[2:3], null, v13, s13, v[4:5]
	v_or_b32_e32 v3, v35, v10
	v_or_b32_e32 v4, v85, v10
	v_mul_lo_u32 v93, s13, v6
	v_or_b32_e32 v6, v105, v10
	v_mul_lo_u32 v90, s13, v5
	v_lshl_add_u32 v89, v3, 2, 0x8200
	v_or_b32_e32 v3, v87, v10
	v_lshl_add_u32 v92, v4, 2, 0x8200
	v_or_b32_e32 v4, v94, v10
	v_add_nc_u32_e32 v5, 0x60, v18
	v_mul_lo_u32 v88, s13, v23
	v_lshl_add_u32 v95, v3, 2, 0x8200
	v_or_b32_e32 v3, v91, v10
	v_lshl_add_u32 v101, v4, 2, 0x8200
	v_or_b32_e32 v4, v98, v10
	v_lshrrev_b32_e32 v110, 3, v5
	v_lshlrev_b32_e32 v121, 4, v5
	v_lshl_add_u32 v99, v3, 2, 0x8200
	v_or_b32_e32 v3, v96, v10
	v_lshrrev_b32_e32 v10, 3, v18
	v_mov_b32_e32 v19, 0
	v_lshl_add_u32 v106, v4, 2, 0x8200
	v_add_nc_u32_e32 v4, 64, v18
	s_delay_alu instid0(VALU_DEP_4)
	v_dual_mov_b32 v16, 0 :: v_dual_lshlrev_b32 v125, 2, v10
	v_mov_b32_e32 v10, 0
	v_add_nc_u32_e32 v42, s0, v39
	v_lshl_add_u32 v103, v3, 2, 0x8200
	v_mov_b32_e32 v5, 0
	v_add_nc_u32_e32 v3, 32, v18
	v_lshrrev_b32_e32 v109, 3, v4
	v_add_nc_u32_e32 v45, s0, v42
	v_mul_lo_u32 v97, s13, v9
	v_mov_b32_e32 v37, 0
	v_lshrrev_b32_e32 v108, 3, v3
	v_lshlrev_b32_e32 v117, 4, v3
	v_add_nc_u32_e32 v46, s0, v45
	v_mul_lo_u32 v100, s13, v7
	v_mov_b32_e32 v31, 0
	v_mul_lo_u32 v102, s13, v8
	v_lshl_add_u32 v111, v6, 2, 0x8200
	v_add_nc_u32_e32 v48, s0, v46
	v_dual_mov_b32 v23, 0 :: v_dual_lshlrev_b32 v6, 2, v27
	v_and_b32_e32 v7, 60, v108
	v_and_b32_e32 v8, 60, v109
	s_delay_alu instid0(VALU_DEP_4)
	v_add_nc_u32_e32 v52, s0, v48
	v_and_b32_e32 v9, 60, v110
	v_mov_b32_e32 v29, 0
	v_mul_lo_u32 v104, s13, v12
	v_mul_lo_u32 v107, s13, v14
	v_add_nc_u32_e32 v54, s0, v52
	v_add_nc_u32_e32 v68, 0x5140, v53
	v_add_nc_u32_e32 v69, 0x5960, v53
	v_add_nc_u32_e32 v71, 0x6180, v53
	v_add_nc_u32_e32 v72, 0x69a0, v53
	v_add_nc_u32_e32 v58, s0, v54
	v_add_nc_u32_e32 v73, 0x71c0, v53
	v_dual_mov_b32 v3, 0 :: v_dual_add_nc_u32 v76, 0x79e0, v53
	v_add_nc_u32_e32 v86, 0xaa40, v11
	s_delay_alu instid0(VALU_DEP_4)
	v_add_nc_u32_e32 v61, s0, v58
	v_add3_u32 v112, v6, v28, 0xae40
	v_add3_u32 v113, v28, v7, 0xae40
	;; [unrolled: 1-line block ×4, first 2 shown]
	v_add_nc_u32_e32 v66, s0, v61
	v_mul_u32_u24_e32 v116, 0x104, v18
	v_dual_mov_b32 v14, 0 :: v_dual_lshlrev_b32 v119, 4, v4
	v_mov_b32_e32 v6, 0
	s_delay_alu instid0(VALU_DEP_4) | instskip(SKIP_2) | instid1(VALU_DEP_3)
	v_dual_mov_b32 v13, 0 :: v_dual_add_nc_u32 v70, s0, v66
	v_or_b32_e32 v50, 1, v44
	v_dual_mov_b32 v9, 0 :: v_dual_mov_b32 v12, 0
	v_add_nc_u32_e32 v74, s0, v70
	v_mov_b32_e32 v8, 0
	v_dual_mov_b32 v4, 0 :: v_dual_mov_b32 v11, 0
	v_mov_b32_e32 v7, 0
	s_delay_alu instid0(VALU_DEP_4) | instskip(SKIP_1) | instid1(VALU_DEP_1)
	v_add_nc_u32_e32 v75, s0, v74
	v_add_co_u32 v0, s0, s2, v41
	v_add_co_ci_u32_e64 v1, null, s3, 0, s0
	s_movk_i32 s0, 0x104
	s_mov_b32 s13, 0
	v_mad_u32_u24 v118, v18, s0, 0x2080
	v_mad_u32_u24 v120, v18, s0, 0x4100
	;; [unrolled: 1-line block ×3, first 2 shown]
.LBB153_5:                              ; =>This Loop Header: Depth=1
                                        ;     Child Loop BB153_6 Depth 2
                                        ;       Child Loop BB153_7 Depth 3
	s_mul_i32 s0, s13, 0xb0
	s_mul_hi_u32 s1, s13, 0xb0
	s_add_u32 s0, s5, s0
	s_addc_u32 s1, s12, s1
	s_mov_b32 s14, 0
	v_mad_u64_u32 v[126:127], null, 0xb0, v27, s[0:1]
	s_delay_alu instid0(VALU_DEP_1) | instskip(SKIP_3) | instid1(VALU_DEP_4)
	v_mad_u64_u32 v[128:129], null, 0xb0, v49, v[126:127]
	v_mad_u64_u32 v[130:131], null, 0xb0, v30, v[126:127]
	v_mad_u64_u32 v[136:137], null, 0xb0, v36, v[126:127]
	v_mad_u64_u32 v[138:139], null, 0xb0, v39, v[126:127]
	v_add_co_u32 v132, vcc_lo, v128, v40
	v_add_co_ci_u32_e32 v133, vcc_lo, 0, v129, vcc_lo
	v_add_co_u32 v128, vcc_lo, v128, v41
	v_add_co_ci_u32_e32 v129, vcc_lo, 0, v129, vcc_lo
	;; [unrolled: 2-line block ×6, first 2 shown]
	v_mad_u64_u32 v[144:145], null, 0xb0, v42, v[126:127]
	v_add_co_u32 v142, vcc_lo, v138, v40
	v_add_co_ci_u32_e32 v143, vcc_lo, 0, v139, vcc_lo
	v_add_co_u32 v138, vcc_lo, v138, v41
	v_add_co_ci_u32_e32 v139, vcc_lo, 0, v139, vcc_lo
	s_clause 0x7
	global_load_b32 v146, v[132:133], off offset:48
	global_load_b32 v147, v[128:129], off offset:16
	;; [unrolled: 1-line block ×8, first 2 shown]
	v_mad_u64_u32 v[128:129], null, 0xb0, v45, v[126:127]
	v_add_co_u32 v130, vcc_lo, v144, v40
	v_add_co_ci_u32_e32 v131, vcc_lo, 0, v145, vcc_lo
	v_add_co_u32 v132, vcc_lo, v144, v41
	v_mad_u64_u32 v[136:137], null, 0xb0, v46, v[126:127]
	v_add_co_ci_u32_e32 v133, vcc_lo, 0, v145, vcc_lo
	v_add_co_u32 v134, vcc_lo, v128, v40
	v_add_co_ci_u32_e32 v135, vcc_lo, 0, v129, vcc_lo
	v_add_co_u32 v128, vcc_lo, v128, v41
	v_mad_u64_u32 v[138:139], null, 0xb0, v48, v[126:127]
	v_add_co_ci_u32_e32 v129, vcc_lo, 0, v129, vcc_lo
	v_add_co_u32 v140, vcc_lo, v136, v40
	v_add_co_ci_u32_e32 v141, vcc_lo, 0, v137, vcc_lo
	v_add_co_u32 v136, vcc_lo, v136, v41
	v_add_co_ci_u32_e32 v137, vcc_lo, 0, v137, vcc_lo
	v_mad_u64_u32 v[144:145], null, 0xb0, v52, v[126:127]
	v_add_co_u32 v142, vcc_lo, v138, v40
	v_add_co_ci_u32_e32 v143, vcc_lo, 0, v139, vcc_lo
	v_add_co_u32 v138, vcc_lo, v138, v41
	v_add_co_ci_u32_e32 v139, vcc_lo, 0, v139, vcc_lo
	s_clause 0x7
	global_load_b32 v154, v[130:131], off offset:48
	global_load_b32 v155, v[132:133], off offset:16
	;; [unrolled: 1-line block ×8, first 2 shown]
	v_mad_u64_u32 v[128:129], null, 0xb0, v54, v[126:127]
	v_add_co_u32 v130, vcc_lo, v144, v40
	v_add_co_ci_u32_e32 v131, vcc_lo, 0, v145, vcc_lo
	v_add_co_u32 v132, vcc_lo, v144, v41
	v_mad_u64_u32 v[136:137], null, 0xb0, v58, v[126:127]
	v_add_co_ci_u32_e32 v133, vcc_lo, 0, v145, vcc_lo
	v_add_co_u32 v134, vcc_lo, v128, v40
	v_add_co_ci_u32_e32 v135, vcc_lo, 0, v129, vcc_lo
	v_add_co_u32 v128, vcc_lo, v128, v41
	v_mad_u64_u32 v[138:139], null, 0xb0, v61, v[126:127]
	v_add_co_ci_u32_e32 v129, vcc_lo, 0, v129, vcc_lo
	v_add_co_u32 v140, vcc_lo, v136, v40
	v_add_co_ci_u32_e32 v141, vcc_lo, 0, v137, vcc_lo
	v_add_co_u32 v136, vcc_lo, v136, v41
	v_add_co_ci_u32_e32 v137, vcc_lo, 0, v137, vcc_lo
	v_mad_u64_u32 v[144:145], null, 0xb0, v66, v[126:127]
	v_add_co_u32 v142, vcc_lo, v138, v40
	v_add_co_ci_u32_e32 v143, vcc_lo, 0, v139, vcc_lo
	v_add_co_u32 v138, vcc_lo, v138, v41
	v_add_co_ci_u32_e32 v139, vcc_lo, 0, v139, vcc_lo
	s_clause 0x7
	global_load_b32 v162, v[130:131], off offset:48
	global_load_b32 v163, v[132:133], off offset:16
	;; [unrolled: 1-line block ×8, first 2 shown]
	v_mad_u64_u32 v[128:129], null, 0xb0, v70, v[126:127]
	v_add_co_u32 v130, vcc_lo, v144, v40
	v_add_co_ci_u32_e32 v131, vcc_lo, 0, v145, vcc_lo
	v_add_co_u32 v132, vcc_lo, v144, v41
	v_add_co_ci_u32_e32 v133, vcc_lo, 0, v145, vcc_lo
	v_add_co_u32 v134, vcc_lo, v128, v40
	v_add_co_ci_u32_e32 v135, vcc_lo, 0, v129, vcc_lo
	v_add_co_u32 v128, vcc_lo, v128, v41
	v_add_co_ci_u32_e32 v129, vcc_lo, 0, v129, vcc_lo
	s_clause 0x3
	global_load_b32 v139, v[130:131], off offset:48
	global_load_b32 v141, v[132:133], off offset:16
	;; [unrolled: 1-line block ×4, first 2 shown]
	v_mad_u64_u32 v[128:129], null, 0xb0, v74, v[126:127]
	v_mad_u64_u32 v[132:133], null, 0xb0, v75, v[126:127]
	s_delay_alu instid0(VALU_DEP_2) | instskip(NEXT) | instid1(VALU_DEP_3)
	v_add_co_u32 v130, vcc_lo, v128, v40
	v_add_co_ci_u32_e32 v131, vcc_lo, 0, v129, vcc_lo
	v_add_co_u32 v126, vcc_lo, v128, v41
	v_add_co_ci_u32_e32 v127, vcc_lo, 0, v129, vcc_lo
	v_mad_u64_u32 v[128:129], null, 0xb0, v81, s[0:1]
	v_add_co_u32 v134, vcc_lo, v132, v40
	v_add_co_ci_u32_e32 v135, vcc_lo, 0, v133, vcc_lo
	v_add_co_u32 v132, vcc_lo, v132, v41
	v_add_co_ci_u32_e32 v133, vcc_lo, 0, v133, vcc_lo
	;; [unrolled: 2-line block ×3, first 2 shown]
	v_mad_u64_u32 v[128:129], null, 0xb0, v83, s[0:1]
	s_clause 0x3
	global_load_b32 v130, v[130:131], off offset:48
	global_load_b32 v131, v[126:127], off offset:16
	;; [unrolled: 1-line block ×4, first 2 shown]
	v_add_co_u32 v126, vcc_lo, v144, v123
	v_add_co_ci_u32_e32 v127, vcc_lo, 0, v145, vcc_lo
	v_add_co_u32 v133, vcc_lo, v128, 4
	v_add_co_ci_u32_e32 v135, vcc_lo, 0, v129, vcc_lo
	global_load_b32 v166, v[126:127], off
	v_add_co_u32 v126, vcc_lo, v133, v123
	v_add_co_ci_u32_e32 v127, vcc_lo, 0, v135, vcc_lo
	v_add_co_u32 v128, vcc_lo, v144, v124
	v_add_co_ci_u32_e32 v129, vcc_lo, 0, v145, vcc_lo
	global_load_b32 v144, v[126:127], off
	v_add_co_u32 v126, vcc_lo, v133, v124
	global_load_b32 v133, v[128:129], off
	v_mad_u64_u32 v[128:129], null, 0xb0, v77, s[0:1]
	v_add_co_ci_u32_e32 v127, vcc_lo, 0, v135, vcc_lo
	s_clause 0x1
	global_load_b32 v126, v[126:127], off
	global_load_b32 v127, v[128:129], off
	s_lshl_b32 s0, s13, 3
	s_mov_b32 s1, -1
	s_waitcnt vmcnt(36)
	v_lshrrev_b32_e32 v129, 4, v146
	s_waitcnt vmcnt(35)
	v_ashrrev_i32_e32 v135, v44, v147
	v_ashrrev_i32_e32 v145, v50, v147
	v_and_b32_e32 v128, 0xf0f0f0f, v146
	s_waitcnt vmcnt(34)
	v_and_b32_e32 v146, 0xf0f0f0f, v148
	v_lshrrev_b32_e32 v147, 4, v148
	s_waitcnt vmcnt(33)
	v_ashrrev_i32_e32 v148, v44, v149
	v_ashrrev_i32_e32 v149, v50, v149
	s_waitcnt vmcnt(32)
	v_and_b32_e32 v167, 0xf0f0f0f, v150
	v_lshrrev_b32_e32 v150, 4, v150
	s_waitcnt vmcnt(31)
	v_ashrrev_i32_e32 v168, v44, v151
	v_ashrrev_i32_e32 v151, v50, v151
	;; [unrolled: 6-line block ×3, first 2 shown]
	v_and_b32_e32 v129, 0xf0f0f0f, v129
	v_lshlrev_b32_e32 v135, 4, v135
	v_lshlrev_b32_e32 v145, 4, v145
	v_and_b32_e32 v147, 0xf0f0f0f, v147
	v_lshlrev_b32_e32 v148, 4, v148
	v_lshlrev_b32_e32 v149, 4, v149
	;; [unrolled: 3-line block ×4, first 2 shown]
	v_and_or_b32 v128, 0x10101010, v135, v128
	v_and_or_b32 v129, 0x10101010, v145, v129
	;; [unrolled: 1-line block ×8, first 2 shown]
	s_waitcnt vmcnt(28)
	v_and_b32_e32 v171, 0xf0f0f0f, v154
	v_lshrrev_b32_e32 v154, 4, v154
	s_waitcnt vmcnt(27)
	v_ashrrev_i32_e32 v172, v44, v155
	v_ashrrev_i32_e32 v155, v50, v155
	s_waitcnt vmcnt(26)
	v_and_b32_e32 v173, 0xf0f0f0f, v156
	v_lshrrev_b32_e32 v156, 4, v156
	s_waitcnt vmcnt(25)
	v_ashrrev_i32_e32 v174, v44, v157
	v_ashrrev_i32_e32 v157, v50, v157
	;; [unrolled: 6-line block ×4, first 2 shown]
	v_and_b32_e32 v154, 0xf0f0f0f, v154
	v_lshlrev_b32_e32 v172, 4, v172
	v_lshlrev_b32_e32 v155, 4, v155
	v_and_b32_e32 v156, 0xf0f0f0f, v156
	v_lshlrev_b32_e32 v174, 4, v174
	v_lshlrev_b32_e32 v157, 4, v157
	;; [unrolled: 3-line block ×4, first 2 shown]
	v_and_or_b32 v150, 0x10101010, v172, v171
	v_and_or_b32 v151, 0x10101010, v155, v154
	;; [unrolled: 1-line block ×8, first 2 shown]
	s_waitcnt vmcnt(20)
	v_and_b32_e32 v179, 0xf0f0f0f, v162
	v_lshrrev_b32_e32 v162, 4, v162
	s_waitcnt vmcnt(19)
	v_ashrrev_i32_e32 v180, v44, v163
	v_ashrrev_i32_e32 v163, v50, v163
	s_waitcnt vmcnt(18)
	v_and_b32_e32 v181, 0xf0f0f0f, v164
	v_lshrrev_b32_e32 v164, 4, v164
	s_waitcnt vmcnt(17)
	v_ashrrev_i32_e32 v182, v44, v165
	v_ashrrev_i32_e32 v165, v50, v165
	;; [unrolled: 6-line block ×4, first 2 shown]
	v_and_b32_e32 v162, 0xf0f0f0f, v162
	v_lshlrev_b32_e32 v180, 4, v180
	v_lshlrev_b32_e32 v163, 4, v163
	v_and_b32_e32 v164, 0xf0f0f0f, v164
	v_lshlrev_b32_e32 v182, 4, v182
	v_lshlrev_b32_e32 v165, 4, v165
	v_and_b32_e32 v140, 0xf0f0f0f, v140
	s_waitcnt vmcnt(12)
	v_and_b32_e32 v187, 0xf0f0f0f, v139
	v_lshrrev_b32_e32 v139, 4, v139
	s_waitcnt vmcnt(11)
	v_ashrrev_i32_e32 v188, v44, v141
	v_ashrrev_i32_e32 v141, v50, v141
	s_waitcnt vmcnt(10)
	v_lshrrev_b32_e32 v189, 4, v142
	s_waitcnt vmcnt(9)
	v_ashrrev_i32_e32 v190, v44, v143
	v_ashrrev_i32_e32 v143, v50, v143
	v_lshlrev_b32_e32 v184, 4, v184
	v_lshlrev_b32_e32 v136, 4, v136
	v_and_b32_e32 v137, 0xf0f0f0f, v137
	v_lshlrev_b32_e32 v186, 4, v186
	v_lshlrev_b32_e32 v138, 4, v138
	v_and_b32_e32 v139, 0xf0f0f0f, v139
	v_lshlrev_b32_e32 v188, 4, v188
	v_lshlrev_b32_e32 v141, 4, v141
	v_and_or_b32 v158, 0x10101010, v180, v179
	v_and_or_b32 v159, 0x10101010, v163, v162
	;; [unrolled: 1-line block ×6, first 2 shown]
	ds_store_2addr_b32 v53, v128, v129 offset1:8
	ds_store_2addr_b32 v55, v135, v145 offset1:8
	;; [unrolled: 1-line block ×10, first 2 shown]
	v_and_b32_e32 v128, 0xf0f0f0f, v142
	v_and_b32_e32 v129, 0xf0f0f0f, v189
	v_lshlrev_b32_e32 v135, 4, v190
	v_lshlrev_b32_e32 v142, 4, v143
	v_and_or_b32 v140, 0x10101010, v186, v185
	v_and_or_b32 v137, 0x10101010, v138, v137
	;; [unrolled: 1-line block ×4, first 2 shown]
	ds_store_2addr_b32 v68, v162, v136 offset1:8
	ds_store_2addr_b32 v69, v140, v137 offset1:8
	v_and_or_b32 v128, 0x10101010, v135, v128
	v_and_or_b32 v129, 0x10101010, v142, v129
	s_waitcnt vmcnt(8)
	v_lshrrev_b32_e32 v135, 4, v130
	s_waitcnt vmcnt(7)
	v_ashrrev_i32_e32 v136, v44, v131
	v_ashrrev_i32_e32 v131, v50, v131
	ds_store_2addr_b32 v71, v138, v139 offset1:8
	ds_store_2addr_b32 v72, v128, v129 offset1:8
	v_and_b32_e32 v129, 0xf0f0f0f, v135
	v_and_b32_e32 v128, 0xf0f0f0f, v130
	v_lshlrev_b32_e32 v131, 4, v131
	v_lshlrev_b32_e32 v130, 4, v136
	s_waitcnt vmcnt(6)
	v_lshrrev_b32_e32 v135, 4, v134
	s_waitcnt vmcnt(5)
	v_ashrrev_i32_e32 v136, v44, v132
	v_ashrrev_i32_e32 v132, v50, v132
	v_and_or_b32 v129, 0x10101010, v131, v129
	v_and_or_b32 v128, 0x10101010, v130, v128
	v_and_b32_e32 v130, 0xf0f0f0f, v134
	v_and_b32_e32 v134, 0xf0f0f0f, v135
	v_lshlrev_b32_e32 v135, 4, v136
	v_lshlrev_b32_e32 v132, 4, v132
	s_waitcnt vmcnt(4)
	v_ashrrev_i32_e32 v136, v79, v166
	s_waitcnt vmcnt(3)
	v_ashrrev_i32_e32 v131, v79, v144
	v_and_or_b32 v130, 0x10101010, v135, v130
	v_and_or_b32 v132, 0x10101010, v132, v134
	v_and_b32_e32 v134, 0xf0f0f0f, v136
	s_waitcnt vmcnt(2)
	v_ashrrev_i32_e32 v133, v80, v133
	v_and_b32_e32 v131, 0xf0f0f0f, v131
	ds_store_2addr_b32 v73, v128, v129 offset1:8
	ds_store_2addr_b32 v76, v130, v132 offset1:8
	v_and_or_b32 v128, 0x30303030, v133, v134
	s_waitcnt vmcnt(1)
	v_ashrrev_i32_e32 v126, v80, v126
	s_waitcnt vmcnt(0)
	ds_store_b32 v78, v127
	ds_store_b32 v82, v128
	v_and_or_b32 v129, 0x30303030, v126, v131
	v_add_nc_u32_e32 v126, s0, v2
	ds_store_b32 v84, v129
.LBB153_6:                              ;   Parent Loop BB153_5 Depth=1
                                        ; =>  This Loop Header: Depth=2
                                        ;       Child Loop BB153_7 Depth 3
	v_lshl_add_u32 v127, s14, 5, v18
	v_lshl_add_u32 v145, s14, 2, v126
	s_lshl_b32 s14, s14, 4
	s_xor_b32 s1, s1, -1
	s_add_i32 s15, s14, 16
	v_lshrrev_b32_e32 v127, 3, v127
	s_delay_alu instid0(VALU_DEP_1) | instskip(NEXT) | instid1(VALU_DEP_1)
	v_add_nc_u32_e32 v139, s0, v127
	v_add_nc_u32_e32 v129, v139, v88
	;; [unrolled: 1-line block ×7, first 2 shown]
	v_mad_i64_i32 v[127:128], null, v129, 36, v[0:1]
	v_add_nc_u32_e32 v141, v139, v104
	v_mad_i64_i32 v[129:130], null, v131, 36, v[0:1]
	v_mad_i64_i32 v[131:132], null, v133, 36, v[0:1]
	v_add_nc_u32_e32 v143, v139, v107
	v_mad_i64_i32 v[133:134], null, v135, 36, v[0:1]
	v_mad_i64_i32 v[135:136], null, v137, 36, v[0:1]
	;; [unrolled: 1-line block ×5, first 2 shown]
	v_mad_u64_u32 v[143:144], null, v145, 36, s[2:3]
	s_clause 0x8
	global_load_b32 v127, v[127:128], off offset:4
	global_load_b32 v128, v[129:130], off offset:4
	;; [unrolled: 1-line block ×8, first 2 shown]
	global_load_b32 v135, v[143:144], off
	s_waitcnt vmcnt(8)
	ds_store_b32 v89, v127
	s_waitcnt vmcnt(7)
	ds_store_b32 v92, v128
	;; [unrolled: 2-line block ×9, first 2 shown]
	s_waitcnt lgkmcnt(0)
	s_barrier
	buffer_gl0_inv
	ds_load_b32 v128, v112
	ds_load_b32 v129, v113 offset:128
	ds_load_b32 v130, v114 offset:256
	;; [unrolled: 1-line block ×3, first 2 shown]
	s_waitcnt lgkmcnt(3)
	v_lshrrev_b32_e32 v132, 16, v128
	s_waitcnt lgkmcnt(2)
	v_lshrrev_b32_e32 v133, 16, v129
	;; [unrolled: 2-line block ×4, first 2 shown]
	v_cvt_f32_f16_e64 v127, v128
	v_cvt_f32_f16_e64 v128, v129
	;; [unrolled: 1-line block ×8, first 2 shown]
.LBB153_7:                              ;   Parent Loop BB153_5 Depth=1
                                        ;     Parent Loop BB153_6 Depth=2
                                        ; =>    This Inner Loop Header: Depth=3
	s_lshl_b32 s17, s14, 1
	s_lshl_b32 s16, s14, 3
	s_and_b32 s17, s17, 16
	v_add_nc_u32_e32 v143, s16, v116
	v_or_b32_e32 v142, s17, v35
	v_add_nc_u32_e32 v145, s16, v118
	v_add_nc_u32_e32 v146, s16, v120
	;; [unrolled: 1-line block ×3, first 2 shown]
	s_lshr_b32 s16, s14, 2
	v_lshlrev_b32_e32 v144, 2, v142
	s_and_b32 s16, s16, 0x3ffffffe
	v_lshrrev_b32_e32 v142, 1, v142
	s_add_i32 s16, s16, 0xa200
	ds_load_2addr_b32 v[183:184], v143 offset1:1
	ds_load_b128 v[135:138], v144 offset:33280
	ds_load_2addr_b32 v[185:186], v145 offset1:1
	ds_load_2addr_b32 v[193:194], v145 offset0:2 offset1:3
	ds_load_2addr_b32 v[187:188], v146 offset1:1
	ds_load_2addr_b32 v[189:190], v147 offset1:1
	ds_load_2addr_b32 v[197:198], v147 offset0:2 offset1:3
	ds_load_2addr_b32 v[191:192], v143 offset0:2 offset1:3
	;; [unrolled: 1-line block ×3, first 2 shown]
	s_add_i32 s14, s14, 8
	s_delay_alu instid0(SALU_CYCLE_1)
	s_cmp_lt_u32 s14, s15
	s_waitcnt lgkmcnt(7)
	v_dot4_i32_iu8 v139, v183, v135, 0 neg_lo:[1,1,0]
	s_waitcnt lgkmcnt(6)
	v_dot4_i32_iu8 v140, v185, v135, 0 neg_lo:[1,1,0]
	;; [unrolled: 2-line block ×4, first 2 shown]
	v_dot4_i32_iu8 v139, v184, v136, v139 neg_lo:[1,1,0]
	v_dot4_i32_iu8 v140, v186, v136, v140 neg_lo:[1,1,0]
	;; [unrolled: 1-line block ×3, first 2 shown]
	s_delay_alu instid0(VALU_DEP_4)
	v_dot4_i32_iu8 v135, v190, v136, v135 neg_lo:[1,1,0]
	s_waitcnt lgkmcnt(1)
	v_dot4_i32_iu8 v136, v191, v137, v139 neg_lo:[1,1,0]
	v_dot4_i32_iu8 v139, v193, v137, v140 neg_lo:[1,1,0]
	s_waitcnt lgkmcnt(0)
	v_dot4_i32_iu8 v140, v195, v137, v141 neg_lo:[1,1,0]
	v_or_b32_e32 v141, s17, v85
	v_dot4_i32_iu8 v135, v197, v137, v135 neg_lo:[1,1,0]
	v_dot4_i32_iu8 v230, v192, v138, v136 neg_lo:[1,1,0]
	;; [unrolled: 1-line block ×4, first 2 shown]
	v_lshlrev_b32_e32 v148, 2, v141
	v_dot4_i32_iu8 v236, v198, v138, v135 neg_lo:[1,1,0]
	v_lshrrev_b32_e32 v141, 1, v141
	ds_load_b128 v[135:138], v148 offset:33280
	s_waitcnt lgkmcnt(0)
	v_dot4_i32_iu8 v139, v135, v183, 0 neg_lo:[1,1,0]
	v_dot4_i32_iu8 v140, v135, v185, 0 neg_lo:[1,1,0]
	;; [unrolled: 1-line block ×4, first 2 shown]
	s_delay_alu instid0(VALU_DEP_4) | instskip(NEXT) | instid1(VALU_DEP_4)
	v_dot4_i32_iu8 v139, v136, v184, v139 neg_lo:[1,1,0]
	v_dot4_i32_iu8 v140, v136, v186, v140 neg_lo:[1,1,0]
	s_delay_alu instid0(VALU_DEP_4) | instskip(NEXT) | instid1(VALU_DEP_4)
	v_dot4_i32_iu8 v149, v136, v188, v149 neg_lo:[1,1,0]
	v_dot4_i32_iu8 v135, v136, v190, v135 neg_lo:[1,1,0]
	;; [unrolled: 3-line block ×5, first 2 shown]
	s_delay_alu instid0(VALU_DEP_4) | instskip(SKIP_2) | instid1(VALU_DEP_2)
	v_dot4_i32_iu8 v246, v138, v196, v140 neg_lo:[1,1,0]
	v_or_b32_e32 v140, s17, v87
	v_dot4_i32_iu8 v247, v138, v198, v135 neg_lo:[1,1,0]
	v_lshlrev_b32_e32 v149, 2, v140
	v_lshrrev_b32_e32 v140, 1, v140
	ds_load_b128 v[135:138], v149 offset:33280
	s_waitcnt lgkmcnt(0)
	v_dot4_i32_iu8 v139, v135, v183, 0 neg_lo:[1,1,0]
	v_dot4_i32_iu8 v150, v135, v185, 0 neg_lo:[1,1,0]
	;; [unrolled: 1-line block ×4, first 2 shown]
	s_delay_alu instid0(VALU_DEP_4) | instskip(NEXT) | instid1(VALU_DEP_4)
	v_dot4_i32_iu8 v139, v136, v184, v139 neg_lo:[1,1,0]
	v_dot4_i32_iu8 v150, v136, v186, v150 neg_lo:[1,1,0]
	s_delay_alu instid0(VALU_DEP_4) | instskip(NEXT) | instid1(VALU_DEP_4)
	v_dot4_i32_iu8 v151, v136, v188, v151 neg_lo:[1,1,0]
	v_dot4_i32_iu8 v135, v136, v190, v135 neg_lo:[1,1,0]
	;; [unrolled: 3-line block ×5, first 2 shown]
	v_or_b32_e32 v139, s17, v91
	v_dot4_i32_iu8 v160, v138, v196, v150 neg_lo:[1,1,0]
	v_dot4_i32_iu8 v161, v138, v198, v135 neg_lo:[1,1,0]
	s_delay_alu instid0(VALU_DEP_3)
	v_lshlrev_b32_e32 v150, 2, v139
	v_lshrrev_b32_e32 v139, 1, v139
	ds_load_b128 v[135:138], v150 offset:33280
	s_waitcnt lgkmcnt(0)
	v_dot4_i32_iu8 v151, v135, v183, 0 neg_lo:[1,1,0]
	v_dot4_i32_iu8 v152, v135, v185, 0 neg_lo:[1,1,0]
	;; [unrolled: 1-line block ×4, first 2 shown]
	s_delay_alu instid0(VALU_DEP_4) | instskip(NEXT) | instid1(VALU_DEP_4)
	v_dot4_i32_iu8 v151, v136, v184, v151 neg_lo:[1,1,0]
	v_dot4_i32_iu8 v152, v136, v186, v152 neg_lo:[1,1,0]
	s_delay_alu instid0(VALU_DEP_4) | instskip(NEXT) | instid1(VALU_DEP_4)
	v_dot4_i32_iu8 v153, v136, v188, v153 neg_lo:[1,1,0]
	v_dot4_i32_iu8 v135, v136, v190, v135 neg_lo:[1,1,0]
	;; [unrolled: 3-line block ×6, first 2 shown]
	v_or_b32_e32 v138, s17, v94
	s_delay_alu instid0(VALU_DEP_1)
	v_lshlrev_b32_e32 v151, 2, v138
	v_lshrrev_b32_e32 v138, 1, v138
	ds_load_b128 v[152:155], v151 offset:33280
	s_waitcnt lgkmcnt(0)
	v_dot4_i32_iu8 v137, v152, v187, 0 neg_lo:[1,1,0]
	v_dot4_i32_iu8 v135, v152, v183, 0 neg_lo:[1,1,0]
	v_dot4_i32_iu8 v136, v152, v185, 0 neg_lo:[1,1,0]
	v_dot4_i32_iu8 v152, v152, v189, 0 neg_lo:[1,1,0]
	s_delay_alu instid0(VALU_DEP_4) | instskip(NEXT) | instid1(VALU_DEP_4)
	v_dot4_i32_iu8 v137, v153, v188, v137 neg_lo:[1,1,0]
	v_dot4_i32_iu8 v135, v153, v184, v135 neg_lo:[1,1,0]
	s_delay_alu instid0(VALU_DEP_4) | instskip(NEXT) | instid1(VALU_DEP_4)
	v_dot4_i32_iu8 v136, v153, v186, v136 neg_lo:[1,1,0]
	v_dot4_i32_iu8 v152, v153, v190, v152 neg_lo:[1,1,0]
	s_delay_alu instid0(VALU_DEP_4) | instskip(NEXT) | instid1(VALU_DEP_4)
	v_dot4_i32_iu8 v137, v154, v195, v137 neg_lo:[1,1,0]
	v_dot4_i32_iu8 v135, v154, v191, v135 neg_lo:[1,1,0]
	s_delay_alu instid0(VALU_DEP_4) | instskip(NEXT) | instid1(VALU_DEP_4)
	v_dot4_i32_iu8 v136, v154, v193, v136 neg_lo:[1,1,0]
	v_dot4_i32_iu8 v152, v154, v197, v152 neg_lo:[1,1,0]
	s_delay_alu instid0(VALU_DEP_4) | instskip(SKIP_2) | instid1(VALU_DEP_4)
	v_dot4_i32_iu8 v168, v155, v196, v137 neg_lo:[1,1,0]
	v_or_b32_e32 v137, s17, v96
	v_dot4_i32_iu8 v166, v155, v192, v135 neg_lo:[1,1,0]
	v_dot4_i32_iu8 v169, v155, v198, v152 neg_lo:[1,1,0]
	v_dot4_i32_iu8 v167, v155, v194, v136 neg_lo:[1,1,0]
	s_delay_alu instid0(VALU_DEP_4)
	v_lshlrev_b32_e32 v152, 2, v137
	v_lshrrev_b32_e32 v137, 1, v137
	ds_load_b128 v[153:156], v152 offset:33280
	s_waitcnt lgkmcnt(0)
	v_dot4_i32_iu8 v136, v153, v185, 0 neg_lo:[1,1,0]
	v_dot4_i32_iu8 v135, v153, v183, 0 neg_lo:[1,1,0]
	v_dot4_i32_iu8 v157, v153, v187, 0 neg_lo:[1,1,0]
	v_dot4_i32_iu8 v153, v153, v189, 0 neg_lo:[1,1,0]
	s_delay_alu instid0(VALU_DEP_4) | instskip(NEXT) | instid1(VALU_DEP_4)
	v_dot4_i32_iu8 v136, v154, v186, v136 neg_lo:[1,1,0]
	v_dot4_i32_iu8 v135, v154, v184, v135 neg_lo:[1,1,0]
	s_delay_alu instid0(VALU_DEP_4) | instskip(NEXT) | instid1(VALU_DEP_4)
	v_dot4_i32_iu8 v157, v154, v188, v157 neg_lo:[1,1,0]
	v_dot4_i32_iu8 v153, v154, v190, v153 neg_lo:[1,1,0]
	s_delay_alu instid0(VALU_DEP_4) | instskip(NEXT) | instid1(VALU_DEP_4)
	v_dot4_i32_iu8 v136, v155, v193, v136 neg_lo:[1,1,0]
	v_dot4_i32_iu8 v135, v155, v191, v135 neg_lo:[1,1,0]
	s_delay_alu instid0(VALU_DEP_4) | instskip(NEXT) | instid1(VALU_DEP_4)
	v_dot4_i32_iu8 v154, v155, v195, v157 neg_lo:[1,1,0]
	v_dot4_i32_iu8 v153, v155, v197, v153 neg_lo:[1,1,0]
	s_delay_alu instid0(VALU_DEP_4) | instskip(SKIP_2) | instid1(VALU_DEP_4)
	v_dot4_i32_iu8 v171, v156, v194, v136 neg_lo:[1,1,0]
	v_or_b32_e32 v136, s17, v98
	v_dot4_i32_iu8 v170, v156, v192, v135 neg_lo:[1,1,0]
	v_dot4_i32_iu8 v173, v156, v198, v153 neg_lo:[1,1,0]
	v_dot4_i32_iu8 v172, v156, v196, v154 neg_lo:[1,1,0]
	s_delay_alu instid0(VALU_DEP_4)
	v_lshlrev_b32_e32 v153, 2, v136
	v_lshrrev_b32_e32 v136, 1, v136
	ds_load_b128 v[154:157], v153 offset:33280
	s_waitcnt lgkmcnt(0)
	v_dot4_i32_iu8 v135, v154, v183, 0 neg_lo:[1,1,0]
	v_dot4_i32_iu8 v174, v154, v185, 0 neg_lo:[1,1,0]
	v_dot4_i32_iu8 v175, v154, v187, 0 neg_lo:[1,1,0]
	v_dot4_i32_iu8 v154, v154, v189, 0 neg_lo:[1,1,0]
	s_delay_alu instid0(VALU_DEP_4) | instskip(NEXT) | instid1(VALU_DEP_4)
	v_dot4_i32_iu8 v135, v155, v184, v135 neg_lo:[1,1,0]
	v_dot4_i32_iu8 v174, v155, v186, v174 neg_lo:[1,1,0]
	s_delay_alu instid0(VALU_DEP_4) | instskip(NEXT) | instid1(VALU_DEP_4)
	v_dot4_i32_iu8 v175, v155, v188, v175 neg_lo:[1,1,0]
	v_dot4_i32_iu8 v154, v155, v190, v154 neg_lo:[1,1,0]
	s_delay_alu instid0(VALU_DEP_4) | instskip(NEXT) | instid1(VALU_DEP_4)
	v_dot4_i32_iu8 v135, v156, v191, v135 neg_lo:[1,1,0]
	v_dot4_i32_iu8 v155, v156, v193, v174 neg_lo:[1,1,0]
	s_delay_alu instid0(VALU_DEP_4) | instskip(NEXT) | instid1(VALU_DEP_4)
	v_dot4_i32_iu8 v176, v156, v195, v175 neg_lo:[1,1,0]
	v_dot4_i32_iu8 v154, v156, v197, v154 neg_lo:[1,1,0]
	s_delay_alu instid0(VALU_DEP_4) | instskip(SKIP_2) | instid1(VALU_DEP_4)
	v_dot4_i32_iu8 v174, v157, v192, v135 neg_lo:[1,1,0]
	v_or_b32_e32 v135, s17, v105
	v_dot4_i32_iu8 v175, v157, v194, v155 neg_lo:[1,1,0]
	v_dot4_i32_iu8 v177, v157, v198, v154 neg_lo:[1,1,0]
	v_dot4_i32_iu8 v176, v157, v196, v176 neg_lo:[1,1,0]
	s_delay_alu instid0(VALU_DEP_4)
	v_lshlrev_b32_e32 v154, 2, v135
	v_lshrrev_b32_e32 v135, 1, v135
	ds_load_b128 v[179:182], v154 offset:33280
	s_waitcnt lgkmcnt(0)
	v_dot4_i32_iu8 v155, v179, v183, 0 neg_lo:[1,1,0]
	v_dot4_i32_iu8 v156, v179, v185, 0 neg_lo:[1,1,0]
	;; [unrolled: 1-line block ×4, first 2 shown]
	s_delay_alu instid0(VALU_DEP_4) | instskip(NEXT) | instid1(VALU_DEP_4)
	v_dot4_i32_iu8 v155, v180, v184, v155 neg_lo:[1,1,0]
	v_dot4_i32_iu8 v156, v180, v186, v156 neg_lo:[1,1,0]
	s_delay_alu instid0(VALU_DEP_4) | instskip(NEXT) | instid1(VALU_DEP_4)
	v_dot4_i32_iu8 v157, v180, v188, v157 neg_lo:[1,1,0]
	v_dot4_i32_iu8 v183, v180, v190, v178 neg_lo:[1,1,0]
	s_delay_alu instid0(VALU_DEP_4) | instskip(NEXT) | instid1(VALU_DEP_1)
	v_dot4_i32_iu8 v155, v181, v191, v155 neg_lo:[1,1,0]
	v_dot4_i32_iu8 v178, v182, v192, v155 neg_lo:[1,1,0]
	;; [unrolled: 1-line block ×3, first 2 shown]
	s_delay_alu instid0(VALU_DEP_1) | instskip(SKIP_1) | instid1(VALU_DEP_1)
	v_dot4_i32_iu8 v179, v182, v194, v155 neg_lo:[1,1,0]
	v_dot4_i32_iu8 v155, v181, v195, v157 neg_lo:[1,1,0]
	;; [unrolled: 1-line block ×4, first 2 shown]
	s_delay_alu instid0(VALU_DEP_1)
	v_dot4_i32_iu8 v181, v182, v198, v155 neg_lo:[1,1,0]
	ds_load_2addr_b32 v[155:156], v143 offset0:8 offset1:9
	ds_load_b128 v[182:185], v144 offset:33312
	ds_load_2addr_b32 v[215:216], v145 offset0:8 offset1:9
	ds_load_2addr_b32 v[223:224], v145 offset0:10 offset1:11
	;; [unrolled: 1-line block ×7, first 2 shown]
	s_waitcnt lgkmcnt(7)
	v_dot4_i32_iu8 v157, v155, v182, 0 neg_lo:[1,1,0]
	s_waitcnt lgkmcnt(6)
	v_dot4_i32_iu8 v186, v215, v182, 0 neg_lo:[1,1,0]
	;; [unrolled: 2-line block ×4, first 2 shown]
	v_dot4_i32_iu8 v157, v156, v183, v157 neg_lo:[1,1,0]
	v_dot4_i32_iu8 v186, v216, v183, v186 neg_lo:[1,1,0]
	;; [unrolled: 1-line block ×3, first 2 shown]
	s_delay_alu instid0(VALU_DEP_4)
	v_dot4_i32_iu8 v182, v220, v183, v182 neg_lo:[1,1,0]
	s_waitcnt lgkmcnt(1)
	v_dot4_i32_iu8 v157, v221, v184, v157 neg_lo:[1,1,0]
	v_dot4_i32_iu8 v183, v223, v184, v186 neg_lo:[1,1,0]
	s_waitcnt lgkmcnt(0)
	v_dot4_i32_iu8 v186, v225, v184, v187 neg_lo:[1,1,0]
	v_dot4_i32_iu8 v182, v227, v184, v182 neg_lo:[1,1,0]
	;; [unrolled: 1-line block ×4, first 2 shown]
	s_delay_alu instid0(VALU_DEP_4) | instskip(NEXT) | instid1(VALU_DEP_4)
	v_dot4_i32_iu8 v187, v226, v185, v186 neg_lo:[1,1,0]
	v_dot4_i32_iu8 v182, v228, v185, v182 neg_lo:[1,1,0]
	ds_load_b128 v[183:186], v148 offset:33312
	s_waitcnt lgkmcnt(0)
	v_dot4_i32_iu8 v157, v183, v155, 0 neg_lo:[1,1,0]
	v_dot4_i32_iu8 v190, v183, v215, 0 neg_lo:[1,1,0]
	v_dot4_i32_iu8 v191, v183, v217, 0 neg_lo:[1,1,0]
	v_dot4_i32_iu8 v183, v183, v219, 0 neg_lo:[1,1,0]
	s_delay_alu instid0(VALU_DEP_4) | instskip(NEXT) | instid1(VALU_DEP_4)
	v_dot4_i32_iu8 v157, v184, v156, v157 neg_lo:[1,1,0]
	v_dot4_i32_iu8 v190, v184, v216, v190 neg_lo:[1,1,0]
	s_delay_alu instid0(VALU_DEP_4) | instskip(NEXT) | instid1(VALU_DEP_4)
	v_dot4_i32_iu8 v191, v184, v218, v191 neg_lo:[1,1,0]
	v_dot4_i32_iu8 v183, v184, v220, v183 neg_lo:[1,1,0]
	s_delay_alu instid0(VALU_DEP_4) | instskip(NEXT) | instid1(VALU_DEP_4)
	v_dot4_i32_iu8 v157, v185, v221, v157 neg_lo:[1,1,0]
	v_dot4_i32_iu8 v184, v185, v223, v190 neg_lo:[1,1,0]
	s_delay_alu instid0(VALU_DEP_4) | instskip(NEXT) | instid1(VALU_DEP_4)
	v_dot4_i32_iu8 v190, v185, v225, v191 neg_lo:[1,1,0]
	v_dot4_i32_iu8 v191, v185, v227, v183 neg_lo:[1,1,0]
	s_delay_alu instid0(VALU_DEP_4) | instskip(NEXT) | instid1(VALU_DEP_4)
	v_dot4_i32_iu8 v183, v186, v222, v157 neg_lo:[1,1,0]
	v_dot4_i32_iu8 v184, v186, v224, v184 neg_lo:[1,1,0]
	s_delay_alu instid0(VALU_DEP_4) | instskip(NEXT) | instid1(VALU_DEP_4)
	v_dot4_i32_iu8 v185, v186, v226, v190 neg_lo:[1,1,0]
	v_dot4_i32_iu8 v186, v186, v228, v191 neg_lo:[1,1,0]
	ds_load_b128 v[190:193], v149 offset:33312
	s_waitcnt lgkmcnt(0)
	v_dot4_i32_iu8 v157, v190, v155, 0 neg_lo:[1,1,0]
	v_dot4_i32_iu8 v194, v190, v215, 0 neg_lo:[1,1,0]
	v_dot4_i32_iu8 v195, v190, v217, 0 neg_lo:[1,1,0]
	v_dot4_i32_iu8 v190, v190, v219, 0 neg_lo:[1,1,0]
	s_delay_alu instid0(VALU_DEP_4) | instskip(NEXT) | instid1(VALU_DEP_4)
	v_dot4_i32_iu8 v157, v191, v156, v157 neg_lo:[1,1,0]
	v_dot4_i32_iu8 v194, v191, v216, v194 neg_lo:[1,1,0]
	s_delay_alu instid0(VALU_DEP_4) | instskip(NEXT) | instid1(VALU_DEP_4)
	v_dot4_i32_iu8 v195, v191, v218, v195 neg_lo:[1,1,0]
	v_dot4_i32_iu8 v190, v191, v220, v190 neg_lo:[1,1,0]
	s_delay_alu instid0(VALU_DEP_4) | instskip(NEXT) | instid1(VALU_DEP_4)
	v_dot4_i32_iu8 v157, v192, v221, v157 neg_lo:[1,1,0]
	v_dot4_i32_iu8 v191, v192, v223, v194 neg_lo:[1,1,0]
	s_delay_alu instid0(VALU_DEP_4) | instskip(NEXT) | instid1(VALU_DEP_4)
	v_dot4_i32_iu8 v194, v192, v225, v195 neg_lo:[1,1,0]
	v_dot4_i32_iu8 v195, v192, v227, v190 neg_lo:[1,1,0]
	s_delay_alu instid0(VALU_DEP_4) | instskip(NEXT) | instid1(VALU_DEP_4)
	v_dot4_i32_iu8 v190, v193, v222, v157 neg_lo:[1,1,0]
	v_dot4_i32_iu8 v191, v193, v224, v191 neg_lo:[1,1,0]
	;; [unrolled: 24-line block ×6, first 2 shown]
	s_delay_alu instid0(VALU_DEP_4) | instskip(NEXT) | instid1(VALU_DEP_4)
	v_dot4_i32_iu8 v208, v209, v226, v210 neg_lo:[1,1,0]
	v_dot4_i32_iu8 v209, v209, v228, v211 neg_lo:[1,1,0]
	ds_load_b128 v[211:214], v154 offset:33312
	s_waitcnt lgkmcnt(0)
	v_dot4_i32_iu8 v155, v211, v155, 0 neg_lo:[1,1,0]
	v_dot4_i32_iu8 v157, v211, v217, 0 neg_lo:[1,1,0]
	;; [unrolled: 1-line block ×3, first 2 shown]
	s_delay_alu instid0(VALU_DEP_3) | instskip(SKIP_1) | instid1(VALU_DEP_4)
	v_dot4_i32_iu8 v155, v212, v156, v155 neg_lo:[1,1,0]
	v_dot4_i32_iu8 v156, v211, v215, 0 neg_lo:[1,1,0]
	;; [unrolled: 1-line block ×3, first 2 shown]
	s_delay_alu instid0(VALU_DEP_4) | instskip(NEXT) | instid1(VALU_DEP_4)
	v_dot4_i32_iu8 v215, v212, v220, v210 neg_lo:[1,1,0]
	v_dot4_i32_iu8 v155, v213, v221, v155 neg_lo:[1,1,0]
	s_delay_alu instid0(VALU_DEP_4) | instskip(NEXT) | instid1(VALU_DEP_2)
	v_dot4_i32_iu8 v156, v212, v216, v156 neg_lo:[1,1,0]
	v_dot4_i32_iu8 v210, v214, v222, v155 neg_lo:[1,1,0]
	s_delay_alu instid0(VALU_DEP_2) | instskip(NEXT) | instid1(VALU_DEP_1)
	v_dot4_i32_iu8 v155, v213, v223, v156 neg_lo:[1,1,0]
	v_dot4_i32_iu8 v211, v214, v224, v155 neg_lo:[1,1,0]
	v_dot4_i32_iu8 v155, v213, v225, v157 neg_lo:[1,1,0]
	s_delay_alu instid0(VALU_DEP_1) | instskip(SKIP_1) | instid1(VALU_DEP_1)
	v_dot4_i32_iu8 v212, v214, v226, v155 neg_lo:[1,1,0]
	v_dot4_i32_iu8 v155, v213, v227, v215 neg_lo:[1,1,0]
	;; [unrolled: 1-line block ×3, first 2 shown]
	ds_load_2addr_b32 v[228:229], v143 offset0:4 offset1:5
	ds_load_b128 v[214:217], v144 offset:33296
	ds_load_2addr_b32 v[240:241], v146 offset0:6 offset1:7
	ds_load_2addr_b32 v[238:239], v145 offset0:6 offset1:7
	;; [unrolled: 1-line block ×3, first 2 shown]
	s_waitcnt lgkmcnt(3)
	v_dot4_i32_iu8 v155, v228, v214, v230 neg_lo:[1,1,0]
	ds_load_2addr_b32 v[230:231], v145 offset0:4 offset1:5
	v_dot4_i32_iu8 v155, v229, v215, v155 neg_lo:[1,1,0]
	s_waitcnt lgkmcnt(0)
	v_dot4_i32_iu8 v156, v230, v214, v232 neg_lo:[1,1,0]
	ds_load_2addr_b32 v[232:233], v146 offset0:4 offset1:5
	v_dot4_i32_iu8 v156, v231, v215, v156 neg_lo:[1,1,0]
	s_delay_alu instid0(VALU_DEP_1)
	v_dot4_i32_iu8 v156, v238, v216, v156 neg_lo:[1,1,0]
	s_waitcnt lgkmcnt(0)
	v_dot4_i32_iu8 v157, v232, v214, v234 neg_lo:[1,1,0]
	ds_load_2addr_b32 v[234:235], v147 offset0:4 offset1:5
	v_dot4_i32_iu8 v157, v233, v215, v157 neg_lo:[1,1,0]
	s_waitcnt lgkmcnt(0)
	v_dot4_i32_iu8 v214, v234, v214, v236 neg_lo:[1,1,0]
	ds_load_2addr_b32 v[236:237], v143 offset0:6 offset1:7
	v_dot4_i32_iu8 v214, v235, v215, v214 neg_lo:[1,1,0]
	v_dot4_i32_iu8 v215, v240, v216, v157 neg_lo:[1,1,0]
	;; [unrolled: 1-line block ×3, first 2 shown]
	s_delay_alu instid0(VALU_DEP_2) | instskip(SKIP_3) | instid1(VALU_DEP_2)
	v_dot4_i32_iu8 v156, v241, v217, v215 neg_lo:[1,1,0]
	s_waitcnt lgkmcnt(0)
	v_dot4_i32_iu8 v155, v236, v216, v155 neg_lo:[1,1,0]
	v_dot4_i32_iu8 v216, v242, v216, v214 neg_lo:[1,1,0]
	;; [unrolled: 1-line block ×3, first 2 shown]
	s_delay_alu instid0(VALU_DEP_2)
	v_dot4_i32_iu8 v155, v243, v217, v216 neg_lo:[1,1,0]
	ds_load_b128 v[215:218], v148 offset:33296
	s_waitcnt lgkmcnt(0)
	v_dot4_i32_iu8 v219, v215, v228, v244 neg_lo:[1,1,0]
	v_dot4_i32_iu8 v220, v215, v230, v245 neg_lo:[1,1,0]
	v_dot4_i32_iu8 v221, v215, v232, v246 neg_lo:[1,1,0]
	v_dot4_i32_iu8 v215, v215, v234, v247 neg_lo:[1,1,0]
	s_delay_alu instid0(VALU_DEP_4) | instskip(NEXT) | instid1(VALU_DEP_4)
	v_dot4_i32_iu8 v219, v216, v229, v219 neg_lo:[1,1,0]
	v_dot4_i32_iu8 v220, v216, v231, v220 neg_lo:[1,1,0]
	s_delay_alu instid0(VALU_DEP_4) | instskip(NEXT) | instid1(VALU_DEP_4)
	v_dot4_i32_iu8 v221, v216, v233, v221 neg_lo:[1,1,0]
	v_dot4_i32_iu8 v215, v216, v235, v215 neg_lo:[1,1,0]
	s_delay_alu instid0(VALU_DEP_4) | instskip(NEXT) | instid1(VALU_DEP_4)
	v_dot4_i32_iu8 v216, v217, v236, v219 neg_lo:[1,1,0]
	v_dot4_i32_iu8 v219, v217, v238, v220 neg_lo:[1,1,0]
	s_delay_alu instid0(VALU_DEP_4) | instskip(NEXT) | instid1(VALU_DEP_4)
	v_dot4_i32_iu8 v220, v217, v240, v221 neg_lo:[1,1,0]
	v_dot4_i32_iu8 v215, v217, v242, v215 neg_lo:[1,1,0]
	s_delay_alu instid0(VALU_DEP_4) | instskip(NEXT) | instid1(VALU_DEP_4)
	v_dot4_i32_iu8 v244, v218, v237, v216 neg_lo:[1,1,0]
	v_dot4_i32_iu8 v245, v218, v239, v219 neg_lo:[1,1,0]
	s_delay_alu instid0(VALU_DEP_4) | instskip(NEXT) | instid1(VALU_DEP_4)
	v_dot4_i32_iu8 v227, v218, v241, v220 neg_lo:[1,1,0]
	v_dot4_i32_iu8 v225, v218, v243, v215 neg_lo:[1,1,0]
	ds_load_b128 v[215:218], v149 offset:33296
	s_waitcnt lgkmcnt(0)
	v_dot4_i32_iu8 v158, v215, v228, v158 neg_lo:[1,1,0]
	v_dot4_i32_iu8 v159, v215, v230, v159 neg_lo:[1,1,0]
	v_dot4_i32_iu8 v160, v215, v232, v160 neg_lo:[1,1,0]
	v_dot4_i32_iu8 v161, v215, v234, v161 neg_lo:[1,1,0]
	s_delay_alu instid0(VALU_DEP_4) | instskip(NEXT) | instid1(VALU_DEP_4)
	v_dot4_i32_iu8 v158, v216, v229, v158 neg_lo:[1,1,0]
	v_dot4_i32_iu8 v159, v216, v231, v159 neg_lo:[1,1,0]
	s_delay_alu instid0(VALU_DEP_4) | instskip(NEXT) | instid1(VALU_DEP_4)
	v_dot4_i32_iu8 v160, v216, v233, v160 neg_lo:[1,1,0]
	v_dot4_i32_iu8 v161, v216, v235, v161 neg_lo:[1,1,0]
	s_delay_alu instid0(VALU_DEP_4) | instskip(NEXT) | instid1(VALU_DEP_4)
	v_dot4_i32_iu8 v158, v217, v236, v158 neg_lo:[1,1,0]
	v_dot4_i32_iu8 v159, v217, v238, v159 neg_lo:[1,1,0]
	s_delay_alu instid0(VALU_DEP_4) | instskip(NEXT) | instid1(VALU_DEP_4)
	v_dot4_i32_iu8 v160, v217, v240, v160 neg_lo:[1,1,0]
	v_dot4_i32_iu8 v161, v217, v242, v161 neg_lo:[1,1,0]
	s_delay_alu instid0(VALU_DEP_4) | instskip(NEXT) | instid1(VALU_DEP_4)
	v_dot4_i32_iu8 v226, v218, v237, v158 neg_lo:[1,1,0]
	v_dot4_i32_iu8 v224, v218, v239, v159 neg_lo:[1,1,0]
	s_delay_alu instid0(VALU_DEP_4) | instskip(NEXT) | instid1(VALU_DEP_4)
	v_dot4_i32_iu8 v223, v218, v241, v160 neg_lo:[1,1,0]
	;; [unrolled: 24-line block ×5, first 2 shown]
	v_dot4_i32_iu8 v165, v161, v243, v158 neg_lo:[1,1,0]
	ds_load_b128 v[158:161], v153 offset:33296
	s_waitcnt lgkmcnt(0)
	v_dot4_i32_iu8 v162, v158, v228, v174 neg_lo:[1,1,0]
	ds_load_b128 v[171:174], v154 offset:33296
	v_dot4_i32_iu8 v163, v158, v230, v175 neg_lo:[1,1,0]
	v_dot4_i32_iu8 v164, v158, v232, v176 neg_lo:[1,1,0]
	;; [unrolled: 1-line block ×4, first 2 shown]
	s_delay_alu instid0(VALU_DEP_4) | instskip(NEXT) | instid1(VALU_DEP_4)
	v_dot4_i32_iu8 v163, v159, v231, v163 neg_lo:[1,1,0]
	v_dot4_i32_iu8 v164, v159, v233, v164 neg_lo:[1,1,0]
	s_delay_alu instid0(VALU_DEP_4) | instskip(NEXT) | instid1(VALU_DEP_4)
	v_dot4_i32_iu8 v158, v159, v235, v158 neg_lo:[1,1,0]
	v_dot4_i32_iu8 v159, v160, v236, v162 neg_lo:[1,1,0]
	;; [unrolled: 3-line block ×5, first 2 shown]
	s_delay_alu instid0(VALU_DEP_4)
	v_dot4_i32_iu8 v162, v161, v243, v158 neg_lo:[1,1,0]
	s_waitcnt lgkmcnt(0)
	v_dot4_i32_iu8 v158, v171, v228, v178 neg_lo:[1,1,0]
	v_dot4_i32_iu8 v159, v171, v230, v179 neg_lo:[1,1,0]
	;; [unrolled: 1-line block ×4, first 2 shown]
	s_delay_alu instid0(VALU_DEP_4) | instskip(NEXT) | instid1(VALU_DEP_4)
	v_dot4_i32_iu8 v158, v172, v229, v158 neg_lo:[1,1,0]
	v_dot4_i32_iu8 v159, v172, v231, v159 neg_lo:[1,1,0]
	s_delay_alu instid0(VALU_DEP_4) | instskip(NEXT) | instid1(VALU_DEP_4)
	v_dot4_i32_iu8 v160, v172, v233, v160 neg_lo:[1,1,0]
	v_dot4_i32_iu8 v161, v172, v235, v161 neg_lo:[1,1,0]
	;; [unrolled: 3-line block ×6, first 2 shown]
	ds_load_2addr_b32 v[175:176], v143 offset0:12 offset1:13
	ds_load_b128 v[171:174], v144 offset:33328
	ds_load_2addr_b32 v[177:178], v145 offset0:12 offset1:13
	ds_load_2addr_b32 v[179:180], v146 offset0:12 offset1:13
	ds_load_2addr_b32 v[230:231], v147 offset0:14 offset1:15
	s_waitcnt lgkmcnt(3)
	v_dot4_i32_iu8 v144, v175, v171, v189 neg_lo:[1,1,0]
	s_waitcnt lgkmcnt(2)
	v_dot4_i32_iu8 v181, v177, v171, v188 neg_lo:[1,1,0]
	;; [unrolled: 2-line block ×3, first 2 shown]
	ds_load_2addr_b32 v[187:188], v147 offset0:12 offset1:13
	v_dot4_i32_iu8 v144, v176, v172, v144 neg_lo:[1,1,0]
	v_dot4_i32_iu8 v228, v178, v172, v181 neg_lo:[1,1,0]
	v_dot4_i32_iu8 v189, v180, v172, v189 neg_lo:[1,1,0]
	s_waitcnt lgkmcnt(0)
	v_dot4_i32_iu8 v171, v187, v171, v182 neg_lo:[1,1,0]
	ds_load_2addr_b32 v[181:182], v145 offset0:14 offset1:15
	v_dot4_i32_iu8 v232, v188, v172, v171 neg_lo:[1,1,0]
	ds_load_2addr_b32 v[171:172], v143 offset0:14 offset1:15
	s_waitcnt lgkmcnt(0)
	v_dot4_i32_iu8 v143, v171, v173, v144 neg_lo:[1,1,0]
	v_dot4_i32_iu8 v144, v181, v173, v228 neg_lo:[1,1,0]
	ds_load_2addr_b32 v[228:229], v146 offset0:14 offset1:15
	v_dot4_i32_iu8 v146, v230, v173, v232 neg_lo:[1,1,0]
	v_dot4_i32_iu8 v147, v172, v174, v143 neg_lo:[1,1,0]
	s_waitcnt lgkmcnt(0)
	v_dot4_i32_iu8 v145, v228, v173, v189 neg_lo:[1,1,0]
	v_dot4_i32_iu8 v173, v182, v174, v144 neg_lo:[1,1,0]
	s_delay_alu instid0(VALU_DEP_2)
	v_dot4_i32_iu8 v189, v229, v174, v145 neg_lo:[1,1,0]
	v_dot4_i32_iu8 v174, v231, v174, v146 neg_lo:[1,1,0]
	ds_load_b128 v[143:146], v148 offset:33328
	s_waitcnt lgkmcnt(0)
	v_dot4_i32_iu8 v148, v143, v175, v183 neg_lo:[1,1,0]
	v_dot4_i32_iu8 v183, v143, v177, v184 neg_lo:[1,1,0]
	v_dot4_i32_iu8 v184, v143, v179, v185 neg_lo:[1,1,0]
	v_dot4_i32_iu8 v143, v143, v187, v186 neg_lo:[1,1,0]
	s_delay_alu instid0(VALU_DEP_4) | instskip(NEXT) | instid1(VALU_DEP_4)
	v_dot4_i32_iu8 v148, v144, v176, v148 neg_lo:[1,1,0]
	v_dot4_i32_iu8 v183, v144, v178, v183 neg_lo:[1,1,0]
	s_delay_alu instid0(VALU_DEP_4) | instskip(NEXT) | instid1(VALU_DEP_4)
	v_dot4_i32_iu8 v184, v144, v180, v184 neg_lo:[1,1,0]
	v_dot4_i32_iu8 v143, v144, v188, v143 neg_lo:[1,1,0]
	s_delay_alu instid0(VALU_DEP_4) | instskip(NEXT) | instid1(VALU_DEP_4)
	v_dot4_i32_iu8 v144, v145, v171, v148 neg_lo:[1,1,0]
	v_dot4_i32_iu8 v148, v145, v181, v183 neg_lo:[1,1,0]
	s_delay_alu instid0(VALU_DEP_4) | instskip(NEXT) | instid1(VALU_DEP_4)
	v_dot4_i32_iu8 v183, v145, v228, v184 neg_lo:[1,1,0]
	v_dot4_i32_iu8 v143, v145, v230, v143 neg_lo:[1,1,0]
	s_delay_alu instid0(VALU_DEP_4) | instskip(NEXT) | instid1(VALU_DEP_4)
	v_dot4_i32_iu8 v184, v146, v172, v144 neg_lo:[1,1,0]
	v_dot4_i32_iu8 v148, v146, v182, v148 neg_lo:[1,1,0]
	s_delay_alu instid0(VALU_DEP_4) | instskip(NEXT) | instid1(VALU_DEP_4)
	v_dot4_i32_iu8 v183, v146, v229, v183 neg_lo:[1,1,0]
	v_dot4_i32_iu8 v185, v146, v231, v143 neg_lo:[1,1,0]
	ds_load_b128 v[143:146], v149 offset:33328
	s_waitcnt lgkmcnt(0)
	v_dot4_i32_iu8 v149, v143, v175, v190 neg_lo:[1,1,0]
	v_dot4_i32_iu8 v186, v143, v177, v191 neg_lo:[1,1,0]
	v_dot4_i32_iu8 v190, v143, v179, v192 neg_lo:[1,1,0]
	v_dot4_i32_iu8 v143, v143, v187, v193 neg_lo:[1,1,0]
	s_delay_alu instid0(VALU_DEP_4) | instskip(NEXT) | instid1(VALU_DEP_4)
	v_dot4_i32_iu8 v149, v144, v176, v149 neg_lo:[1,1,0]
	v_dot4_i32_iu8 v186, v144, v178, v186 neg_lo:[1,1,0]
	s_delay_alu instid0(VALU_DEP_4) | instskip(NEXT) | instid1(VALU_DEP_4)
	v_dot4_i32_iu8 v190, v144, v180, v190 neg_lo:[1,1,0]
	v_dot4_i32_iu8 v143, v144, v188, v143 neg_lo:[1,1,0]
	s_delay_alu instid0(VALU_DEP_4) | instskip(NEXT) | instid1(VALU_DEP_4)
	v_dot4_i32_iu8 v144, v145, v171, v149 neg_lo:[1,1,0]
	v_dot4_i32_iu8 v149, v145, v181, v186 neg_lo:[1,1,0]
	s_delay_alu instid0(VALU_DEP_4) | instskip(NEXT) | instid1(VALU_DEP_4)
	v_dot4_i32_iu8 v186, v145, v228, v190 neg_lo:[1,1,0]
	v_dot4_i32_iu8 v143, v145, v230, v143 neg_lo:[1,1,0]
	s_delay_alu instid0(VALU_DEP_4) | instskip(NEXT) | instid1(VALU_DEP_4)
	v_dot4_i32_iu8 v190, v146, v172, v144 neg_lo:[1,1,0]
	v_dot4_i32_iu8 v149, v146, v182, v149 neg_lo:[1,1,0]
	s_delay_alu instid0(VALU_DEP_4) | instskip(NEXT) | instid1(VALU_DEP_4)
	;; [unrolled: 24-line block ×6, first 2 shown]
	v_dot4_i32_iu8 v201, v146, v229, v201 neg_lo:[1,1,0]
	v_dot4_i32_iu8 v203, v146, v231, v143 neg_lo:[1,1,0]
	ds_load_b128 v[143:146], v154 offset:33328
	s_waitcnt lgkmcnt(0)
	v_dot4_i32_iu8 v154, v143, v175, v210 neg_lo:[1,1,0]
	v_dot4_i32_iu8 v175, v143, v177, v211 neg_lo:[1,1,0]
	s_delay_alu instid0(VALU_DEP_2) | instskip(SKIP_2) | instid1(VALU_DEP_4)
	v_dot4_i32_iu8 v154, v144, v176, v154 neg_lo:[1,1,0]
	v_dot4_i32_iu8 v176, v143, v179, v212 neg_lo:[1,1,0]
	;; [unrolled: 1-line block ×4, first 2 shown]
	s_delay_alu instid0(VALU_DEP_3) | instskip(NEXT) | instid1(VALU_DEP_3)
	v_dot4_i32_iu8 v176, v144, v180, v176 neg_lo:[1,1,0]
	v_dot4_i32_iu8 v143, v144, v188, v143 neg_lo:[1,1,0]
	v_dot4_i32_iu8 v144, v145, v171, v154 neg_lo:[1,1,0]
	s_delay_alu instid0(VALU_DEP_4) | instskip(NEXT) | instid1(VALU_DEP_4)
	v_dot4_i32_iu8 v154, v145, v181, v175 neg_lo:[1,1,0]
	v_dot4_i32_iu8 v171, v145, v228, v176 neg_lo:[1,1,0]
	s_delay_alu instid0(VALU_DEP_4) | instskip(NEXT) | instid1(VALU_DEP_4)
	v_dot4_i32_iu8 v143, v145, v230, v143 neg_lo:[1,1,0]
	v_dot4_i32_iu8 v144, v146, v172, v144 neg_lo:[1,1,0]
	;; [unrolled: 3-line block ×3, first 2 shown]
	s_delay_alu instid0(VALU_DEP_4) | instskip(SKIP_1) | instid1(VALU_DEP_1)
	v_dot4_i32_iu8 v145, v146, v231, v143 neg_lo:[1,1,0]
	v_lshlrev_b32_e32 v143, 2, v28
	v_add3_u32 v146, s16, v125, v143
	ds_load_u16 v143, v146
	s_waitcnt lgkmcnt(0)
	v_and_b32_e32 v175, 0xff, v143
	v_lshrrev_b16 v172, 8, v143
	s_delay_alu instid0(VALU_DEP_2) | instskip(NEXT) | instid1(VALU_DEP_2)
	v_mul_lo_u32 v143, v214, v175
	v_and_b32_e32 v172, 0xffff, v172
	s_delay_alu instid0(VALU_DEP_1) | instskip(SKIP_1) | instid1(VALU_DEP_4)
	v_mul_lo_u32 v147, v147, v172
	v_mul_lo_u32 v184, v184, v172
	v_cvt_f32_i32_e32 v176, v143
	ds_load_b64 v[142:143], v142 offset:43584
	v_mul_lo_u32 v190, v190, v172
	v_mul_lo_u32 v193, v193, v172
	;; [unrolled: 1-line block ×4, first 2 shown]
	v_cvt_f32_i32_e32 v147, v147
	v_cvt_f32_i32_e32 v184, v184
	;; [unrolled: 1-line block ×6, first 2 shown]
	s_waitcnt lgkmcnt(0)
	v_fma_mix_f32 v176, v142, v176, 0 op_sel_hi:[1,0,0]
	s_delay_alu instid0(VALU_DEP_1) | instskip(SKIP_1) | instid1(VALU_DEP_1)
	v_fma_mix_f32 v147, v143, v147, v176 op_sel_hi:[1,0,0]
	v_lshlrev_b32_e32 v176, 2, v108
	v_add3_u32 v176, s16, v176, v117
	ds_load_u16 v177, v176
	s_waitcnt lgkmcnt(0)
	v_lshrrev_b16 v178, 8, v177
	v_and_b32_e32 v177, 0xff, v177
	s_delay_alu instid0(VALU_DEP_2) | instskip(NEXT) | instid1(VALU_DEP_2)
	v_and_b32_e32 v178, 0xffff, v178
	v_mul_lo_u32 v157, v157, v177
	v_mul_lo_u32 v216, v216, v177
	;; [unrolled: 1-line block ×3, first 2 shown]
	s_delay_alu instid0(VALU_DEP_4)
	v_mul_lo_u32 v173, v173, v178
	v_mul_lo_u32 v148, v148, v178
	;; [unrolled: 1-line block ×4, first 2 shown]
	v_cvt_f32_i32_e32 v157, v157
	v_mul_lo_u32 v151, v151, v178
	v_cvt_f32_i32_e32 v216, v216
	v_mul_lo_u32 v152, v152, v178
	v_cvt_f32_i32_e32 v173, v173
	v_fma_mix_f32 v157, v142, v157, 0 op_sel_hi:[1,0,0]
	v_cvt_f32_i32_e32 v148, v148
	v_cvt_f32_i32_e32 v149, v149
	;; [unrolled: 1-line block ×4, first 2 shown]
	v_fma_mix_f32 v157, v143, v173, v157 op_sel_hi:[1,0,0]
	v_lshlrev_b32_e32 v173, 2, v109
	v_cvt_f32_i32_e32 v168, v168
	v_cvt_f32_i32_e32 v152, v152
	v_mul_lo_u32 v153, v153, v178
	v_mul_lo_u32 v154, v154, v178
	v_add3_u32 v173, s16, v173, v119
	ds_load_u16 v179, v173
	v_cvt_f32_i32_e32 v153, v153
	v_cvt_f32_i32_e32 v154, v154
	s_waitcnt lgkmcnt(0)
	v_lshrrev_b16 v180, 8, v179
	v_and_b32_e32 v179, 0xff, v179
	s_delay_alu instid0(VALU_DEP_2) | instskip(NEXT) | instid1(VALU_DEP_2)
	v_and_b32_e32 v180, 0xffff, v180
	v_mul_lo_u32 v156, v156, v179
	v_mul_lo_u32 v215, v215, v179
	;; [unrolled: 1-line block ×3, first 2 shown]
	s_delay_alu instid0(VALU_DEP_4)
	v_mul_lo_u32 v181, v189, v180
	v_mul_lo_u32 v183, v183, v180
	;; [unrolled: 1-line block ×4, first 2 shown]
	v_cvt_f32_i32_e32 v156, v156
	v_mul_lo_u32 v195, v195, v180
	v_cvt_f32_i32_e32 v215, v215
	v_cvt_f32_i32_e32 v167, v167
	;; [unrolled: 1-line block ×3, first 2 shown]
	v_fma_mix_f32 v156, v142, v156, 0 op_sel_hi:[1,0,0]
	v_cvt_f32_i32_e32 v183, v183
	v_cvt_f32_i32_e32 v186, v186
	;; [unrolled: 1-line block ×4, first 2 shown]
	v_fma_mix_f32 v156, v143, v181, v156 op_sel_hi:[1,0,0]
	v_lshlrev_b32_e32 v181, 2, v110
	v_mul_lo_u32 v171, v171, v180
	s_delay_alu instid0(VALU_DEP_2) | instskip(SKIP_4) | instid1(VALU_DEP_2)
	v_add3_u32 v181, s16, v181, v121
	ds_load_u16 v182, v181
	s_waitcnt lgkmcnt(0)
	v_lshrrev_b16 v187, 8, v182
	v_and_b32_e32 v182, 0xff, v182
	v_and_b32_e32 v187, 0xffff, v187
	s_delay_alu instid0(VALU_DEP_2) | instskip(SKIP_1) | instid1(VALU_DEP_3)
	v_mul_lo_u32 v155, v155, v182
	v_mul_lo_u32 v169, v169, v182
	;; [unrolled: 1-line block ×6, first 2 shown]
	v_cvt_f32_i32_e32 v155, v155
	v_mul_lo_u32 v197, v197, v187
	v_cvt_f32_i32_e32 v169, v169
	v_cvt_f32_i32_e32 v174, v174
	s_delay_alu instid0(VALU_DEP_4)
	v_fma_mix_f32 v155, v142, v155, 0 op_sel_hi:[1,0,0]
	v_cvt_f32_i32_e32 v185, v185
	v_cvt_f32_i32_e32 v191, v191
	;; [unrolled: 1-line block ×4, first 2 shown]
	v_fma_mix_f32 v155, v143, v174, v155 op_sel_hi:[1,0,0]
	ds_load_u16 v174, v176 offset:8
	ds_load_u16 v173, v173 offset:8
	;; [unrolled: 1-line block ×4, first 2 shown]
	s_waitcnt lgkmcnt(3)
	v_cvt_f32_ubyte0_e32 v181, v174
	s_waitcnt lgkmcnt(2)
	v_cvt_f32_ubyte0_e32 v188, v173
	;; [unrolled: 2-line block ×4, first 2 shown]
	v_cvt_f32_ubyte1_e32 v174, v174
	v_cvt_f32_ubyte1_e32 v173, v173
	;; [unrolled: 1-line block ×4, first 2 shown]
	v_fma_mix_f32 v205, v142, v181, 0 op_sel:[1,0,0] op_sel_hi:[1,0,0]
	v_fma_mix_f32 v206, v142, v188, 0 op_sel:[1,0,0] op_sel_hi:[1,0,0]
	;; [unrolled: 1-line block ×4, first 2 shown]
	s_delay_alu instid0(VALU_DEP_4) | instskip(NEXT) | instid1(VALU_DEP_4)
	v_fma_mix_f32 v205, v143, v174, v205 op_sel:[1,0,0] op_sel_hi:[1,0,0]
	v_fma_mix_f32 v206, v143, v173, v206 op_sel:[1,0,0] op_sel_hi:[1,0,0]
	s_delay_alu instid0(VALU_DEP_4) | instskip(NEXT) | instid1(VALU_DEP_4)
	v_fma_mix_f32 v207, v143, v176, v207 op_sel:[1,0,0] op_sel_hi:[1,0,0]
	v_fma_mix_f32 v143, v143, v146, v142 op_sel:[1,0,0] op_sel_hi:[1,0,0]
	v_mul_lo_u32 v142, v244, v175
	s_delay_alu instid0(VALU_DEP_1)
	v_cvt_f32_i32_e32 v208, v142
	ds_load_b64 v[141:142], v141 offset:43584
	s_waitcnt lgkmcnt(0)
	v_fma_mix_f32 v208, v141, v208, 0 op_sel_hi:[1,0,0]
	v_fma_mix_f32 v209, v188, v141, 0 op_sel:[0,1,0] op_sel_hi:[0,1,0]
	v_fma_mix_f32 v210, v189, v141, 0 op_sel:[0,1,0] op_sel_hi:[0,1,0]
	s_delay_alu instid0(VALU_DEP_3) | instskip(SKIP_1) | instid1(VALU_DEP_4)
	v_fma_mix_f32 v184, v142, v184, v208 op_sel_hi:[1,0,0]
	v_mul_lo_u32 v208, v245, v177
	v_fma_mix_f32 v209, v173, v142, v209 op_sel:[0,1,0] op_sel_hi:[0,1,0]
	s_delay_alu instid0(VALU_DEP_4) | instskip(NEXT) | instid1(VALU_DEP_3)
	v_fma_mix_f32 v210, v176, v142, v210 op_sel:[0,1,0] op_sel_hi:[0,1,0]
	v_cvt_f32_i32_e32 v208, v208
	s_delay_alu instid0(VALU_DEP_1) | instskip(NEXT) | instid1(VALU_DEP_1)
	v_fma_mix_f32 v208, v141, v208, 0 op_sel_hi:[1,0,0]
	v_fma_mix_f32 v148, v142, v148, v208 op_sel_hi:[1,0,0]
	v_mul_lo_u32 v208, v227, v179
	s_delay_alu instid0(VALU_DEP_1) | instskip(NEXT) | instid1(VALU_DEP_1)
	v_cvt_f32_i32_e32 v208, v208
	v_fma_mix_f32 v208, v141, v208, 0 op_sel_hi:[1,0,0]
	s_delay_alu instid0(VALU_DEP_1) | instskip(SKIP_1) | instid1(VALU_DEP_1)
	v_fma_mix_f32 v183, v142, v183, v208 op_sel_hi:[1,0,0]
	v_mul_lo_u32 v208, v225, v182
	v_cvt_f32_i32_e32 v208, v208
	s_delay_alu instid0(VALU_DEP_1) | instskip(NEXT) | instid1(VALU_DEP_1)
	v_fma_mix_f32 v208, v141, v208, 0 op_sel_hi:[1,0,0]
	v_fma_mix_f32 v185, v142, v185, v208 op_sel_hi:[1,0,0]
	v_fma_mix_f32 v208, v181, v141, 0 op_sel:[0,1,0] op_sel_hi:[0,1,0]
	v_fma_mix_f32 v141, v204, v141, 0 op_sel:[0,1,0] op_sel_hi:[0,1,0]
	s_delay_alu instid0(VALU_DEP_2) | instskip(NEXT) | instid1(VALU_DEP_2)
	v_fma_mix_f32 v208, v174, v142, v208 op_sel:[0,1,0] op_sel_hi:[0,1,0]
	v_fma_mix_f32 v142, v146, v142, v141 op_sel:[0,1,0] op_sel_hi:[0,1,0]
	v_mul_lo_u32 v141, v226, v175
	s_delay_alu instid0(VALU_DEP_2) | instskip(NEXT) | instid1(VALU_DEP_2)
	v_mul_f32_e32 v142, v142, v131
	v_cvt_f32_i32_e32 v211, v141
	ds_load_b64 v[140:141], v140 offset:43584
	v_fma_f32 v142, v184, v127, -v142
	s_waitcnt lgkmcnt(0)
	v_fma_mix_f32 v211, v140, v211, 0 op_sel_hi:[1,0,0]
	v_fma_mix_f32 v212, v188, v140, 0 op_sel:[0,1,0] op_sel_hi:[0,1,0]
	v_fma_mix_f32 v213, v189, v140, 0 op_sel:[0,1,0] op_sel_hi:[0,1,0]
	s_delay_alu instid0(VALU_DEP_3) | instskip(SKIP_1) | instid1(VALU_DEP_4)
	v_fma_mix_f32 v190, v141, v190, v211 op_sel_hi:[1,0,0]
	v_mul_lo_u32 v211, v224, v177
	v_fma_mix_f32 v212, v173, v141, v212 op_sel:[0,1,0] op_sel_hi:[0,1,0]
	s_delay_alu instid0(VALU_DEP_4) | instskip(NEXT) | instid1(VALU_DEP_3)
	v_fma_mix_f32 v213, v176, v141, v213 op_sel:[0,1,0] op_sel_hi:[0,1,0]
	v_cvt_f32_i32_e32 v211, v211
	s_delay_alu instid0(VALU_DEP_1) | instskip(NEXT) | instid1(VALU_DEP_1)
	v_fma_mix_f32 v211, v140, v211, 0 op_sel_hi:[1,0,0]
	v_fma_mix_f32 v149, v141, v149, v211 op_sel_hi:[1,0,0]
	v_mul_lo_u32 v211, v223, v179
	s_delay_alu instid0(VALU_DEP_1) | instskip(NEXT) | instid1(VALU_DEP_1)
	v_cvt_f32_i32_e32 v211, v211
	v_fma_mix_f32 v211, v140, v211, 0 op_sel_hi:[1,0,0]
	s_delay_alu instid0(VALU_DEP_1) | instskip(SKIP_1) | instid1(VALU_DEP_1)
	v_fma_mix_f32 v186, v141, v186, v211 op_sel_hi:[1,0,0]
	v_mul_lo_u32 v211, v221, v182
	v_cvt_f32_i32_e32 v211, v211
	s_delay_alu instid0(VALU_DEP_1) | instskip(NEXT) | instid1(VALU_DEP_1)
	v_fma_mix_f32 v211, v140, v211, 0 op_sel_hi:[1,0,0]
	v_fma_mix_f32 v191, v141, v191, v211 op_sel_hi:[1,0,0]
	v_fma_mix_f32 v211, v181, v140, 0 op_sel:[0,1,0] op_sel_hi:[0,1,0]
	v_fma_mix_f32 v140, v204, v140, 0 op_sel:[0,1,0] op_sel_hi:[0,1,0]
	s_delay_alu instid0(VALU_DEP_2) | instskip(NEXT) | instid1(VALU_DEP_2)
	v_fma_mix_f32 v211, v174, v141, v211 op_sel:[0,1,0] op_sel_hi:[0,1,0]
	v_fma_mix_f32 v141, v146, v141, v140 op_sel:[0,1,0] op_sel_hi:[0,1,0]
	v_mul_lo_u32 v140, v222, v175
	s_delay_alu instid0(VALU_DEP_2) | instskip(NEXT) | instid1(VALU_DEP_2)
	v_mul_f32_e32 v141, v141, v131
	v_cvt_f32_i32_e32 v214, v140
	ds_load_b64 v[139:140], v139 offset:43584
	v_fma_f32 v141, v190, v127, -v141
	s_waitcnt lgkmcnt(0)
	v_fma_mix_f32 v214, v139, v214, 0 op_sel_hi:[1,0,0]
	s_delay_alu instid0(VALU_DEP_1) | instskip(SKIP_1) | instid1(VALU_DEP_1)
	v_fma_mix_f32 v193, v140, v193, v214 op_sel_hi:[1,0,0]
	v_mul_lo_u32 v214, v220, v177
	v_cvt_f32_i32_e32 v214, v214
	s_delay_alu instid0(VALU_DEP_1) | instskip(NEXT) | instid1(VALU_DEP_1)
	v_fma_mix_f32 v214, v139, v214, 0 op_sel_hi:[1,0,0]
	v_fma_mix_f32 v150, v140, v150, v214 op_sel_hi:[1,0,0]
	v_mul_lo_u32 v214, v219, v179
	v_fma_mix_f32 v219, v189, v139, 0 op_sel:[0,1,0] op_sel_hi:[0,1,0]
	s_delay_alu instid0(VALU_DEP_1) | instskip(NEXT) | instid1(VALU_DEP_3)
	v_fma_mix_f32 v219, v176, v140, v219 op_sel:[0,1,0] op_sel_hi:[0,1,0]
	v_cvt_f32_i32_e32 v214, v214
	s_delay_alu instid0(VALU_DEP_1) | instskip(NEXT) | instid1(VALU_DEP_1)
	v_fma_mix_f32 v214, v139, v214, 0 op_sel_hi:[1,0,0]
	v_fma_mix_f32 v192, v140, v192, v214 op_sel_hi:[1,0,0]
	v_mul_lo_u32 v214, v217, v182
	v_fma_mix_f32 v217, v188, v139, 0 op_sel:[0,1,0] op_sel_hi:[0,1,0]
	s_delay_alu instid0(VALU_DEP_1) | instskip(NEXT) | instid1(VALU_DEP_3)
	v_fma_mix_f32 v217, v173, v140, v217 op_sel:[0,1,0] op_sel_hi:[0,1,0]
	v_cvt_f32_i32_e32 v214, v214
	s_delay_alu instid0(VALU_DEP_1) | instskip(NEXT) | instid1(VALU_DEP_1)
	v_fma_mix_f32 v214, v139, v214, 0 op_sel_hi:[1,0,0]
	v_fma_mix_f32 v194, v140, v194, v214 op_sel_hi:[1,0,0]
	v_fma_mix_f32 v214, v181, v139, 0 op_sel:[0,1,0] op_sel_hi:[0,1,0]
	v_fma_mix_f32 v139, v204, v139, 0 op_sel:[0,1,0] op_sel_hi:[0,1,0]
	s_delay_alu instid0(VALU_DEP_2) | instskip(NEXT) | instid1(VALU_DEP_2)
	v_fma_mix_f32 v214, v174, v140, v214 op_sel:[0,1,0] op_sel_hi:[0,1,0]
	v_fma_mix_f32 v140, v146, v140, v139 op_sel:[0,1,0] op_sel_hi:[0,1,0]
	v_mul_lo_u32 v139, v218, v175
	s_delay_alu instid0(VALU_DEP_2) | instskip(NEXT) | instid1(VALU_DEP_2)
	v_mul_f32_e32 v140, v140, v131
	v_cvt_f32_i32_e32 v218, v139
	ds_load_b64 v[138:139], v138 offset:43584
	v_fma_f32 v140, v193, v127, -v140
	s_delay_alu instid0(VALU_DEP_1)
	v_dual_add_f32 v33, v33, v141 :: v_dual_add_f32 v26, v26, v140
	s_waitcnt lgkmcnt(0)
	v_fma_mix_f32 v216, v138, v216, 0 op_sel_hi:[1,0,0]
	v_fma_mix_f32 v215, v138, v215, 0 op_sel_hi:[1,0,0]
	;; [unrolled: 1-line block ×4, first 2 shown]
	s_delay_alu instid0(VALU_DEP_4) | instskip(NEXT) | instid1(VALU_DEP_4)
	v_fma_mix_f32 v151, v139, v151, v216 op_sel_hi:[1,0,0]
	v_fma_mix_f32 v195, v139, v195, v215 op_sel_hi:[1,0,0]
	s_delay_alu instid0(VALU_DEP_4)
	v_fma_mix_f32 v169, v139, v197, v169 op_sel_hi:[1,0,0]
	v_fma_mix_f32 v197, v181, v138, 0 op_sel:[0,1,0] op_sel_hi:[0,1,0]
	v_fma_mix_f32 v215, v188, v138, 0 op_sel:[0,1,0] op_sel_hi:[0,1,0]
	;; [unrolled: 1-line block ×4, first 2 shown]
	v_fma_mix_f32 v196, v139, v196, v218 op_sel_hi:[1,0,0]
	v_fma_mix_f32 v197, v174, v139, v197 op_sel:[0,1,0] op_sel_hi:[0,1,0]
	v_fma_mix_f32 v215, v173, v139, v215 op_sel:[0,1,0] op_sel_hi:[0,1,0]
	;; [unrolled: 1-line block ×4, first 2 shown]
	v_mul_lo_u32 v138, v170, v175
	v_mul_lo_u32 v170, v199, v172
	s_delay_alu instid0(VALU_DEP_3)
	v_mul_f32_e32 v139, v139, v131
	v_mul_lo_u32 v165, v165, v182
	v_mul_lo_u32 v162, v162, v182
	;; [unrolled: 1-line block ×3, first 2 shown]
	v_cvt_f32_i32_e32 v199, v138
	ds_load_b64 v[137:138], v137 offset:43584
	v_cvt_f32_i32_e32 v170, v170
	v_fma_f32 v139, v196, v127, -v139
	v_cvt_f32_i32_e32 v165, v165
	v_cvt_f32_i32_e32 v162, v162
	s_waitcnt lgkmcnt(0)
	v_fma_mix_f32 v168, v137, v168, 0 op_sel_hi:[1,0,0]
	v_fma_mix_f32 v167, v137, v167, 0 op_sel_hi:[1,0,0]
	;; [unrolled: 1-line block ×4, first 2 shown]
	s_delay_alu instid0(VALU_DEP_4) | instskip(SKIP_2) | instid1(VALU_DEP_4)
	v_fma_mix_f32 v152, v138, v152, v168 op_sel_hi:[1,0,0]
	v_mul_lo_u32 v168, v198, v180
	v_fma_mix_f32 v198, v188, v137, 0 op_sel:[0,1,0] op_sel_hi:[0,1,0]
	v_fma_mix_f32 v170, v138, v170, v199 op_sel_hi:[1,0,0]
	v_fma_mix_f32 v199, v189, v137, 0 op_sel:[0,1,0] op_sel_hi:[0,1,0]
	s_delay_alu instid0(VALU_DEP_3) | instskip(SKIP_1) | instid1(VALU_DEP_3)
	v_fma_mix_f32 v198, v173, v138, v198 op_sel:[0,1,0] op_sel_hi:[0,1,0]
	v_cvt_f32_i32_e32 v168, v168
	v_fma_mix_f32 v199, v176, v138, v199 op_sel:[0,1,0] op_sel_hi:[0,1,0]
	s_delay_alu instid0(VALU_DEP_2) | instskip(SKIP_1) | instid1(VALU_DEP_1)
	v_fma_mix_f32 v167, v138, v168, v167 op_sel_hi:[1,0,0]
	v_mul_lo_u32 v168, v200, v187
	v_cvt_f32_i32_e32 v168, v168
	s_delay_alu instid0(VALU_DEP_1) | instskip(SKIP_2) | instid1(VALU_DEP_2)
	v_fma_mix_f32 v165, v138, v168, v165 op_sel_hi:[1,0,0]
	v_fma_mix_f32 v168, v181, v137, 0 op_sel:[0,1,0] op_sel_hi:[0,1,0]
	v_fma_mix_f32 v137, v204, v137, 0 op_sel:[0,1,0] op_sel_hi:[0,1,0]
	;; [unrolled: 1-line block ×3, first 2 shown]
	s_delay_alu instid0(VALU_DEP_2) | instskip(NEXT) | instid1(VALU_DEP_2)
	v_fma_mix_f32 v138, v146, v138, v137 op_sel:[0,1,0] op_sel_hi:[0,1,0]
	v_mul_f32_e32 v168, v168, v132
	v_mul_lo_u32 v137, v166, v175
	s_delay_alu instid0(VALU_DEP_3)
	v_mul_f32_e32 v138, v138, v131
	v_mul_lo_u32 v164, v164, v177
	v_mul_lo_u32 v166, v202, v172
	v_fma_f32 v152, v152, v128, -v168
	v_mul_f32_e32 v168, v198, v133
	v_mul_lo_u32 v163, v163, v179
	v_mul_lo_u32 v158, v158, v175
	v_cvt_f32_i32_e32 v200, v137
	ds_load_b64 v[136:137], v136 offset:43584
	v_cvt_f32_i32_e32 v164, v164
	v_cvt_f32_i32_e32 v166, v166
	v_mul_lo_u32 v159, v159, v177
	v_mul_lo_u32 v160, v160, v179
	v_cvt_f32_i32_e32 v163, v163
	v_cvt_f32_i32_e32 v158, v158
	v_mul_f32_e32 v172, v216, v134
	v_fma_f32 v167, v167, v129, -v168
	v_mul_f32_e32 v168, v199, v134
	v_fma_f32 v138, v170, v127, -v138
	s_delay_alu instid0(VALU_DEP_4) | instskip(NEXT) | instid1(VALU_DEP_4)
	v_fma_f32 v169, v169, v130, -v172
	v_add_f32_e32 v12, v12, v167
	s_delay_alu instid0(VALU_DEP_4) | instskip(NEXT) | instid1(VALU_DEP_3)
	v_fma_f32 v165, v165, v130, -v168
	v_dual_add_f32 v14, v14, v138 :: v_dual_add_f32 v15, v15, v169
	s_waitcnt lgkmcnt(0)
	v_fma_mix_f32 v164, v136, v164, 0 op_sel_hi:[1,0,0]
	v_fma_mix_f32 v163, v136, v163, 0 op_sel_hi:[1,0,0]
	;; [unrolled: 1-line block ×4, first 2 shown]
	s_delay_alu instid0(VALU_DEP_4) | instskip(SKIP_1) | instid1(VALU_DEP_4)
	v_fma_mix_f32 v153, v137, v153, v164 op_sel_hi:[1,0,0]
	v_mul_lo_u32 v164, v201, v180
	v_fma_mix_f32 v166, v137, v166, v200 op_sel_hi:[1,0,0]
	v_fma_mix_f32 v200, v188, v136, 0 op_sel:[0,1,0] op_sel_hi:[0,1,0]
	v_fma_mix_f32 v201, v189, v136, 0 op_sel:[0,1,0] op_sel_hi:[0,1,0]
	s_delay_alu instid0(VALU_DEP_2) | instskip(SKIP_1) | instid1(VALU_DEP_3)
	v_fma_mix_f32 v200, v173, v137, v200 op_sel:[0,1,0] op_sel_hi:[0,1,0]
	v_cvt_f32_i32_e32 v164, v164
	v_fma_mix_f32 v201, v176, v137, v201 op_sel:[0,1,0] op_sel_hi:[0,1,0]
	s_delay_alu instid0(VALU_DEP_2) | instskip(SKIP_1) | instid1(VALU_DEP_1)
	v_fma_mix_f32 v163, v137, v164, v163 op_sel_hi:[1,0,0]
	v_mul_lo_u32 v164, v203, v187
	v_cvt_f32_i32_e32 v164, v164
	s_delay_alu instid0(VALU_DEP_1) | instskip(SKIP_2) | instid1(VALU_DEP_2)
	v_fma_mix_f32 v162, v137, v164, v162 op_sel_hi:[1,0,0]
	v_fma_mix_f32 v164, v181, v136, 0 op_sel:[0,1,0] op_sel_hi:[0,1,0]
	v_fma_mix_f32 v136, v204, v136, 0 op_sel:[0,1,0] op_sel_hi:[0,1,0]
	;; [unrolled: 1-line block ×3, first 2 shown]
	s_delay_alu instid0(VALU_DEP_2) | instskip(SKIP_2) | instid1(VALU_DEP_1)
	v_fma_mix_f32 v137, v146, v137, v136 op_sel:[0,1,0] op_sel_hi:[0,1,0]
	ds_load_b64 v[135:136], v135 offset:43584
	v_mul_f32_e32 v164, v164, v132
	v_fma_f32 v153, v153, v128, -v164
	v_mul_f32_e32 v164, v200, v133
	v_mul_lo_u32 v145, v145, v187
	s_delay_alu instid0(VALU_DEP_3) | instskip(NEXT) | instid1(VALU_DEP_3)
	v_add_f32_e32 v9, v9, v153
	v_fma_f32 v163, v163, v129, -v164
	v_mul_f32_e32 v164, v201, v134
	v_add_f32_e32 v13, v13, v152
	v_cvt_f32_i32_e32 v145, v145
	s_delay_alu instid0(VALU_DEP_4) | instskip(SKIP_4) | instid1(VALU_DEP_3)
	v_add_f32_e32 v8, v8, v163
	s_waitcnt lgkmcnt(0)
	v_fma_mix_f32 v158, v135, v158, 0 op_sel_hi:[1,0,0]
	v_fma_mix_f32 v181, v181, v135, 0 op_sel:[0,1,0] op_sel_hi:[0,1,0]
	v_fma_f32 v162, v162, v130, -v164
	v_fma_mix_f32 v144, v136, v144, v158 op_sel_hi:[1,0,0]
	v_cvt_f32_i32_e32 v158, v159
	s_delay_alu instid0(VALU_DEP_4)
	v_fma_mix_f32 v174, v174, v136, v181 op_sel:[0,1,0] op_sel_hi:[0,1,0]
	v_fma_mix_f32 v181, v188, v135, 0 op_sel:[0,1,0] op_sel_hi:[0,1,0]
	v_cvt_f32_i32_e32 v159, v171
	v_mul_f32_e32 v137, v137, v131
	v_fma_mix_f32 v158, v135, v158, 0 op_sel_hi:[1,0,0]
	v_add_f32_e32 v7, v7, v162
	v_fma_mix_f32 v173, v173, v136, v181 op_sel:[0,1,0] op_sel_hi:[0,1,0]
	v_fma_mix_f32 v181, v189, v135, 0 op_sel:[0,1,0] op_sel_hi:[0,1,0]
	s_delay_alu instid0(VALU_DEP_4) | instskip(SKIP_2) | instid1(VALU_DEP_4)
	v_fma_mix_f32 v154, v136, v154, v158 op_sel_hi:[1,0,0]
	v_cvt_f32_i32_e32 v158, v160
	v_mul_f32_e32 v160, v214, v132
	v_fma_mix_f32 v176, v176, v136, v181 op_sel:[0,1,0] op_sel_hi:[0,1,0]
	v_fma_mix_f32 v181, v204, v135, 0 op_sel:[0,1,0] op_sel_hi:[0,1,0]
	s_delay_alu instid0(VALU_DEP_4) | instskip(NEXT) | instid1(VALU_DEP_4)
	v_fma_mix_f32 v158, v135, v158, 0 op_sel_hi:[1,0,0]
	v_fma_f32 v150, v150, v128, -v160
	v_mul_f32_e32 v160, v217, v133
	s_delay_alu instid0(VALU_DEP_4) | instskip(SKIP_3) | instid1(VALU_DEP_4)
	v_fma_mix_f32 v146, v146, v136, v181 op_sel:[0,1,0] op_sel_hi:[0,1,0]
	v_mul_f32_e32 v171, v197, v132
	v_fma_mix_f32 v158, v136, v159, v158 op_sel_hi:[1,0,0]
	v_cvt_f32_i32_e32 v159, v161
	v_dual_mul_f32 v161, v219, v134 :: v_dual_mul_f32 v146, v146, v131
	s_delay_alu instid0(VALU_DEP_4) | instskip(SKIP_1) | instid1(VALU_DEP_4)
	v_fma_f32 v151, v151, v128, -v171
	v_mul_f32_e32 v171, v215, v133
	v_fma_mix_f32 v135, v135, v159, 0 op_sel_hi:[1,0,0]
	v_mul_f32_e32 v159, v213, v134
	v_fma_f32 v144, v144, v127, -v146
	v_mul_f32_e32 v146, v174, v132
	v_fma_f32 v160, v192, v129, -v160
	v_fma_mix_f32 v135, v136, v145, v135 op_sel_hi:[1,0,0]
	v_dual_mul_f32 v136, v143, v131 :: v_dual_mul_f32 v143, v205, v132
	v_mul_f32_e32 v145, v206, v133
	v_fma_f32 v146, v154, v128, -v146
	v_fma_f32 v159, v191, v130, -v159
	s_delay_alu instid0(VALU_DEP_4)
	v_fma_f32 v136, v147, v127, -v136
	v_mul_f32_e32 v147, v207, v134
	v_fma_f32 v143, v157, v128, -v143
	v_mul_f32_e32 v157, v211, v132
	;; [unrolled: 2-line block ×3, first 2 shown]
	v_fma_f32 v147, v155, v130, -v147
	v_dual_mul_f32 v155, v208, v132 :: v_dual_mul_f32 v154, v173, v133
	v_fma_f32 v149, v149, v128, -v157
	v_mul_f32_e32 v157, v212, v133
	s_delay_alu instid0(VALU_DEP_4) | instskip(NEXT) | instid1(VALU_DEP_4)
	v_add_f32_e32 v47, v47, v147
	v_fma_f32 v148, v148, v128, -v155
	v_mul_f32_e32 v155, v209, v133
	v_fma_f32 v154, v158, v129, -v154
	v_dual_mul_f32 v158, v176, v134 :: v_dual_add_f32 v65, v65, v143
	v_fma_f32 v156, v185, v130, -v156
	s_delay_alu instid0(VALU_DEP_4)
	v_fma_f32 v155, v183, v129, -v155
	v_fma_f32 v157, v186, v129, -v157
	;; [unrolled: 1-line block ×6, first 2 shown]
	v_dual_add_f32 v20, v20, v136 :: v_dual_add_f32 v51, v51, v145
	v_dual_add_f32 v43, v43, v142 :: v_dual_add_f32 v38, v38, v148
	;; [unrolled: 1-line block ×6, first 2 shown]
	v_add_f32_e32 v23, v23, v160
	v_dual_add_f32 v21, v21, v139 :: v_dual_add_f32 v10, v10, v137
	v_dual_add_f32 v19, v19, v151 :: v_dual_add_f32 v6, v6, v144
	;; [unrolled: 1-line block ×3, first 2 shown]
	v_add_f32_e32 v5, v5, v146
	v_add_f32_e32 v3, v3, v135
	s_cbranch_scc1 .LBB153_7
; %bb.8:                                ;   in Loop: Header=BB153_6 Depth=2
	s_mov_b32 s14, 1
	s_and_b32 vcc_lo, exec_lo, s1
	s_mov_b32 s1, 0
	s_barrier
	buffer_gl0_inv
	s_cbranch_vccz .LBB153_6
; %bb.9:                                ;   in Loop: Header=BB153_5 Depth=1
	s_add_i32 s13, s13, 1
	s_delay_alu instid0(SALU_CYCLE_1)
	s_cmp_eq_u32 s13, s11
	s_cbranch_scc0 .LBB153_5
; %bb.10:
	v_dual_mov_b32 v1, v17 :: v_dual_mov_b32 v0, v18
.LBB153_11:
	s_mov_b32 s0, exec_lo
	v_cmpx_gt_u32_e64 s4, v24
	s_cbranch_execz .LBB153_62
; %bb.12:
	s_delay_alu instid0(VALU_DEP_2) | instskip(SKIP_1) | instid1(VALU_DEP_2)
	v_add_nc_u32_e32 v0, s10, v0
	v_mul_lo_u32 v24, v24, s6
	v_cmp_gt_u32_e32 vcc_lo, s6, v0
	s_and_saveexec_b32 s1, vcc_lo
	s_cbranch_execz .LBB153_14
; %bb.13:
	s_delay_alu instid0(VALU_DEP_2) | instskip(SKIP_1) | instid1(VALU_DEP_2)
	v_dual_mov_b32 v18, 0 :: v_dual_add_nc_u32 v17, v0, v24
	v_cvt_f16_f32_e32 v2, v20
	v_lshlrev_b64 v[17:18], 1, v[17:18]
	s_waitcnt lgkmcnt(0)
	s_delay_alu instid0(VALU_DEP_1) | instskip(NEXT) | instid1(VALU_DEP_1)
	v_add_co_u32 v17, s0, s8, v17
	v_add_co_ci_u32_e64 v18, s0, s9, v18, s0
	global_store_b16 v[17:18], v2, off
.LBB153_14:
	s_or_b32 exec_lo, exec_lo, s1
	v_add_nc_u32_e32 v2, 32, v0
	s_delay_alu instid0(VALU_DEP_1) | instskip(NEXT) | instid1(VALU_DEP_1)
	v_cmp_gt_u32_e64 s0, s6, v2
	s_and_saveexec_b32 s2, s0
	s_cbranch_execz .LBB153_16
; %bb.15:
	v_dual_mov_b32 v18, 0 :: v_dual_add_nc_u32 v17, v2, v24
	v_cvt_f16_f32_e32 v20, v65
	s_delay_alu instid0(VALU_DEP_2) | instskip(SKIP_1) | instid1(VALU_DEP_1)
	v_lshlrev_b64 v[17:18], 1, v[17:18]
	s_waitcnt lgkmcnt(0)
	v_add_co_u32 v17, s1, s8, v17
	s_delay_alu instid0(VALU_DEP_1)
	v_add_co_ci_u32_e64 v18, s1, s9, v18, s1
	global_store_b16 v[17:18], v20, off
.LBB153_16:
	s_or_b32 exec_lo, exec_lo, s2
	v_add_nc_u32_e32 v17, 64, v0
	s_delay_alu instid0(VALU_DEP_1) | instskip(NEXT) | instid1(VALU_DEP_1)
	v_cmp_gt_u32_e64 s1, s6, v17
	s_and_saveexec_b32 s3, s1
	s_cbranch_execz .LBB153_18
; %bb.17:
	v_dual_mov_b32 v28, 0 :: v_dual_add_nc_u32 v27, v17, v24
	v_cvt_f16_f32_e32 v18, v51
	s_delay_alu instid0(VALU_DEP_2) | instskip(SKIP_1) | instid1(VALU_DEP_1)
	v_lshlrev_b64 v[27:28], 1, v[27:28]
	s_waitcnt lgkmcnt(0)
	v_add_co_u32 v27, s2, s8, v27
	s_delay_alu instid0(VALU_DEP_1)
	v_add_co_ci_u32_e64 v28, s2, s9, v28, s2
	global_store_b16 v[27:28], v18, off
.LBB153_18:
	;; [unrolled: 17-line block ×3, first 2 shown]
	s_or_b32 exec_lo, exec_lo, s5
	v_add3_u32 v20, v1, s7, 8
	s_delay_alu instid0(VALU_DEP_1) | instskip(NEXT) | instid1(VALU_DEP_1)
	v_cmp_gt_u32_e64 s3, s4, v20
	s_and_b32 exec_lo, exec_lo, s3
	s_cbranch_execz .LBB153_62
; %bb.21:
	v_mul_lo_u32 v20, v20, s6
	s_and_saveexec_b32 s5, vcc_lo
	s_cbranch_execnz .LBB153_63
; %bb.22:
	s_or_b32 exec_lo, exec_lo, s5
	s_and_saveexec_b32 s5, s0
	s_cbranch_execnz .LBB153_64
.LBB153_23:
	s_or_b32 exec_lo, exec_lo, s5
	s_and_saveexec_b32 s5, s1
	s_cbranch_execnz .LBB153_65
.LBB153_24:
	s_or_b32 exec_lo, exec_lo, s5
	s_and_saveexec_b32 s5, s2
	s_cbranch_execz .LBB153_26
.LBB153_25:
	v_dual_mov_b32 v28, 0 :: v_dual_add_nc_u32 v27, v20, v18
	v_cvt_f16_f32_e32 v20, v34
	s_delay_alu instid0(VALU_DEP_2) | instskip(SKIP_1) | instid1(VALU_DEP_1)
	v_lshlrev_b64 v[27:28], 1, v[27:28]
	s_waitcnt lgkmcnt(0)
	v_add_co_u32 v27, s3, s8, v27
	s_delay_alu instid0(VALU_DEP_1)
	v_add_co_ci_u32_e64 v28, s3, s9, v28, s3
	global_store_b16 v[27:28], v20, off
.LBB153_26:
	s_or_b32 exec_lo, exec_lo, s5
	v_add3_u32 v20, v1, s7, 16
	s_delay_alu instid0(VALU_DEP_1) | instskip(NEXT) | instid1(VALU_DEP_1)
	v_cmp_gt_u32_e64 s3, s4, v20
	s_and_b32 exec_lo, exec_lo, s3
	s_cbranch_execz .LBB153_62
; %bb.27:
	v_mul_lo_u32 v20, v20, s6
	s_and_saveexec_b32 s5, vcc_lo
	s_cbranch_execnz .LBB153_66
; %bb.28:
	s_or_b32 exec_lo, exec_lo, s5
	s_and_saveexec_b32 s5, s0
	s_cbranch_execnz .LBB153_67
.LBB153_29:
	s_or_b32 exec_lo, exec_lo, s5
	s_and_saveexec_b32 s5, s1
	s_cbranch_execnz .LBB153_68
.LBB153_30:
	s_or_b32 exec_lo, exec_lo, s5
	s_and_saveexec_b32 s5, s2
	s_cbranch_execz .LBB153_32
.LBB153_31:
	v_dual_mov_b32 v28, 0 :: v_dual_add_nc_u32 v27, v20, v18
	v_cvt_f16_f32_e32 v20, v29
	s_delay_alu instid0(VALU_DEP_2) | instskip(SKIP_1) | instid1(VALU_DEP_1)
	v_lshlrev_b64 v[27:28], 1, v[27:28]
	s_waitcnt lgkmcnt(0)
	v_add_co_u32 v27, s3, s8, v27
	s_delay_alu instid0(VALU_DEP_1)
	v_add_co_ci_u32_e64 v28, s3, s9, v28, s3
	global_store_b16 v[27:28], v20, off
.LBB153_32:
	s_or_b32 exec_lo, exec_lo, s5
	v_add3_u32 v20, v1, s7, 24
	s_delay_alu instid0(VALU_DEP_1) | instskip(NEXT) | instid1(VALU_DEP_1)
	v_cmp_gt_u32_e64 s3, s4, v20
	s_and_b32 exec_lo, exec_lo, s3
	s_cbranch_execz .LBB153_62
; %bb.33:
	v_mul_lo_u32 v20, v20, s6
	s_and_saveexec_b32 s5, vcc_lo
	s_cbranch_execnz .LBB153_69
; %bb.34:
	s_or_b32 exec_lo, exec_lo, s5
	s_and_saveexec_b32 s5, s0
	s_cbranch_execnz .LBB153_70
.LBB153_35:
	s_or_b32 exec_lo, exec_lo, s5
	s_and_saveexec_b32 s5, s1
	s_cbranch_execnz .LBB153_71
.LBB153_36:
	s_or_b32 exec_lo, exec_lo, s5
	s_and_saveexec_b32 s5, s2
	s_cbranch_execz .LBB153_38
.LBB153_37:
	v_dual_mov_b32 v24, 0 :: v_dual_add_nc_u32 v23, v20, v18
	v_cvt_f16_f32_e32 v20, v22
	s_delay_alu instid0(VALU_DEP_2) | instskip(SKIP_1) | instid1(VALU_DEP_1)
	v_lshlrev_b64 v[23:24], 1, v[23:24]
	s_waitcnt lgkmcnt(0)
	v_add_co_u32 v23, s3, s8, v23
	s_delay_alu instid0(VALU_DEP_1)
	v_add_co_ci_u32_e64 v24, s3, s9, v24, s3
	global_store_b16 v[23:24], v20, off
.LBB153_38:
	s_or_b32 exec_lo, exec_lo, s5
	v_add3_u32 v20, v1, s7, 32
	s_delay_alu instid0(VALU_DEP_1) | instskip(NEXT) | instid1(VALU_DEP_1)
	v_cmp_gt_u32_e64 s3, s4, v20
	s_and_b32 exec_lo, exec_lo, s3
	s_cbranch_execz .LBB153_62
; %bb.39:
	v_mul_lo_u32 v20, v20, s6
	s_and_saveexec_b32 s5, vcc_lo
	s_cbranch_execnz .LBB153_72
; %bb.40:
	s_or_b32 exec_lo, exec_lo, s5
	s_and_saveexec_b32 s5, s0
	s_cbranch_execnz .LBB153_73
.LBB153_41:
	s_or_b32 exec_lo, exec_lo, s5
	s_and_saveexec_b32 s5, s1
	s_cbranch_execnz .LBB153_74
.LBB153_42:
	s_or_b32 exec_lo, exec_lo, s5
	s_and_saveexec_b32 s5, s2
	s_cbranch_execz .LBB153_44
.LBB153_43:
	v_dual_mov_b32 v20, 0 :: v_dual_add_nc_u32 v19, v20, v18
	v_cvt_f16_f32_e32 v15, v15
	s_delay_alu instid0(VALU_DEP_2) | instskip(SKIP_1) | instid1(VALU_DEP_1)
	v_lshlrev_b64 v[19:20], 1, v[19:20]
	s_waitcnt lgkmcnt(0)
	v_add_co_u32 v19, s3, s8, v19
	s_delay_alu instid0(VALU_DEP_1)
	v_add_co_ci_u32_e64 v20, s3, s9, v20, s3
	global_store_b16 v[19:20], v15, off
.LBB153_44:
	s_or_b32 exec_lo, exec_lo, s5
	v_add3_u32 v15, v1, s7, 40
	s_delay_alu instid0(VALU_DEP_1) | instskip(NEXT) | instid1(VALU_DEP_1)
	v_cmp_gt_u32_e64 s3, s4, v15
	s_and_b32 exec_lo, exec_lo, s3
	s_cbranch_execz .LBB153_62
; %bb.45:
	v_mul_lo_u32 v15, v15, s6
	s_and_saveexec_b32 s5, vcc_lo
	s_cbranch_execnz .LBB153_75
; %bb.46:
	s_or_b32 exec_lo, exec_lo, s5
	s_and_saveexec_b32 s5, s0
	s_cbranch_execnz .LBB153_76
.LBB153_47:
	s_or_b32 exec_lo, exec_lo, s5
	s_and_saveexec_b32 s5, s1
	s_cbranch_execnz .LBB153_77
.LBB153_48:
	s_or_b32 exec_lo, exec_lo, s5
	s_and_saveexec_b32 s5, s2
	s_cbranch_execz .LBB153_50
.LBB153_49:
	v_dual_mov_b32 v13, 0 :: v_dual_add_nc_u32 v12, v15, v18
	v_cvt_f16_f32_e32 v11, v11
	s_delay_alu instid0(VALU_DEP_2) | instskip(SKIP_1) | instid1(VALU_DEP_1)
	v_lshlrev_b64 v[12:13], 1, v[12:13]
	s_waitcnt lgkmcnt(0)
	v_add_co_u32 v12, s3, s8, v12
	s_delay_alu instid0(VALU_DEP_1)
	v_add_co_ci_u32_e64 v13, s3, s9, v13, s3
	global_store_b16 v[12:13], v11, off
.LBB153_50:
	s_or_b32 exec_lo, exec_lo, s5
	v_add3_u32 v11, v1, s7, 48
	s_delay_alu instid0(VALU_DEP_1) | instskip(NEXT) | instid1(VALU_DEP_1)
	v_cmp_gt_u32_e64 s3, s4, v11
	s_and_b32 exec_lo, exec_lo, s3
	s_cbranch_execz .LBB153_62
; %bb.51:
	v_mul_lo_u32 v11, v11, s6
	s_and_saveexec_b32 s5, vcc_lo
	s_cbranch_execnz .LBB153_78
; %bb.52:
	s_or_b32 exec_lo, exec_lo, s5
	s_and_saveexec_b32 s5, s0
	s_cbranch_execnz .LBB153_79
.LBB153_53:
	s_or_b32 exec_lo, exec_lo, s5
	s_and_saveexec_b32 s5, s1
	s_cbranch_execnz .LBB153_80
.LBB153_54:
	s_or_b32 exec_lo, exec_lo, s5
	s_and_saveexec_b32 s5, s2
	s_cbranch_execz .LBB153_56
.LBB153_55:
	v_dual_mov_b32 v9, 0 :: v_dual_add_nc_u32 v8, v11, v18
	v_cvt_f16_f32_e32 v7, v7
	s_delay_alu instid0(VALU_DEP_2) | instskip(SKIP_1) | instid1(VALU_DEP_1)
	v_lshlrev_b64 v[8:9], 1, v[8:9]
	s_waitcnt lgkmcnt(0)
	v_add_co_u32 v8, s3, s8, v8
	s_delay_alu instid0(VALU_DEP_1)
	v_add_co_ci_u32_e64 v9, s3, s9, v9, s3
	global_store_b16 v[8:9], v7, off
.LBB153_56:
	s_or_b32 exec_lo, exec_lo, s5
	v_add3_u32 v1, v1, s7, 56
	s_delay_alu instid0(VALU_DEP_1) | instskip(NEXT) | instid1(VALU_DEP_1)
	v_cmp_gt_u32_e64 s3, s4, v1
	s_and_b32 exec_lo, exec_lo, s3
	s_cbranch_execz .LBB153_62
; %bb.57:
	v_mul_lo_u32 v1, v1, s6
	s_and_saveexec_b32 s3, vcc_lo
	s_cbranch_execnz .LBB153_81
; %bb.58:
	s_or_b32 exec_lo, exec_lo, s3
	s_and_saveexec_b32 s3, s0
	s_cbranch_execnz .LBB153_82
.LBB153_59:
	s_or_b32 exec_lo, exec_lo, s3
	s_and_saveexec_b32 s0, s1
	s_cbranch_execnz .LBB153_83
.LBB153_60:
	s_or_b32 exec_lo, exec_lo, s0
	s_delay_alu instid0(SALU_CYCLE_1)
	s_and_b32 exec_lo, exec_lo, s2
	s_cbranch_execz .LBB153_62
.LBB153_61:
	v_dual_mov_b32 v1, 0 :: v_dual_add_nc_u32 v0, v1, v18
	v_cvt_f16_f32_e32 v2, v3
	s_delay_alu instid0(VALU_DEP_2) | instskip(SKIP_1) | instid1(VALU_DEP_1)
	v_lshlrev_b64 v[0:1], 1, v[0:1]
	s_waitcnt lgkmcnt(0)
	v_add_co_u32 v0, vcc_lo, s8, v0
	s_delay_alu instid0(VALU_DEP_2)
	v_add_co_ci_u32_e32 v1, vcc_lo, s9, v1, vcc_lo
	global_store_b16 v[0:1], v2, off
.LBB153_62:
	s_nop 0
	s_sendmsg sendmsg(MSG_DEALLOC_VGPRS)
	s_endpgm
.LBB153_63:
	s_delay_alu instid0(VALU_DEP_1) | instskip(SKIP_1) | instid1(VALU_DEP_2)
	v_dual_mov_b32 v28, 0 :: v_dual_add_nc_u32 v27, v20, v0
	v_cvt_f16_f32_e32 v24, v43
	v_lshlrev_b64 v[27:28], 1, v[27:28]
	s_waitcnt lgkmcnt(0)
	s_delay_alu instid0(VALU_DEP_1) | instskip(NEXT) | instid1(VALU_DEP_1)
	v_add_co_u32 v27, s3, s8, v27
	v_add_co_ci_u32_e64 v28, s3, s9, v28, s3
	global_store_b16 v[27:28], v24, off
	s_or_b32 exec_lo, exec_lo, s5
	s_and_saveexec_b32 s5, s0
	s_cbranch_execz .LBB153_23
.LBB153_64:
	s_delay_alu instid0(VALU_DEP_1) | instskip(SKIP_1) | instid1(VALU_DEP_2)
	v_dual_mov_b32 v28, 0 :: v_dual_add_nc_u32 v27, v20, v2
	v_cvt_f16_f32_e32 v24, v38
	v_lshlrev_b64 v[27:28], 1, v[27:28]
	s_waitcnt lgkmcnt(0)
	s_delay_alu instid0(VALU_DEP_1) | instskip(NEXT) | instid1(VALU_DEP_1)
	v_add_co_u32 v27, s3, s8, v27
	v_add_co_ci_u32_e64 v28, s3, s9, v28, s3
	global_store_b16 v[27:28], v24, off
	s_or_b32 exec_lo, exec_lo, s5
	s_and_saveexec_b32 s5, s1
	s_cbranch_execz .LBB153_24
.LBB153_65:
	v_dual_mov_b32 v28, 0 :: v_dual_add_nc_u32 v27, v20, v17
	v_cvt_f16_f32_e32 v24, v37
	s_delay_alu instid0(VALU_DEP_2) | instskip(SKIP_1) | instid1(VALU_DEP_1)
	v_lshlrev_b64 v[27:28], 1, v[27:28]
	s_waitcnt lgkmcnt(0)
	v_add_co_u32 v27, s3, s8, v27
	s_delay_alu instid0(VALU_DEP_1)
	v_add_co_ci_u32_e64 v28, s3, s9, v28, s3
	global_store_b16 v[27:28], v24, off
	s_or_b32 exec_lo, exec_lo, s5
	s_and_saveexec_b32 s5, s2
	s_cbranch_execnz .LBB153_25
	s_branch .LBB153_26
.LBB153_66:
	s_delay_alu instid0(VALU_DEP_1) | instskip(SKIP_1) | instid1(VALU_DEP_2)
	v_dual_mov_b32 v28, 0 :: v_dual_add_nc_u32 v27, v20, v0
	v_cvt_f16_f32_e32 v24, v33
	v_lshlrev_b64 v[27:28], 1, v[27:28]
	s_waitcnt lgkmcnt(0)
	s_delay_alu instid0(VALU_DEP_1) | instskip(NEXT) | instid1(VALU_DEP_1)
	v_add_co_u32 v27, s3, s8, v27
	v_add_co_ci_u32_e64 v28, s3, s9, v28, s3
	global_store_b16 v[27:28], v24, off
	s_or_b32 exec_lo, exec_lo, s5
	s_and_saveexec_b32 s5, s0
	s_cbranch_execz .LBB153_29
.LBB153_67:
	s_delay_alu instid0(VALU_DEP_1) | instskip(SKIP_1) | instid1(VALU_DEP_2)
	v_dual_mov_b32 v28, 0 :: v_dual_add_nc_u32 v27, v20, v2
	v_cvt_f16_f32_e32 v24, v32
	v_lshlrev_b64 v[27:28], 1, v[27:28]
	s_waitcnt lgkmcnt(0)
	s_delay_alu instid0(VALU_DEP_1) | instskip(NEXT) | instid1(VALU_DEP_1)
	v_add_co_u32 v27, s3, s8, v27
	v_add_co_ci_u32_e64 v28, s3, s9, v28, s3
	global_store_b16 v[27:28], v24, off
	s_or_b32 exec_lo, exec_lo, s5
	s_and_saveexec_b32 s5, s1
	s_cbranch_execz .LBB153_30
.LBB153_68:
	v_dual_mov_b32 v28, 0 :: v_dual_add_nc_u32 v27, v20, v17
	v_cvt_f16_f32_e32 v24, v31
	s_delay_alu instid0(VALU_DEP_2) | instskip(SKIP_1) | instid1(VALU_DEP_1)
	v_lshlrev_b64 v[27:28], 1, v[27:28]
	s_waitcnt lgkmcnt(0)
	v_add_co_u32 v27, s3, s8, v27
	s_delay_alu instid0(VALU_DEP_1)
	v_add_co_ci_u32_e64 v28, s3, s9, v28, s3
	global_store_b16 v[27:28], v24, off
	s_or_b32 exec_lo, exec_lo, s5
	s_and_saveexec_b32 s5, s2
	s_cbranch_execnz .LBB153_31
	s_branch .LBB153_32
.LBB153_69:
	s_delay_alu instid0(VALU_DEP_1) | instskip(SKIP_1) | instid1(VALU_DEP_2)
	v_dual_mov_b32 v28, 0 :: v_dual_add_nc_u32 v27, v20, v0
	v_cvt_f16_f32_e32 v24, v26
	v_lshlrev_b64 v[27:28], 1, v[27:28]
	s_waitcnt lgkmcnt(0)
	s_delay_alu instid0(VALU_DEP_1) | instskip(NEXT) | instid1(VALU_DEP_1)
	v_add_co_u32 v27, s3, s8, v27
	v_add_co_ci_u32_e64 v28, s3, s9, v28, s3
	global_store_b16 v[27:28], v24, off
	s_or_b32 exec_lo, exec_lo, s5
	s_and_saveexec_b32 s5, s0
	s_cbranch_execz .LBB153_35
.LBB153_70:
	s_delay_alu instid0(VALU_DEP_1) | instskip(SKIP_1) | instid1(VALU_DEP_2)
	v_dual_mov_b32 v27, 0 :: v_dual_add_nc_u32 v26, v20, v2
	v_cvt_f16_f32_e32 v24, v25
	v_lshlrev_b64 v[26:27], 1, v[26:27]
	s_waitcnt lgkmcnt(0)
	s_delay_alu instid0(VALU_DEP_1) | instskip(NEXT) | instid1(VALU_DEP_1)
	v_add_co_u32 v26, s3, s8, v26
	v_add_co_ci_u32_e64 v27, s3, s9, v27, s3
	global_store_b16 v[26:27], v24, off
	s_or_b32 exec_lo, exec_lo, s5
	s_and_saveexec_b32 s5, s1
	s_cbranch_execz .LBB153_36
.LBB153_71:
	v_dual_mov_b32 v25, 0 :: v_dual_add_nc_u32 v24, v20, v17
	v_cvt_f16_f32_e32 v23, v23
	s_delay_alu instid0(VALU_DEP_2) | instskip(SKIP_1) | instid1(VALU_DEP_1)
	v_lshlrev_b64 v[24:25], 1, v[24:25]
	s_waitcnt lgkmcnt(0)
	v_add_co_u32 v24, s3, s8, v24
	s_delay_alu instid0(VALU_DEP_1)
	v_add_co_ci_u32_e64 v25, s3, s9, v25, s3
	global_store_b16 v[24:25], v23, off
	s_or_b32 exec_lo, exec_lo, s5
	s_and_saveexec_b32 s5, s2
	s_cbranch_execnz .LBB153_37
	s_branch .LBB153_38
.LBB153_72:
	s_delay_alu instid0(VALU_DEP_1) | instskip(SKIP_1) | instid1(VALU_DEP_2)
	v_dual_mov_b32 v23, 0 :: v_dual_add_nc_u32 v22, v20, v0
	v_cvt_f16_f32_e32 v21, v21
	v_lshlrev_b64 v[22:23], 1, v[22:23]
	s_waitcnt lgkmcnt(0)
	s_delay_alu instid0(VALU_DEP_1) | instskip(NEXT) | instid1(VALU_DEP_1)
	v_add_co_u32 v22, s3, s8, v22
	v_add_co_ci_u32_e64 v23, s3, s9, v23, s3
	global_store_b16 v[22:23], v21, off
	s_or_b32 exec_lo, exec_lo, s5
	s_and_saveexec_b32 s5, s0
	s_cbranch_execz .LBB153_41
.LBB153_73:
	s_delay_alu instid0(VALU_DEP_1) | instskip(SKIP_1) | instid1(VALU_DEP_2)
	v_dual_mov_b32 v22, 0 :: v_dual_add_nc_u32 v21, v20, v2
	v_cvt_f16_f32_e32 v19, v19
	v_lshlrev_b64 v[21:22], 1, v[21:22]
	s_waitcnt lgkmcnt(0)
	s_delay_alu instid0(VALU_DEP_1) | instskip(NEXT) | instid1(VALU_DEP_1)
	v_add_co_u32 v21, s3, s8, v21
	v_add_co_ci_u32_e64 v22, s3, s9, v22, s3
	global_store_b16 v[21:22], v19, off
	s_or_b32 exec_lo, exec_lo, s5
	s_and_saveexec_b32 s5, s1
	s_cbranch_execz .LBB153_42
.LBB153_74:
	v_dual_mov_b32 v22, 0 :: v_dual_add_nc_u32 v21, v20, v17
	v_cvt_f16_f32_e32 v16, v16
	s_delay_alu instid0(VALU_DEP_2) | instskip(SKIP_1) | instid1(VALU_DEP_1)
	v_lshlrev_b64 v[21:22], 1, v[21:22]
	s_waitcnt lgkmcnt(0)
	v_add_co_u32 v21, s3, s8, v21
	s_delay_alu instid0(VALU_DEP_1)
	v_add_co_ci_u32_e64 v22, s3, s9, v22, s3
	global_store_b16 v[21:22], v16, off
	s_or_b32 exec_lo, exec_lo, s5
	s_and_saveexec_b32 s5, s2
	s_cbranch_execnz .LBB153_43
	s_branch .LBB153_44
.LBB153_75:
	s_delay_alu instid0(VALU_DEP_1) | instskip(SKIP_1) | instid1(VALU_DEP_2)
	v_dual_mov_b32 v20, 0 :: v_dual_add_nc_u32 v19, v15, v0
	v_cvt_f16_f32_e32 v14, v14
	v_lshlrev_b64 v[19:20], 1, v[19:20]
	s_waitcnt lgkmcnt(0)
	s_delay_alu instid0(VALU_DEP_1) | instskip(NEXT) | instid1(VALU_DEP_1)
	v_add_co_u32 v19, s3, s8, v19
	v_add_co_ci_u32_e64 v20, s3, s9, v20, s3
	global_store_b16 v[19:20], v14, off
	s_or_b32 exec_lo, exec_lo, s5
	s_and_saveexec_b32 s5, s0
	s_cbranch_execz .LBB153_47
.LBB153_76:
	s_delay_alu instid0(VALU_DEP_1) | instskip(SKIP_1) | instid1(VALU_DEP_2)
	v_dual_mov_b32 v20, 0 :: v_dual_add_nc_u32 v19, v15, v2
	v_cvt_f16_f32_e32 v13, v13
	v_lshlrev_b64 v[19:20], 1, v[19:20]
	s_waitcnt lgkmcnt(0)
	s_delay_alu instid0(VALU_DEP_1) | instskip(NEXT) | instid1(VALU_DEP_1)
	v_add_co_u32 v19, s3, s8, v19
	v_add_co_ci_u32_e64 v20, s3, s9, v20, s3
	global_store_b16 v[19:20], v13, off
	s_or_b32 exec_lo, exec_lo, s5
	s_and_saveexec_b32 s5, s1
	s_cbranch_execz .LBB153_48
.LBB153_77:
	v_dual_mov_b32 v14, 0 :: v_dual_add_nc_u32 v13, v15, v17
	v_cvt_f16_f32_e32 v12, v12
	s_delay_alu instid0(VALU_DEP_2) | instskip(SKIP_1) | instid1(VALU_DEP_1)
	v_lshlrev_b64 v[13:14], 1, v[13:14]
	s_waitcnt lgkmcnt(0)
	v_add_co_u32 v13, s3, s8, v13
	s_delay_alu instid0(VALU_DEP_1)
	v_add_co_ci_u32_e64 v14, s3, s9, v14, s3
	global_store_b16 v[13:14], v12, off
	s_or_b32 exec_lo, exec_lo, s5
	s_and_saveexec_b32 s5, s2
	s_cbranch_execnz .LBB153_49
	s_branch .LBB153_50
.LBB153_78:
	s_delay_alu instid0(VALU_DEP_1) | instskip(SKIP_1) | instid1(VALU_DEP_2)
	v_dual_mov_b32 v13, 0 :: v_dual_add_nc_u32 v12, v11, v0
	v_cvt_f16_f32_e32 v10, v10
	v_lshlrev_b64 v[12:13], 1, v[12:13]
	s_waitcnt lgkmcnt(0)
	s_delay_alu instid0(VALU_DEP_1) | instskip(NEXT) | instid1(VALU_DEP_1)
	v_add_co_u32 v12, s3, s8, v12
	v_add_co_ci_u32_e64 v13, s3, s9, v13, s3
	global_store_b16 v[12:13], v10, off
	s_or_b32 exec_lo, exec_lo, s5
	s_and_saveexec_b32 s5, s0
	s_cbranch_execz .LBB153_53
.LBB153_79:
	s_delay_alu instid0(VALU_DEP_1) | instskip(SKIP_1) | instid1(VALU_DEP_2)
	v_dual_mov_b32 v13, 0 :: v_dual_add_nc_u32 v12, v11, v2
	v_cvt_f16_f32_e32 v9, v9
	v_lshlrev_b64 v[12:13], 1, v[12:13]
	s_waitcnt lgkmcnt(0)
	s_delay_alu instid0(VALU_DEP_1) | instskip(NEXT) | instid1(VALU_DEP_1)
	v_add_co_u32 v12, s3, s8, v12
	v_add_co_ci_u32_e64 v13, s3, s9, v13, s3
	global_store_b16 v[12:13], v9, off
	s_or_b32 exec_lo, exec_lo, s5
	s_and_saveexec_b32 s5, s1
	s_cbranch_execz .LBB153_54
.LBB153_80:
	v_dual_mov_b32 v10, 0 :: v_dual_add_nc_u32 v9, v11, v17
	v_cvt_f16_f32_e32 v8, v8
	s_delay_alu instid0(VALU_DEP_2) | instskip(SKIP_1) | instid1(VALU_DEP_1)
	v_lshlrev_b64 v[9:10], 1, v[9:10]
	s_waitcnt lgkmcnt(0)
	v_add_co_u32 v9, s3, s8, v9
	s_delay_alu instid0(VALU_DEP_1)
	v_add_co_ci_u32_e64 v10, s3, s9, v10, s3
	global_store_b16 v[9:10], v8, off
	s_or_b32 exec_lo, exec_lo, s5
	s_and_saveexec_b32 s5, s2
	s_cbranch_execnz .LBB153_55
	s_branch .LBB153_56
.LBB153_81:
	s_delay_alu instid0(VALU_DEP_1) | instskip(SKIP_1) | instid1(VALU_DEP_2)
	v_dual_mov_b32 v8, 0 :: v_dual_add_nc_u32 v7, v1, v0
	v_cvt_f16_f32_e32 v0, v6
	v_lshlrev_b64 v[7:8], 1, v[7:8]
	s_waitcnt lgkmcnt(0)
	s_delay_alu instid0(VALU_DEP_1) | instskip(NEXT) | instid1(VALU_DEP_2)
	v_add_co_u32 v7, vcc_lo, s8, v7
	v_add_co_ci_u32_e32 v8, vcc_lo, s9, v8, vcc_lo
	global_store_b16 v[7:8], v0, off
	s_or_b32 exec_lo, exec_lo, s3
	s_and_saveexec_b32 s3, s0
	s_cbranch_execz .LBB153_59
.LBB153_82:
	s_delay_alu instid0(VALU_DEP_1) | instskip(SKIP_1) | instid1(VALU_DEP_2)
	v_dual_mov_b32 v7, 0 :: v_dual_add_nc_u32 v6, v1, v2
	v_cvt_f16_f32_e32 v0, v5
	v_lshlrev_b64 v[6:7], 1, v[6:7]
	s_waitcnt lgkmcnt(0)
	s_delay_alu instid0(VALU_DEP_1) | instskip(NEXT) | instid1(VALU_DEP_2)
	v_add_co_u32 v6, vcc_lo, s8, v6
	v_add_co_ci_u32_e32 v7, vcc_lo, s9, v7, vcc_lo
	global_store_b16 v[6:7], v0, off
	s_or_b32 exec_lo, exec_lo, s3
	s_and_saveexec_b32 s0, s1
	s_cbranch_execz .LBB153_60
.LBB153_83:
	v_dual_mov_b32 v6, 0 :: v_dual_add_nc_u32 v5, v1, v17
	v_cvt_f16_f32_e32 v0, v4
	s_delay_alu instid0(VALU_DEP_2) | instskip(SKIP_1) | instid1(VALU_DEP_1)
	v_lshlrev_b64 v[5:6], 1, v[5:6]
	s_waitcnt lgkmcnt(0)
	v_add_co_u32 v5, vcc_lo, s8, v5
	s_delay_alu instid0(VALU_DEP_2) | instskip(SKIP_2) | instid1(SALU_CYCLE_1)
	v_add_co_ci_u32_e32 v6, vcc_lo, s9, v6, vcc_lo
	global_store_b16 v[5:6], v0, off
	s_or_b32 exec_lo, exec_lo, s0
	s_and_b32 exec_lo, exec_lo, s2
	s_cbranch_execnz .LBB153_61
	s_branch .LBB153_62
	.section	.rodata,"a",@progbits
	.p2align	6, 0x0
	.amdhsa_kernel _ZL12mul_mat_q5_KIN3c104HalfELb0EEvPKvS3_PT_iiiii
		.amdhsa_group_segment_fixed_size 45136
		.amdhsa_private_segment_fixed_size 0
		.amdhsa_kernarg_size 44
		.amdhsa_user_sgpr_count 14
		.amdhsa_user_sgpr_dispatch_ptr 0
		.amdhsa_user_sgpr_queue_ptr 0
		.amdhsa_user_sgpr_kernarg_segment_ptr 1
		.amdhsa_user_sgpr_dispatch_id 0
		.amdhsa_user_sgpr_private_segment_size 0
		.amdhsa_wavefront_size32 1
		.amdhsa_uses_dynamic_stack 0
		.amdhsa_enable_private_segment 0
		.amdhsa_system_sgpr_workgroup_id_x 1
		.amdhsa_system_sgpr_workgroup_id_y 1
		.amdhsa_system_sgpr_workgroup_id_z 0
		.amdhsa_system_sgpr_workgroup_info 0
		.amdhsa_system_vgpr_workitem_id 1
		.amdhsa_next_free_vgpr 248
		.amdhsa_next_free_sgpr 18
		.amdhsa_reserve_vcc 1
		.amdhsa_float_round_mode_32 0
		.amdhsa_float_round_mode_16_64 0
		.amdhsa_float_denorm_mode_32 3
		.amdhsa_float_denorm_mode_16_64 3
		.amdhsa_dx10_clamp 1
		.amdhsa_ieee_mode 1
		.amdhsa_fp16_overflow 0
		.amdhsa_workgroup_processor_mode 1
		.amdhsa_memory_ordered 1
		.amdhsa_forward_progress 0
		.amdhsa_shared_vgpr_count 0
		.amdhsa_exception_fp_ieee_invalid_op 0
		.amdhsa_exception_fp_denorm_src 0
		.amdhsa_exception_fp_ieee_div_zero 0
		.amdhsa_exception_fp_ieee_overflow 0
		.amdhsa_exception_fp_ieee_underflow 0
		.amdhsa_exception_fp_ieee_inexact 0
		.amdhsa_exception_int_div_zero 0
	.end_amdhsa_kernel
	.section	.text._ZL12mul_mat_q5_KIN3c104HalfELb0EEvPKvS3_PT_iiiii,"axG",@progbits,_ZL12mul_mat_q5_KIN3c104HalfELb0EEvPKvS3_PT_iiiii,comdat
.Lfunc_end153:
	.size	_ZL12mul_mat_q5_KIN3c104HalfELb0EEvPKvS3_PT_iiiii, .Lfunc_end153-_ZL12mul_mat_q5_KIN3c104HalfELb0EEvPKvS3_PT_iiiii
                                        ; -- End function
	.section	.AMDGPU.csdata,"",@progbits
; Kernel info:
; codeLenInByte = 15876
; NumSgprs: 20
; NumVgprs: 248
; ScratchSize: 0
; MemoryBound: 0
; FloatMode: 240
; IeeeMode: 1
; LDSByteSize: 45136 bytes/workgroup (compile time only)
; SGPRBlocks: 2
; VGPRBlocks: 30
; NumSGPRsForWavesPerEU: 20
; NumVGPRsForWavesPerEU: 248
; Occupancy: 4
; WaveLimiterHint : 0
; COMPUTE_PGM_RSRC2:SCRATCH_EN: 0
; COMPUTE_PGM_RSRC2:USER_SGPR: 14
; COMPUTE_PGM_RSRC2:TRAP_HANDLER: 0
; COMPUTE_PGM_RSRC2:TGID_X_EN: 1
; COMPUTE_PGM_RSRC2:TGID_Y_EN: 1
; COMPUTE_PGM_RSRC2:TGID_Z_EN: 0
; COMPUTE_PGM_RSRC2:TIDIG_COMP_CNT: 1
	.section	.text._ZL12mul_mat_q5_KIN3c104HalfELb1EEvPKvS3_PT_iiiii,"axG",@progbits,_ZL12mul_mat_q5_KIN3c104HalfELb1EEvPKvS3_PT_iiiii,comdat
	.globl	_ZL12mul_mat_q5_KIN3c104HalfELb1EEvPKvS3_PT_iiiii ; -- Begin function _ZL12mul_mat_q5_KIN3c104HalfELb1EEvPKvS3_PT_iiiii
	.p2align	8
	.type	_ZL12mul_mat_q5_KIN3c104HalfELb1EEvPKvS3_PT_iiiii,@function
_ZL12mul_mat_q5_KIN3c104HalfELb1EEvPKvS3_PT_iiiii: ; @_ZL12mul_mat_q5_KIN3c104HalfELb1EEvPKvS3_PT_iiiii
; %bb.0:
	s_clause 0x1
	s_load_b128 s[4:7], s[0:1], 0x18
	s_load_b32 s10, s[0:1], 0x28
	v_bfe_u32 v29, v0, 10, 10
	v_and_b32_e32 v30, 0x3ff, v0
	s_lshl_b32 s11, s15, 6
	s_waitcnt lgkmcnt(0)
	s_cmpk_gt_i32 s4, 0xff
	s_cbranch_scc1 .LBB154_2
; %bb.1:
	v_bfe_u32 v1, v0, 10, 10
	v_and_b32_e32 v0, 0x3ff, v0
	s_mov_b32 s2, 0
	s_mov_b32 s3, 0
	s_delay_alu instid0(VALU_DEP_2)
	v_add_nc_u32_e32 v48, s11, v1
	s_branch .LBB154_3
.LBB154_2:
	s_mov_b32 s2, -1
                                        ; implicit-def: $sgpr3
                                        ; implicit-def: $vgpr1
                                        ; implicit-def: $vgpr0
                                        ; implicit-def: $vgpr48
.LBB154_3:
	s_load_b64 s[8:9], s[0:1], 0x10
	v_dual_mov_b32 v19, s3 :: v_dual_mov_b32 v34, s3
	v_dual_mov_b32 v23, s3 :: v_dual_mov_b32 v40, s3
	;; [unrolled: 1-line block ×15, first 2 shown]
	v_mov_b32_e32 v63, s3
	v_mov_b32_e32 v69, s3
	s_and_not1_b32 vcc_lo, exec_lo, s2
	s_lshl_b32 s12, s14, 7
	s_cbranch_vccnz .LBB154_11
; %bb.4:
	s_load_b128 s[0:3], s[0:1], 0x0
	s_ashr_i32 s13, s4, 31
	v_lshrrev_b32_e32 v28, 2, v30
	s_lshr_b32 s13, s13, 24
	s_ashr_i32 s14, s7, 31
	s_add_i32 s4, s4, s13
	s_lshr_b32 s13, s14, 27
	s_ashr_i32 s4, s4, 8
	v_and_b32_e32 v42, 6, v28
	v_lshl_add_u32 v73, v29, 3, v28
	v_and_b32_e32 v28, 3, v30
	s_add_i32 s7, s7, s13
	s_mul_i32 s13, s4, s12
	s_ashr_i32 s14, s7, 5
	s_mul_i32 s7, s13, 0xb0
	s_mul_hi_i32 s13, s13, 0xb0
	v_and_b32_e32 v1, 7, v30
	v_add_nc_u32_e32 v52, 32, v29
	v_add_nc_u32_e32 v77, 0xfe, v28
	v_cmp_gt_u32_e32 vcc_lo, 2, v28
	v_lshlrev_b32_e32 v0, 1, v30
	s_waitcnt lgkmcnt(0)
	s_add_u32 s7, s0, s7
	s_addc_u32 s13, s1, s13
	s_not_b32 s0, s12
	v_cndmask_b32_e32 v79, v77, v28, vcc_lo
	s_add_i32 s0, s0, s5
	v_lshlrev_b32_e32 v92, 5, v52
	v_min_i32_e32 v6, s0, v52
	v_mov_b32_e32 v52, 0
	v_and_or_b32 v0, v0, 48, v1
	v_add_nc_u32_e32 v31, 8, v29
	v_add_nc_u32_e32 v37, 16, v29
	;; [unrolled: 1-line block ×3, first 2 shown]
	v_min_i32_e32 v2, s0, v29
	v_lshlrev_b32_e32 v17, 2, v0
	v_add_nc_u32_e32 v57, 40, v29
	v_min_i32_e32 v3, s0, v31
	v_add_nc_u32_e32 v60, 48, v29
	v_min_i32_e32 v4, s0, v37
	;; [unrolled: 2-line block ×3, first 2 shown]
	v_add_nc_u32_e32 v10, 64, v29
	v_add_nc_u32_e32 v11, 0x48, v29
	v_mad_u64_u32 v[0:1], null, 0x104, v2, v[17:18]
	v_min_i32_e32 v7, s0, v57
	v_add_nc_u32_e32 v12, 0x50, v29
	v_mul_lo_u32 v46, v2, s4
	v_mad_u64_u32 v[1:2], null, 0x104, v3, v[17:18]
	v_min_i32_e32 v8, s0, v60
	v_mul_lo_u32 v49, v3, s4
	v_mad_u64_u32 v[2:3], null, 0x104, v4, v[17:18]
	v_min_i32_e32 v9, s0, v64
	;; [unrolled: 3-line block ×5, first 2 shown]
	v_mul_lo_u32 v54, v7, s4
	v_mad_u64_u32 v[6:7], null, 0x104, v8, v[17:18]
	v_mul_lo_u32 v55, v8, s4
	v_mad_u64_u32 v[7:8], null, 0x104, v9, v[17:18]
	;; [unrolled: 2-line block ×3, first 2 shown]
	s_add_i32 s1, s6, -1
	v_mul_lo_u32 v58, v10, s4
	v_mad_u64_u32 v[9:10], null, 0x104, v11, v[17:18]
	v_mul_lo_u32 v59, v11, s4
	v_mad_u64_u32 v[10:11], null, 0x104, v12, v[17:18]
	v_cvt_f64_i32_e32 v[18:19], s1
	v_add_nc_u32_e32 v48, s11, v29
	v_add_nc_u32_e32 v13, 0x58, v29
	v_mul_lo_u32 v61, v12, s4
	v_add_nc_u32_e32 v11, 0x60, v29
	v_lshlrev_b32_e32 v68, 5, v29
	v_add_nc_u32_e32 v14, 16, v48
	v_min_i32_e32 v13, s0, v13
	v_add_nc_u32_e32 v12, 8, v48
	v_min_i32_e32 v40, s0, v11
	v_add_nc_u32_e32 v33, 40, v48
	v_cvt_f64_u32_e32 v[22:23], v14
	v_mul_lo_u32 v67, v13, s4
	v_cvt_f64_u32_e32 v[20:21], v12
	v_add_nc_u32_e32 v14, 24, v48
	v_cvt_f64_u32_e32 v[15:16], v48
	v_cvt_f64_u32_e32 v[33:34], v33
	v_add_nc_u32_e32 v63, 0x78, v29
	v_add_nc_u32_e32 v41, 56, v48
	v_cvt_f64_u32_e32 v[24:25], v14
	v_add_nc_u32_e32 v14, 0x68, v29
	v_mul_lo_u32 v70, v40, s4
	v_min_i32_e32 v71, s0, v63
	v_dual_mov_b32 v32, 0 :: v_dual_lshlrev_b32 v39, 2, v30
	s_delay_alu instid0(VALU_DEP_4) | instskip(SKIP_1) | instid1(VALU_DEP_4)
	v_min_i32_e32 v62, s0, v14
	v_add_nc_u32_e32 v14, 0x70, v29
	v_mul_lo_u32 v75, v71, s4
	v_lshrrev_b32_e32 v38, 5, v30
	v_and_b32_e32 v44, 28, v39
	v_mul_lo_u32 v72, v62, s4
	v_min_i32_e32 v66, s0, v14
	v_and_b32_e32 v43, 0x7c, v39
	v_mul_u32_u24_e32 v114, 0x104, v30
	s_mov_b32 s5, 0
	s_delay_alu instid0(VALU_DEP_3) | instskip(SKIP_3) | instid1(VALU_DEP_2)
	v_mul_lo_u32 v74, v66, s4
	v_mad_u64_u32 v[11:12], null, 0x104, v13, v[17:18]
	v_add_nc_u32_e32 v13, 32, v48
	v_add_nc_u32_e32 v12, v68, v30
	v_cvt_f64_u32_e32 v[26:27], v13
	v_add_nc_u32_e32 v13, 48, v48
	s_delay_alu instid0(VALU_DEP_3) | instskip(SKIP_1) | instid1(VALU_DEP_3)
	v_and_b32_e32 v12, 0x7f, v12
	v_min_f64 v[22:23], v[22:23], v[18:19]
	v_cvt_f64_u32_e32 v[35:36], v13
	s_delay_alu instid0(VALU_DEP_3) | instskip(SKIP_3) | instid1(VALU_DEP_4)
	v_min_i32_e32 v65, s0, v12
	v_mad_u64_u32 v[12:13], null, 0x104, v40, v[17:18]
	v_cvt_f64_u32_e32 v[40:41], v41
	v_min_f64 v[20:21], v[20:21], v[18:19]
	v_ashrrev_i32_e32 v13, 31, v65
	v_lshlrev_b32_e32 v76, 2, v65
	v_mul_lo_u32 v77, v65, s4
	s_delay_alu instid0(VALU_DEP_3)
	v_lshrrev_b32_e32 v69, 27, v13
	v_mad_u64_u32 v[13:14], null, 0x104, v62, v[17:18]
	v_min_f64 v[62:63], v[15:16], v[18:19]
	v_mad_u64_u32 v[14:15], null, 0x104, v66, v[17:18]
	v_mad_u64_u32 v[15:16], null, 0x104, v71, v[17:18]
	v_min_f64 v[16:17], v[24:25], v[18:19]
	v_add_nc_u32_e32 v69, v65, v69
	v_and_b32_e32 v65, 0xff, v79
	s_delay_alu instid0(VALU_DEP_2) | instskip(SKIP_1) | instid1(VALU_DEP_3)
	v_ashrrev_i32_e32 v66, 5, v69
	v_and_b32_e32 v69, 0x7f, v73
	v_lshlrev_b32_e32 v80, 1, v65
	s_delay_alu instid0(VALU_DEP_3) | instskip(NEXT) | instid1(VALU_DEP_3)
	v_lshlrev_b32_e32 v66, 2, v66
	v_min_i32_e32 v71, s0, v69
	v_min_f64 v[24:25], v[26:27], v[18:19]
	v_min_f64 v[26:27], v[33:34], v[18:19]
	v_xor_b32_e32 v69, 64, v69
	v_cvt_i32_f64_e32 v22, v[22:23]
	v_ashrrev_i32_e32 v78, 31, v71
	v_min_f64 v[33:34], v[35:36], v[18:19]
	s_delay_alu instid0(VALU_DEP_4)
	v_min_i32_e32 v35, s0, v69
	v_lshlrev_b32_e32 v23, 2, v28
	v_mov_b32_e32 v69, 0
	v_lshrrev_b32_e32 v36, 29, v78
	v_add3_u32 v78, v66, v76, 0xae40
	v_ashrrev_i32_e32 v66, 31, v35
	v_min_f64 v[18:19], v[40:41], v[18:19]
	v_cvt_i32_f64_e32 v20, v[20:21]
	v_add_nc_u32_e32 v36, v71, v36
	v_mul_lo_u32 v82, v35, s4
	v_lshrrev_b32_e32 v41, 29, v66
	v_and_b32_e32 v66, 4, v39
	v_mul_lo_u32 v81, v71, s4
	v_ashrrev_i32_e32 v36, 3, v36
	v_cvt_i32_f64_e32 v62, v[62:63]
	v_add_nc_u32_e32 v41, v35, v41
	v_dual_mov_b32 v76, 0 :: v_dual_lshlrev_b32 v35, 4, v35
	s_delay_alu instid0(VALU_DEP_4) | instskip(SKIP_1) | instid1(VALU_DEP_4)
	v_lshlrev_b32_e32 v36, 2, v36
	v_cvt_i32_f64_e32 v63, v[16:17]
	v_ashrrev_i32_e32 v41, 3, v41
	v_add_co_u32 v16, s0, s2, v44
	s_delay_alu instid0(VALU_DEP_4) | instskip(SKIP_1) | instid1(VALU_DEP_4)
	v_add3_u32 v36, v36, v23, 0xa200
	v_add_co_ci_u32_e64 v17, null, s3, 0, s0
	v_lshlrev_b32_e32 v41, 2, v41
	s_movk_i32 s0, 0x2080
	s_delay_alu instid0(SALU_CYCLE_1)
	v_mad_u32_u24 v116, 0x104, v30, s0
	s_movk_i32 s0, 0x4100
	v_cvt_i32_f64_e32 v24, v[24:25]
	v_cvt_i32_f64_e32 v26, v[26:27]
	v_and_b32_e32 v25, 63, v73
	v_add3_u32 v41, v41, v23, 0xa200
	v_mul_lo_u32 v91, s14, v22
	v_add_nc_u32_e32 v22, 0x60, v30
	v_cvt_i32_f64_e32 v33, v[33:34]
	v_and_b32_e32 v27, 31, v30
	v_lshl_or_b32 v23, v25, 4, v23
	v_or_b32_e32 v34, s11, v25
	v_lshrrev_b32_e32 v108, 3, v22
	v_mad_u32_u24 v118, 0x104, v30, s0
	s_movk_i32 s0, 0x6180
	v_add_nc_u32_e32 v84, 0xaa40, v23
	v_min_i32_e32 v34, s1, v34
	v_mul_lo_u32 v88, s14, v20
	v_or_b32_e32 v20, v92, v27
	v_lshlrev_b32_e32 v119, 4, v22
	v_mad_u32_u24 v120, 0x104, v30, s0
	v_add_nc_u32_e32 v124, v41, v35
	v_mov_b32_e32 v22, 0
	v_mul_lo_u32 v86, s14, v62
	v_dual_mov_b32 v62, 0 :: v_dual_lshlrev_b32 v89, 5, v47
	v_lshl_add_u32 v99, v20, 2, 0x8200
	v_mov_b32_e32 v47, 0
	v_mul_lo_u32 v95, s14, v63
	v_mov_b32_e32 v63, 0
	v_mov_b32_e32 v73, 0
	;; [unrolled: 1-line block ×4, first 2 shown]
	v_mul_lo_u32 v98, s14, v24
	v_mul_lo_u32 v100, s14, v26
	v_and_b32_e32 v26, 60, v108
	v_mul_lo_u32 v102, s14, v33
	s_delay_alu instid0(VALU_DEP_2) | instskip(SKIP_4) | instid1(VALU_DEP_4)
	v_add3_u32 v113, v39, v26, 0xae40
	v_dual_mov_b32 v26, 0 :: v_dual_lshlrev_b32 v83, 5, v31
	v_mov_b32_e32 v33, 0
	v_lshlrev_b32_e32 v103, 5, v64
	v_dual_mov_b32 v31, 0 :: v_dual_mov_b32 v64, 0
	v_or_b32_e32 v23, v83, v27
	s_delay_alu instid0(VALU_DEP_1) | instskip(NEXT) | instid1(VALU_DEP_4)
	v_lshl_add_u32 v90, v23, 2, 0x8200
	v_or_b32_e32 v23, v103, v27
	s_delay_alu instid0(VALU_DEP_1) | instskip(SKIP_1) | instid1(VALU_DEP_1)
	v_lshl_add_u32 v109, v23, 2, 0x8200
	v_lshlrev_b32_e32 v23, 2, v38
	v_add3_u32 v110, v23, v39, 0xae40
	v_mov_b32_e32 v23, 0
	v_cmp_ne_u32_e32 vcc_lo, 0, v28
	v_add_co_ci_u32_e32 v40, vcc_lo, 0, v65, vcc_lo
	v_cmp_lt_u32_e32 vcc_lo, 1, v28
	v_lshlrev_b32_e32 v65, 4, v71
	v_mov_b32_e32 v71, 0
	s_delay_alu instid0(VALU_DEP_4)
	v_dual_mov_b32 v40, 0 :: v_dual_lshlrev_b32 v121, 2, v40
	v_cndmask_b32_e32 v79, 0, v66, vcc_lo
	v_cvt_i32_f64_e32 v66, v[18:19]
	v_mad_u64_u32 v[18:19], null, v34, s14, v[28:29]
	v_add_nc_u32_e32 v123, v36, v65
	v_mov_b32_e32 v65, 0
	v_or_b32_e32 v19, v68, v27
	v_mov_b32_e32 v36, 0
	v_lshlrev_b32_e32 v94, 5, v57
	v_cndmask_b32_e64 v21, 0, 1, vcc_lo
	v_or_b32_e32 v45, 1, v42
	v_lshl_add_u32 v87, v19, 2, 0x8200
	v_dual_mov_b32 v28, 0 :: v_dual_mov_b32 v57, 0
	s_delay_alu instid0(VALU_DEP_4)
	v_dual_mov_b32 v21, 0 :: v_dual_lshlrev_b32 v122, 2, v21
	v_mov_b32_e32 v34, 0
	v_mul_lo_u32 v105, s14, v66
	v_dual_mov_b32 v66, 0 :: v_dual_lshlrev_b32 v85, 5, v37
	v_dual_mov_b32 v37, 0 :: v_dual_lshlrev_b32 v96, 5, v60
	v_mov_b32_e32 v60, 0
	s_delay_alu instid0(VALU_DEP_3) | instskip(NEXT) | instid1(VALU_DEP_3)
	v_or_b32_e32 v19, v85, v27
	v_or_b32_e32 v20, v96, v27
	s_delay_alu instid0(VALU_DEP_2) | instskip(SKIP_1) | instid1(VALU_DEP_3)
	v_lshl_add_u32 v93, v19, 2, 0x8200
	v_or_b32_e32 v19, v89, v27
	v_lshl_add_u32 v104, v20, 2, 0x8200
	v_add_nc_u32_e32 v20, 64, v30
	s_delay_alu instid0(VALU_DEP_3) | instskip(SKIP_1) | instid1(VALU_DEP_3)
	v_lshl_add_u32 v97, v19, 2, 0x8200
	v_or_b32_e32 v19, v94, v27
	v_lshrrev_b32_e32 v107, 3, v20
	v_lshrrev_b32_e32 v27, 3, v30
	v_dual_mov_b32 v20, 0 :: v_dual_lshlrev_b32 v117, 4, v20
	s_delay_alu instid0(VALU_DEP_4) | instskip(SKIP_4) | instid1(VALU_DEP_4)
	v_lshl_add_u32 v101, v19, 2, 0x8200
	v_add_nc_u32_e32 v19, 32, v30
	v_and_b32_e32 v25, 60, v107
	v_lshlrev_b32_e32 v125, 2, v27
	v_mov_b32_e32 v27, 0
	v_lshrrev_b32_e32 v106, 3, v19
	s_delay_alu instid0(VALU_DEP_4) | instskip(SKIP_2) | instid1(VALU_DEP_4)
	v_add3_u32 v112, v39, v25, 0xae40
	v_lshlrev_b32_e32 v115, 4, v19
	v_mov_b32_e32 v19, 0
	v_dual_mov_b32 v25, 0 :: v_dual_and_b32 v24, 60, v106
	s_delay_alu instid0(VALU_DEP_1)
	v_add3_u32 v111, v39, v24, 0xae40
	v_mov_b32_e32 v24, 0
.LBB154_5:                              ; =>This Loop Header: Depth=1
                                        ;     Child Loop BB154_6 Depth 2
                                        ;       Child Loop BB154_7 Depth 3
	s_mul_i32 s0, s5, 0xb0
	s_mul_hi_u32 s1, s5, 0xb0
	s_add_u32 s0, s7, s0
	s_addc_u32 s1, s13, s1
	s_mov_b32 s14, 0
	v_mad_u64_u32 v[126:127], null, 0xb0, v38, s[0:1]
	s_delay_alu instid0(VALU_DEP_1) | instskip(SKIP_3) | instid1(VALU_DEP_4)
	v_mad_i64_i32 v[128:129], null, 0xb0, v46, v[126:127]
	v_mad_i64_i32 v[130:131], null, 0xb0, v49, v[126:127]
	;; [unrolled: 1-line block ×4, first 2 shown]
	v_add_co_u32 v132, vcc_lo, v128, v43
	v_add_co_ci_u32_e32 v133, vcc_lo, 0, v129, vcc_lo
	v_add_co_u32 v128, vcc_lo, v128, v44
	v_add_co_ci_u32_e32 v129, vcc_lo, 0, v129, vcc_lo
	;; [unrolled: 2-line block ×6, first 2 shown]
	v_mad_i64_i32 v[144:145], null, 0xb0, v53, v[126:127]
	v_add_co_u32 v142, vcc_lo, v138, v43
	v_add_co_ci_u32_e32 v143, vcc_lo, 0, v139, vcc_lo
	v_add_co_u32 v138, vcc_lo, v138, v44
	v_add_co_ci_u32_e32 v139, vcc_lo, 0, v139, vcc_lo
	s_clause 0x7
	global_load_b32 v146, v[132:133], off offset:48
	global_load_b32 v147, v[128:129], off offset:16
	global_load_b32 v148, v[134:135], off offset:48
	global_load_b32 v149, v[130:131], off offset:16
	global_load_b32 v150, v[140:141], off offset:48
	global_load_b32 v151, v[136:137], off offset:16
	global_load_b32 v152, v[142:143], off offset:48
	global_load_b32 v153, v[138:139], off offset:16
	v_mad_i64_i32 v[128:129], null, 0xb0, v54, v[126:127]
	v_add_co_u32 v130, vcc_lo, v144, v43
	v_add_co_ci_u32_e32 v131, vcc_lo, 0, v145, vcc_lo
	v_add_co_u32 v132, vcc_lo, v144, v44
	v_mad_i64_i32 v[136:137], null, 0xb0, v55, v[126:127]
	v_add_co_ci_u32_e32 v133, vcc_lo, 0, v145, vcc_lo
	v_add_co_u32 v134, vcc_lo, v128, v43
	v_add_co_ci_u32_e32 v135, vcc_lo, 0, v129, vcc_lo
	v_add_co_u32 v128, vcc_lo, v128, v44
	v_mad_i64_i32 v[138:139], null, 0xb0, v56, v[126:127]
	v_add_co_ci_u32_e32 v129, vcc_lo, 0, v129, vcc_lo
	v_add_co_u32 v140, vcc_lo, v136, v43
	v_add_co_ci_u32_e32 v141, vcc_lo, 0, v137, vcc_lo
	v_add_co_u32 v136, vcc_lo, v136, v44
	v_add_co_ci_u32_e32 v137, vcc_lo, 0, v137, vcc_lo
	v_mad_i64_i32 v[144:145], null, 0xb0, v58, v[126:127]
	v_add_co_u32 v142, vcc_lo, v138, v43
	v_add_co_ci_u32_e32 v143, vcc_lo, 0, v139, vcc_lo
	v_add_co_u32 v138, vcc_lo, v138, v44
	v_add_co_ci_u32_e32 v139, vcc_lo, 0, v139, vcc_lo
	s_clause 0x7
	global_load_b32 v154, v[130:131], off offset:48
	global_load_b32 v155, v[132:133], off offset:16
	;; [unrolled: 1-line block ×8, first 2 shown]
	v_mad_i64_i32 v[128:129], null, 0xb0, v59, v[126:127]
	v_add_co_u32 v130, vcc_lo, v144, v43
	v_add_co_ci_u32_e32 v131, vcc_lo, 0, v145, vcc_lo
	v_add_co_u32 v132, vcc_lo, v144, v44
	v_mad_i64_i32 v[136:137], null, 0xb0, v61, v[126:127]
	v_add_co_ci_u32_e32 v133, vcc_lo, 0, v145, vcc_lo
	v_add_co_u32 v134, vcc_lo, v128, v43
	v_add_co_ci_u32_e32 v135, vcc_lo, 0, v129, vcc_lo
	v_add_co_u32 v128, vcc_lo, v128, v44
	v_mad_i64_i32 v[138:139], null, 0xb0, v67, v[126:127]
	v_add_co_ci_u32_e32 v129, vcc_lo, 0, v129, vcc_lo
	v_add_co_u32 v140, vcc_lo, v136, v43
	v_add_co_ci_u32_e32 v141, vcc_lo, 0, v137, vcc_lo
	v_add_co_u32 v136, vcc_lo, v136, v44
	v_add_co_ci_u32_e32 v137, vcc_lo, 0, v137, vcc_lo
	v_mad_i64_i32 v[144:145], null, 0xb0, v70, v[126:127]
	v_add_co_u32 v142, vcc_lo, v138, v43
	v_add_co_ci_u32_e32 v143, vcc_lo, 0, v139, vcc_lo
	v_add_co_u32 v138, vcc_lo, v138, v44
	v_add_co_ci_u32_e32 v139, vcc_lo, 0, v139, vcc_lo
	s_clause 0x7
	global_load_b32 v162, v[130:131], off offset:48
	global_load_b32 v163, v[132:133], off offset:16
	;; [unrolled: 1-line block ×8, first 2 shown]
	v_mad_i64_i32 v[128:129], null, 0xb0, v72, v[126:127]
	v_add_co_u32 v130, vcc_lo, v144, v43
	v_add_co_ci_u32_e32 v131, vcc_lo, 0, v145, vcc_lo
	v_add_co_u32 v132, vcc_lo, v144, v44
	v_add_co_ci_u32_e32 v133, vcc_lo, 0, v145, vcc_lo
	;; [unrolled: 2-line block ×4, first 2 shown]
	s_clause 0x3
	global_load_b32 v139, v[130:131], off offset:48
	global_load_b32 v141, v[132:133], off offset:16
	;; [unrolled: 1-line block ×4, first 2 shown]
	v_mad_i64_i32 v[128:129], null, 0xb0, v74, v[126:127]
	v_mad_i64_i32 v[130:131], null, 0xb0, v75, v[126:127]
	;; [unrolled: 1-line block ×3, first 2 shown]
	s_delay_alu instid0(VALU_DEP_3) | instskip(NEXT) | instid1(VALU_DEP_4)
	v_add_co_u32 v126, vcc_lo, v128, v43
	v_add_co_ci_u32_e32 v127, vcc_lo, 0, v129, vcc_lo
	v_add_co_u32 v128, vcc_lo, v128, v44
	v_add_co_ci_u32_e32 v129, vcc_lo, 0, v129, vcc_lo
	;; [unrolled: 2-line block ×4, first 2 shown]
	s_clause 0x3
	global_load_b32 v144, v[126:127], off offset:48
	global_load_b32 v145, v[128:129], off offset:16
	;; [unrolled: 1-line block ×4, first 2 shown]
	v_add_co_u32 v134, vcc_lo, v134, 4
	v_mad_i64_i32 v[126:127], null, 0xb0, v82, s[0:1]
	v_add_co_ci_u32_e32 v135, vcc_lo, 0, v135, vcc_lo
	s_delay_alu instid0(VALU_DEP_3) | instskip(SKIP_1) | instid1(VALU_DEP_3)
	v_add_co_u32 v130, vcc_lo, v134, v121
	v_mad_i64_i32 v[128:129], null, 0xb0, v77, s[0:1]
	v_add_co_ci_u32_e32 v131, vcc_lo, 0, v135, vcc_lo
	v_add_co_u32 v166, vcc_lo, v126, 4
	v_add_co_ci_u32_e32 v167, vcc_lo, 0, v127, vcc_lo
	global_load_b32 v168, v[130:131], off
	v_add_co_u32 v126, vcc_lo, v166, v121
	v_add_co_ci_u32_e32 v127, vcc_lo, 0, v167, vcc_lo
	v_add_co_u32 v130, vcc_lo, v134, v122
	v_add_co_ci_u32_e32 v131, vcc_lo, 0, v135, vcc_lo
	global_load_b32 v134, v[126:127], off
	v_add_co_u32 v126, vcc_lo, v166, v122
	v_add_co_ci_u32_e32 v127, vcc_lo, 0, v167, vcc_lo
	s_clause 0x2
	global_load_b32 v130, v[130:131], off
	global_load_b32 v126, v[126:127], off
	;; [unrolled: 1-line block ×3, first 2 shown]
	s_lshl_b32 s0, s5, 3
	s_mov_b32 s1, -1
	s_waitcnt vmcnt(36)
	v_lshrrev_b32_e32 v129, 4, v146
	s_waitcnt vmcnt(35)
	v_ashrrev_i32_e32 v131, v42, v147
	v_ashrrev_i32_e32 v135, v45, v147
	v_and_b32_e32 v128, 0xf0f0f0f, v146
	s_waitcnt vmcnt(34)
	v_and_b32_e32 v146, 0xf0f0f0f, v148
	v_lshrrev_b32_e32 v147, 4, v148
	s_waitcnt vmcnt(33)
	v_ashrrev_i32_e32 v148, v42, v149
	v_ashrrev_i32_e32 v149, v45, v149
	s_waitcnt vmcnt(32)
	v_and_b32_e32 v166, 0xf0f0f0f, v150
	v_lshrrev_b32_e32 v150, 4, v150
	s_waitcnt vmcnt(31)
	v_ashrrev_i32_e32 v167, v42, v151
	v_ashrrev_i32_e32 v151, v45, v151
	;; [unrolled: 6-line block ×3, first 2 shown]
	v_and_b32_e32 v129, 0xf0f0f0f, v129
	v_lshlrev_b32_e32 v131, 4, v131
	v_lshlrev_b32_e32 v135, 4, v135
	v_and_b32_e32 v147, 0xf0f0f0f, v147
	v_lshlrev_b32_e32 v148, 4, v148
	v_lshlrev_b32_e32 v149, 4, v149
	;; [unrolled: 3-line block ×4, first 2 shown]
	v_and_or_b32 v128, 0x10101010, v131, v128
	v_and_or_b32 v129, 0x10101010, v135, v129
	;; [unrolled: 1-line block ×8, first 2 shown]
	s_waitcnt vmcnt(28)
	v_and_b32_e32 v171, 0xf0f0f0f, v154
	v_lshrrev_b32_e32 v154, 4, v154
	s_waitcnt vmcnt(27)
	v_ashrrev_i32_e32 v172, v42, v155
	v_ashrrev_i32_e32 v155, v45, v155
	s_waitcnt vmcnt(26)
	v_and_b32_e32 v173, 0xf0f0f0f, v156
	v_lshrrev_b32_e32 v156, 4, v156
	s_waitcnt vmcnt(25)
	v_ashrrev_i32_e32 v174, v42, v157
	v_ashrrev_i32_e32 v157, v45, v157
	;; [unrolled: 6-line block ×4, first 2 shown]
	v_and_b32_e32 v154, 0xf0f0f0f, v154
	v_lshlrev_b32_e32 v172, 4, v172
	v_lshlrev_b32_e32 v155, 4, v155
	v_and_b32_e32 v156, 0xf0f0f0f, v156
	v_lshlrev_b32_e32 v174, 4, v174
	v_lshlrev_b32_e32 v157, 4, v157
	v_and_b32_e32 v158, 0xf0f0f0f, v158
	v_lshlrev_b32_e32 v176, 4, v176
	v_lshlrev_b32_e32 v159, 4, v159
	v_and_b32_e32 v160, 0xf0f0f0f, v160
	v_lshlrev_b32_e32 v178, 4, v178
	v_lshlrev_b32_e32 v161, 4, v161
	v_and_or_b32 v150, 0x10101010, v172, v171
	v_and_or_b32 v151, 0x10101010, v155, v154
	;; [unrolled: 1-line block ×8, first 2 shown]
	s_waitcnt vmcnt(20)
	v_and_b32_e32 v179, 0xf0f0f0f, v162
	v_lshrrev_b32_e32 v162, 4, v162
	s_waitcnt vmcnt(19)
	v_ashrrev_i32_e32 v180, v42, v163
	v_ashrrev_i32_e32 v163, v45, v163
	s_waitcnt vmcnt(18)
	v_and_b32_e32 v181, 0xf0f0f0f, v164
	v_lshrrev_b32_e32 v164, 4, v164
	s_waitcnt vmcnt(17)
	v_ashrrev_i32_e32 v182, v42, v165
	v_ashrrev_i32_e32 v165, v45, v165
	;; [unrolled: 6-line block ×4, first 2 shown]
	v_and_b32_e32 v162, 0xf0f0f0f, v162
	v_lshlrev_b32_e32 v180, 4, v180
	v_lshlrev_b32_e32 v163, 4, v163
	v_and_b32_e32 v164, 0xf0f0f0f, v164
	v_lshlrev_b32_e32 v182, 4, v182
	v_lshlrev_b32_e32 v165, 4, v165
	v_and_b32_e32 v140, 0xf0f0f0f, v140
	s_waitcnt vmcnt(12)
	v_and_b32_e32 v187, 0xf0f0f0f, v139
	v_lshrrev_b32_e32 v139, 4, v139
	s_waitcnt vmcnt(11)
	v_ashrrev_i32_e32 v188, v42, v141
	v_ashrrev_i32_e32 v141, v45, v141
	s_waitcnt vmcnt(10)
	v_lshrrev_b32_e32 v189, 4, v142
	s_waitcnt vmcnt(9)
	v_ashrrev_i32_e32 v190, v42, v143
	v_ashrrev_i32_e32 v143, v45, v143
	v_lshlrev_b32_e32 v184, 4, v184
	v_lshlrev_b32_e32 v136, 4, v136
	v_and_b32_e32 v137, 0xf0f0f0f, v137
	v_lshlrev_b32_e32 v186, 4, v186
	v_lshlrev_b32_e32 v138, 4, v138
	v_and_b32_e32 v139, 0xf0f0f0f, v139
	v_lshlrev_b32_e32 v188, 4, v188
	v_lshlrev_b32_e32 v141, 4, v141
	v_and_or_b32 v158, 0x10101010, v180, v179
	v_and_or_b32 v159, 0x10101010, v163, v162
	;; [unrolled: 1-line block ×6, first 2 shown]
	ds_store_2addr_b32 v0, v128, v129 offset1:8
	ds_store_2addr_b32 v1, v131, v135 offset1:8
	;; [unrolled: 1-line block ×10, first 2 shown]
	v_and_b32_e32 v128, 0xf0f0f0f, v142
	v_and_b32_e32 v129, 0xf0f0f0f, v189
	v_lshlrev_b32_e32 v131, 4, v190
	v_lshlrev_b32_e32 v135, 4, v143
	v_and_or_b32 v140, 0x10101010, v186, v185
	v_and_or_b32 v137, 0x10101010, v138, v137
	;; [unrolled: 1-line block ×4, first 2 shown]
	ds_store_2addr_b32 v10, v162, v136 offset1:8
	ds_store_2addr_b32 v11, v140, v137 offset1:8
	v_and_or_b32 v128, 0x10101010, v131, v128
	v_and_or_b32 v129, 0x10101010, v135, v129
	s_waitcnt vmcnt(8)
	v_lshrrev_b32_e32 v131, 4, v144
	s_waitcnt vmcnt(7)
	v_ashrrev_i32_e32 v135, v42, v145
	v_ashrrev_i32_e32 v136, v45, v145
	ds_store_2addr_b32 v12, v138, v139 offset1:8
	ds_store_2addr_b32 v13, v128, v129 offset1:8
	v_and_b32_e32 v128, 0xf0f0f0f, v144
	v_and_b32_e32 v129, 0xf0f0f0f, v131
	v_lshlrev_b32_e32 v131, 4, v135
	v_lshlrev_b32_e32 v135, 4, v136
	s_waitcnt vmcnt(5)
	v_ashrrev_i32_e32 v136, v42, v133
	v_lshrrev_b32_e32 v137, 4, v132
	v_ashrrev_i32_e32 v133, v45, v133
	v_and_or_b32 v128, 0x10101010, v131, v128
	v_and_b32_e32 v131, 0xf0f0f0f, v132
	v_lshlrev_b32_e32 v132, 4, v136
	v_and_b32_e32 v136, 0xf0f0f0f, v137
	v_lshlrev_b32_e32 v133, 4, v133
	s_waitcnt vmcnt(4)
	v_ashrrev_i32_e32 v137, v79, v168
	v_and_or_b32 v129, 0x10101010, v135, v129
	v_and_or_b32 v131, 0x10101010, v132, v131
	s_waitcnt vmcnt(3)
	v_ashrrev_i32_e32 v132, v79, v134
	v_and_or_b32 v133, 0x10101010, v133, v136
	v_and_b32_e32 v134, 0xf0f0f0f, v137
	ds_store_2addr_b32 v14, v128, v129 offset1:8
	s_waitcnt vmcnt(2)
	v_ashrrev_i32_e32 v130, v80, v130
	v_and_b32_e32 v128, 0xf0f0f0f, v132
	s_waitcnt vmcnt(1)
	v_ashrrev_i32_e32 v126, v80, v126
	ds_store_2addr_b32 v15, v131, v133 offset1:8
	s_waitcnt vmcnt(0)
	ds_store_b32 v78, v127
	v_and_or_b32 v129, 0x30303030, v130, v134
	v_and_or_b32 v127, 0x30303030, v126, v128
	v_add_nc_u32_e32 v126, s0, v18
	ds_store_b32 v123, v129
	ds_store_b32 v124, v127
.LBB154_6:                              ;   Parent Loop BB154_5 Depth=1
                                        ; =>  This Loop Header: Depth=2
                                        ;       Child Loop BB154_7 Depth 3
	v_lshl_add_u32 v127, s14, 5, v30
	v_lshl_add_u32 v145, s14, 2, v126
	s_lshl_b32 s14, s14, 4
	s_xor_b32 s1, s1, -1
	s_add_i32 s15, s14, 16
	v_lshrrev_b32_e32 v127, 3, v127
	s_delay_alu instid0(VALU_DEP_1) | instskip(NEXT) | instid1(VALU_DEP_1)
	v_add_nc_u32_e32 v139, s0, v127
	v_add_nc_u32_e32 v129, v139, v86
	;; [unrolled: 1-line block ×7, first 2 shown]
	v_mad_i64_i32 v[127:128], null, v129, 36, v[16:17]
	v_add_nc_u32_e32 v141, v139, v102
	v_mad_i64_i32 v[129:130], null, v131, 36, v[16:17]
	v_mad_i64_i32 v[131:132], null, v133, 36, v[16:17]
	v_add_nc_u32_e32 v143, v139, v105
	v_mad_i64_i32 v[133:134], null, v135, 36, v[16:17]
	v_mad_i64_i32 v[135:136], null, v137, 36, v[16:17]
	;; [unrolled: 1-line block ×5, first 2 shown]
	v_mad_u64_u32 v[143:144], null, v145, 36, s[2:3]
	s_clause 0x8
	global_load_b32 v127, v[127:128], off offset:4
	global_load_b32 v128, v[129:130], off offset:4
	;; [unrolled: 1-line block ×8, first 2 shown]
	global_load_b32 v135, v[143:144], off
	s_waitcnt vmcnt(8)
	ds_store_b32 v87, v127
	s_waitcnt vmcnt(7)
	ds_store_b32 v90, v128
	;; [unrolled: 2-line block ×9, first 2 shown]
	s_waitcnt lgkmcnt(0)
	s_barrier
	buffer_gl0_inv
	ds_load_b32 v128, v110
	ds_load_b32 v129, v111 offset:128
	ds_load_b32 v130, v112 offset:256
	;; [unrolled: 1-line block ×3, first 2 shown]
	s_waitcnt lgkmcnt(3)
	v_lshrrev_b32_e32 v132, 16, v128
	s_waitcnt lgkmcnt(2)
	v_lshrrev_b32_e32 v133, 16, v129
	s_waitcnt lgkmcnt(1)
	v_lshrrev_b32_e32 v134, 16, v130
	s_waitcnt lgkmcnt(0)
	v_lshrrev_b32_e32 v135, 16, v131
	v_cvt_f32_f16_e64 v127, v128
	v_cvt_f32_f16_e64 v128, v129
	v_cvt_f32_f16_e64 v129, v130
	v_cvt_f32_f16_e64 v130, v131
	v_cvt_f32_f16_e64 v131, v132
	v_cvt_f32_f16_e64 v132, v133
	v_cvt_f32_f16_e64 v133, v134
	v_cvt_f32_f16_e64 v134, v135
.LBB154_7:                              ;   Parent Loop BB154_5 Depth=1
                                        ;     Parent Loop BB154_6 Depth=2
                                        ; =>    This Inner Loop Header: Depth=3
	s_lshl_b32 s17, s14, 1
	s_lshl_b32 s16, s14, 3
	s_and_b32 s17, s17, 16
	v_add_nc_u32_e32 v143, s16, v114
	v_or_b32_e32 v142, s17, v68
	v_add_nc_u32_e32 v145, s16, v116
	v_add_nc_u32_e32 v146, s16, v118
	;; [unrolled: 1-line block ×3, first 2 shown]
	s_lshr_b32 s16, s14, 2
	v_lshlrev_b32_e32 v144, 2, v142
	s_and_b32 s16, s16, 0x3ffffffe
	v_lshrrev_b32_e32 v142, 1, v142
	s_add_i32 s16, s16, 0xa200
	ds_load_2addr_b32 v[183:184], v143 offset1:1
	ds_load_b128 v[135:138], v144 offset:33280
	ds_load_2addr_b32 v[185:186], v145 offset1:1
	ds_load_2addr_b32 v[193:194], v145 offset0:2 offset1:3
	ds_load_2addr_b32 v[187:188], v146 offset1:1
	ds_load_2addr_b32 v[189:190], v147 offset1:1
	ds_load_2addr_b32 v[197:198], v147 offset0:2 offset1:3
	ds_load_2addr_b32 v[191:192], v143 offset0:2 offset1:3
	;; [unrolled: 1-line block ×3, first 2 shown]
	s_add_i32 s14, s14, 8
	s_delay_alu instid0(SALU_CYCLE_1)
	s_cmp_lt_u32 s14, s15
	s_waitcnt lgkmcnt(7)
	v_dot4_i32_iu8 v139, v183, v135, 0 neg_lo:[1,1,0]
	s_waitcnt lgkmcnt(6)
	v_dot4_i32_iu8 v140, v185, v135, 0 neg_lo:[1,1,0]
	;; [unrolled: 2-line block ×4, first 2 shown]
	v_dot4_i32_iu8 v139, v184, v136, v139 neg_lo:[1,1,0]
	v_dot4_i32_iu8 v140, v186, v136, v140 neg_lo:[1,1,0]
	;; [unrolled: 1-line block ×3, first 2 shown]
	s_delay_alu instid0(VALU_DEP_4)
	v_dot4_i32_iu8 v135, v190, v136, v135 neg_lo:[1,1,0]
	s_waitcnt lgkmcnt(1)
	v_dot4_i32_iu8 v136, v191, v137, v139 neg_lo:[1,1,0]
	v_dot4_i32_iu8 v139, v193, v137, v140 neg_lo:[1,1,0]
	s_waitcnt lgkmcnt(0)
	v_dot4_i32_iu8 v140, v195, v137, v141 neg_lo:[1,1,0]
	v_or_b32_e32 v141, s17, v83
	v_dot4_i32_iu8 v135, v197, v137, v135 neg_lo:[1,1,0]
	v_dot4_i32_iu8 v230, v192, v138, v136 neg_lo:[1,1,0]
	;; [unrolled: 1-line block ×4, first 2 shown]
	v_lshlrev_b32_e32 v148, 2, v141
	v_dot4_i32_iu8 v236, v198, v138, v135 neg_lo:[1,1,0]
	v_lshrrev_b32_e32 v141, 1, v141
	ds_load_b128 v[135:138], v148 offset:33280
	s_waitcnt lgkmcnt(0)
	v_dot4_i32_iu8 v139, v135, v183, 0 neg_lo:[1,1,0]
	v_dot4_i32_iu8 v140, v135, v185, 0 neg_lo:[1,1,0]
	;; [unrolled: 1-line block ×4, first 2 shown]
	s_delay_alu instid0(VALU_DEP_4) | instskip(NEXT) | instid1(VALU_DEP_4)
	v_dot4_i32_iu8 v139, v136, v184, v139 neg_lo:[1,1,0]
	v_dot4_i32_iu8 v140, v136, v186, v140 neg_lo:[1,1,0]
	s_delay_alu instid0(VALU_DEP_4) | instskip(NEXT) | instid1(VALU_DEP_4)
	v_dot4_i32_iu8 v149, v136, v188, v149 neg_lo:[1,1,0]
	v_dot4_i32_iu8 v135, v136, v190, v135 neg_lo:[1,1,0]
	;; [unrolled: 3-line block ×5, first 2 shown]
	s_delay_alu instid0(VALU_DEP_4) | instskip(SKIP_2) | instid1(VALU_DEP_2)
	v_dot4_i32_iu8 v246, v138, v196, v140 neg_lo:[1,1,0]
	v_or_b32_e32 v140, s17, v85
	v_dot4_i32_iu8 v247, v138, v198, v135 neg_lo:[1,1,0]
	v_lshlrev_b32_e32 v149, 2, v140
	v_lshrrev_b32_e32 v140, 1, v140
	ds_load_b128 v[135:138], v149 offset:33280
	s_waitcnt lgkmcnt(0)
	v_dot4_i32_iu8 v139, v135, v183, 0 neg_lo:[1,1,0]
	v_dot4_i32_iu8 v150, v135, v185, 0 neg_lo:[1,1,0]
	;; [unrolled: 1-line block ×4, first 2 shown]
	s_delay_alu instid0(VALU_DEP_4) | instskip(NEXT) | instid1(VALU_DEP_4)
	v_dot4_i32_iu8 v139, v136, v184, v139 neg_lo:[1,1,0]
	v_dot4_i32_iu8 v150, v136, v186, v150 neg_lo:[1,1,0]
	s_delay_alu instid0(VALU_DEP_4) | instskip(NEXT) | instid1(VALU_DEP_4)
	v_dot4_i32_iu8 v151, v136, v188, v151 neg_lo:[1,1,0]
	v_dot4_i32_iu8 v135, v136, v190, v135 neg_lo:[1,1,0]
	s_delay_alu instid0(VALU_DEP_4) | instskip(NEXT) | instid1(VALU_DEP_4)
	v_dot4_i32_iu8 v136, v137, v191, v139 neg_lo:[1,1,0]
	v_dot4_i32_iu8 v139, v137, v193, v150 neg_lo:[1,1,0]
	s_delay_alu instid0(VALU_DEP_4) | instskip(NEXT) | instid1(VALU_DEP_4)
	v_dot4_i32_iu8 v150, v137, v195, v151 neg_lo:[1,1,0]
	v_dot4_i32_iu8 v135, v137, v197, v135 neg_lo:[1,1,0]
	s_delay_alu instid0(VALU_DEP_4) | instskip(NEXT) | instid1(VALU_DEP_4)
	v_dot4_i32_iu8 v158, v138, v192, v136 neg_lo:[1,1,0]
	v_dot4_i32_iu8 v159, v138, v194, v139 neg_lo:[1,1,0]
	v_or_b32_e32 v139, s17, v89
	v_dot4_i32_iu8 v160, v138, v196, v150 neg_lo:[1,1,0]
	v_dot4_i32_iu8 v161, v138, v198, v135 neg_lo:[1,1,0]
	s_delay_alu instid0(VALU_DEP_3)
	v_lshlrev_b32_e32 v150, 2, v139
	v_lshrrev_b32_e32 v139, 1, v139
	ds_load_b128 v[135:138], v150 offset:33280
	s_waitcnt lgkmcnt(0)
	v_dot4_i32_iu8 v151, v135, v183, 0 neg_lo:[1,1,0]
	v_dot4_i32_iu8 v152, v135, v185, 0 neg_lo:[1,1,0]
	;; [unrolled: 1-line block ×4, first 2 shown]
	s_delay_alu instid0(VALU_DEP_4) | instskip(NEXT) | instid1(VALU_DEP_4)
	v_dot4_i32_iu8 v151, v136, v184, v151 neg_lo:[1,1,0]
	v_dot4_i32_iu8 v152, v136, v186, v152 neg_lo:[1,1,0]
	s_delay_alu instid0(VALU_DEP_4) | instskip(NEXT) | instid1(VALU_DEP_4)
	v_dot4_i32_iu8 v153, v136, v188, v153 neg_lo:[1,1,0]
	v_dot4_i32_iu8 v135, v136, v190, v135 neg_lo:[1,1,0]
	;; [unrolled: 3-line block ×6, first 2 shown]
	v_or_b32_e32 v138, s17, v92
	s_delay_alu instid0(VALU_DEP_1)
	v_lshlrev_b32_e32 v151, 2, v138
	v_lshrrev_b32_e32 v138, 1, v138
	ds_load_b128 v[152:155], v151 offset:33280
	s_waitcnt lgkmcnt(0)
	v_dot4_i32_iu8 v137, v152, v187, 0 neg_lo:[1,1,0]
	v_dot4_i32_iu8 v135, v152, v183, 0 neg_lo:[1,1,0]
	v_dot4_i32_iu8 v136, v152, v185, 0 neg_lo:[1,1,0]
	v_dot4_i32_iu8 v152, v152, v189, 0 neg_lo:[1,1,0]
	s_delay_alu instid0(VALU_DEP_4) | instskip(NEXT) | instid1(VALU_DEP_4)
	v_dot4_i32_iu8 v137, v153, v188, v137 neg_lo:[1,1,0]
	v_dot4_i32_iu8 v135, v153, v184, v135 neg_lo:[1,1,0]
	s_delay_alu instid0(VALU_DEP_4) | instskip(NEXT) | instid1(VALU_DEP_4)
	v_dot4_i32_iu8 v136, v153, v186, v136 neg_lo:[1,1,0]
	v_dot4_i32_iu8 v152, v153, v190, v152 neg_lo:[1,1,0]
	s_delay_alu instid0(VALU_DEP_4) | instskip(NEXT) | instid1(VALU_DEP_4)
	v_dot4_i32_iu8 v137, v154, v195, v137 neg_lo:[1,1,0]
	v_dot4_i32_iu8 v135, v154, v191, v135 neg_lo:[1,1,0]
	s_delay_alu instid0(VALU_DEP_4) | instskip(NEXT) | instid1(VALU_DEP_4)
	v_dot4_i32_iu8 v136, v154, v193, v136 neg_lo:[1,1,0]
	v_dot4_i32_iu8 v152, v154, v197, v152 neg_lo:[1,1,0]
	s_delay_alu instid0(VALU_DEP_4) | instskip(SKIP_2) | instid1(VALU_DEP_4)
	v_dot4_i32_iu8 v168, v155, v196, v137 neg_lo:[1,1,0]
	v_or_b32_e32 v137, s17, v94
	v_dot4_i32_iu8 v166, v155, v192, v135 neg_lo:[1,1,0]
	v_dot4_i32_iu8 v169, v155, v198, v152 neg_lo:[1,1,0]
	v_dot4_i32_iu8 v167, v155, v194, v136 neg_lo:[1,1,0]
	s_delay_alu instid0(VALU_DEP_4)
	v_lshlrev_b32_e32 v152, 2, v137
	v_lshrrev_b32_e32 v137, 1, v137
	ds_load_b128 v[153:156], v152 offset:33280
	s_waitcnt lgkmcnt(0)
	v_dot4_i32_iu8 v136, v153, v185, 0 neg_lo:[1,1,0]
	v_dot4_i32_iu8 v135, v153, v183, 0 neg_lo:[1,1,0]
	v_dot4_i32_iu8 v157, v153, v187, 0 neg_lo:[1,1,0]
	v_dot4_i32_iu8 v153, v153, v189, 0 neg_lo:[1,1,0]
	s_delay_alu instid0(VALU_DEP_4) | instskip(NEXT) | instid1(VALU_DEP_4)
	v_dot4_i32_iu8 v136, v154, v186, v136 neg_lo:[1,1,0]
	v_dot4_i32_iu8 v135, v154, v184, v135 neg_lo:[1,1,0]
	s_delay_alu instid0(VALU_DEP_4) | instskip(NEXT) | instid1(VALU_DEP_4)
	v_dot4_i32_iu8 v157, v154, v188, v157 neg_lo:[1,1,0]
	v_dot4_i32_iu8 v153, v154, v190, v153 neg_lo:[1,1,0]
	s_delay_alu instid0(VALU_DEP_4) | instskip(NEXT) | instid1(VALU_DEP_4)
	v_dot4_i32_iu8 v136, v155, v193, v136 neg_lo:[1,1,0]
	v_dot4_i32_iu8 v135, v155, v191, v135 neg_lo:[1,1,0]
	s_delay_alu instid0(VALU_DEP_4) | instskip(NEXT) | instid1(VALU_DEP_4)
	v_dot4_i32_iu8 v154, v155, v195, v157 neg_lo:[1,1,0]
	v_dot4_i32_iu8 v153, v155, v197, v153 neg_lo:[1,1,0]
	s_delay_alu instid0(VALU_DEP_4) | instskip(SKIP_2) | instid1(VALU_DEP_4)
	v_dot4_i32_iu8 v171, v156, v194, v136 neg_lo:[1,1,0]
	v_or_b32_e32 v136, s17, v96
	v_dot4_i32_iu8 v170, v156, v192, v135 neg_lo:[1,1,0]
	v_dot4_i32_iu8 v173, v156, v198, v153 neg_lo:[1,1,0]
	v_dot4_i32_iu8 v172, v156, v196, v154 neg_lo:[1,1,0]
	s_delay_alu instid0(VALU_DEP_4)
	;; [unrolled: 27-line block ×3, first 2 shown]
	v_lshlrev_b32_e32 v154, 2, v135
	v_lshrrev_b32_e32 v135, 1, v135
	ds_load_b128 v[179:182], v154 offset:33280
	s_waitcnt lgkmcnt(0)
	v_dot4_i32_iu8 v155, v179, v183, 0 neg_lo:[1,1,0]
	v_dot4_i32_iu8 v156, v179, v185, 0 neg_lo:[1,1,0]
	;; [unrolled: 1-line block ×4, first 2 shown]
	s_delay_alu instid0(VALU_DEP_4) | instskip(NEXT) | instid1(VALU_DEP_4)
	v_dot4_i32_iu8 v155, v180, v184, v155 neg_lo:[1,1,0]
	v_dot4_i32_iu8 v156, v180, v186, v156 neg_lo:[1,1,0]
	s_delay_alu instid0(VALU_DEP_4) | instskip(NEXT) | instid1(VALU_DEP_4)
	v_dot4_i32_iu8 v157, v180, v188, v157 neg_lo:[1,1,0]
	v_dot4_i32_iu8 v183, v180, v190, v178 neg_lo:[1,1,0]
	s_delay_alu instid0(VALU_DEP_4) | instskip(NEXT) | instid1(VALU_DEP_1)
	v_dot4_i32_iu8 v155, v181, v191, v155 neg_lo:[1,1,0]
	v_dot4_i32_iu8 v178, v182, v192, v155 neg_lo:[1,1,0]
	;; [unrolled: 1-line block ×3, first 2 shown]
	s_delay_alu instid0(VALU_DEP_1) | instskip(SKIP_1) | instid1(VALU_DEP_1)
	v_dot4_i32_iu8 v179, v182, v194, v155 neg_lo:[1,1,0]
	v_dot4_i32_iu8 v155, v181, v195, v157 neg_lo:[1,1,0]
	;; [unrolled: 1-line block ×4, first 2 shown]
	s_delay_alu instid0(VALU_DEP_1)
	v_dot4_i32_iu8 v181, v182, v198, v155 neg_lo:[1,1,0]
	ds_load_2addr_b32 v[155:156], v143 offset0:8 offset1:9
	ds_load_b128 v[182:185], v144 offset:33312
	ds_load_2addr_b32 v[215:216], v145 offset0:8 offset1:9
	ds_load_2addr_b32 v[223:224], v145 offset0:10 offset1:11
	;; [unrolled: 1-line block ×7, first 2 shown]
	s_waitcnt lgkmcnt(7)
	v_dot4_i32_iu8 v157, v155, v182, 0 neg_lo:[1,1,0]
	s_waitcnt lgkmcnt(6)
	v_dot4_i32_iu8 v186, v215, v182, 0 neg_lo:[1,1,0]
	;; [unrolled: 2-line block ×4, first 2 shown]
	v_dot4_i32_iu8 v157, v156, v183, v157 neg_lo:[1,1,0]
	v_dot4_i32_iu8 v186, v216, v183, v186 neg_lo:[1,1,0]
	;; [unrolled: 1-line block ×3, first 2 shown]
	s_delay_alu instid0(VALU_DEP_4)
	v_dot4_i32_iu8 v182, v220, v183, v182 neg_lo:[1,1,0]
	s_waitcnt lgkmcnt(1)
	v_dot4_i32_iu8 v157, v221, v184, v157 neg_lo:[1,1,0]
	v_dot4_i32_iu8 v183, v223, v184, v186 neg_lo:[1,1,0]
	s_waitcnt lgkmcnt(0)
	v_dot4_i32_iu8 v186, v225, v184, v187 neg_lo:[1,1,0]
	v_dot4_i32_iu8 v182, v227, v184, v182 neg_lo:[1,1,0]
	;; [unrolled: 1-line block ×4, first 2 shown]
	s_delay_alu instid0(VALU_DEP_4) | instskip(NEXT) | instid1(VALU_DEP_4)
	v_dot4_i32_iu8 v187, v226, v185, v186 neg_lo:[1,1,0]
	v_dot4_i32_iu8 v182, v228, v185, v182 neg_lo:[1,1,0]
	ds_load_b128 v[183:186], v148 offset:33312
	s_waitcnt lgkmcnt(0)
	v_dot4_i32_iu8 v157, v183, v155, 0 neg_lo:[1,1,0]
	v_dot4_i32_iu8 v190, v183, v215, 0 neg_lo:[1,1,0]
	v_dot4_i32_iu8 v191, v183, v217, 0 neg_lo:[1,1,0]
	v_dot4_i32_iu8 v183, v183, v219, 0 neg_lo:[1,1,0]
	s_delay_alu instid0(VALU_DEP_4) | instskip(NEXT) | instid1(VALU_DEP_4)
	v_dot4_i32_iu8 v157, v184, v156, v157 neg_lo:[1,1,0]
	v_dot4_i32_iu8 v190, v184, v216, v190 neg_lo:[1,1,0]
	s_delay_alu instid0(VALU_DEP_4) | instskip(NEXT) | instid1(VALU_DEP_4)
	v_dot4_i32_iu8 v191, v184, v218, v191 neg_lo:[1,1,0]
	v_dot4_i32_iu8 v183, v184, v220, v183 neg_lo:[1,1,0]
	s_delay_alu instid0(VALU_DEP_4) | instskip(NEXT) | instid1(VALU_DEP_4)
	v_dot4_i32_iu8 v157, v185, v221, v157 neg_lo:[1,1,0]
	v_dot4_i32_iu8 v184, v185, v223, v190 neg_lo:[1,1,0]
	s_delay_alu instid0(VALU_DEP_4) | instskip(NEXT) | instid1(VALU_DEP_4)
	v_dot4_i32_iu8 v190, v185, v225, v191 neg_lo:[1,1,0]
	v_dot4_i32_iu8 v191, v185, v227, v183 neg_lo:[1,1,0]
	s_delay_alu instid0(VALU_DEP_4) | instskip(NEXT) | instid1(VALU_DEP_4)
	v_dot4_i32_iu8 v183, v186, v222, v157 neg_lo:[1,1,0]
	v_dot4_i32_iu8 v184, v186, v224, v184 neg_lo:[1,1,0]
	s_delay_alu instid0(VALU_DEP_4) | instskip(NEXT) | instid1(VALU_DEP_4)
	v_dot4_i32_iu8 v185, v186, v226, v190 neg_lo:[1,1,0]
	v_dot4_i32_iu8 v186, v186, v228, v191 neg_lo:[1,1,0]
	ds_load_b128 v[190:193], v149 offset:33312
	s_waitcnt lgkmcnt(0)
	v_dot4_i32_iu8 v157, v190, v155, 0 neg_lo:[1,1,0]
	v_dot4_i32_iu8 v194, v190, v215, 0 neg_lo:[1,1,0]
	v_dot4_i32_iu8 v195, v190, v217, 0 neg_lo:[1,1,0]
	v_dot4_i32_iu8 v190, v190, v219, 0 neg_lo:[1,1,0]
	s_delay_alu instid0(VALU_DEP_4) | instskip(NEXT) | instid1(VALU_DEP_4)
	v_dot4_i32_iu8 v157, v191, v156, v157 neg_lo:[1,1,0]
	v_dot4_i32_iu8 v194, v191, v216, v194 neg_lo:[1,1,0]
	s_delay_alu instid0(VALU_DEP_4) | instskip(NEXT) | instid1(VALU_DEP_4)
	v_dot4_i32_iu8 v195, v191, v218, v195 neg_lo:[1,1,0]
	v_dot4_i32_iu8 v190, v191, v220, v190 neg_lo:[1,1,0]
	s_delay_alu instid0(VALU_DEP_4) | instskip(NEXT) | instid1(VALU_DEP_4)
	v_dot4_i32_iu8 v157, v192, v221, v157 neg_lo:[1,1,0]
	v_dot4_i32_iu8 v191, v192, v223, v194 neg_lo:[1,1,0]
	s_delay_alu instid0(VALU_DEP_4) | instskip(NEXT) | instid1(VALU_DEP_4)
	v_dot4_i32_iu8 v194, v192, v225, v195 neg_lo:[1,1,0]
	v_dot4_i32_iu8 v195, v192, v227, v190 neg_lo:[1,1,0]
	s_delay_alu instid0(VALU_DEP_4) | instskip(NEXT) | instid1(VALU_DEP_4)
	v_dot4_i32_iu8 v190, v193, v222, v157 neg_lo:[1,1,0]
	v_dot4_i32_iu8 v191, v193, v224, v191 neg_lo:[1,1,0]
	;; [unrolled: 24-line block ×6, first 2 shown]
	s_delay_alu instid0(VALU_DEP_4) | instskip(NEXT) | instid1(VALU_DEP_4)
	v_dot4_i32_iu8 v208, v209, v226, v210 neg_lo:[1,1,0]
	v_dot4_i32_iu8 v209, v209, v228, v211 neg_lo:[1,1,0]
	ds_load_b128 v[211:214], v154 offset:33312
	s_waitcnt lgkmcnt(0)
	v_dot4_i32_iu8 v155, v211, v155, 0 neg_lo:[1,1,0]
	v_dot4_i32_iu8 v157, v211, v217, 0 neg_lo:[1,1,0]
	;; [unrolled: 1-line block ×3, first 2 shown]
	s_delay_alu instid0(VALU_DEP_3) | instskip(SKIP_1) | instid1(VALU_DEP_4)
	v_dot4_i32_iu8 v155, v212, v156, v155 neg_lo:[1,1,0]
	v_dot4_i32_iu8 v156, v211, v215, 0 neg_lo:[1,1,0]
	;; [unrolled: 1-line block ×3, first 2 shown]
	s_delay_alu instid0(VALU_DEP_4) | instskip(NEXT) | instid1(VALU_DEP_4)
	v_dot4_i32_iu8 v215, v212, v220, v210 neg_lo:[1,1,0]
	v_dot4_i32_iu8 v155, v213, v221, v155 neg_lo:[1,1,0]
	s_delay_alu instid0(VALU_DEP_4) | instskip(NEXT) | instid1(VALU_DEP_2)
	v_dot4_i32_iu8 v156, v212, v216, v156 neg_lo:[1,1,0]
	v_dot4_i32_iu8 v210, v214, v222, v155 neg_lo:[1,1,0]
	s_delay_alu instid0(VALU_DEP_2) | instskip(NEXT) | instid1(VALU_DEP_1)
	v_dot4_i32_iu8 v155, v213, v223, v156 neg_lo:[1,1,0]
	v_dot4_i32_iu8 v211, v214, v224, v155 neg_lo:[1,1,0]
	;; [unrolled: 1-line block ×3, first 2 shown]
	s_delay_alu instid0(VALU_DEP_1) | instskip(SKIP_1) | instid1(VALU_DEP_1)
	v_dot4_i32_iu8 v212, v214, v226, v155 neg_lo:[1,1,0]
	v_dot4_i32_iu8 v155, v213, v227, v215 neg_lo:[1,1,0]
	;; [unrolled: 1-line block ×3, first 2 shown]
	ds_load_2addr_b32 v[228:229], v143 offset0:4 offset1:5
	ds_load_b128 v[214:217], v144 offset:33296
	ds_load_2addr_b32 v[240:241], v146 offset0:6 offset1:7
	ds_load_2addr_b32 v[238:239], v145 offset0:6 offset1:7
	;; [unrolled: 1-line block ×3, first 2 shown]
	s_waitcnt lgkmcnt(3)
	v_dot4_i32_iu8 v155, v228, v214, v230 neg_lo:[1,1,0]
	ds_load_2addr_b32 v[230:231], v145 offset0:4 offset1:5
	v_dot4_i32_iu8 v155, v229, v215, v155 neg_lo:[1,1,0]
	s_waitcnt lgkmcnt(0)
	v_dot4_i32_iu8 v156, v230, v214, v232 neg_lo:[1,1,0]
	ds_load_2addr_b32 v[232:233], v146 offset0:4 offset1:5
	v_dot4_i32_iu8 v156, v231, v215, v156 neg_lo:[1,1,0]
	s_delay_alu instid0(VALU_DEP_1)
	v_dot4_i32_iu8 v156, v238, v216, v156 neg_lo:[1,1,0]
	s_waitcnt lgkmcnt(0)
	v_dot4_i32_iu8 v157, v232, v214, v234 neg_lo:[1,1,0]
	ds_load_2addr_b32 v[234:235], v147 offset0:4 offset1:5
	v_dot4_i32_iu8 v157, v233, v215, v157 neg_lo:[1,1,0]
	s_waitcnt lgkmcnt(0)
	v_dot4_i32_iu8 v214, v234, v214, v236 neg_lo:[1,1,0]
	ds_load_2addr_b32 v[236:237], v143 offset0:6 offset1:7
	v_dot4_i32_iu8 v214, v235, v215, v214 neg_lo:[1,1,0]
	v_dot4_i32_iu8 v215, v240, v216, v157 neg_lo:[1,1,0]
	;; [unrolled: 1-line block ×3, first 2 shown]
	s_delay_alu instid0(VALU_DEP_2) | instskip(SKIP_3) | instid1(VALU_DEP_2)
	v_dot4_i32_iu8 v156, v241, v217, v215 neg_lo:[1,1,0]
	s_waitcnt lgkmcnt(0)
	v_dot4_i32_iu8 v155, v236, v216, v155 neg_lo:[1,1,0]
	v_dot4_i32_iu8 v216, v242, v216, v214 neg_lo:[1,1,0]
	;; [unrolled: 1-line block ×3, first 2 shown]
	s_delay_alu instid0(VALU_DEP_2)
	v_dot4_i32_iu8 v155, v243, v217, v216 neg_lo:[1,1,0]
	ds_load_b128 v[215:218], v148 offset:33296
	s_waitcnt lgkmcnt(0)
	v_dot4_i32_iu8 v219, v215, v228, v244 neg_lo:[1,1,0]
	v_dot4_i32_iu8 v220, v215, v230, v245 neg_lo:[1,1,0]
	v_dot4_i32_iu8 v221, v215, v232, v246 neg_lo:[1,1,0]
	v_dot4_i32_iu8 v215, v215, v234, v247 neg_lo:[1,1,0]
	s_delay_alu instid0(VALU_DEP_4) | instskip(NEXT) | instid1(VALU_DEP_4)
	v_dot4_i32_iu8 v219, v216, v229, v219 neg_lo:[1,1,0]
	v_dot4_i32_iu8 v220, v216, v231, v220 neg_lo:[1,1,0]
	s_delay_alu instid0(VALU_DEP_4) | instskip(NEXT) | instid1(VALU_DEP_4)
	v_dot4_i32_iu8 v221, v216, v233, v221 neg_lo:[1,1,0]
	v_dot4_i32_iu8 v215, v216, v235, v215 neg_lo:[1,1,0]
	s_delay_alu instid0(VALU_DEP_4) | instskip(NEXT) | instid1(VALU_DEP_4)
	v_dot4_i32_iu8 v216, v217, v236, v219 neg_lo:[1,1,0]
	v_dot4_i32_iu8 v219, v217, v238, v220 neg_lo:[1,1,0]
	s_delay_alu instid0(VALU_DEP_4) | instskip(NEXT) | instid1(VALU_DEP_4)
	v_dot4_i32_iu8 v220, v217, v240, v221 neg_lo:[1,1,0]
	v_dot4_i32_iu8 v215, v217, v242, v215 neg_lo:[1,1,0]
	s_delay_alu instid0(VALU_DEP_4) | instskip(NEXT) | instid1(VALU_DEP_4)
	v_dot4_i32_iu8 v244, v218, v237, v216 neg_lo:[1,1,0]
	v_dot4_i32_iu8 v245, v218, v239, v219 neg_lo:[1,1,0]
	s_delay_alu instid0(VALU_DEP_4) | instskip(NEXT) | instid1(VALU_DEP_4)
	v_dot4_i32_iu8 v227, v218, v241, v220 neg_lo:[1,1,0]
	v_dot4_i32_iu8 v225, v218, v243, v215 neg_lo:[1,1,0]
	ds_load_b128 v[215:218], v149 offset:33296
	s_waitcnt lgkmcnt(0)
	v_dot4_i32_iu8 v158, v215, v228, v158 neg_lo:[1,1,0]
	v_dot4_i32_iu8 v159, v215, v230, v159 neg_lo:[1,1,0]
	v_dot4_i32_iu8 v160, v215, v232, v160 neg_lo:[1,1,0]
	v_dot4_i32_iu8 v161, v215, v234, v161 neg_lo:[1,1,0]
	s_delay_alu instid0(VALU_DEP_4) | instskip(NEXT) | instid1(VALU_DEP_4)
	v_dot4_i32_iu8 v158, v216, v229, v158 neg_lo:[1,1,0]
	v_dot4_i32_iu8 v159, v216, v231, v159 neg_lo:[1,1,0]
	s_delay_alu instid0(VALU_DEP_4) | instskip(NEXT) | instid1(VALU_DEP_4)
	v_dot4_i32_iu8 v160, v216, v233, v160 neg_lo:[1,1,0]
	v_dot4_i32_iu8 v161, v216, v235, v161 neg_lo:[1,1,0]
	s_delay_alu instid0(VALU_DEP_4) | instskip(NEXT) | instid1(VALU_DEP_4)
	v_dot4_i32_iu8 v158, v217, v236, v158 neg_lo:[1,1,0]
	v_dot4_i32_iu8 v159, v217, v238, v159 neg_lo:[1,1,0]
	s_delay_alu instid0(VALU_DEP_4) | instskip(NEXT) | instid1(VALU_DEP_4)
	v_dot4_i32_iu8 v160, v217, v240, v160 neg_lo:[1,1,0]
	v_dot4_i32_iu8 v161, v217, v242, v161 neg_lo:[1,1,0]
	s_delay_alu instid0(VALU_DEP_4) | instskip(NEXT) | instid1(VALU_DEP_4)
	v_dot4_i32_iu8 v226, v218, v237, v158 neg_lo:[1,1,0]
	v_dot4_i32_iu8 v224, v218, v239, v159 neg_lo:[1,1,0]
	s_delay_alu instid0(VALU_DEP_4) | instskip(NEXT) | instid1(VALU_DEP_4)
	v_dot4_i32_iu8 v223, v218, v241, v160 neg_lo:[1,1,0]
	v_dot4_i32_iu8 v221, v218, v243, v161 neg_lo:[1,1,0]
	ds_load_b128 v[158:161], v150 offset:33296
	s_waitcnt lgkmcnt(0)
	v_dot4_i32_iu8 v162, v158, v228, v162 neg_lo:[1,1,0]
	v_dot4_i32_iu8 v163, v158, v230, v163 neg_lo:[1,1,0]
	v_dot4_i32_iu8 v164, v158, v232, v164 neg_lo:[1,1,0]
	v_dot4_i32_iu8 v158, v158, v234, v165 neg_lo:[1,1,0]
	s_delay_alu instid0(VALU_DEP_4) | instskip(NEXT) | instid1(VALU_DEP_4)
	v_dot4_i32_iu8 v162, v159, v229, v162 neg_lo:[1,1,0]
	v_dot4_i32_iu8 v163, v159, v231, v163 neg_lo:[1,1,0]
	s_delay_alu instid0(VALU_DEP_4) | instskip(NEXT) | instid1(VALU_DEP_4)
	v_dot4_i32_iu8 v164, v159, v233, v164 neg_lo:[1,1,0]
	v_dot4_i32_iu8 v158, v159, v235, v158 neg_lo:[1,1,0]
	s_delay_alu instid0(VALU_DEP_4) | instskip(NEXT) | instid1(VALU_DEP_4)
	v_dot4_i32_iu8 v159, v160, v236, v162 neg_lo:[1,1,0]
	v_dot4_i32_iu8 v162, v160, v238, v163 neg_lo:[1,1,0]
	s_delay_alu instid0(VALU_DEP_4) | instskip(NEXT) | instid1(VALU_DEP_4)
	v_dot4_i32_iu8 v163, v160, v240, v164 neg_lo:[1,1,0]
	v_dot4_i32_iu8 v158, v160, v242, v158 neg_lo:[1,1,0]
	s_delay_alu instid0(VALU_DEP_4) | instskip(NEXT) | instid1(VALU_DEP_4)
	v_dot4_i32_iu8 v222, v161, v237, v159 neg_lo:[1,1,0]
	v_dot4_i32_iu8 v220, v161, v239, v162 neg_lo:[1,1,0]
	s_delay_alu instid0(VALU_DEP_4) | instskip(NEXT) | instid1(VALU_DEP_4)
	v_dot4_i32_iu8 v219, v161, v241, v163 neg_lo:[1,1,0]
	v_dot4_i32_iu8 v217, v161, v243, v158 neg_lo:[1,1,0]
	ds_load_b128 v[158:161], v151 offset:33296
	s_waitcnt lgkmcnt(0)
	v_dot4_i32_iu8 v162, v158, v228, v166 neg_lo:[1,1,0]
	v_dot4_i32_iu8 v163, v158, v230, v167 neg_lo:[1,1,0]
	v_dot4_i32_iu8 v164, v158, v232, v168 neg_lo:[1,1,0]
	v_dot4_i32_iu8 v158, v158, v234, v169 neg_lo:[1,1,0]
	s_delay_alu instid0(VALU_DEP_4) | instskip(NEXT) | instid1(VALU_DEP_4)
	v_dot4_i32_iu8 v162, v159, v229, v162 neg_lo:[1,1,0]
	v_dot4_i32_iu8 v163, v159, v231, v163 neg_lo:[1,1,0]
	s_delay_alu instid0(VALU_DEP_4) | instskip(NEXT) | instid1(VALU_DEP_4)
	v_dot4_i32_iu8 v164, v159, v233, v164 neg_lo:[1,1,0]
	v_dot4_i32_iu8 v158, v159, v235, v158 neg_lo:[1,1,0]
	s_delay_alu instid0(VALU_DEP_4) | instskip(NEXT) | instid1(VALU_DEP_4)
	v_dot4_i32_iu8 v159, v160, v236, v162 neg_lo:[1,1,0]
	v_dot4_i32_iu8 v162, v160, v238, v163 neg_lo:[1,1,0]
	s_delay_alu instid0(VALU_DEP_4) | instskip(NEXT) | instid1(VALU_DEP_4)
	v_dot4_i32_iu8 v163, v160, v240, v164 neg_lo:[1,1,0]
	v_dot4_i32_iu8 v158, v160, v242, v158 neg_lo:[1,1,0]
	s_delay_alu instid0(VALU_DEP_4) | instskip(NEXT) | instid1(VALU_DEP_4)
	v_dot4_i32_iu8 v218, v161, v237, v159 neg_lo:[1,1,0]
	v_dot4_i32_iu8 v216, v161, v239, v162 neg_lo:[1,1,0]
	s_delay_alu instid0(VALU_DEP_4) | instskip(NEXT) | instid1(VALU_DEP_4)
	v_dot4_i32_iu8 v215, v161, v241, v163 neg_lo:[1,1,0]
	v_dot4_i32_iu8 v169, v161, v243, v158 neg_lo:[1,1,0]
	ds_load_b128 v[158:161], v152 offset:33296
	s_waitcnt lgkmcnt(0)
	v_dot4_i32_iu8 v162, v158, v228, v170 neg_lo:[1,1,0]
	v_dot4_i32_iu8 v163, v158, v230, v171 neg_lo:[1,1,0]
	v_dot4_i32_iu8 v164, v158, v232, v172 neg_lo:[1,1,0]
	v_dot4_i32_iu8 v158, v158, v234, v173 neg_lo:[1,1,0]
	s_delay_alu instid0(VALU_DEP_4) | instskip(NEXT) | instid1(VALU_DEP_4)
	v_dot4_i32_iu8 v162, v159, v229, v162 neg_lo:[1,1,0]
	v_dot4_i32_iu8 v163, v159, v231, v163 neg_lo:[1,1,0]
	s_delay_alu instid0(VALU_DEP_4) | instskip(NEXT) | instid1(VALU_DEP_4)
	v_dot4_i32_iu8 v164, v159, v233, v164 neg_lo:[1,1,0]
	v_dot4_i32_iu8 v158, v159, v235, v158 neg_lo:[1,1,0]
	s_delay_alu instid0(VALU_DEP_4) | instskip(NEXT) | instid1(VALU_DEP_4)
	v_dot4_i32_iu8 v159, v160, v236, v162 neg_lo:[1,1,0]
	v_dot4_i32_iu8 v162, v160, v238, v163 neg_lo:[1,1,0]
	s_delay_alu instid0(VALU_DEP_4) | instskip(NEXT) | instid1(VALU_DEP_4)
	v_dot4_i32_iu8 v163, v160, v240, v164 neg_lo:[1,1,0]
	v_dot4_i32_iu8 v158, v160, v242, v158 neg_lo:[1,1,0]
	s_delay_alu instid0(VALU_DEP_4) | instskip(NEXT) | instid1(VALU_DEP_4)
	v_dot4_i32_iu8 v170, v161, v237, v159 neg_lo:[1,1,0]
	v_dot4_i32_iu8 v168, v161, v239, v162 neg_lo:[1,1,0]
	s_delay_alu instid0(VALU_DEP_4) | instskip(NEXT) | instid1(VALU_DEP_4)
	v_dot4_i32_iu8 v167, v161, v241, v163 neg_lo:[1,1,0]
	v_dot4_i32_iu8 v165, v161, v243, v158 neg_lo:[1,1,0]
	ds_load_b128 v[158:161], v153 offset:33296
	s_waitcnt lgkmcnt(0)
	v_dot4_i32_iu8 v162, v158, v228, v174 neg_lo:[1,1,0]
	ds_load_b128 v[171:174], v154 offset:33296
	v_dot4_i32_iu8 v163, v158, v230, v175 neg_lo:[1,1,0]
	v_dot4_i32_iu8 v164, v158, v232, v176 neg_lo:[1,1,0]
	;; [unrolled: 1-line block ×4, first 2 shown]
	s_delay_alu instid0(VALU_DEP_4) | instskip(NEXT) | instid1(VALU_DEP_4)
	v_dot4_i32_iu8 v163, v159, v231, v163 neg_lo:[1,1,0]
	v_dot4_i32_iu8 v164, v159, v233, v164 neg_lo:[1,1,0]
	s_delay_alu instid0(VALU_DEP_4) | instskip(NEXT) | instid1(VALU_DEP_4)
	v_dot4_i32_iu8 v158, v159, v235, v158 neg_lo:[1,1,0]
	v_dot4_i32_iu8 v159, v160, v236, v162 neg_lo:[1,1,0]
	;; [unrolled: 3-line block ×5, first 2 shown]
	s_delay_alu instid0(VALU_DEP_4)
	v_dot4_i32_iu8 v162, v161, v243, v158 neg_lo:[1,1,0]
	s_waitcnt lgkmcnt(0)
	v_dot4_i32_iu8 v158, v171, v228, v178 neg_lo:[1,1,0]
	v_dot4_i32_iu8 v159, v171, v230, v179 neg_lo:[1,1,0]
	;; [unrolled: 1-line block ×4, first 2 shown]
	s_delay_alu instid0(VALU_DEP_4) | instskip(NEXT) | instid1(VALU_DEP_4)
	v_dot4_i32_iu8 v158, v172, v229, v158 neg_lo:[1,1,0]
	v_dot4_i32_iu8 v159, v172, v231, v159 neg_lo:[1,1,0]
	s_delay_alu instid0(VALU_DEP_4) | instskip(NEXT) | instid1(VALU_DEP_4)
	v_dot4_i32_iu8 v160, v172, v233, v160 neg_lo:[1,1,0]
	v_dot4_i32_iu8 v161, v172, v235, v161 neg_lo:[1,1,0]
	;; [unrolled: 3-line block ×6, first 2 shown]
	ds_load_2addr_b32 v[175:176], v143 offset0:12 offset1:13
	ds_load_b128 v[171:174], v144 offset:33328
	ds_load_2addr_b32 v[177:178], v145 offset0:12 offset1:13
	ds_load_2addr_b32 v[179:180], v146 offset0:12 offset1:13
	;; [unrolled: 1-line block ×3, first 2 shown]
	s_waitcnt lgkmcnt(3)
	v_dot4_i32_iu8 v144, v175, v171, v189 neg_lo:[1,1,0]
	s_waitcnt lgkmcnt(2)
	v_dot4_i32_iu8 v181, v177, v171, v188 neg_lo:[1,1,0]
	;; [unrolled: 2-line block ×3, first 2 shown]
	ds_load_2addr_b32 v[187:188], v147 offset0:12 offset1:13
	v_dot4_i32_iu8 v144, v176, v172, v144 neg_lo:[1,1,0]
	v_dot4_i32_iu8 v228, v178, v172, v181 neg_lo:[1,1,0]
	;; [unrolled: 1-line block ×3, first 2 shown]
	s_waitcnt lgkmcnt(0)
	v_dot4_i32_iu8 v171, v187, v171, v182 neg_lo:[1,1,0]
	ds_load_2addr_b32 v[181:182], v145 offset0:14 offset1:15
	v_dot4_i32_iu8 v232, v188, v172, v171 neg_lo:[1,1,0]
	ds_load_2addr_b32 v[171:172], v143 offset0:14 offset1:15
	s_waitcnt lgkmcnt(0)
	v_dot4_i32_iu8 v143, v171, v173, v144 neg_lo:[1,1,0]
	v_dot4_i32_iu8 v144, v181, v173, v228 neg_lo:[1,1,0]
	ds_load_2addr_b32 v[228:229], v146 offset0:14 offset1:15
	v_dot4_i32_iu8 v146, v230, v173, v232 neg_lo:[1,1,0]
	v_dot4_i32_iu8 v147, v172, v174, v143 neg_lo:[1,1,0]
	s_waitcnt lgkmcnt(0)
	v_dot4_i32_iu8 v145, v228, v173, v189 neg_lo:[1,1,0]
	v_dot4_i32_iu8 v173, v182, v174, v144 neg_lo:[1,1,0]
	s_delay_alu instid0(VALU_DEP_2)
	v_dot4_i32_iu8 v189, v229, v174, v145 neg_lo:[1,1,0]
	v_dot4_i32_iu8 v174, v231, v174, v146 neg_lo:[1,1,0]
	ds_load_b128 v[143:146], v148 offset:33328
	s_waitcnt lgkmcnt(0)
	v_dot4_i32_iu8 v148, v143, v175, v183 neg_lo:[1,1,0]
	v_dot4_i32_iu8 v183, v143, v177, v184 neg_lo:[1,1,0]
	v_dot4_i32_iu8 v184, v143, v179, v185 neg_lo:[1,1,0]
	v_dot4_i32_iu8 v143, v143, v187, v186 neg_lo:[1,1,0]
	s_delay_alu instid0(VALU_DEP_4) | instskip(NEXT) | instid1(VALU_DEP_4)
	v_dot4_i32_iu8 v148, v144, v176, v148 neg_lo:[1,1,0]
	v_dot4_i32_iu8 v183, v144, v178, v183 neg_lo:[1,1,0]
	s_delay_alu instid0(VALU_DEP_4) | instskip(NEXT) | instid1(VALU_DEP_4)
	v_dot4_i32_iu8 v184, v144, v180, v184 neg_lo:[1,1,0]
	v_dot4_i32_iu8 v143, v144, v188, v143 neg_lo:[1,1,0]
	s_delay_alu instid0(VALU_DEP_4) | instskip(NEXT) | instid1(VALU_DEP_4)
	v_dot4_i32_iu8 v144, v145, v171, v148 neg_lo:[1,1,0]
	v_dot4_i32_iu8 v148, v145, v181, v183 neg_lo:[1,1,0]
	s_delay_alu instid0(VALU_DEP_4) | instskip(NEXT) | instid1(VALU_DEP_4)
	v_dot4_i32_iu8 v183, v145, v228, v184 neg_lo:[1,1,0]
	v_dot4_i32_iu8 v143, v145, v230, v143 neg_lo:[1,1,0]
	s_delay_alu instid0(VALU_DEP_4) | instskip(NEXT) | instid1(VALU_DEP_4)
	v_dot4_i32_iu8 v184, v146, v172, v144 neg_lo:[1,1,0]
	v_dot4_i32_iu8 v148, v146, v182, v148 neg_lo:[1,1,0]
	s_delay_alu instid0(VALU_DEP_4) | instskip(NEXT) | instid1(VALU_DEP_4)
	v_dot4_i32_iu8 v183, v146, v229, v183 neg_lo:[1,1,0]
	v_dot4_i32_iu8 v185, v146, v231, v143 neg_lo:[1,1,0]
	ds_load_b128 v[143:146], v149 offset:33328
	s_waitcnt lgkmcnt(0)
	v_dot4_i32_iu8 v149, v143, v175, v190 neg_lo:[1,1,0]
	v_dot4_i32_iu8 v186, v143, v177, v191 neg_lo:[1,1,0]
	v_dot4_i32_iu8 v190, v143, v179, v192 neg_lo:[1,1,0]
	v_dot4_i32_iu8 v143, v143, v187, v193 neg_lo:[1,1,0]
	s_delay_alu instid0(VALU_DEP_4) | instskip(NEXT) | instid1(VALU_DEP_4)
	v_dot4_i32_iu8 v149, v144, v176, v149 neg_lo:[1,1,0]
	v_dot4_i32_iu8 v186, v144, v178, v186 neg_lo:[1,1,0]
	s_delay_alu instid0(VALU_DEP_4) | instskip(NEXT) | instid1(VALU_DEP_4)
	v_dot4_i32_iu8 v190, v144, v180, v190 neg_lo:[1,1,0]
	v_dot4_i32_iu8 v143, v144, v188, v143 neg_lo:[1,1,0]
	s_delay_alu instid0(VALU_DEP_4) | instskip(NEXT) | instid1(VALU_DEP_4)
	v_dot4_i32_iu8 v144, v145, v171, v149 neg_lo:[1,1,0]
	v_dot4_i32_iu8 v149, v145, v181, v186 neg_lo:[1,1,0]
	s_delay_alu instid0(VALU_DEP_4) | instskip(NEXT) | instid1(VALU_DEP_4)
	v_dot4_i32_iu8 v186, v145, v228, v190 neg_lo:[1,1,0]
	v_dot4_i32_iu8 v143, v145, v230, v143 neg_lo:[1,1,0]
	s_delay_alu instid0(VALU_DEP_4) | instskip(NEXT) | instid1(VALU_DEP_4)
	v_dot4_i32_iu8 v190, v146, v172, v144 neg_lo:[1,1,0]
	v_dot4_i32_iu8 v149, v146, v182, v149 neg_lo:[1,1,0]
	s_delay_alu instid0(VALU_DEP_4) | instskip(NEXT) | instid1(VALU_DEP_4)
	;; [unrolled: 24-line block ×6, first 2 shown]
	v_dot4_i32_iu8 v201, v146, v229, v201 neg_lo:[1,1,0]
	v_dot4_i32_iu8 v203, v146, v231, v143 neg_lo:[1,1,0]
	ds_load_b128 v[143:146], v154 offset:33328
	s_waitcnt lgkmcnt(0)
	v_dot4_i32_iu8 v154, v143, v175, v210 neg_lo:[1,1,0]
	v_dot4_i32_iu8 v175, v143, v177, v211 neg_lo:[1,1,0]
	s_delay_alu instid0(VALU_DEP_2) | instskip(SKIP_2) | instid1(VALU_DEP_4)
	v_dot4_i32_iu8 v154, v144, v176, v154 neg_lo:[1,1,0]
	v_dot4_i32_iu8 v176, v143, v179, v212 neg_lo:[1,1,0]
	;; [unrolled: 1-line block ×4, first 2 shown]
	s_delay_alu instid0(VALU_DEP_3) | instskip(NEXT) | instid1(VALU_DEP_3)
	v_dot4_i32_iu8 v176, v144, v180, v176 neg_lo:[1,1,0]
	v_dot4_i32_iu8 v143, v144, v188, v143 neg_lo:[1,1,0]
	;; [unrolled: 1-line block ×3, first 2 shown]
	s_delay_alu instid0(VALU_DEP_4) | instskip(NEXT) | instid1(VALU_DEP_4)
	v_dot4_i32_iu8 v154, v145, v181, v175 neg_lo:[1,1,0]
	v_dot4_i32_iu8 v171, v145, v228, v176 neg_lo:[1,1,0]
	s_delay_alu instid0(VALU_DEP_4) | instskip(NEXT) | instid1(VALU_DEP_4)
	v_dot4_i32_iu8 v143, v145, v230, v143 neg_lo:[1,1,0]
	v_dot4_i32_iu8 v144, v146, v172, v144 neg_lo:[1,1,0]
	;; [unrolled: 3-line block ×3, first 2 shown]
	s_delay_alu instid0(VALU_DEP_4) | instskip(SKIP_1) | instid1(VALU_DEP_1)
	v_dot4_i32_iu8 v145, v146, v231, v143 neg_lo:[1,1,0]
	v_lshlrev_b32_e32 v143, 2, v39
	v_add3_u32 v146, s16, v125, v143
	ds_load_u16 v143, v146
	s_waitcnt lgkmcnt(0)
	v_and_b32_e32 v175, 0xff, v143
	v_lshrrev_b16 v172, 8, v143
	s_delay_alu instid0(VALU_DEP_2) | instskip(NEXT) | instid1(VALU_DEP_2)
	v_mul_lo_u32 v143, v214, v175
	v_and_b32_e32 v172, 0xffff, v172
	s_delay_alu instid0(VALU_DEP_1) | instskip(SKIP_1) | instid1(VALU_DEP_4)
	v_mul_lo_u32 v147, v147, v172
	v_mul_lo_u32 v184, v184, v172
	v_cvt_f32_i32_e32 v176, v143
	ds_load_b64 v[142:143], v142 offset:43584
	v_mul_lo_u32 v190, v190, v172
	v_mul_lo_u32 v193, v193, v172
	;; [unrolled: 1-line block ×4, first 2 shown]
	v_cvt_f32_i32_e32 v147, v147
	v_cvt_f32_i32_e32 v184, v184
	;; [unrolled: 1-line block ×6, first 2 shown]
	s_waitcnt lgkmcnt(0)
	v_fma_mix_f32 v176, v142, v176, 0 op_sel_hi:[1,0,0]
	s_delay_alu instid0(VALU_DEP_1) | instskip(SKIP_1) | instid1(VALU_DEP_1)
	v_fma_mix_f32 v147, v143, v147, v176 op_sel_hi:[1,0,0]
	v_lshlrev_b32_e32 v176, 2, v106
	v_add3_u32 v176, s16, v176, v115
	ds_load_u16 v177, v176
	s_waitcnt lgkmcnt(0)
	v_lshrrev_b16 v178, 8, v177
	v_and_b32_e32 v177, 0xff, v177
	s_delay_alu instid0(VALU_DEP_2) | instskip(NEXT) | instid1(VALU_DEP_2)
	v_and_b32_e32 v178, 0xffff, v178
	v_mul_lo_u32 v157, v157, v177
	v_mul_lo_u32 v216, v216, v177
	;; [unrolled: 1-line block ×3, first 2 shown]
	s_delay_alu instid0(VALU_DEP_4)
	v_mul_lo_u32 v173, v173, v178
	v_mul_lo_u32 v148, v148, v178
	;; [unrolled: 1-line block ×4, first 2 shown]
	v_cvt_f32_i32_e32 v157, v157
	v_mul_lo_u32 v151, v151, v178
	v_cvt_f32_i32_e32 v216, v216
	v_cvt_f32_i32_e32 v168, v168
	;; [unrolled: 1-line block ×3, first 2 shown]
	v_fma_mix_f32 v157, v142, v157, 0 op_sel_hi:[1,0,0]
	v_cvt_f32_i32_e32 v148, v148
	v_cvt_f32_i32_e32 v149, v149
	;; [unrolled: 1-line block ×4, first 2 shown]
	v_fma_mix_f32 v157, v143, v173, v157 op_sel_hi:[1,0,0]
	v_lshlrev_b32_e32 v173, 2, v107
	s_delay_alu instid0(VALU_DEP_1) | instskip(SKIP_4) | instid1(VALU_DEP_2)
	v_add3_u32 v173, s16, v173, v117
	ds_load_u16 v179, v173
	s_waitcnt lgkmcnt(0)
	v_lshrrev_b16 v180, 8, v179
	v_and_b32_e32 v179, 0xff, v179
	v_and_b32_e32 v180, 0xffff, v180
	s_delay_alu instid0(VALU_DEP_2) | instskip(SKIP_2) | instid1(VALU_DEP_4)
	v_mul_lo_u32 v156, v156, v179
	v_mul_lo_u32 v215, v215, v179
	;; [unrolled: 1-line block ×7, first 2 shown]
	v_cvt_f32_i32_e32 v156, v156
	v_mul_lo_u32 v195, v195, v180
	v_cvt_f32_i32_e32 v215, v215
	v_cvt_f32_i32_e32 v167, v167
	;; [unrolled: 1-line block ×3, first 2 shown]
	v_fma_mix_f32 v156, v142, v156, 0 op_sel_hi:[1,0,0]
	v_cvt_f32_i32_e32 v183, v183
	v_cvt_f32_i32_e32 v186, v186
	;; [unrolled: 1-line block ×4, first 2 shown]
	v_fma_mix_f32 v156, v143, v181, v156 op_sel_hi:[1,0,0]
	v_lshlrev_b32_e32 v181, 2, v108
	v_mul_lo_u32 v171, v171, v180
	s_delay_alu instid0(VALU_DEP_2) | instskip(SKIP_4) | instid1(VALU_DEP_2)
	v_add3_u32 v181, s16, v181, v119
	ds_load_u16 v182, v181
	s_waitcnt lgkmcnt(0)
	v_lshrrev_b16 v187, 8, v182
	v_and_b32_e32 v182, 0xff, v182
	v_and_b32_e32 v187, 0xffff, v187
	s_delay_alu instid0(VALU_DEP_2)
	v_mul_lo_u32 v155, v155, v182
	v_mul_lo_u32 v169, v169, v182
	;; [unrolled: 1-line block ×8, first 2 shown]
	v_cvt_f32_i32_e32 v155, v155
	v_mul_lo_u32 v197, v197, v187
	v_cvt_f32_i32_e32 v169, v169
	v_cvt_f32_i32_e32 v165, v165
	;; [unrolled: 1-line block ×3, first 2 shown]
	v_fma_mix_f32 v155, v142, v155, 0 op_sel_hi:[1,0,0]
	v_cvt_f32_i32_e32 v185, v185
	v_cvt_f32_i32_e32 v191, v191
	;; [unrolled: 1-line block ×4, first 2 shown]
	v_fma_mix_f32 v155, v143, v174, v155 op_sel_hi:[1,0,0]
	ds_load_u16 v174, v176 offset:8
	ds_load_u16 v173, v173 offset:8
	;; [unrolled: 1-line block ×4, first 2 shown]
	v_cvt_f32_i32_e32 v162, v162
	s_waitcnt lgkmcnt(3)
	v_cvt_f32_ubyte0_e32 v181, v174
	s_waitcnt lgkmcnt(2)
	v_cvt_f32_ubyte0_e32 v188, v173
	;; [unrolled: 2-line block ×4, first 2 shown]
	v_cvt_f32_ubyte1_e32 v174, v174
	v_cvt_f32_ubyte1_e32 v173, v173
	;; [unrolled: 1-line block ×4, first 2 shown]
	v_fma_mix_f32 v205, v142, v181, 0 op_sel:[1,0,0] op_sel_hi:[1,0,0]
	v_fma_mix_f32 v206, v142, v188, 0 op_sel:[1,0,0] op_sel_hi:[1,0,0]
	;; [unrolled: 1-line block ×4, first 2 shown]
	s_delay_alu instid0(VALU_DEP_4) | instskip(NEXT) | instid1(VALU_DEP_4)
	v_fma_mix_f32 v205, v143, v174, v205 op_sel:[1,0,0] op_sel_hi:[1,0,0]
	v_fma_mix_f32 v206, v143, v173, v206 op_sel:[1,0,0] op_sel_hi:[1,0,0]
	s_delay_alu instid0(VALU_DEP_4) | instskip(NEXT) | instid1(VALU_DEP_4)
	v_fma_mix_f32 v207, v143, v176, v207 op_sel:[1,0,0] op_sel_hi:[1,0,0]
	v_fma_mix_f32 v143, v143, v146, v142 op_sel:[1,0,0] op_sel_hi:[1,0,0]
	v_mul_lo_u32 v142, v244, v175
	s_delay_alu instid0(VALU_DEP_1)
	v_cvt_f32_i32_e32 v208, v142
	ds_load_b64 v[141:142], v141 offset:43584
	s_waitcnt lgkmcnt(0)
	v_fma_mix_f32 v208, v141, v208, 0 op_sel_hi:[1,0,0]
	v_fma_mix_f32 v209, v188, v141, 0 op_sel:[0,1,0] op_sel_hi:[0,1,0]
	v_fma_mix_f32 v210, v189, v141, 0 op_sel:[0,1,0] op_sel_hi:[0,1,0]
	s_delay_alu instid0(VALU_DEP_3) | instskip(SKIP_1) | instid1(VALU_DEP_4)
	v_fma_mix_f32 v184, v142, v184, v208 op_sel_hi:[1,0,0]
	v_mul_lo_u32 v208, v245, v177
	v_fma_mix_f32 v209, v173, v142, v209 op_sel:[0,1,0] op_sel_hi:[0,1,0]
	s_delay_alu instid0(VALU_DEP_4) | instskip(NEXT) | instid1(VALU_DEP_3)
	v_fma_mix_f32 v210, v176, v142, v210 op_sel:[0,1,0] op_sel_hi:[0,1,0]
	v_cvt_f32_i32_e32 v208, v208
	s_delay_alu instid0(VALU_DEP_1) | instskip(NEXT) | instid1(VALU_DEP_1)
	v_fma_mix_f32 v208, v141, v208, 0 op_sel_hi:[1,0,0]
	v_fma_mix_f32 v148, v142, v148, v208 op_sel_hi:[1,0,0]
	v_mul_lo_u32 v208, v227, v179
	s_delay_alu instid0(VALU_DEP_1) | instskip(NEXT) | instid1(VALU_DEP_1)
	v_cvt_f32_i32_e32 v208, v208
	v_fma_mix_f32 v208, v141, v208, 0 op_sel_hi:[1,0,0]
	s_delay_alu instid0(VALU_DEP_1) | instskip(SKIP_1) | instid1(VALU_DEP_1)
	v_fma_mix_f32 v183, v142, v183, v208 op_sel_hi:[1,0,0]
	v_mul_lo_u32 v208, v225, v182
	v_cvt_f32_i32_e32 v208, v208
	s_delay_alu instid0(VALU_DEP_1) | instskip(NEXT) | instid1(VALU_DEP_1)
	v_fma_mix_f32 v208, v141, v208, 0 op_sel_hi:[1,0,0]
	v_fma_mix_f32 v185, v142, v185, v208 op_sel_hi:[1,0,0]
	v_fma_mix_f32 v208, v181, v141, 0 op_sel:[0,1,0] op_sel_hi:[0,1,0]
	v_fma_mix_f32 v141, v204, v141, 0 op_sel:[0,1,0] op_sel_hi:[0,1,0]
	s_delay_alu instid0(VALU_DEP_2) | instskip(NEXT) | instid1(VALU_DEP_2)
	v_fma_mix_f32 v208, v174, v142, v208 op_sel:[0,1,0] op_sel_hi:[0,1,0]
	v_fma_mix_f32 v142, v146, v142, v141 op_sel:[0,1,0] op_sel_hi:[0,1,0]
	v_mul_lo_u32 v141, v226, v175
	s_delay_alu instid0(VALU_DEP_2) | instskip(NEXT) | instid1(VALU_DEP_2)
	v_mul_f32_e32 v142, v142, v131
	v_cvt_f32_i32_e32 v211, v141
	ds_load_b64 v[140:141], v140 offset:43584
	v_fma_f32 v142, v184, v127, -v142
	s_delay_alu instid0(VALU_DEP_1) | instskip(SKIP_4) | instid1(VALU_DEP_3)
	v_add_f32_e32 v69, v69, v142
	s_waitcnt lgkmcnt(0)
	v_fma_mix_f32 v211, v140, v211, 0 op_sel_hi:[1,0,0]
	v_fma_mix_f32 v212, v188, v140, 0 op_sel:[0,1,0] op_sel_hi:[0,1,0]
	v_fma_mix_f32 v213, v189, v140, 0 op_sel:[0,1,0] op_sel_hi:[0,1,0]
	v_fma_mix_f32 v190, v141, v190, v211 op_sel_hi:[1,0,0]
	v_mul_lo_u32 v211, v224, v177
	s_delay_alu instid0(VALU_DEP_4) | instskip(NEXT) | instid1(VALU_DEP_4)
	v_fma_mix_f32 v212, v173, v141, v212 op_sel:[0,1,0] op_sel_hi:[0,1,0]
	v_fma_mix_f32 v213, v176, v141, v213 op_sel:[0,1,0] op_sel_hi:[0,1,0]
	s_delay_alu instid0(VALU_DEP_3) | instskip(NEXT) | instid1(VALU_DEP_1)
	v_cvt_f32_i32_e32 v211, v211
	v_fma_mix_f32 v211, v140, v211, 0 op_sel_hi:[1,0,0]
	s_delay_alu instid0(VALU_DEP_1) | instskip(SKIP_1) | instid1(VALU_DEP_1)
	v_fma_mix_f32 v149, v141, v149, v211 op_sel_hi:[1,0,0]
	v_mul_lo_u32 v211, v223, v179
	v_cvt_f32_i32_e32 v211, v211
	s_delay_alu instid0(VALU_DEP_1) | instskip(NEXT) | instid1(VALU_DEP_1)
	v_fma_mix_f32 v211, v140, v211, 0 op_sel_hi:[1,0,0]
	v_fma_mix_f32 v186, v141, v186, v211 op_sel_hi:[1,0,0]
	v_mul_lo_u32 v211, v221, v182
	s_delay_alu instid0(VALU_DEP_1) | instskip(NEXT) | instid1(VALU_DEP_1)
	v_cvt_f32_i32_e32 v211, v211
	v_fma_mix_f32 v211, v140, v211, 0 op_sel_hi:[1,0,0]
	s_delay_alu instid0(VALU_DEP_1) | instskip(SKIP_2) | instid1(VALU_DEP_2)
	v_fma_mix_f32 v191, v141, v191, v211 op_sel_hi:[1,0,0]
	v_fma_mix_f32 v211, v181, v140, 0 op_sel:[0,1,0] op_sel_hi:[0,1,0]
	v_fma_mix_f32 v140, v204, v140, 0 op_sel:[0,1,0] op_sel_hi:[0,1,0]
	;; [unrolled: 1-line block ×3, first 2 shown]
	s_delay_alu instid0(VALU_DEP_2) | instskip(SKIP_1) | instid1(VALU_DEP_2)
	v_fma_mix_f32 v141, v146, v141, v140 op_sel:[0,1,0] op_sel_hi:[0,1,0]
	v_mul_lo_u32 v140, v222, v175
	v_mul_f32_e32 v141, v141, v131
	s_delay_alu instid0(VALU_DEP_2) | instskip(SKIP_2) | instid1(VALU_DEP_1)
	v_cvt_f32_i32_e32 v214, v140
	ds_load_b64 v[139:140], v139 offset:43584
	v_fma_f32 v141, v190, v127, -v141
	v_add_f32_e32 v63, v63, v141
	s_waitcnt lgkmcnt(0)
	v_fma_mix_f32 v214, v139, v214, 0 op_sel_hi:[1,0,0]
	s_delay_alu instid0(VALU_DEP_1) | instskip(SKIP_1) | instid1(VALU_DEP_1)
	v_fma_mix_f32 v193, v140, v193, v214 op_sel_hi:[1,0,0]
	v_mul_lo_u32 v214, v220, v177
	v_cvt_f32_i32_e32 v214, v214
	s_delay_alu instid0(VALU_DEP_1) | instskip(NEXT) | instid1(VALU_DEP_1)
	v_fma_mix_f32 v214, v139, v214, 0 op_sel_hi:[1,0,0]
	v_fma_mix_f32 v150, v140, v150, v214 op_sel_hi:[1,0,0]
	v_mul_lo_u32 v214, v219, v179
	v_fma_mix_f32 v219, v189, v139, 0 op_sel:[0,1,0] op_sel_hi:[0,1,0]
	s_delay_alu instid0(VALU_DEP_1) | instskip(NEXT) | instid1(VALU_DEP_3)
	v_fma_mix_f32 v219, v176, v140, v219 op_sel:[0,1,0] op_sel_hi:[0,1,0]
	v_cvt_f32_i32_e32 v214, v214
	s_delay_alu instid0(VALU_DEP_1) | instskip(NEXT) | instid1(VALU_DEP_1)
	v_fma_mix_f32 v214, v139, v214, 0 op_sel_hi:[1,0,0]
	v_fma_mix_f32 v192, v140, v192, v214 op_sel_hi:[1,0,0]
	v_mul_lo_u32 v214, v217, v182
	v_fma_mix_f32 v217, v188, v139, 0 op_sel:[0,1,0] op_sel_hi:[0,1,0]
	s_delay_alu instid0(VALU_DEP_1) | instskip(NEXT) | instid1(VALU_DEP_3)
	v_fma_mix_f32 v217, v173, v140, v217 op_sel:[0,1,0] op_sel_hi:[0,1,0]
	v_cvt_f32_i32_e32 v214, v214
	s_delay_alu instid0(VALU_DEP_1) | instskip(NEXT) | instid1(VALU_DEP_1)
	v_fma_mix_f32 v214, v139, v214, 0 op_sel_hi:[1,0,0]
	v_fma_mix_f32 v194, v140, v194, v214 op_sel_hi:[1,0,0]
	v_fma_mix_f32 v214, v181, v139, 0 op_sel:[0,1,0] op_sel_hi:[0,1,0]
	v_fma_mix_f32 v139, v204, v139, 0 op_sel:[0,1,0] op_sel_hi:[0,1,0]
	s_delay_alu instid0(VALU_DEP_2) | instskip(NEXT) | instid1(VALU_DEP_2)
	v_fma_mix_f32 v214, v174, v140, v214 op_sel:[0,1,0] op_sel_hi:[0,1,0]
	v_fma_mix_f32 v140, v146, v140, v139 op_sel:[0,1,0] op_sel_hi:[0,1,0]
	v_mul_lo_u32 v139, v218, v175
	s_delay_alu instid0(VALU_DEP_2) | instskip(NEXT) | instid1(VALU_DEP_2)
	v_mul_f32_e32 v140, v140, v131
	v_cvt_f32_i32_e32 v218, v139
	ds_load_b64 v[138:139], v138 offset:43584
	v_fma_f32 v140, v193, v127, -v140
	s_waitcnt lgkmcnt(0)
	v_fma_mix_f32 v216, v138, v216, 0 op_sel_hi:[1,0,0]
	v_fma_mix_f32 v215, v138, v215, 0 op_sel_hi:[1,0,0]
	;; [unrolled: 1-line block ×4, first 2 shown]
	s_delay_alu instid0(VALU_DEP_4) | instskip(NEXT) | instid1(VALU_DEP_4)
	v_fma_mix_f32 v151, v139, v151, v216 op_sel_hi:[1,0,0]
	v_fma_mix_f32 v195, v139, v195, v215 op_sel_hi:[1,0,0]
	s_delay_alu instid0(VALU_DEP_4)
	v_fma_mix_f32 v169, v139, v197, v169 op_sel_hi:[1,0,0]
	v_fma_mix_f32 v197, v181, v138, 0 op_sel:[0,1,0] op_sel_hi:[0,1,0]
	v_fma_mix_f32 v215, v188, v138, 0 op_sel:[0,1,0] op_sel_hi:[0,1,0]
	;; [unrolled: 1-line block ×4, first 2 shown]
	v_fma_mix_f32 v196, v139, v196, v218 op_sel_hi:[1,0,0]
	v_fma_mix_f32 v197, v174, v139, v197 op_sel:[0,1,0] op_sel_hi:[0,1,0]
	v_fma_mix_f32 v215, v173, v139, v215 op_sel:[0,1,0] op_sel_hi:[0,1,0]
	;; [unrolled: 1-line block ×4, first 2 shown]
	v_mul_lo_u32 v138, v170, v175
	v_mul_lo_u32 v170, v199, v172
	s_delay_alu instid0(VALU_DEP_3)
	v_mul_f32_e32 v139, v139, v131
	v_mul_lo_u32 v152, v152, v178
	v_mul_lo_u32 v153, v153, v178
	;; [unrolled: 1-line block ×3, first 2 shown]
	v_cvt_f32_i32_e32 v199, v138
	ds_load_b64 v[137:138], v137 offset:43584
	v_cvt_f32_i32_e32 v170, v170
	v_fma_f32 v139, v196, v127, -v139
	v_add_f32_e32 v52, v52, v140
	v_cvt_f32_i32_e32 v152, v152
	v_cvt_f32_i32_e32 v153, v153
	v_cvt_f32_i32_e32 v154, v154
	v_add_f32_e32 v37, v37, v139
	s_waitcnt lgkmcnt(0)
	v_fma_mix_f32 v168, v137, v168, 0 op_sel_hi:[1,0,0]
	v_fma_mix_f32 v167, v137, v167, 0 op_sel_hi:[1,0,0]
	v_fma_mix_f32 v165, v137, v165, 0 op_sel_hi:[1,0,0]
	v_fma_mix_f32 v199, v137, v199, 0 op_sel_hi:[1,0,0]
	s_delay_alu instid0(VALU_DEP_4) | instskip(SKIP_2) | instid1(VALU_DEP_4)
	v_fma_mix_f32 v152, v138, v152, v168 op_sel_hi:[1,0,0]
	v_mul_lo_u32 v168, v198, v180
	v_fma_mix_f32 v198, v188, v137, 0 op_sel:[0,1,0] op_sel_hi:[0,1,0]
	v_fma_mix_f32 v170, v138, v170, v199 op_sel_hi:[1,0,0]
	v_fma_mix_f32 v199, v189, v137, 0 op_sel:[0,1,0] op_sel_hi:[0,1,0]
	s_delay_alu instid0(VALU_DEP_3) | instskip(SKIP_1) | instid1(VALU_DEP_3)
	v_fma_mix_f32 v198, v173, v138, v198 op_sel:[0,1,0] op_sel_hi:[0,1,0]
	v_cvt_f32_i32_e32 v168, v168
	v_fma_mix_f32 v199, v176, v138, v199 op_sel:[0,1,0] op_sel_hi:[0,1,0]
	s_delay_alu instid0(VALU_DEP_2) | instskip(SKIP_1) | instid1(VALU_DEP_1)
	v_fma_mix_f32 v167, v138, v168, v167 op_sel_hi:[1,0,0]
	v_mul_lo_u32 v168, v200, v187
	v_cvt_f32_i32_e32 v168, v168
	s_delay_alu instid0(VALU_DEP_1) | instskip(SKIP_2) | instid1(VALU_DEP_2)
	v_fma_mix_f32 v165, v138, v168, v165 op_sel_hi:[1,0,0]
	v_fma_mix_f32 v168, v181, v137, 0 op_sel:[0,1,0] op_sel_hi:[0,1,0]
	v_fma_mix_f32 v137, v204, v137, 0 op_sel:[0,1,0] op_sel_hi:[0,1,0]
	;; [unrolled: 1-line block ×3, first 2 shown]
	s_delay_alu instid0(VALU_DEP_2) | instskip(NEXT) | instid1(VALU_DEP_2)
	v_fma_mix_f32 v138, v146, v138, v137 op_sel:[0,1,0] op_sel_hi:[0,1,0]
	v_mul_f32_e32 v168, v168, v132
	v_mul_lo_u32 v137, v166, v175
	s_delay_alu instid0(VALU_DEP_3)
	v_mul_f32_e32 v138, v138, v131
	v_mul_lo_u32 v164, v164, v177
	v_mul_lo_u32 v166, v202, v172
	v_fma_f32 v152, v152, v128, -v168
	v_mul_f32_e32 v168, v198, v133
	v_mul_lo_u32 v158, v158, v175
	v_mul_lo_u32 v159, v159, v177
	v_cvt_f32_i32_e32 v200, v137
	ds_load_b64 v[136:137], v136 offset:43584
	v_cvt_f32_i32_e32 v164, v164
	v_fma_f32 v167, v167, v129, -v168
	v_mul_f32_e32 v168, v199, v134
	v_mul_lo_u32 v163, v163, v179
	v_cvt_f32_i32_e32 v166, v166
	v_cvt_f32_i32_e32 v158, v158
	v_mul_lo_u32 v160, v160, v179
	v_mul_f32_e32 v172, v216, v134
	v_fma_f32 v138, v170, v127, -v138
	v_fma_f32 v165, v165, v130, -v168
	v_add_f32_e32 v31, v31, v152
	v_cvt_f32_i32_e32 v163, v163
	v_fma_f32 v169, v169, v130, -v172
	v_dual_add_f32 v33, v33, v138 :: v_dual_add_f32 v28, v28, v167
	v_add_f32_e32 v27, v27, v165
	s_delay_alu instid0(VALU_DEP_3)
	v_add_f32_e32 v34, v34, v169
	s_waitcnt lgkmcnt(0)
	v_fma_mix_f32 v164, v136, v164, 0 op_sel_hi:[1,0,0]
	v_fma_mix_f32 v163, v136, v163, 0 op_sel_hi:[1,0,0]
	;; [unrolled: 1-line block ×4, first 2 shown]
	s_delay_alu instid0(VALU_DEP_4) | instskip(SKIP_1) | instid1(VALU_DEP_4)
	v_fma_mix_f32 v153, v137, v153, v164 op_sel_hi:[1,0,0]
	v_mul_lo_u32 v164, v201, v180
	v_fma_mix_f32 v166, v137, v166, v200 op_sel_hi:[1,0,0]
	v_fma_mix_f32 v200, v188, v136, 0 op_sel:[0,1,0] op_sel_hi:[0,1,0]
	v_fma_mix_f32 v201, v189, v136, 0 op_sel:[0,1,0] op_sel_hi:[0,1,0]
	s_delay_alu instid0(VALU_DEP_2) | instskip(SKIP_1) | instid1(VALU_DEP_3)
	v_fma_mix_f32 v200, v173, v137, v200 op_sel:[0,1,0] op_sel_hi:[0,1,0]
	v_cvt_f32_i32_e32 v164, v164
	v_fma_mix_f32 v201, v176, v137, v201 op_sel:[0,1,0] op_sel_hi:[0,1,0]
	s_delay_alu instid0(VALU_DEP_2) | instskip(SKIP_1) | instid1(VALU_DEP_1)
	v_fma_mix_f32 v163, v137, v164, v163 op_sel_hi:[1,0,0]
	v_mul_lo_u32 v164, v203, v187
	v_cvt_f32_i32_e32 v164, v164
	s_delay_alu instid0(VALU_DEP_1) | instskip(SKIP_2) | instid1(VALU_DEP_2)
	v_fma_mix_f32 v162, v137, v164, v162 op_sel_hi:[1,0,0]
	v_fma_mix_f32 v164, v181, v136, 0 op_sel:[0,1,0] op_sel_hi:[0,1,0]
	v_fma_mix_f32 v136, v204, v136, 0 op_sel:[0,1,0] op_sel_hi:[0,1,0]
	;; [unrolled: 1-line block ×3, first 2 shown]
	s_delay_alu instid0(VALU_DEP_2) | instskip(SKIP_3) | instid1(VALU_DEP_2)
	v_fma_mix_f32 v137, v146, v137, v136 op_sel:[0,1,0] op_sel_hi:[0,1,0]
	ds_load_b64 v[135:136], v135 offset:43584
	v_mul_f32_e32 v164, v164, v132
	v_mul_lo_u32 v145, v145, v187
	v_fma_f32 v153, v153, v128, -v164
	v_mul_f32_e32 v164, v200, v133
	s_delay_alu instid0(VALU_DEP_3) | instskip(NEXT) | instid1(VALU_DEP_2)
	v_cvt_f32_i32_e32 v145, v145
	v_fma_f32 v163, v163, v129, -v164
	v_mul_f32_e32 v164, v201, v134
	s_delay_alu instid0(VALU_DEP_2) | instskip(SKIP_4) | instid1(VALU_DEP_3)
	v_dual_add_f32 v25, v25, v153 :: v_dual_add_f32 v24, v24, v163
	s_waitcnt lgkmcnt(0)
	v_fma_mix_f32 v158, v135, v158, 0 op_sel_hi:[1,0,0]
	v_fma_mix_f32 v181, v181, v135, 0 op_sel:[0,1,0] op_sel_hi:[0,1,0]
	v_fma_f32 v162, v162, v130, -v164
	v_fma_mix_f32 v144, v136, v144, v158 op_sel_hi:[1,0,0]
	v_cvt_f32_i32_e32 v158, v159
	s_delay_alu instid0(VALU_DEP_4)
	v_fma_mix_f32 v174, v174, v136, v181 op_sel:[0,1,0] op_sel_hi:[0,1,0]
	v_fma_mix_f32 v181, v188, v135, 0 op_sel:[0,1,0] op_sel_hi:[0,1,0]
	v_cvt_f32_i32_e32 v159, v171
	v_mul_f32_e32 v171, v197, v132
	v_fma_mix_f32 v158, v135, v158, 0 op_sel_hi:[1,0,0]
	v_mul_lo_u32 v161, v161, v182
	v_fma_mix_f32 v173, v173, v136, v181 op_sel:[0,1,0] op_sel_hi:[0,1,0]
	v_fma_mix_f32 v181, v189, v135, 0 op_sel:[0,1,0] op_sel_hi:[0,1,0]
	v_mul_f32_e32 v137, v137, v131
	v_fma_mix_f32 v154, v136, v154, v158 op_sel_hi:[1,0,0]
	v_cvt_f32_i32_e32 v158, v160
	v_mul_f32_e32 v160, v214, v132
	v_fma_mix_f32 v176, v176, v136, v181 op_sel:[0,1,0] op_sel_hi:[0,1,0]
	v_fma_mix_f32 v181, v204, v135, 0 op_sel:[0,1,0] op_sel_hi:[0,1,0]
	v_fma_f32 v151, v151, v128, -v171
	v_fma_mix_f32 v158, v135, v158, 0 op_sel_hi:[1,0,0]
	v_fma_f32 v150, v150, v128, -v160
	v_mul_f32_e32 v160, v217, v133
	v_fma_mix_f32 v146, v146, v136, v181 op_sel:[0,1,0] op_sel_hi:[0,1,0]
	v_mul_f32_e32 v171, v215, v133
	v_fma_mix_f32 v158, v136, v159, v158 op_sel_hi:[1,0,0]
	v_cvt_f32_i32_e32 v159, v161
	s_delay_alu instid0(VALU_DEP_4) | instskip(SKIP_2) | instid1(VALU_DEP_4)
	v_dual_mul_f32 v161, v219, v134 :: v_dual_mul_f32 v146, v146, v131
	v_fma_f32 v160, v192, v129, -v160
	v_fma_f32 v171, v195, v129, -v171
	v_fma_mix_f32 v135, v135, v159, 0 op_sel_hi:[1,0,0]
	v_mul_f32_e32 v159, v213, v134
	v_fma_f32 v144, v144, v127, -v146
	v_mul_f32_e32 v146, v174, v132
	v_fma_f32 v161, v194, v130, -v161
	v_fma_mix_f32 v135, v136, v145, v135 op_sel_hi:[1,0,0]
	v_dual_mul_f32 v136, v143, v131 :: v_dual_mul_f32 v143, v205, v132
	v_mul_f32_e32 v145, v206, v133
	v_fma_f32 v146, v154, v128, -v146
	v_fma_f32 v159, v191, v130, -v159
	s_delay_alu instid0(VALU_DEP_4)
	v_fma_f32 v136, v147, v127, -v136
	v_mul_f32_e32 v147, v207, v134
	v_fma_f32 v143, v157, v128, -v143
	v_mul_f32_e32 v157, v211, v132
	;; [unrolled: 2-line block ×3, first 2 shown]
	v_fma_f32 v147, v155, v130, -v147
	v_dual_mul_f32 v155, v208, v132 :: v_dual_mul_f32 v154, v173, v133
	v_fma_f32 v149, v149, v128, -v157
	v_mul_f32_e32 v157, v212, v133
	s_delay_alu instid0(VALU_DEP_4) | instskip(NEXT) | instid1(VALU_DEP_4)
	v_add_f32_e32 v71, v71, v147
	v_fma_f32 v148, v148, v128, -v155
	v_mul_f32_e32 v155, v209, v133
	v_fma_f32 v154, v158, v129, -v154
	v_dual_mul_f32 v158, v176, v134 :: v_dual_add_f32 v73, v73, v145
	v_fma_f32 v156, v185, v130, -v156
	s_delay_alu instid0(VALU_DEP_4)
	v_fma_f32 v155, v183, v129, -v155
	v_fma_f32 v157, v186, v129, -v157
	;; [unrolled: 1-line block ×4, first 2 shown]
	v_add_f32_e32 v32, v32, v136
	v_add_f32_e32 v76, v76, v143
	v_dual_add_f32 v66, v66, v148 :: v_dual_add_f32 v65, v65, v155
	v_dual_add_f32 v64, v64, v156 :: v_dual_add_f32 v57, v57, v159
	;; [unrolled: 1-line block ×5, first 2 shown]
	v_add_f32_e32 v36, v36, v151
	v_dual_add_f32 v26, v26, v137 :: v_dual_add_f32 v23, v23, v162
	v_dual_add_f32 v22, v22, v144 :: v_dual_add_f32 v21, v21, v146
	;; [unrolled: 1-line block ×3, first 2 shown]
	s_cbranch_scc1 .LBB154_7
; %bb.8:                                ;   in Loop: Header=BB154_6 Depth=2
	s_mov_b32 s14, 1
	s_and_b32 vcc_lo, exec_lo, s1
	s_mov_b32 s1, 0
	s_barrier
	buffer_gl0_inv
	s_cbranch_vccz .LBB154_6
; %bb.9:                                ;   in Loop: Header=BB154_5 Depth=1
	s_add_i32 s5, s5, 1
	s_delay_alu instid0(SALU_CYCLE_1)
	s_cmp_eq_u32 s5, s4
	s_cbranch_scc0 .LBB154_5
; %bb.10:
	v_dual_mov_b32 v1, v29 :: v_dual_mov_b32 v0, v30
.LBB154_11:
	s_mov_b32 s0, exec_lo
	v_cmpx_gt_u32_e64 s6, v48
	s_cbranch_execz .LBB154_62
; %bb.12:
	s_delay_alu instid0(VALU_DEP_2) | instskip(SKIP_1) | instid1(VALU_DEP_2)
	v_add_nc_u32_e32 v0, s12, v0
	v_mul_lo_u32 v5, v48, s10
	v_cmp_gt_u32_e32 vcc_lo, s10, v0
	s_and_saveexec_b32 s1, vcc_lo
	s_cbranch_execz .LBB154_14
; %bb.13:
	s_delay_alu instid0(VALU_DEP_2) | instskip(SKIP_1) | instid1(VALU_DEP_2)
	v_dual_mov_b32 v3, 0 :: v_dual_add_nc_u32 v2, v0, v5
	v_cvt_f16_f32_e32 v4, v32
	v_lshlrev_b64 v[2:3], 1, v[2:3]
	s_waitcnt lgkmcnt(0)
	s_delay_alu instid0(VALU_DEP_1) | instskip(NEXT) | instid1(VALU_DEP_1)
	v_add_co_u32 v2, s0, s8, v2
	v_add_co_ci_u32_e64 v3, s0, s9, v3, s0
	global_store_b16 v[2:3], v4, off
.LBB154_14:
	s_or_b32 exec_lo, exec_lo, s1
	v_add_nc_u32_e32 v2, 32, v0
	s_delay_alu instid0(VALU_DEP_1) | instskip(NEXT) | instid1(VALU_DEP_1)
	v_cmp_gt_u32_e64 s0, s10, v2
	s_and_saveexec_b32 s2, s0
	s_cbranch_execz .LBB154_16
; %bb.15:
	v_dual_mov_b32 v4, 0 :: v_dual_add_nc_u32 v3, v2, v5
	v_cvt_f16_f32_e32 v6, v76
	s_delay_alu instid0(VALU_DEP_2) | instskip(SKIP_1) | instid1(VALU_DEP_1)
	v_lshlrev_b64 v[3:4], 1, v[3:4]
	s_waitcnt lgkmcnt(0)
	v_add_co_u32 v3, s1, s8, v3
	s_delay_alu instid0(VALU_DEP_1)
	v_add_co_ci_u32_e64 v4, s1, s9, v4, s1
	global_store_b16 v[3:4], v6, off
.LBB154_16:
	s_or_b32 exec_lo, exec_lo, s2
	v_add_nc_u32_e32 v3, 64, v0
	s_delay_alu instid0(VALU_DEP_1) | instskip(NEXT) | instid1(VALU_DEP_1)
	v_cmp_gt_u32_e64 s1, s10, v3
	s_and_saveexec_b32 s3, s1
	s_cbranch_execz .LBB154_18
; %bb.17:
	v_dual_mov_b32 v7, 0 :: v_dual_add_nc_u32 v6, v3, v5
	v_cvt_f16_f32_e32 v4, v73
	s_delay_alu instid0(VALU_DEP_2) | instskip(SKIP_1) | instid1(VALU_DEP_1)
	v_lshlrev_b64 v[6:7], 1, v[6:7]
	s_waitcnt lgkmcnt(0)
	v_add_co_u32 v6, s2, s8, v6
	s_delay_alu instid0(VALU_DEP_1)
	v_add_co_ci_u32_e64 v7, s2, s9, v7, s2
	global_store_b16 v[6:7], v4, off
.LBB154_18:
	s_or_b32 exec_lo, exec_lo, s3
	v_add_nc_u32_e32 v4, 0x60, v0
	s_delay_alu instid0(VALU_DEP_1) | instskip(NEXT) | instid1(VALU_DEP_1)
	v_cmp_gt_u32_e64 s2, s10, v4
	s_and_saveexec_b32 s4, s2
	s_cbranch_execz .LBB154_20
; %bb.19:
	v_dual_mov_b32 v6, 0 :: v_dual_add_nc_u32 v5, v4, v5
	v_cvt_f16_f32_e32 v7, v71
	s_delay_alu instid0(VALU_DEP_2) | instskip(SKIP_1) | instid1(VALU_DEP_1)
	v_lshlrev_b64 v[5:6], 1, v[5:6]
	s_waitcnt lgkmcnt(0)
	v_add_co_u32 v5, s3, s8, v5
	s_delay_alu instid0(VALU_DEP_1)
	v_add_co_ci_u32_e64 v6, s3, s9, v6, s3
	global_store_b16 v[5:6], v7, off
.LBB154_20:
	s_or_b32 exec_lo, exec_lo, s4
	v_add3_u32 v5, v1, s11, 8
	s_delay_alu instid0(VALU_DEP_1) | instskip(NEXT) | instid1(VALU_DEP_1)
	v_cmp_gt_u32_e64 s3, s6, v5
	s_and_b32 exec_lo, exec_lo, s3
	s_cbranch_execz .LBB154_62
; %bb.21:
	v_mul_lo_u32 v5, v5, s10
	s_and_saveexec_b32 s4, vcc_lo
	s_cbranch_execnz .LBB154_63
; %bb.22:
	s_or_b32 exec_lo, exec_lo, s4
	s_and_saveexec_b32 s4, s0
	s_cbranch_execnz .LBB154_64
.LBB154_23:
	s_or_b32 exec_lo, exec_lo, s4
	s_and_saveexec_b32 s4, s1
	s_cbranch_execnz .LBB154_65
.LBB154_24:
	s_or_b32 exec_lo, exec_lo, s4
	s_and_saveexec_b32 s4, s2
	s_cbranch_execz .LBB154_26
.LBB154_25:
	v_dual_mov_b32 v6, 0 :: v_dual_add_nc_u32 v5, v5, v4
	v_cvt_f16_f32_e32 v7, v64
	s_delay_alu instid0(VALU_DEP_2) | instskip(SKIP_1) | instid1(VALU_DEP_1)
	v_lshlrev_b64 v[5:6], 1, v[5:6]
	s_waitcnt lgkmcnt(0)
	v_add_co_u32 v5, s3, s8, v5
	s_delay_alu instid0(VALU_DEP_1)
	v_add_co_ci_u32_e64 v6, s3, s9, v6, s3
	global_store_b16 v[5:6], v7, off
.LBB154_26:
	s_or_b32 exec_lo, exec_lo, s4
	v_add3_u32 v5, v1, s11, 16
	s_delay_alu instid0(VALU_DEP_1) | instskip(NEXT) | instid1(VALU_DEP_1)
	v_cmp_gt_u32_e64 s3, s6, v5
	s_and_b32 exec_lo, exec_lo, s3
	s_cbranch_execz .LBB154_62
; %bb.27:
	v_mul_lo_u32 v5, v5, s10
	s_and_saveexec_b32 s4, vcc_lo
	s_cbranch_execnz .LBB154_66
; %bb.28:
	s_or_b32 exec_lo, exec_lo, s4
	s_and_saveexec_b32 s4, s0
	s_cbranch_execnz .LBB154_67
.LBB154_29:
	s_or_b32 exec_lo, exec_lo, s4
	s_and_saveexec_b32 s4, s1
	s_cbranch_execnz .LBB154_68
.LBB154_30:
	s_or_b32 exec_lo, exec_lo, s4
	s_and_saveexec_b32 s4, s2
	s_cbranch_execz .LBB154_32
.LBB154_31:
	v_dual_mov_b32 v6, 0 :: v_dual_add_nc_u32 v5, v5, v4
	v_cvt_f16_f32_e32 v7, v57
	s_delay_alu instid0(VALU_DEP_2) | instskip(SKIP_1) | instid1(VALU_DEP_1)
	v_lshlrev_b64 v[5:6], 1, v[5:6]
	s_waitcnt lgkmcnt(0)
	v_add_co_u32 v5, s3, s8, v5
	s_delay_alu instid0(VALU_DEP_1)
	v_add_co_ci_u32_e64 v6, s3, s9, v6, s3
	global_store_b16 v[5:6], v7, off
.LBB154_32:
	s_or_b32 exec_lo, exec_lo, s4
	v_add3_u32 v5, v1, s11, 24
	s_delay_alu instid0(VALU_DEP_1) | instskip(NEXT) | instid1(VALU_DEP_1)
	v_cmp_gt_u32_e64 s3, s6, v5
	s_and_b32 exec_lo, exec_lo, s3
	s_cbranch_execz .LBB154_62
; %bb.33:
	v_mul_lo_u32 v5, v5, s10
	s_and_saveexec_b32 s4, vcc_lo
	s_cbranch_execnz .LBB154_69
; %bb.34:
	s_or_b32 exec_lo, exec_lo, s4
	s_and_saveexec_b32 s4, s0
	s_cbranch_execnz .LBB154_70
.LBB154_35:
	s_or_b32 exec_lo, exec_lo, s4
	s_and_saveexec_b32 s4, s1
	s_cbranch_execnz .LBB154_71
.LBB154_36:
	s_or_b32 exec_lo, exec_lo, s4
	s_and_saveexec_b32 s4, s2
	s_cbranch_execz .LBB154_38
.LBB154_37:
	v_dual_mov_b32 v6, 0 :: v_dual_add_nc_u32 v5, v5, v4
	v_cvt_f16_f32_e32 v7, v40
	s_delay_alu instid0(VALU_DEP_2) | instskip(SKIP_1) | instid1(VALU_DEP_1)
	v_lshlrev_b64 v[5:6], 1, v[5:6]
	s_waitcnt lgkmcnt(0)
	v_add_co_u32 v5, s3, s8, v5
	s_delay_alu instid0(VALU_DEP_1)
	v_add_co_ci_u32_e64 v6, s3, s9, v6, s3
	global_store_b16 v[5:6], v7, off
.LBB154_38:
	s_or_b32 exec_lo, exec_lo, s4
	v_add3_u32 v5, v1, s11, 32
	s_delay_alu instid0(VALU_DEP_1) | instskip(NEXT) | instid1(VALU_DEP_1)
	v_cmp_gt_u32_e64 s3, s6, v5
	s_and_b32 exec_lo, exec_lo, s3
	s_cbranch_execz .LBB154_62
; %bb.39:
	v_mul_lo_u32 v5, v5, s10
	s_and_saveexec_b32 s4, vcc_lo
	s_cbranch_execnz .LBB154_72
; %bb.40:
	s_or_b32 exec_lo, exec_lo, s4
	s_and_saveexec_b32 s4, s0
	s_cbranch_execnz .LBB154_73
.LBB154_41:
	s_or_b32 exec_lo, exec_lo, s4
	s_and_saveexec_b32 s4, s1
	s_cbranch_execnz .LBB154_74
.LBB154_42:
	s_or_b32 exec_lo, exec_lo, s4
	s_and_saveexec_b32 s4, s2
	s_cbranch_execz .LBB154_44
.LBB154_43:
	v_dual_mov_b32 v6, 0 :: v_dual_add_nc_u32 v5, v5, v4
	v_cvt_f16_f32_e32 v7, v34
	s_delay_alu instid0(VALU_DEP_2) | instskip(SKIP_1) | instid1(VALU_DEP_1)
	v_lshlrev_b64 v[5:6], 1, v[5:6]
	s_waitcnt lgkmcnt(0)
	v_add_co_u32 v5, s3, s8, v5
	s_delay_alu instid0(VALU_DEP_1)
	v_add_co_ci_u32_e64 v6, s3, s9, v6, s3
	global_store_b16 v[5:6], v7, off
.LBB154_44:
	s_or_b32 exec_lo, exec_lo, s4
	v_add3_u32 v5, v1, s11, 40
	s_delay_alu instid0(VALU_DEP_1) | instskip(NEXT) | instid1(VALU_DEP_1)
	v_cmp_gt_u32_e64 s3, s6, v5
	s_and_b32 exec_lo, exec_lo, s3
	s_cbranch_execz .LBB154_62
; %bb.45:
	v_mul_lo_u32 v5, v5, s10
	s_and_saveexec_b32 s4, vcc_lo
	s_cbranch_execnz .LBB154_75
; %bb.46:
	s_or_b32 exec_lo, exec_lo, s4
	s_and_saveexec_b32 s4, s0
	s_cbranch_execnz .LBB154_76
.LBB154_47:
	s_or_b32 exec_lo, exec_lo, s4
	s_and_saveexec_b32 s4, s1
	s_cbranch_execnz .LBB154_77
.LBB154_48:
	s_or_b32 exec_lo, exec_lo, s4
	s_and_saveexec_b32 s4, s2
	s_cbranch_execz .LBB154_50
.LBB154_49:
	v_dual_mov_b32 v6, 0 :: v_dual_add_nc_u32 v5, v5, v4
	v_cvt_f16_f32_e32 v7, v27
	s_delay_alu instid0(VALU_DEP_2) | instskip(SKIP_1) | instid1(VALU_DEP_1)
	v_lshlrev_b64 v[5:6], 1, v[5:6]
	s_waitcnt lgkmcnt(0)
	v_add_co_u32 v5, s3, s8, v5
	s_delay_alu instid0(VALU_DEP_1)
	v_add_co_ci_u32_e64 v6, s3, s9, v6, s3
	global_store_b16 v[5:6], v7, off
.LBB154_50:
	s_or_b32 exec_lo, exec_lo, s4
	v_add3_u32 v5, v1, s11, 48
	s_delay_alu instid0(VALU_DEP_1) | instskip(NEXT) | instid1(VALU_DEP_1)
	v_cmp_gt_u32_e64 s3, s6, v5
	s_and_b32 exec_lo, exec_lo, s3
	s_cbranch_execz .LBB154_62
; %bb.51:
	v_mul_lo_u32 v5, v5, s10
	s_and_saveexec_b32 s4, vcc_lo
	s_cbranch_execnz .LBB154_78
; %bb.52:
	s_or_b32 exec_lo, exec_lo, s4
	s_and_saveexec_b32 s4, s0
	s_cbranch_execnz .LBB154_79
.LBB154_53:
	s_or_b32 exec_lo, exec_lo, s4
	s_and_saveexec_b32 s4, s1
	s_cbranch_execnz .LBB154_80
.LBB154_54:
	s_or_b32 exec_lo, exec_lo, s4
	s_and_saveexec_b32 s4, s2
	s_cbranch_execz .LBB154_56
.LBB154_55:
	v_dual_mov_b32 v6, 0 :: v_dual_add_nc_u32 v5, v5, v4
	v_cvt_f16_f32_e32 v7, v23
	s_delay_alu instid0(VALU_DEP_2) | instskip(SKIP_1) | instid1(VALU_DEP_1)
	v_lshlrev_b64 v[5:6], 1, v[5:6]
	s_waitcnt lgkmcnt(0)
	v_add_co_u32 v5, s3, s8, v5
	s_delay_alu instid0(VALU_DEP_1)
	v_add_co_ci_u32_e64 v6, s3, s9, v6, s3
	global_store_b16 v[5:6], v7, off
.LBB154_56:
	s_or_b32 exec_lo, exec_lo, s4
	v_add3_u32 v1, v1, s11, 56
	s_delay_alu instid0(VALU_DEP_1) | instskip(NEXT) | instid1(VALU_DEP_1)
	v_cmp_gt_u32_e64 s3, s6, v1
	s_and_b32 exec_lo, exec_lo, s3
	s_cbranch_execz .LBB154_62
; %bb.57:
	v_mul_lo_u32 v1, v1, s10
	s_and_saveexec_b32 s3, vcc_lo
	s_cbranch_execnz .LBB154_81
; %bb.58:
	s_or_b32 exec_lo, exec_lo, s3
	s_and_saveexec_b32 s3, s0
	s_cbranch_execnz .LBB154_82
.LBB154_59:
	s_or_b32 exec_lo, exec_lo, s3
	s_and_saveexec_b32 s0, s1
	s_cbranch_execnz .LBB154_83
.LBB154_60:
	s_or_b32 exec_lo, exec_lo, s0
	s_delay_alu instid0(SALU_CYCLE_1)
	s_and_b32 exec_lo, exec_lo, s2
	s_cbranch_execz .LBB154_62
.LBB154_61:
	v_dual_mov_b32 v1, 0 :: v_dual_add_nc_u32 v0, v1, v4
	v_cvt_f16_f32_e32 v2, v19
	s_delay_alu instid0(VALU_DEP_2) | instskip(SKIP_1) | instid1(VALU_DEP_1)
	v_lshlrev_b64 v[0:1], 1, v[0:1]
	s_waitcnt lgkmcnt(0)
	v_add_co_u32 v0, vcc_lo, s8, v0
	s_delay_alu instid0(VALU_DEP_2)
	v_add_co_ci_u32_e32 v1, vcc_lo, s9, v1, vcc_lo
	global_store_b16 v[0:1], v2, off
.LBB154_62:
	s_nop 0
	s_sendmsg sendmsg(MSG_DEALLOC_VGPRS)
	s_endpgm
.LBB154_63:
	s_delay_alu instid0(VALU_DEP_1) | instskip(SKIP_1) | instid1(VALU_DEP_2)
	v_dual_mov_b32 v7, 0 :: v_dual_add_nc_u32 v6, v5, v0
	v_cvt_f16_f32_e32 v8, v69
	v_lshlrev_b64 v[6:7], 1, v[6:7]
	s_waitcnt lgkmcnt(0)
	s_delay_alu instid0(VALU_DEP_1) | instskip(NEXT) | instid1(VALU_DEP_1)
	v_add_co_u32 v6, s3, s8, v6
	v_add_co_ci_u32_e64 v7, s3, s9, v7, s3
	global_store_b16 v[6:7], v8, off
	s_or_b32 exec_lo, exec_lo, s4
	s_and_saveexec_b32 s4, s0
	s_cbranch_execz .LBB154_23
.LBB154_64:
	s_delay_alu instid0(VALU_DEP_1) | instskip(SKIP_1) | instid1(VALU_DEP_2)
	v_dual_mov_b32 v7, 0 :: v_dual_add_nc_u32 v6, v5, v2
	v_cvt_f16_f32_e32 v8, v66
	v_lshlrev_b64 v[6:7], 1, v[6:7]
	s_waitcnt lgkmcnt(0)
	s_delay_alu instid0(VALU_DEP_1) | instskip(NEXT) | instid1(VALU_DEP_1)
	v_add_co_u32 v6, s3, s8, v6
	v_add_co_ci_u32_e64 v7, s3, s9, v7, s3
	global_store_b16 v[6:7], v8, off
	s_or_b32 exec_lo, exec_lo, s4
	s_and_saveexec_b32 s4, s1
	s_cbranch_execz .LBB154_24
.LBB154_65:
	v_dual_mov_b32 v7, 0 :: v_dual_add_nc_u32 v6, v5, v3
	v_cvt_f16_f32_e32 v8, v65
	s_delay_alu instid0(VALU_DEP_2) | instskip(SKIP_1) | instid1(VALU_DEP_1)
	v_lshlrev_b64 v[6:7], 1, v[6:7]
	s_waitcnt lgkmcnt(0)
	v_add_co_u32 v6, s3, s8, v6
	s_delay_alu instid0(VALU_DEP_1)
	v_add_co_ci_u32_e64 v7, s3, s9, v7, s3
	global_store_b16 v[6:7], v8, off
	s_or_b32 exec_lo, exec_lo, s4
	s_and_saveexec_b32 s4, s2
	s_cbranch_execnz .LBB154_25
	s_branch .LBB154_26
.LBB154_66:
	s_delay_alu instid0(VALU_DEP_1) | instskip(SKIP_1) | instid1(VALU_DEP_2)
	v_dual_mov_b32 v7, 0 :: v_dual_add_nc_u32 v6, v5, v0
	v_cvt_f16_f32_e32 v8, v63
	v_lshlrev_b64 v[6:7], 1, v[6:7]
	s_waitcnt lgkmcnt(0)
	s_delay_alu instid0(VALU_DEP_1) | instskip(NEXT) | instid1(VALU_DEP_1)
	v_add_co_u32 v6, s3, s8, v6
	v_add_co_ci_u32_e64 v7, s3, s9, v7, s3
	global_store_b16 v[6:7], v8, off
	s_or_b32 exec_lo, exec_lo, s4
	s_and_saveexec_b32 s4, s0
	s_cbranch_execz .LBB154_29
.LBB154_67:
	s_delay_alu instid0(VALU_DEP_1) | instskip(SKIP_1) | instid1(VALU_DEP_2)
	v_dual_mov_b32 v7, 0 :: v_dual_add_nc_u32 v6, v5, v2
	v_cvt_f16_f32_e32 v8, v62
	v_lshlrev_b64 v[6:7], 1, v[6:7]
	s_waitcnt lgkmcnt(0)
	s_delay_alu instid0(VALU_DEP_1) | instskip(NEXT) | instid1(VALU_DEP_1)
	v_add_co_u32 v6, s3, s8, v6
	v_add_co_ci_u32_e64 v7, s3, s9, v7, s3
	global_store_b16 v[6:7], v8, off
	s_or_b32 exec_lo, exec_lo, s4
	s_and_saveexec_b32 s4, s1
	s_cbranch_execz .LBB154_30
.LBB154_68:
	v_dual_mov_b32 v7, 0 :: v_dual_add_nc_u32 v6, v5, v3
	v_cvt_f16_f32_e32 v8, v60
	s_delay_alu instid0(VALU_DEP_2) | instskip(SKIP_1) | instid1(VALU_DEP_1)
	v_lshlrev_b64 v[6:7], 1, v[6:7]
	s_waitcnt lgkmcnt(0)
	v_add_co_u32 v6, s3, s8, v6
	s_delay_alu instid0(VALU_DEP_1)
	v_add_co_ci_u32_e64 v7, s3, s9, v7, s3
	global_store_b16 v[6:7], v8, off
	s_or_b32 exec_lo, exec_lo, s4
	s_and_saveexec_b32 s4, s2
	s_cbranch_execnz .LBB154_31
	s_branch .LBB154_32
.LBB154_69:
	s_delay_alu instid0(VALU_DEP_1) | instskip(SKIP_1) | instid1(VALU_DEP_2)
	v_dual_mov_b32 v7, 0 :: v_dual_add_nc_u32 v6, v5, v0
	v_cvt_f16_f32_e32 v8, v52
	v_lshlrev_b64 v[6:7], 1, v[6:7]
	s_waitcnt lgkmcnt(0)
	s_delay_alu instid0(VALU_DEP_1) | instskip(NEXT) | instid1(VALU_DEP_1)
	v_add_co_u32 v6, s3, s8, v6
	v_add_co_ci_u32_e64 v7, s3, s9, v7, s3
	global_store_b16 v[6:7], v8, off
	s_or_b32 exec_lo, exec_lo, s4
	s_and_saveexec_b32 s4, s0
	s_cbranch_execz .LBB154_35
.LBB154_70:
	s_delay_alu instid0(VALU_DEP_1) | instskip(SKIP_1) | instid1(VALU_DEP_2)
	v_dual_mov_b32 v7, 0 :: v_dual_add_nc_u32 v6, v5, v2
	v_cvt_f16_f32_e32 v8, v47
	v_lshlrev_b64 v[6:7], 1, v[6:7]
	s_waitcnt lgkmcnt(0)
	s_delay_alu instid0(VALU_DEP_1) | instskip(NEXT) | instid1(VALU_DEP_1)
	v_add_co_u32 v6, s3, s8, v6
	v_add_co_ci_u32_e64 v7, s3, s9, v7, s3
	global_store_b16 v[6:7], v8, off
	s_or_b32 exec_lo, exec_lo, s4
	s_and_saveexec_b32 s4, s1
	s_cbranch_execz .LBB154_36
.LBB154_71:
	v_dual_mov_b32 v7, 0 :: v_dual_add_nc_u32 v6, v5, v3
	v_cvt_f16_f32_e32 v8, v41
	s_delay_alu instid0(VALU_DEP_2) | instskip(SKIP_1) | instid1(VALU_DEP_1)
	v_lshlrev_b64 v[6:7], 1, v[6:7]
	s_waitcnt lgkmcnt(0)
	v_add_co_u32 v6, s3, s8, v6
	s_delay_alu instid0(VALU_DEP_1)
	v_add_co_ci_u32_e64 v7, s3, s9, v7, s3
	global_store_b16 v[6:7], v8, off
	s_or_b32 exec_lo, exec_lo, s4
	s_and_saveexec_b32 s4, s2
	s_cbranch_execnz .LBB154_37
	s_branch .LBB154_38
.LBB154_72:
	s_delay_alu instid0(VALU_DEP_1) | instskip(SKIP_1) | instid1(VALU_DEP_2)
	v_dual_mov_b32 v7, 0 :: v_dual_add_nc_u32 v6, v5, v0
	v_cvt_f16_f32_e32 v8, v37
	v_lshlrev_b64 v[6:7], 1, v[6:7]
	s_waitcnt lgkmcnt(0)
	s_delay_alu instid0(VALU_DEP_1) | instskip(NEXT) | instid1(VALU_DEP_1)
	v_add_co_u32 v6, s3, s8, v6
	v_add_co_ci_u32_e64 v7, s3, s9, v7, s3
	global_store_b16 v[6:7], v8, off
	s_or_b32 exec_lo, exec_lo, s4
	s_and_saveexec_b32 s4, s0
	s_cbranch_execz .LBB154_41
.LBB154_73:
	s_delay_alu instid0(VALU_DEP_1) | instskip(SKIP_1) | instid1(VALU_DEP_2)
	v_dual_mov_b32 v7, 0 :: v_dual_add_nc_u32 v6, v5, v2
	v_cvt_f16_f32_e32 v8, v36
	v_lshlrev_b64 v[6:7], 1, v[6:7]
	s_waitcnt lgkmcnt(0)
	s_delay_alu instid0(VALU_DEP_1) | instskip(NEXT) | instid1(VALU_DEP_1)
	v_add_co_u32 v6, s3, s8, v6
	v_add_co_ci_u32_e64 v7, s3, s9, v7, s3
	global_store_b16 v[6:7], v8, off
	s_or_b32 exec_lo, exec_lo, s4
	s_and_saveexec_b32 s4, s1
	s_cbranch_execz .LBB154_42
.LBB154_74:
	v_dual_mov_b32 v7, 0 :: v_dual_add_nc_u32 v6, v5, v3
	v_cvt_f16_f32_e32 v8, v35
	s_delay_alu instid0(VALU_DEP_2) | instskip(SKIP_1) | instid1(VALU_DEP_1)
	v_lshlrev_b64 v[6:7], 1, v[6:7]
	s_waitcnt lgkmcnt(0)
	v_add_co_u32 v6, s3, s8, v6
	s_delay_alu instid0(VALU_DEP_1)
	v_add_co_ci_u32_e64 v7, s3, s9, v7, s3
	global_store_b16 v[6:7], v8, off
	s_or_b32 exec_lo, exec_lo, s4
	s_and_saveexec_b32 s4, s2
	s_cbranch_execnz .LBB154_43
	s_branch .LBB154_44
.LBB154_75:
	s_delay_alu instid0(VALU_DEP_1) | instskip(SKIP_1) | instid1(VALU_DEP_2)
	v_dual_mov_b32 v7, 0 :: v_dual_add_nc_u32 v6, v5, v0
	v_cvt_f16_f32_e32 v8, v33
	v_lshlrev_b64 v[6:7], 1, v[6:7]
	s_waitcnt lgkmcnt(0)
	s_delay_alu instid0(VALU_DEP_1) | instskip(NEXT) | instid1(VALU_DEP_1)
	v_add_co_u32 v6, s3, s8, v6
	v_add_co_ci_u32_e64 v7, s3, s9, v7, s3
	global_store_b16 v[6:7], v8, off
	s_or_b32 exec_lo, exec_lo, s4
	s_and_saveexec_b32 s4, s0
	s_cbranch_execz .LBB154_47
.LBB154_76:
	s_delay_alu instid0(VALU_DEP_1) | instskip(SKIP_1) | instid1(VALU_DEP_2)
	v_dual_mov_b32 v7, 0 :: v_dual_add_nc_u32 v6, v5, v2
	v_cvt_f16_f32_e32 v8, v31
	v_lshlrev_b64 v[6:7], 1, v[6:7]
	s_waitcnt lgkmcnt(0)
	s_delay_alu instid0(VALU_DEP_1) | instskip(NEXT) | instid1(VALU_DEP_1)
	v_add_co_u32 v6, s3, s8, v6
	v_add_co_ci_u32_e64 v7, s3, s9, v7, s3
	global_store_b16 v[6:7], v8, off
	s_or_b32 exec_lo, exec_lo, s4
	s_and_saveexec_b32 s4, s1
	s_cbranch_execz .LBB154_48
.LBB154_77:
	v_dual_mov_b32 v7, 0 :: v_dual_add_nc_u32 v6, v5, v3
	v_cvt_f16_f32_e32 v8, v28
	s_delay_alu instid0(VALU_DEP_2) | instskip(SKIP_1) | instid1(VALU_DEP_1)
	v_lshlrev_b64 v[6:7], 1, v[6:7]
	s_waitcnt lgkmcnt(0)
	v_add_co_u32 v6, s3, s8, v6
	s_delay_alu instid0(VALU_DEP_1)
	v_add_co_ci_u32_e64 v7, s3, s9, v7, s3
	global_store_b16 v[6:7], v8, off
	s_or_b32 exec_lo, exec_lo, s4
	s_and_saveexec_b32 s4, s2
	s_cbranch_execnz .LBB154_49
	s_branch .LBB154_50
.LBB154_78:
	s_delay_alu instid0(VALU_DEP_1) | instskip(SKIP_1) | instid1(VALU_DEP_2)
	v_dual_mov_b32 v7, 0 :: v_dual_add_nc_u32 v6, v5, v0
	v_cvt_f16_f32_e32 v8, v26
	v_lshlrev_b64 v[6:7], 1, v[6:7]
	s_waitcnt lgkmcnt(0)
	s_delay_alu instid0(VALU_DEP_1) | instskip(NEXT) | instid1(VALU_DEP_1)
	v_add_co_u32 v6, s3, s8, v6
	v_add_co_ci_u32_e64 v7, s3, s9, v7, s3
	global_store_b16 v[6:7], v8, off
	s_or_b32 exec_lo, exec_lo, s4
	s_and_saveexec_b32 s4, s0
	s_cbranch_execz .LBB154_53
.LBB154_79:
	s_delay_alu instid0(VALU_DEP_1) | instskip(SKIP_1) | instid1(VALU_DEP_2)
	v_dual_mov_b32 v7, 0 :: v_dual_add_nc_u32 v6, v5, v2
	v_cvt_f16_f32_e32 v8, v25
	v_lshlrev_b64 v[6:7], 1, v[6:7]
	s_waitcnt lgkmcnt(0)
	s_delay_alu instid0(VALU_DEP_1) | instskip(NEXT) | instid1(VALU_DEP_1)
	v_add_co_u32 v6, s3, s8, v6
	v_add_co_ci_u32_e64 v7, s3, s9, v7, s3
	global_store_b16 v[6:7], v8, off
	s_or_b32 exec_lo, exec_lo, s4
	s_and_saveexec_b32 s4, s1
	s_cbranch_execz .LBB154_54
.LBB154_80:
	v_dual_mov_b32 v7, 0 :: v_dual_add_nc_u32 v6, v5, v3
	v_cvt_f16_f32_e32 v8, v24
	s_delay_alu instid0(VALU_DEP_2) | instskip(SKIP_1) | instid1(VALU_DEP_1)
	v_lshlrev_b64 v[6:7], 1, v[6:7]
	s_waitcnt lgkmcnt(0)
	v_add_co_u32 v6, s3, s8, v6
	s_delay_alu instid0(VALU_DEP_1)
	v_add_co_ci_u32_e64 v7, s3, s9, v7, s3
	global_store_b16 v[6:7], v8, off
	s_or_b32 exec_lo, exec_lo, s4
	s_and_saveexec_b32 s4, s2
	s_cbranch_execnz .LBB154_55
	s_branch .LBB154_56
.LBB154_81:
	s_delay_alu instid0(VALU_DEP_1) | instskip(SKIP_1) | instid1(VALU_DEP_2)
	v_dual_mov_b32 v6, 0 :: v_dual_add_nc_u32 v5, v1, v0
	v_cvt_f16_f32_e32 v0, v22
	v_lshlrev_b64 v[5:6], 1, v[5:6]
	s_waitcnt lgkmcnt(0)
	s_delay_alu instid0(VALU_DEP_1) | instskip(NEXT) | instid1(VALU_DEP_2)
	v_add_co_u32 v5, vcc_lo, s8, v5
	v_add_co_ci_u32_e32 v6, vcc_lo, s9, v6, vcc_lo
	global_store_b16 v[5:6], v0, off
	s_or_b32 exec_lo, exec_lo, s3
	s_and_saveexec_b32 s3, s0
	s_cbranch_execz .LBB154_59
.LBB154_82:
	s_delay_alu instid0(VALU_DEP_1) | instskip(SKIP_1) | instid1(VALU_DEP_2)
	v_dual_mov_b32 v6, 0 :: v_dual_add_nc_u32 v5, v1, v2
	v_cvt_f16_f32_e32 v0, v21
	v_lshlrev_b64 v[5:6], 1, v[5:6]
	s_waitcnt lgkmcnt(0)
	s_delay_alu instid0(VALU_DEP_1) | instskip(NEXT) | instid1(VALU_DEP_2)
	v_add_co_u32 v5, vcc_lo, s8, v5
	v_add_co_ci_u32_e32 v6, vcc_lo, s9, v6, vcc_lo
	global_store_b16 v[5:6], v0, off
	s_or_b32 exec_lo, exec_lo, s3
	s_and_saveexec_b32 s0, s1
	s_cbranch_execz .LBB154_60
.LBB154_83:
	v_dual_mov_b32 v3, 0 :: v_dual_add_nc_u32 v2, v1, v3
	v_cvt_f16_f32_e32 v0, v20
	s_delay_alu instid0(VALU_DEP_2) | instskip(SKIP_1) | instid1(VALU_DEP_1)
	v_lshlrev_b64 v[2:3], 1, v[2:3]
	s_waitcnt lgkmcnt(0)
	v_add_co_u32 v2, vcc_lo, s8, v2
	s_delay_alu instid0(VALU_DEP_2) | instskip(SKIP_2) | instid1(SALU_CYCLE_1)
	v_add_co_ci_u32_e32 v3, vcc_lo, s9, v3, vcc_lo
	global_store_b16 v[2:3], v0, off
	s_or_b32 exec_lo, exec_lo, s0
	s_and_b32 exec_lo, exec_lo, s2
	s_cbranch_execnz .LBB154_61
	s_branch .LBB154_62
	.section	.rodata,"a",@progbits
	.p2align	6, 0x0
	.amdhsa_kernel _ZL12mul_mat_q5_KIN3c104HalfELb1EEvPKvS3_PT_iiiii
		.amdhsa_group_segment_fixed_size 45136
		.amdhsa_private_segment_fixed_size 0
		.amdhsa_kernarg_size 44
		.amdhsa_user_sgpr_count 14
		.amdhsa_user_sgpr_dispatch_ptr 0
		.amdhsa_user_sgpr_queue_ptr 0
		.amdhsa_user_sgpr_kernarg_segment_ptr 1
		.amdhsa_user_sgpr_dispatch_id 0
		.amdhsa_user_sgpr_private_segment_size 0
		.amdhsa_wavefront_size32 1
		.amdhsa_uses_dynamic_stack 0
		.amdhsa_enable_private_segment 0
		.amdhsa_system_sgpr_workgroup_id_x 1
		.amdhsa_system_sgpr_workgroup_id_y 1
		.amdhsa_system_sgpr_workgroup_id_z 0
		.amdhsa_system_sgpr_workgroup_info 0
		.amdhsa_system_vgpr_workitem_id 1
		.amdhsa_next_free_vgpr 248
		.amdhsa_next_free_sgpr 18
		.amdhsa_reserve_vcc 1
		.amdhsa_float_round_mode_32 0
		.amdhsa_float_round_mode_16_64 0
		.amdhsa_float_denorm_mode_32 3
		.amdhsa_float_denorm_mode_16_64 3
		.amdhsa_dx10_clamp 1
		.amdhsa_ieee_mode 1
		.amdhsa_fp16_overflow 0
		.amdhsa_workgroup_processor_mode 1
		.amdhsa_memory_ordered 1
		.amdhsa_forward_progress 0
		.amdhsa_shared_vgpr_count 0
		.amdhsa_exception_fp_ieee_invalid_op 0
		.amdhsa_exception_fp_denorm_src 0
		.amdhsa_exception_fp_ieee_div_zero 0
		.amdhsa_exception_fp_ieee_overflow 0
		.amdhsa_exception_fp_ieee_underflow 0
		.amdhsa_exception_fp_ieee_inexact 0
		.amdhsa_exception_int_div_zero 0
	.end_amdhsa_kernel
	.section	.text._ZL12mul_mat_q5_KIN3c104HalfELb1EEvPKvS3_PT_iiiii,"axG",@progbits,_ZL12mul_mat_q5_KIN3c104HalfELb1EEvPKvS3_PT_iiiii,comdat
.Lfunc_end154:
	.size	_ZL12mul_mat_q5_KIN3c104HalfELb1EEvPKvS3_PT_iiiii, .Lfunc_end154-_ZL12mul_mat_q5_KIN3c104HalfELb1EEvPKvS3_PT_iiiii
                                        ; -- End function
	.section	.AMDGPU.csdata,"",@progbits
; Kernel info:
; codeLenInByte = 16208
; NumSgprs: 20
; NumVgprs: 248
; ScratchSize: 0
; MemoryBound: 0
; FloatMode: 240
; IeeeMode: 1
; LDSByteSize: 45136 bytes/workgroup (compile time only)
; SGPRBlocks: 2
; VGPRBlocks: 30
; NumSGPRsForWavesPerEU: 20
; NumVGPRsForWavesPerEU: 248
; Occupancy: 4
; WaveLimiterHint : 0
; COMPUTE_PGM_RSRC2:SCRATCH_EN: 0
; COMPUTE_PGM_RSRC2:USER_SGPR: 14
; COMPUTE_PGM_RSRC2:TRAP_HANDLER: 0
; COMPUTE_PGM_RSRC2:TGID_X_EN: 1
; COMPUTE_PGM_RSRC2:TGID_Y_EN: 1
; COMPUTE_PGM_RSRC2:TGID_Z_EN: 0
; COMPUTE_PGM_RSRC2:TIDIG_COMP_CNT: 1
	.section	.text._ZL12mul_mat_q6_KIN3c104HalfELb0EEvPKvS3_PT_iiiii,"axG",@progbits,_ZL12mul_mat_q6_KIN3c104HalfELb0EEvPKvS3_PT_iiiii,comdat
	.globl	_ZL12mul_mat_q6_KIN3c104HalfELb0EEvPKvS3_PT_iiiii ; -- Begin function _ZL12mul_mat_q6_KIN3c104HalfELb0EEvPKvS3_PT_iiiii
	.p2align	8
	.type	_ZL12mul_mat_q6_KIN3c104HalfELb0EEvPKvS3_PT_iiiii,@function
_ZL12mul_mat_q6_KIN3c104HalfELb0EEvPKvS3_PT_iiiii: ; @_ZL12mul_mat_q6_KIN3c104HalfELb0EEvPKvS3_PT_iiiii
; %bb.0:
	s_clause 0x1
	s_load_b32 s11, s[0:1], 0x18
	s_load_b128 s[4:7], s[0:1], 0x20
	v_bfe_u32 v30, v0, 10, 10
	v_and_b32_e32 v31, 0x3ff, v0
	s_waitcnt lgkmcnt(0)
	s_lshl_b32 s7, s15, 6
	s_cmpk_gt_i32 s11, 0xff
	s_cbranch_scc1 .LBB155_2
; %bb.1:
	v_bfe_u32 v1, v0, 10, 10
	v_and_b32_e32 v0, 0x3ff, v0
	s_mov_b32 s2, 0
	s_mov_b32 s3, 0
	s_delay_alu instid0(VALU_DEP_2)
	v_add_nc_u32_e32 v2, s7, v1
	s_branch .LBB155_3
.LBB155_2:
	s_mov_b32 s2, -1
                                        ; implicit-def: $sgpr3
                                        ; implicit-def: $vgpr1
                                        ; implicit-def: $vgpr0
                                        ; implicit-def: $vgpr2
.LBB155_3:
	s_load_b64 s[8:9], s[0:1], 0x10
	v_dual_mov_b32 v17, s3 :: v_dual_mov_b32 v36, s3
	v_dual_mov_b32 v21, s3 :: v_dual_mov_b32 v42, s3
	;; [unrolled: 1-line block ×15, first 2 shown]
	v_mov_b32_e32 v55, s3
	v_mov_b32_e32 v33, s3
	s_and_not1_b32 vcc_lo, exec_lo, s2
	s_lshl_b32 s10, s14, 7
	s_cbranch_vccnz .LBB155_11
; %bb.4:
	s_load_b128 s[0:3], s[0:1], 0x0
	s_ashr_i32 s12, s11, 31
	s_ashr_i32 s13, s5, 31
	s_lshr_b32 s12, s12, 24
	v_dual_mov_b32 v33, 0 :: v_dual_and_b32 v18, 31, v31
	s_add_i32 s11, s11, s12
	s_lshr_b32 s12, s13, 27
	s_ashr_i32 s11, s11, 8
	s_add_i32 s5, s5, s12
	s_mul_i32 s12, s11, s10
	v_dual_mov_b32 v46, 0 :: v_dual_add_nc_u32 v13, s7, v30
	s_ashr_i32 s13, s5, 5
	s_mul_i32 s5, s12, 0xd2
	v_cmp_lt_u32_e32 vcc_lo, 15, v18
	s_mul_hi_i32 s12, s12, 0xd2
	v_add_nc_u16 v23, v18, -16
	v_mul_i32_i24_e32 v26, s11, v30
	v_cvt_f64_u32_e32 v[0:1], v13
	s_waitcnt lgkmcnt(0)
	s_add_u32 s5, s0, s5
	s_addc_u32 s12, s1, s12
	s_lshl_b32 s0, s11, 3
	v_cndmask_b32_e64 v16, 0, 1, vcc_lo
	v_mad_i32_i24 v5, s11, v30, s0
	v_cmp_gt_u32_e32 vcc_lo, 16, v18
	v_add_nc_u32_e32 v4, 8, v13
	s_add_i32 s1, s4, -1
	v_dual_mov_b32 v55, 0 :: v_dual_lshlrev_b32 v44, 5, v30
	v_cvt_f64_i32_e32 v[2:3], s1
	scratch_store_b32 off, v5, off          ; 4-byte Folded Spill
	v_dual_mov_b32 v35, 0 :: v_dual_add_nc_u32 v50, s0, v5
	v_cndmask_b32_e32 v23, v23, v18, vcc_lo
	v_cvt_f64_u32_e32 v[4:5], v4
	v_dual_mov_b32 v41, 0 :: v_dual_add_nc_u32 v6, 16, v13
	s_delay_alu instid0(VALU_DEP_4) | instskip(SKIP_2) | instid1(VALU_DEP_4)
	v_dual_mov_b32 v45, 0 :: v_dual_add_nc_u32 v52, s0, v50
	v_dual_mov_b32 v43, 0 :: v_dual_add_nc_u32 v24, v44, v31
	;; [unrolled: 1-line block ×3, first 2 shown]
	v_cvt_f64_u32_e32 v[6:7], v6
	v_lshrrev_b32_e32 v28, 5, v31
	v_and_b32_e32 v19, 7, v31
	v_add_nc_u32_e32 v54, s0, v52
	v_dual_mov_b32 v34, 0 :: v_dual_lshlrev_b32 v25, 5, v16
	v_dual_mov_b32 v32, 0 :: v_dual_and_b32 v27, 0x7f, v24
	v_cvt_f64_u32_e32 v[8:9], v8
	v_mov_b32_e32 v48, v28
	s_delay_alu instid0(VALU_DEP_4) | instskip(NEXT) | instid1(VALU_DEP_4)
	v_lshl_or_b32 v64, v19, 2, v25
	v_mul_i32_i24_e32 v19, s11, v27
	v_cmp_lt_u16_e32 vcc_lo, 7, v23
	v_dual_mov_b32 v39, 0 :: v_dual_add_nc_u32 v10, 32, v13
	v_add_nc_u32_e32 v12, 40, v13
	v_dual_mov_b32 v49, 0 :: v_dual_add_nc_u32 v14, 48, v13
	v_add_nc_u32_e32 v17, 56, v13
	v_cndmask_b32_e64 v23, 0, 1, vcc_lo
	v_cvt_f64_u32_e32 v[10:11], v10
	scratch_store_b32 off, v13, off offset:36 ; 4-byte Folded Spill
	v_cvt_f64_u32_e32 v[14:15], v14
	v_cvt_f64_u32_e32 v[16:17], v17
	v_lshlrev_b32_e32 v65, 1, v23
	v_mov_b32_e32 v23, 0
	v_cvt_f64_u32_e32 v[12:13], v12
	v_min_f64 v[0:1], v[0:1], v[2:3]
	v_lshlrev_b32_e32 v21, 3, v30
	v_min_f64 v[4:5], v[4:5], v[2:3]
	v_lshrrev_b32_e32 v22, 2, v31
	v_mul_u32_u24_e32 v20, 0x41, v30
	v_mov_b32_e32 v36, 0
	v_add_nc_u32_e32 v98, 0x200, v44
	v_add_nc_u32_e32 v102, 0x300, v44
	;; [unrolled: 1-line block ×5, first 2 shown]
	v_min_f64 v[6:7], v[6:7], v[2:3]
	v_add_nc_u32_e32 v96, 0x100, v44
	v_add_nc_u32_e32 v113, 0x700, v44
	v_lshlrev_b32_e32 v53, 2, v18
	v_mul_u32_u24_e32 v125, 0x104, v31
	v_mov_b32_e32 v86, 0
	v_mov_b32_e32 v70, 0
	;; [unrolled: 1-line block ×3, first 2 shown]
	v_min_f64 v[8:9], v[8:9], v[2:3]
	v_dual_mov_b32 v47, 0 :: v_dual_mov_b32 v58, 0
	v_dual_mov_b32 v42, 0 :: v_dual_mov_b32 v29, 0
	scratch_store_b32 off, v19, off offset:12 ; 4-byte Folded Spill
	v_add_nc_u16 v19, v22, v21
	v_min_f64 v[10:11], v[10:11], v[2:3]
	v_min_f64 v[14:15], v[14:15], v[2:3]
	;; [unrolled: 1-line block ×4, first 2 shown]
	v_add_nc_u32_e32 v17, v22, v21
	v_cvt_i32_f64_e32 v4, v[4:5]
	v_lshlrev_b32_e32 v5, 2, v27
	v_dual_mov_b32 v27, 0 :: v_dual_add_nc_u32 v56, s0, v54
	s_delay_alu instid0(VALU_DEP_4) | instskip(SKIP_2) | instid1(VALU_DEP_4)
	v_and_b32_e32 v21, 0x7f, v17
	v_cvt_i32_f64_e32 v22, v[0:1]
	v_lshrrev_b16 v0, 1, v19
	v_add_nc_u32_e32 v57, s0, v56
	v_cvt_i32_f64_e32 v6, v[6:7]
	v_xor_b32_e32 v7, 64, v21
	s_delay_alu instid0(VALU_DEP_4) | instskip(NEXT) | instid1(VALU_DEP_4)
	v_and_b32_e32 v0, 60, v0
	v_add_nc_u32_e32 v59, s0, v57
	s_delay_alu instid0(VALU_DEP_1) | instskip(NEXT) | instid1(VALU_DEP_1)
	v_add_nc_u32_e32 v61, s0, v59
	v_add_nc_u32_e32 v63, s0, v61
	s_delay_alu instid0(VALU_DEP_1) | instskip(NEXT) | instid1(VALU_DEP_1)
	v_add_nc_u32_e32 v66, s0, v63
	v_add_nc_u32_e32 v71, s0, v66
	s_delay_alu instid0(VALU_DEP_1) | instskip(SKIP_2) | instid1(VALU_DEP_3)
	v_add_nc_u32_e32 v75, s0, v71
	v_mul_lo_u32 v101, s13, v4
	v_or_b32_e32 v4, v105, v18
	v_add_nc_u32_e32 v79, s0, v75
	v_mul_lo_u32 v99, s13, v22
	s_delay_alu instid0(VALU_DEP_3)
	v_lshl_add_u32 v112, v4, 2, 0x8200
	v_or_b32_e32 v4, v109, v18
	v_mul_lo_u32 v104, s13, v6
	v_add_nc_u32_e32 v82, s0, v79
	v_add_nc_u32_e32 v6, 0x60, v31
	v_mov_b32_e32 v22, 0
	v_lshl_add_u32 v117, v4, 2, 0x8200
	v_add_nc_u32_e32 v4, 32, v31
	v_add_nc_u32_e32 v16, s0, v82
	scratch_store_b32 off, v26, off offset:4 ; 4-byte Folded Spill
	v_and_or_b32 v26, v31, 15, v25
	v_mov_b32_e32 v25, 0
	s_clause 0x1
	scratch_store_b32 off, v16, off offset:8
	scratch_store_b32 off, v30, off offset:32
	v_and_b32_e32 v16, 3, v31
	v_add_lshl_u32 v62, v26, v20, 2
	v_lshrrev_b32_e32 v20, 3, v24
	v_mov_b32_e32 v24, 0
	v_mov_b32_e32 v26, 0
	v_lshlrev_b32_e32 v90, 2, v16
	s_delay_alu instid0(VALU_DEP_4) | instskip(NEXT) | instid1(VALU_DEP_2)
	v_dual_mov_b32 v20, 0 :: v_dual_and_b32 v1, 12, v20
	v_lshl_or_b32 v19, v21, 4, v90
	s_delay_alu instid0(VALU_DEP_2) | instskip(SKIP_2) | instid1(VALU_DEP_4)
	v_add3_u32 v1, v5, v1, 0xae40
	v_cvt_i32_f64_e32 v5, v[8:9]
	v_and_b32_e32 v8, 63, v17
	v_add3_u32 v0, v19, v0, 0xa200
	v_cvt_i32_f64_e32 v9, v[10:11]
	scratch_store_b32 off, v1, off offset:16 ; 4-byte Folded Spill
	v_mul_i32_i24_e32 v1, s11, v21
	v_cvt_i32_f64_e32 v11, v[12:13]
	scratch_store_b32 off, v0, off offset:24 ; 4-byte Folded Spill
	v_mul_i32_i24_e32 v0, s11, v7
	v_cvt_i32_f64_e32 v13, v[14:15]
	scratch_store_b32 off, v1, off offset:20 ; 4-byte Folded Spill
	v_lshl_or_b32 v1, v7, 4, v90
	v_cvt_i32_f64_e32 v14, v[2:3]
	scratch_store_b32 off, v0, off offset:28 ; 4-byte Folded Spill
	v_lshrrev_b32_e32 v0, 1, v7
	v_or_b32_e32 v7, s7, v8
	v_dual_mov_b32 v21, 0 :: v_dual_lshlrev_b32 v10, 2, v31
	s_delay_alu instid0(VALU_DEP_3) | instskip(NEXT) | instid1(VALU_DEP_3)
	v_dual_mov_b32 v19, 0 :: v_dual_and_b32 v0, 60, v0
	v_min_i32_e32 v7, s1, v7
	s_delay_alu instid0(VALU_DEP_3) | instskip(NEXT) | instid1(VALU_DEP_3)
	v_and_b32_e32 v12, 28, v10
	v_add3_u32 v95, v1, v0, 0xa200
	s_delay_alu instid0(VALU_DEP_3)
	v_mad_u64_u32 v[2:3], null, v7, s13, v[16:17]
	v_or_b32_e32 v3, v44, v18
	v_or_b32_e32 v7, v96, v18
	v_mov_b32_e32 v17, 0
	v_lshl_or_b32 v8, v8, 4, v90
	v_add_co_u32 v0, s0, s2, v12
	v_lshl_add_u32 v100, v3, 2, 0x8200
	v_or_b32_e32 v3, v98, v18
	s_delay_alu instid0(VALU_DEP_4)
	v_add_nc_u32_e32 v97, 0xaa40, v8
	v_lshl_add_u32 v103, v7, 2, 0x8200
	v_lshrrev_b32_e32 v8, 3, v6
	v_mul_lo_u32 v107, s13, v5
	v_lshl_add_u32 v106, v3, 2, 0x8200
	v_or_b32_e32 v3, v102, v18
	v_add_nc_u32_e32 v5, 64, v31
	v_and_b32_e32 v8, 60, v8
	v_mul_lo_u32 v111, s13, v9
	v_lshrrev_b32_e32 v9, 1, v31
	v_lshl_add_u32 v110, v3, 2, 0x8200
	v_or_b32_e32 v3, v108, v18
	v_lshrrev_b32_e32 v7, 3, v5
	v_add3_u32 v123, v10, v8, 0xae40
	v_lshrrev_b32_e32 v8, 1, v6
	v_mul_lo_u32 v114, s13, v11
	v_lshl_add_u32 v115, v3, 2, 0x8200
	v_or_b32_e32 v3, v113, v18
	v_and_b32_e32 v7, 60, v7
	v_lshlrev_b32_e32 v11, 2, v28
	v_and_b32_e32 v9, 0x7c, v9
	v_lshlrev_b32_e32 v12, 4, v31
	v_lshl_add_u32 v119, v3, 2, 0x8200
	v_lshrrev_b32_e32 v3, 3, v4
	v_add3_u32 v122, v10, v7, 0xae40
	v_lshrrev_b32_e32 v7, 1, v5
	v_lshlrev_b32_e32 v5, 4, v5
	v_and_b32_e32 v8, 0xfc, v8
	v_and_b32_e32 v3, 60, v3
	v_lshlrev_b32_e32 v6, 4, v6
	v_and_b32_e32 v7, 0xfc, v7
	v_mul_lo_u32 v116, s13, v13
	v_mul_lo_u32 v118, s13, v14
	v_add3_u32 v121, v10, v3, 0xae40
	v_lshrrev_b32_e32 v3, 1, v4
	v_lshlrev_b32_e32 v4, 4, v4
	v_add_co_ci_u32_e64 v1, null, s3, 0, s0
	s_movk_i32 s0, 0x104
	s_delay_alu instid0(VALU_DEP_3)
	v_and_b32_e32 v3, 0xfc, v3
	v_add3_u32 v120, v11, v10, 0xae40
	v_add3_u32 v124, v12, v9, 0xa200
	v_mad_u32_u24 v127, v31, s0, 0x2080
	v_add3_u32 v128, v5, v7, 0xa200
	v_add3_u32 v126, v4, v3, 0xa200
	v_mad_u32_u24 v129, v31, s0, 0x4100
	v_add3_u32 v130, v6, v8, 0xa200
	v_mad_u32_u24 v131, v31, s0, 0x6180
	v_mov_b32_e32 v28, 0
	v_mov_b32_e32 v18, 0
	s_mov_b32 s13, 0
.LBB155_5:                              ; =>This Loop Header: Depth=1
                                        ;     Child Loop BB155_6 Depth 2
                                        ;       Child Loop BB155_7 Depth 3
	s_clause 0x1
	scratch_load_b32 v7, off, off offset:4
	scratch_load_b32 v9, off, off
	s_mul_i32 s0, s13, 0xd2
	s_mul_hi_u32 s1, s13, 0xd2
	s_add_u32 s0, s5, s0
	s_addc_u32 s1, s12, s1
	v_add_nc_u32_e32 v30, 0x820, v62
	v_mad_u64_u32 v[3:4], null, 0xd2, v48, s[0:1]
	s_mov_b32 s14, 0
	s_delay_alu instid0(VALU_DEP_1)
	v_mad_u64_u32 v[132:133], null, 0xd2, v52, v[3:4]
	v_mad_u64_u32 v[139:140], null, 0xd2, v54, v[3:4]
	s_waitcnt vmcnt(1)
	v_mad_u64_u32 v[5:6], null, 0xd2, v7, v[3:4]
	s_waitcnt vmcnt(0)
	v_mad_u64_u32 v[7:8], null, 0xd2, v9, v[3:4]
	v_mad_u64_u32 v[9:10], null, 0xd2, v50, v[3:4]
	s_delay_alu instid0(VALU_DEP_3) | instskip(NEXT) | instid1(VALU_DEP_4)
	v_add_co_u32 v11, vcc_lo, v5, v53
	v_add_co_ci_u32_e32 v12, vcc_lo, 0, v6, vcc_lo
	v_add_co_u32 v5, vcc_lo, v5, v64
	v_add_co_ci_u32_e32 v6, vcc_lo, 0, v6, vcc_lo
	;; [unrolled: 2-line block ×9, first 2 shown]
	s_clause 0x8
	global_load_b32 v137, v[11:12], off
	global_load_b32 v138, v[5:6], off offset:128
	global_load_b32 v135, v[13:14], off
	global_load_b32 v136, v[7:8], off offset:128
	;; [unrolled: 2-line block ×4, first 2 shown]
	global_load_b32 v134, v[145:146], off
	v_mad_u64_u32 v[5:6], null, 0xd2, v56, v[3:4]
	v_add_co_u32 v7, vcc_lo, v139, v64
	v_mad_u64_u32 v[9:10], null, 0xd2, v57, v[3:4]
	v_add_co_ci_u32_e32 v8, vcc_lo, 0, v140, vcc_lo
	s_delay_alu instid0(VALU_DEP_4)
	v_add_co_u32 v11, vcc_lo, v5, v53
	v_add_co_ci_u32_e32 v12, vcc_lo, 0, v6, vcc_lo
	v_add_co_u32 v5, vcc_lo, v5, v64
	v_add_co_ci_u32_e32 v6, vcc_lo, 0, v6, vcc_lo
	;; [unrolled: 2-line block ×3, first 2 shown]
	s_clause 0x3
	global_load_b32 v157, v[7:8], off offset:128
	global_load_b32 v158, v[11:12], off
	global_load_b32 v159, v[5:6], off offset:128
	global_load_b32 v160, v[13:14], off offset:128
	v_add_co_u32 v5, vcc_lo, v9, v53
	v_add_co_ci_u32_e32 v6, vcc_lo, 0, v10, vcc_lo
	v_mad_u64_u32 v[7:8], null, 0xd2, v59, v[3:4]
	v_mad_u64_u32 v[9:10], null, 0xd2, v61, v[3:4]
	global_load_b32 v6, v[5:6], off
	v_mad_u64_u32 v[11:12], null, 0xd2, v63, v[3:4]
	v_mad_u64_u32 v[13:14], null, 0xd2, v66, v[3:4]
	v_add_co_u32 v145, vcc_lo, v7, v53
	v_add_co_ci_u32_e32 v146, vcc_lo, 0, v8, vcc_lo
	v_add_co_u32 v7, vcc_lo, v7, v64
	v_add_co_ci_u32_e32 v8, vcc_lo, 0, v8, vcc_lo
	v_add_co_u32 v147, vcc_lo, v9, v53
	v_add_co_ci_u32_e32 v148, vcc_lo, 0, v10, vcc_lo
	v_add_co_u32 v9, vcc_lo, v9, v64
	v_add_co_ci_u32_e32 v10, vcc_lo, 0, v10, vcc_lo
	v_add_co_u32 v149, vcc_lo, v11, v53
	v_add_co_ci_u32_e32 v150, vcc_lo, 0, v12, vcc_lo
	v_add_co_u32 v11, vcc_lo, v11, v64
	v_mad_u64_u32 v[139:140], null, 0xd2, v71, v[3:4]
	v_add_co_ci_u32_e32 v12, vcc_lo, 0, v12, vcc_lo
	v_add_co_u32 v151, vcc_lo, v13, v53
	v_add_co_ci_u32_e32 v152, vcc_lo, 0, v14, vcc_lo
	v_add_co_u32 v153, vcc_lo, v13, v64
	v_mad_u64_u32 v[141:142], null, 0xd2, v75, v[3:4]
	v_add_co_ci_u32_e32 v154, vcc_lo, 0, v14, vcc_lo
	s_clause 0x1
	global_load_b32 v161, v[145:146], off
	global_load_b32 v162, v[7:8], off offset:128
	v_add_co_u32 v7, vcc_lo, v139, v53
	v_add_co_ci_u32_e32 v8, vcc_lo, 0, v140, vcc_lo
	v_add_co_u32 v139, vcc_lo, v139, v64
	v_mad_u64_u32 v[143:144], null, 0xd2, v79, v[3:4]
	v_add_co_ci_u32_e32 v140, vcc_lo, 0, v140, vcc_lo
	v_add_co_u32 v145, vcc_lo, v141, v53
	v_add_co_ci_u32_e32 v146, vcc_lo, 0, v142, vcc_lo
	v_add_co_u32 v141, vcc_lo, v141, v64
	;; [unrolled: 2-line block ×4, first 2 shown]
	v_add_co_ci_u32_e32 v144, vcc_lo, 0, v144, vcc_lo
	s_clause 0xb
	global_load_b32 v147, v[147:148], off
	global_load_b32 v148, v[9:10], off offset:128
	global_load_b32 v14, v[149:150], off
	global_load_b32 v149, v[11:12], off offset:128
	;; [unrolled: 2-line block ×6, first 2 shown]
	s_waitcnt vmcnt(27)
	v_and_b32_e32 v139, 0xf0f0f0f, v137
	s_waitcnt vmcnt(26)
	v_ashrrev_i32_e32 v138, v65, v138
	v_lshrrev_b32_e32 v137, 4, v137
	s_waitcnt vmcnt(24)
	v_ashrrev_i32_e32 v136, v65, v136
	v_and_b32_e32 v140, 0xf0f0f0f, v135
	v_lshrrev_b32_e32 v135, 4, v135
	s_waitcnt vmcnt(22)
	v_ashrrev_i32_e32 v133, v65, v133
	s_waitcnt vmcnt(20)
	v_ashrrev_i32_e32 v16, v65, v16
	v_lshlrev_b32_e32 v152, 4, v138
	v_and_b32_e32 v138, 0x30303030, v138
	v_lshlrev_b32_e32 v153, 4, v136
	v_and_b32_e32 v136, 0x30303030, v136
	v_and_b32_e32 v141, 0xf0f0f0f, v132
	v_lshrrev_b32_e32 v132, 4, v132
	v_and_b32_e32 v142, 0xf0f0f0f, v15
	v_lshrrev_b32_e32 v15, 4, v15
	s_waitcnt vmcnt(19)
	v_and_b32_e32 v143, 0xf0f0f0f, v134
	v_lshrrev_b32_e32 v134, 4, v134
	v_lshlrev_b32_e32 v154, 4, v133
	v_and_b32_e32 v133, 0x30303030, v133
	v_lshlrev_b32_e32 v155, 4, v16
	v_and_b32_e32 v16, 0x30303030, v16
	v_and_or_b32 v139, 0x30303030, v152, v139
	v_and_or_b32 v137, 0xf0f0f0f, v137, v138
	;; [unrolled: 1-line block ×4, first 2 shown]
	s_waitcnt vmcnt(18)
	v_ashrrev_i32_e32 v144, v65, v157
	s_waitcnt vmcnt(17)
	v_and_b32_e32 v145, 0xf0f0f0f, v158
	s_waitcnt vmcnt(16)
	v_ashrrev_i32_e32 v150, v65, v159
	v_lshrrev_b32_e32 v146, 4, v158
	v_and_or_b32 v136, 0x30303030, v154, v141
	v_lshlrev_b32_e32 v156, 4, v144
	v_and_b32_e32 v144, 0x30303030, v144
	v_lshlrev_b32_e32 v157, 4, v150
	v_and_b32_e32 v150, 0x30303030, v150
	v_and_or_b32 v132, 0xf0f0f0f, v132, v133
	v_and_or_b32 v133, 0x30303030, v155, v142
	;; [unrolled: 1-line block ×7, first 2 shown]
	v_lshrrev_b32_e32 v142, 16, v139
	v_and_b32_e32 v143, 0x3f00, v139
	v_lshlrev_b16 v139, 8, v139
	v_lshrrev_b32_e32 v144, 16, v137
	v_and_b32_e32 v145, 0x3f00, v137
	v_lshlrev_b16 v137, 8, v137
	v_lshrrev_b32_e32 v146, 16, v138
	v_lshrrev_b32_e32 v152, 16, v135
	v_and_b32_e32 v150, 0x3f00, v138
	v_lshlrev_b16 v138, 8, v138
	v_and_b32_e32 v153, 0x3f00, v135
	v_lshlrev_b16 v135, 8, v135
	v_lshrrev_b32_e32 v154, 16, v136
	v_lshrrev_b32_e32 v156, 16, v132
	v_add_nc_u16 v139, v139, 0xe000
	v_and_b32_e32 v172, 0x3f00, v142
	v_lshlrev_b16 v142, 8, v142
	v_add_nc_u16 v137, v137, 0xe000
	v_and_b32_e32 v173, 0x3f00, v144
	v_lshlrev_b16 v144, 8, v144
	v_and_b32_e32 v174, 0x3f00, v146
	v_lshlrev_b16 v146, 8, v146
	;; [unrolled: 2-line block ×3, first 2 shown]
	s_waitcnt vmcnt(15)
	v_ashrrev_i32_e32 v151, v65, v160
	v_and_b32_e32 v155, 0x3f00, v136
	v_lshlrev_b16 v136, 8, v136
	v_and_b32_e32 v157, 0x3f00, v132
	v_lshlrev_b16 v132, 8, v132
	v_lshrrev_b32_e32 v158, 16, v133
	v_lshrrev_b32_e32 v160, 16, v15
	v_add_nc_u16 v138, v138, 0xe000
	v_add_nc_u16 v135, v135, 0xe000
	v_and_b32_e32 v176, 0x3f00, v154
	v_lshlrev_b16 v154, 8, v154
	v_and_b32_e32 v177, 0x3f00, v156
	v_lshlrev_b16 v156, 8, v156
	v_lshrrev_b16 v139, 8, v139
	v_add_nc_u16 v142, v142, 0xe000
	v_lshrrev_b16 v137, 8, v137
	v_add_nc_u16 v144, v144, 0xe000
	v_add_nc_u16 v146, v146, 0xe000
	;; [unrolled: 1-line block ×3, first 2 shown]
	v_and_b32_e32 v159, 0x3f00, v133
	v_lshlrev_b16 v133, 8, v133
	v_and_b32_e32 v163, 0x3f00, v15
	v_lshlrev_b16 v15, 8, v15
	v_lshrrev_b32_e32 v164, 16, v16
	v_lshrrev_b32_e32 v166, 16, v134
	v_add_nc_u16 v136, v136, 0xe000
	v_add_nc_u16 v132, v132, 0xe000
	v_and_b32_e32 v178, 0x3f00, v158
	v_lshlrev_b16 v158, 8, v158
	v_and_b32_e32 v179, 0x3f00, v160
	v_lshlrev_b16 v160, 8, v160
	v_lshrrev_b16 v138, 8, v138
	v_lshrrev_b16 v135, 8, v135
	v_add_nc_u16 v154, v154, 0xe000
	v_add_nc_u16 v156, v156, 0xe000
	v_or_b32_e32 v139, v143, v139
	v_lshrrev_b16 v142, 8, v142
	v_or_b32_e32 v137, v145, v137
	v_lshrrev_b16 v143, 8, v144
	v_lshrrev_b16 v144, 8, v146
	;; [unrolled: 1-line block ×3, first 2 shown]
	v_and_b32_e32 v165, 0x3f00, v16
	v_lshlrev_b16 v16, 8, v16
	v_and_b32_e32 v167, 0x3f00, v134
	v_lshlrev_b16 v134, 8, v134
	v_add_nc_u16 v133, v133, 0xe000
	v_add_nc_u16 v15, v15, 0xe000
	v_and_b32_e32 v180, 0x3f00, v164
	v_lshlrev_b16 v164, 8, v164
	v_and_b32_e32 v181, 0x3f00, v166
	v_lshlrev_b16 v166, 8, v166
	v_lshrrev_b16 v136, 8, v136
	v_lshrrev_b16 v132, 8, v132
	v_add_nc_u16 v158, v158, 0xe000
	v_add_nc_u16 v160, v160, 0xe000
	v_or_b32_e32 v138, v150, v138
	v_or_b32_e32 v135, v153, v135
	v_lshrrev_b16 v146, 8, v154
	v_lshrrev_b16 v150, 8, v156
	v_or_b32_e32 v142, v172, v142
	v_or_b32_e32 v143, v173, v143
	;; [unrolled: 1-line block ×4, first 2 shown]
	v_add_nc_u16 v16, v16, 0xe000
	v_add_nc_u16 v134, v134, 0xe000
	v_lshrrev_b16 v133, 8, v133
	v_lshrrev_b16 v15, 8, v15
	v_add_nc_u16 v164, v164, 0xe000
	v_add_nc_u16 v166, v166, 0xe000
	v_or_b32_e32 v136, v155, v136
	v_or_b32_e32 v132, v157, v132
	v_lshrrev_b16 v152, 8, v158
	v_lshrrev_b16 v153, 8, v160
	v_add_nc_u16 v139, v139, 0xe000
	v_add_nc_u16 v137, v137, 0xe000
	;; [unrolled: 1-line block ×4, first 2 shown]
	v_or_b32_e32 v146, v176, v146
	v_or_b32_e32 v150, v177, v150
	v_add_nc_u16 v142, v142, 0xe000
	v_add_nc_u16 v143, v143, 0xe000
	;; [unrolled: 1-line block ×4, first 2 shown]
	v_lshrrev_b16 v16, 8, v16
	v_lshrrev_b16 v134, 8, v134
	v_or_b32_e32 v133, v159, v133
	v_or_b32_e32 v15, v163, v15
	v_lshrrev_b16 v154, 8, v164
	v_lshrrev_b16 v155, 8, v166
	v_add_nc_u16 v136, v136, 0xe000
	v_add_nc_u16 v132, v132, 0xe000
	v_or_b32_e32 v152, v178, v152
	v_or_b32_e32 v153, v179, v153
	v_and_b32_e32 v139, 0xffff, v139
	v_and_b32_e32 v137, 0xffff, v137
	;; [unrolled: 1-line block ×4, first 2 shown]
	v_add_nc_u16 v146, v146, 0xe000
	v_add_nc_u16 v150, v150, 0xe000
	v_lshlrev_b32_e32 v142, 16, v142
	v_lshlrev_b32_e32 v143, 16, v143
	;; [unrolled: 1-line block ×4, first 2 shown]
	v_lshrrev_b32_e32 v168, 16, v140
	v_or_b32_e32 v16, v165, v16
	v_or_b32_e32 v134, v167, v134
	v_add_nc_u16 v133, v133, 0xe000
	v_add_nc_u16 v15, v15, 0xe000
	v_or_b32_e32 v154, v180, v154
	v_or_b32_e32 v155, v181, v155
	v_and_b32_e32 v136, 0xffff, v136
	v_and_b32_e32 v132, 0xffff, v132
	v_add_nc_u16 v152, v152, 0xe000
	v_add_nc_u16 v153, v153, 0xe000
	v_lshlrev_b32_e32 v146, 16, v146
	v_lshlrev_b32_e32 v150, 16, v150
	v_or_b32_e32 v139, v139, v142
	v_or_b32_e32 v137, v137, v143
	;; [unrolled: 1-line block ×4, first 2 shown]
	v_and_b32_e32 v169, 0x3f00, v140
	v_lshlrev_b16 v140, 8, v140
	v_and_b32_e32 v182, 0x3f00, v168
	v_lshlrev_b16 v168, 8, v168
	v_lshrrev_b32_e32 v170, 16, v141
	v_and_b32_e32 v171, 0x3f00, v141
	v_lshlrev_b16 v141, 8, v141
	v_add_nc_u16 v16, v16, 0xe000
	v_add_nc_u16 v134, v134, 0xe000
	v_and_b32_e32 v133, 0xffff, v133
	v_and_b32_e32 v15, 0xffff, v15
	v_add_nc_u16 v154, v154, 0xe000
	v_add_nc_u16 v155, v155, 0xe000
	v_lshlrev_b32_e32 v152, 16, v152
	v_lshlrev_b32_e32 v153, 16, v153
	v_or_b32_e32 v136, v136, v146
	v_or_b32_e32 v132, v132, v150
	ds_store_2addr_b32 v62, v139, v137 offset1:16
	ds_store_2addr_b32 v30, v138, v135 offset1:16
	v_add_nc_u32_e32 v30, 0x1040, v62
	v_add_nc_u16 v140, v140, 0xe000
	v_add_nc_u16 v168, v168, 0xe000
	;; [unrolled: 1-line block ×3, first 2 shown]
	v_lshlrev_b16 v183, 8, v170
	v_and_b32_e32 v16, 0xffff, v16
	v_and_b32_e32 v134, 0xffff, v134
	v_lshlrev_b32_e32 v154, 16, v154
	v_lshlrev_b32_e32 v155, 16, v155
	v_or_b32_e32 v133, v133, v152
	v_or_b32_e32 v15, v15, v153
	ds_store_2addr_b32 v30, v136, v132 offset1:16
	v_add_nc_u32_e32 v30, 0x1860, v62
	v_lshrrev_b16 v140, 8, v140
	v_lshrrev_b16 v156, 8, v168
	v_lshrrev_b16 v141, 8, v141
	v_add_nc_u16 v183, v183, 0xe000
	v_or_b32_e32 v16, v16, v154
	v_or_b32_e32 v134, v134, v155
	ds_store_2addr_b32 v30, v133, v15 offset1:16
	v_add_nc_u32_e32 v15, 0x2080, v62
	v_or_b32_e32 v140, v169, v140
	v_or_b32_e32 v156, v182, v156
	v_lshrrev_b16 v132, 8, v183
	s_waitcnt vmcnt(14)
	v_and_b32_e32 v133, 0xf0f0f0f, v6
	ds_store_2addr_b32 v15, v16, v134 offset1:16
	v_or_b32_e32 v15, v171, v141
	v_and_b32_e32 v16, 0x3f00, v170
	v_add_nc_u16 v140, v140, 0xe000
	v_add_nc_u16 v156, v156, 0xe000
	v_lshlrev_b32_e32 v134, 4, v151
	v_add_nc_u16 v137, v15, 0xe000
	v_or_b32_e32 v132, v16, v132
	v_mad_u64_u32 v[15:16], null, 0xd2, v82, v[3:4]
	v_and_b32_e32 v135, 0xffff, v140
	v_lshlrev_b32_e32 v136, 16, v156
	v_and_or_b32 v134, 0x30303030, v134, v133
	v_add_nc_u32_e32 v30, 0x28a0, v62
	v_lshrrev_b32_e32 v6, 4, v6
	v_and_b32_e32 v140, 0x30303030, v151
	v_or_b32_e32 v135, v135, v136
	v_and_b32_e32 v136, 0xffff, v137
	v_add_nc_u16 v137, v132, 0xe000
	v_add_co_u32 v132, vcc_lo, v15, v53
	v_add_co_ci_u32_e32 v133, vcc_lo, 0, v16, vcc_lo
	v_add_co_u32 v15, vcc_lo, v15, v64
	v_add_co_ci_u32_e32 v16, vcc_lo, 0, v16, vcc_lo
	s_clause 0x1
	global_load_b32 v142, v[132:133], off
	global_load_b32 v143, v[15:16], off offset:128
	v_lshlrev_b32_e32 v15, 16, v137
	v_lshrrev_b32_e32 v138, 16, v134
	v_and_or_b32 v6, 0xf0f0f0f, v6, v140
	v_lshlrev_b16 v139, 8, v134
	v_and_b32_e32 v132, 0x3f00, v134
	v_or_b32_e32 v15, v136, v15
	v_lshlrev_b16 v141, 8, v138
	v_and_b32_e32 v134, 0x3f00, v138
	v_lshlrev_b16 v136, 8, v6
	v_add_nc_u16 v139, v139, 0xe000
	ds_store_2addr_b32 v30, v135, v15 offset1:16
	scratch_load_b32 v30, off, off offset:8 ; 4-byte Folded Reload
	v_add_nc_u16 v16, v141, 0xe000
	v_add_nc_u16 v15, v136, 0xe000
	v_lshrrev_b16 v133, 8, v139
	v_lshrrev_b32_e32 v137, 16, v6
	v_and_b32_e32 v6, 0x3f00, v6
	v_lshrrev_b16 v16, 8, v16
	v_lshrrev_b16 v135, 8, v15
	s_waitcnt vmcnt(15)
	v_ashrrev_i32_e32 v136, v65, v162
	v_or_b32_e32 v132, v132, v133
	v_lshlrev_b16 v133, 8, v137
	v_or_b32_e32 v16, v134, v16
	v_or_b32_e32 v6, v6, v135
	v_and_b32_e32 v135, 0x3f00, v137
	v_and_b32_e32 v137, 0xf0f0f0f, v161
	v_lshlrev_b32_e32 v138, 4, v136
	v_add_nc_u16 v134, v16, 0xe000
	v_add_nc_u16 v133, v133, 0xe000
	v_lshrrev_b32_e32 v139, 4, v161
	v_add_nc_u16 v132, v132, 0xe000
	v_add_nc_u16 v6, v6, 0xe000
	v_lshlrev_b32_e32 v134, 16, v134
	v_lshrrev_b16 v133, 8, v133
	s_waitcnt vmcnt(9)
	v_ashrrev_i32_e32 v13, v65, v13
	v_and_b32_e32 v132, 0xffff, v132
	v_and_b32_e32 v6, 0xffff, v6
	s_waitcnt vmcnt(7)
	v_ashrrev_i32_e32 v11, v65, v11
	s_waitcnt vmcnt(5)
	v_ashrrev_i32_e32 v9, v65, v9
	;; [unrolled: 2-line block ×3, first 2 shown]
	v_or_b32_e32 v134, v132, v134
	s_waitcnt vmcnt(0)
	v_mad_u64_u32 v[15:16], null, 0xd2, v30, v[3:4]
	s_delay_alu instid0(VALU_DEP_1) | instskip(NEXT) | instid1(VALU_DEP_2)
	v_add_co_u32 v3, vcc_lo, v15, v53
	v_add_co_ci_u32_e32 v4, vcc_lo, 0, v16, vcc_lo
	v_add_co_u32 v15, vcc_lo, v15, v64
	v_add_co_ci_u32_e32 v16, vcc_lo, 0, v16, vcc_lo
	s_clause 0x1
	global_load_b32 v140, v[3:4], off
	global_load_b32 v141, v[15:16], off offset:128
	v_and_or_b32 v4, 0x30303030, v138, v137
	v_and_b32_e32 v3, 0x30303030, v136
	v_or_b32_e32 v15, v135, v133
	scratch_load_b32 v30, off, off offset:20 ; 4-byte Folded Reload
	v_and_b32_e32 v138, 0xf0f0f0f, v147
	v_lshrrev_b32_e32 v16, 16, v4
	v_and_or_b32 v3, 0xf0f0f0f, v139, v3
	v_lshlrev_b16 v132, 8, v4
	v_add_nc_u16 v15, v15, 0xe000
	v_and_b32_e32 v4, 0x3f00, v4
	v_lshlrev_b16 v135, 8, v16
	v_lshrrev_b32_e32 v133, 16, v3
	v_and_b32_e32 v16, 0x3f00, v16
	v_add_nc_u16 v132, v132, 0xe000
	v_lshlrev_b32_e32 v15, 16, v15
	v_add_nc_u16 v135, v135, 0xe000
	v_lshlrev_b16 v137, 8, v133
	v_and_b32_e32 v133, 0x3f00, v133
	v_lshrrev_b16 v132, 8, v132
	v_or_b32_e32 v6, v6, v15
	v_lshrrev_b16 v135, 8, v135
	v_add_nc_u16 v137, v137, 0xe000
	v_lshlrev_b16 v136, 8, v3
	v_or_b32_e32 v4, v4, v132
	v_and_b32_e32 v3, 0x3f00, v3
	v_or_b32_e32 v16, v16, v135
	v_lshrrev_b16 v137, 8, v137
	v_add_nc_u16 v136, v136, 0xe000
	v_add_nc_u16 v4, v4, 0xe000
	v_ashrrev_i32_e32 v135, v65, v148
	v_add_nc_u16 v15, v16, 0xe000
	v_or_b32_e32 v132, v133, v137
	v_lshrrev_b16 v136, 8, v136
	s_delay_alu instid0(VALU_DEP_4) | instskip(NEXT) | instid1(VALU_DEP_4)
	v_lshlrev_b32_e32 v139, 4, v135
	v_lshlrev_b32_e32 v133, 16, v15
	scratch_load_b32 v15, off, off offset:12 ; 4-byte Folded Reload
	v_or_b32_e32 v3, v3, v136
	v_add_nc_u16 v16, v132, 0xe000
	v_and_b32_e32 v132, 0xffff, v4
	v_and_b32_e32 v135, 0x30303030, v135
	s_delay_alu instid0(VALU_DEP_4) | instskip(NEXT) | instid1(VALU_DEP_4)
	v_add_nc_u16 v3, v3, 0xe000
	v_lshlrev_b32_e32 v137, 16, v16
	s_delay_alu instid0(VALU_DEP_4) | instskip(NEXT) | instid1(VALU_DEP_3)
	v_or_b32_e32 v144, v132, v133
	v_and_b32_e32 v136, 0xffff, v3
	s_delay_alu instid0(VALU_DEP_1) | instskip(SKIP_2) | instid1(VALU_DEP_1)
	v_or_b32_e32 v136, v136, v137
	v_and_or_b32 v137, 0x30303030, v139, v138
	v_lshrrev_b32_e32 v139, 4, v147
	v_and_or_b32 v135, 0xf0f0f0f, v139, v135
	s_waitcnt vmcnt(0)
	v_mad_u64_u32 v[3:4], null, 0xd2, v15, s[0:1]
	v_add_co_u32 v15, s0, s0, v90
	s_delay_alu instid0(VALU_DEP_1) | instskip(SKIP_2) | instid1(VALU_DEP_1)
	v_add_co_ci_u32_e64 v16, null, s1, 0, s0
	s_lshl_b32 s0, s13, 3
	s_mov_b32 s1, -1
	v_mad_u64_u32 v[132:133], null, 0xd2, v30, v[15:16]
	global_load_u16 v138, v[3:4], off offset:208
	scratch_load_b32 v30, off, off offset:28 ; 4-byte Folded Reload
	global_load_b32 v133, v[132:133], off offset:192
	s_waitcnt vmcnt(1)
	v_mad_u64_u32 v[3:4], null, 0xd2, v30, v[15:16]
	v_lshlrev_b16 v15, 8, v137
	v_lshrrev_b32_e32 v16, 16, v137
	v_add_nc_u32_e32 v30, 0x30c0, v62
	s_delay_alu instid0(VALU_DEP_3)
	v_add_nc_u16 v15, v15, 0xe000
	global_load_b32 v3, v[3:4], off offset:192
	v_lshlrev_b16 v132, 8, v16
	v_and_b32_e32 v4, 0x3f00, v137
	ds_store_2addr_b32 v30, v134, v6 offset1:16
	v_lshrrev_b16 v15, 8, v15
	v_add_nc_u32_e32 v30, 0x38e0, v62
	v_add_nc_u16 v6, v132, 0xe000
	v_lshrrev_b32_e32 v132, 16, v135
	s_delay_alu instid0(VALU_DEP_4)
	v_or_b32_e32 v4, v4, v15
	ds_store_2addr_b32 v30, v144, v136 offset1:16
	v_and_b32_e32 v15, 0x3f00, v16
	v_lshrrev_b16 v6, 8, v6
	v_lshlrev_b16 v16, 8, v135
	v_lshlrev_b16 v134, 8, v132
	v_ashrrev_i32_e32 v136, v65, v149
	v_and_b32_e32 v135, 0x3f00, v135
	v_or_b32_e32 v6, v15, v6
	v_add_nc_u16 v15, v16, 0xe000
	v_add_nc_u16 v16, v134, 0xe000
	v_and_b32_e32 v134, 0xf0f0f0f, v14
	v_lshlrev_b32_e32 v137, 4, v136
	v_and_b32_e32 v132, 0x3f00, v132
	v_lshrrev_b16 v15, 8, v15
	v_lshrrev_b16 v16, 8, v16
	v_add_nc_u16 v4, v4, 0xe000
	v_and_or_b32 v134, 0x30303030, v137, v134
	v_add_nc_u16 v6, v6, 0xe000
	v_or_b32_e32 v15, v135, v15
	v_or_b32_e32 v16, v132, v16
	v_lshrrev_b32_e32 v14, 4, v14
	v_lshlrev_b16 v132, 8, v134
	v_lshrrev_b32_e32 v135, 16, v134
	v_add_nc_u16 v15, v15, 0xe000
	v_add_nc_u16 v16, v16, 0xe000
	v_and_b32_e32 v136, 0x30303030, v136
	v_add_nc_u16 v132, v132, 0xe000
	v_lshlrev_b16 v137, 8, v135
	v_and_b32_e32 v134, 0x3f00, v134
	v_and_b32_e32 v4, 0xffff, v4
	v_lshlrev_b32_e32 v6, 16, v6
	v_lshrrev_b16 v132, 8, v132
	v_add_nc_u16 v137, v137, 0xe000
	v_and_b32_e32 v15, 0xffff, v15
	v_lshlrev_b32_e32 v16, 16, v16
	v_and_or_b32 v14, 0xf0f0f0f, v14, v136
	v_or_b32_e32 v132, v134, v132
	v_and_b32_e32 v134, 0x3f00, v135
	v_lshrrev_b16 v135, 8, v137
	v_or_b32_e32 v4, v4, v6
	v_lshrrev_b32_e32 v6, 16, v14
	v_or_b32_e32 v15, v15, v16
	v_add_nc_u16 v132, v132, 0xe000
	v_or_b32_e32 v16, v134, v135
	v_lshlrev_b16 v134, 8, v14
	v_lshlrev_b16 v135, 8, v6
	v_and_b32_e32 v136, 0xf0f0f0f, v12
	v_lshlrev_b32_e32 v137, 4, v13
	v_add_nc_u16 v16, v16, 0xe000
	v_add_nc_u16 v134, v134, 0xe000
	v_and_b32_e32 v132, 0xffff, v132
	v_add_nc_u16 v135, v135, 0xe000
	v_and_b32_e32 v14, 0x3f00, v14
	v_and_or_b32 v136, 0x30303030, v137, v136
	v_lshrrev_b16 v134, 8, v134
	v_lshlrev_b32_e32 v16, 16, v16
	v_add_nc_u32_e32 v30, 0x4100, v62
	v_and_b32_e32 v6, 0x3f00, v6
	v_lshrrev_b16 v135, 8, v135
	v_lshrrev_b32_e32 v12, 4, v12
	v_and_b32_e32 v13, 0x30303030, v13
	ds_store_2addr_b32 v30, v4, v15 offset1:16
	v_or_b32_e32 v4, v14, v134
	v_lshlrev_b16 v14, 8, v136
	v_or_b32_e32 v15, v132, v16
	v_lshrrev_b32_e32 v16, 16, v136
	v_or_b32_e32 v6, v6, v135
	v_add_nc_u16 v4, v4, 0xe000
	v_add_nc_u16 v14, v14, 0xe000
	v_and_b32_e32 v134, 0x3f00, v136
	v_lshlrev_b16 v132, 8, v16
	v_add_nc_u16 v6, v6, 0xe000
	v_and_or_b32 v12, 0xf0f0f0f, v12, v13
	v_lshrrev_b16 v14, 8, v14
	v_and_b32_e32 v4, 0xffff, v4
	v_add_nc_u16 v132, v132, 0xe000
	v_lshlrev_b32_e32 v6, 16, v6
	v_add_nc_u32_e32 v30, 0x4920, v62
	v_or_b32_e32 v13, v134, v14
	v_and_b32_e32 v14, 0x3f00, v16
	v_lshrrev_b16 v16, 8, v132
	v_lshrrev_b32_e32 v132, 16, v12
	v_or_b32_e32 v4, v4, v6
	v_lshlrev_b16 v6, 8, v12
	v_add_nc_u16 v13, v13, 0xe000
	v_or_b32_e32 v14, v14, v16
	v_lshlrev_b16 v16, 8, v132
	ds_store_2addr_b32 v30, v15, v4 offset1:16
	v_add_nc_u16 v4, v6, 0xe000
	v_and_b32_e32 v6, 0xffff, v13
	v_add_nc_u16 v13, v14, 0xe000
	v_add_nc_u16 v14, v16, 0xe000
	v_and_b32_e32 v12, 0x3f00, v12
	v_lshrrev_b16 v4, 8, v4
	v_and_b32_e32 v15, 0x3f00, v132
	v_and_b32_e32 v16, 0xf0f0f0f, v10
	v_lshrrev_b16 v14, 8, v14
	v_lshlrev_b32_e32 v132, 4, v11
	v_lshrrev_b32_e32 v10, 4, v10
	v_and_b32_e32 v11, 0x30303030, v11
	v_or_b32_e32 v4, v12, v4
	v_or_b32_e32 v12, v15, v14
	v_and_or_b32 v14, 0x30303030, v132, v16
	v_lshlrev_b32_e32 v13, 16, v13
	v_and_or_b32 v10, 0xf0f0f0f, v10, v11
	v_add_nc_u16 v4, v4, 0xe000
	v_add_nc_u16 v12, v12, 0xe000
	v_lshrrev_b32_e32 v11, 16, v14
	v_or_b32_e32 v6, v6, v13
	v_lshrrev_b32_e32 v15, 16, v10
	v_lshlrev_b16 v13, 8, v14
	v_lshlrev_b16 v132, 8, v10
	;; [unrolled: 1-line block ×3, first 2 shown]
	v_and_b32_e32 v14, 0x3f00, v14
	v_lshlrev_b16 v134, 8, v15
	v_add_nc_u16 v13, v13, 0xe000
	v_add_nc_u16 v132, v132, 0xe000
	;; [unrolled: 1-line block ×3, first 2 shown]
	v_and_b32_e32 v11, 0x3f00, v11
	v_add_nc_u16 v134, v134, 0xe000
	v_lshrrev_b16 v13, 8, v13
	v_and_b32_e32 v15, 0x3f00, v15
	v_lshrrev_b16 v16, 8, v16
	v_and_b32_e32 v10, 0x3f00, v10
	v_lshrrev_b16 v134, 8, v134
	v_lshrrev_b16 v132, 8, v132
	v_or_b32_e32 v13, v14, v13
	v_or_b32_e32 v11, v11, v16
	v_lshlrev_b32_e32 v16, 4, v9
	v_or_b32_e32 v14, v15, v134
	v_and_b32_e32 v15, 0xf0f0f0f, v8
	v_or_b32_e32 v10, v10, v132
	v_add_nc_u16 v13, v13, 0xe000
	v_add_nc_u16 v11, v11, 0xe000
	v_and_b32_e32 v4, 0xffff, v4
	v_and_or_b32 v15, 0x30303030, v16, v15
	v_lshlrev_b32_e32 v12, 16, v12
	v_add_nc_u16 v10, v10, 0xe000
	v_add_nc_u16 v14, v14, 0xe000
	v_and_b32_e32 v13, 0xffff, v13
	v_lshlrev_b32_e32 v11, 16, v11
	v_lshlrev_b16 v16, 8, v15
	v_and_b32_e32 v10, 0xffff, v10
	v_lshlrev_b32_e32 v14, 16, v14
	v_or_b32_e32 v4, v4, v12
	v_or_b32_e32 v11, v13, v11
	v_lshrrev_b32_e32 v12, 16, v15
	v_add_nc_u16 v13, v16, 0xe000
	v_lshrrev_b32_e32 v8, 4, v8
	v_and_b32_e32 v9, 0x30303030, v9
	v_add_nc_u32_e32 v16, 0x5140, v62
	v_or_b32_e32 v10, v10, v14
	v_lshlrev_b16 v14, 8, v12
	v_and_b32_e32 v15, 0x3f00, v15
	v_lshrrev_b16 v13, 8, v13
	ds_store_2addr_b32 v16, v6, v4 offset1:16
	v_and_or_b32 v4, 0xf0f0f0f, v8, v9
	v_add_nc_u32_e32 v8, 0x5960, v62
	v_add_nc_u16 v6, v14, 0xe000
	v_and_b32_e32 v9, 0x3f00, v12
	ds_store_2addr_b32 v8, v11, v10 offset1:16
	v_lshrrev_b32_e32 v10, 16, v4
	v_lshrrev_b16 v6, 8, v6
	v_lshlrev_b16 v11, 8, v4
	v_or_b32_e32 v8, v15, v13
	v_lshlrev_b32_e32 v13, 4, v7
	v_lshlrev_b16 v12, 8, v10
	v_or_b32_e32 v6, v9, v6
	v_add_nc_u16 v9, v11, 0xe000
	v_and_b32_e32 v11, 0xf0f0f0f, v5
	v_and_b32_e32 v4, 0x3f00, v4
	v_add_nc_u16 v12, v12, 0xe000
	v_and_b32_e32 v10, 0x3f00, v10
	v_lshrrev_b16 v9, 8, v9
	v_and_or_b32 v11, 0x30303030, v13, v11
	v_lshrrev_b32_e32 v5, 4, v5
	v_lshrrev_b16 v12, 8, v12
	v_and_b32_e32 v7, 0x30303030, v7
	v_or_b32_e32 v4, v4, v9
	v_lshrrev_b32_e32 v9, 16, v11
	v_add_nc_u16 v8, v8, 0xe000
	v_or_b32_e32 v10, v10, v12
	v_lshlrev_b16 v12, 8, v11
	v_add_nc_u16 v4, v4, 0xe000
	v_lshlrev_b16 v13, 8, v9
	v_and_b32_e32 v11, 0x3f00, v11
	v_add_nc_u16 v10, v10, 0xe000
	v_add_nc_u16 v12, v12, 0xe000
	v_and_or_b32 v5, 0xf0f0f0f, v5, v7
	v_add_nc_u16 v13, v13, 0xe000
	v_add_nc_u16 v6, v6, 0xe000
	v_and_b32_e32 v9, 0x3f00, v9
	v_lshrrev_b16 v12, 8, v12
	v_and_b32_e32 v4, 0xffff, v4
	v_lshrrev_b16 v7, 8, v13
	v_lshlrev_b32_e32 v10, 16, v10
	v_and_b32_e32 v8, 0xffff, v8
	v_or_b32_e32 v11, v11, v12
	v_lshlrev_b16 v12, 8, v5
	v_lshlrev_b32_e32 v6, 16, v6
	v_or_b32_e32 v7, v9, v7
	v_or_b32_e32 v4, v4, v10
	v_ashrrev_i32_e32 v10, v65, v143
	v_add_nc_u16 v9, v12, 0xe000
	v_or_b32_e32 v6, v8, v6
	v_add_nc_u16 v8, v11, 0xe000
	v_add_nc_u16 v7, v7, 0xe000
	v_lshrrev_b32_e32 v11, 16, v5
	v_and_b32_e32 v5, 0x3f00, v5
	v_lshrrev_b16 v9, 8, v9
	v_and_b32_e32 v12, 0xf0f0f0f, v142
	v_lshlrev_b32_e32 v13, 4, v10
	v_and_b32_e32 v8, 0xffff, v8
	v_lshlrev_b32_e32 v7, 16, v7
	v_or_b32_e32 v5, v5, v9
	v_lshlrev_b16 v9, 8, v11
	v_and_or_b32 v12, 0x30303030, v13, v12
	v_add_nc_u32_e32 v13, 0x6180, v62
	v_lshrrev_b32_e32 v15, 4, v140
	v_add_nc_u16 v5, v5, 0xe000
	ds_store_2addr_b32 v13, v6, v4 offset1:16
	v_or_b32_e32 v4, v8, v7
	v_add_nc_u16 v6, v9, 0xe000
	v_lshlrev_b16 v7, 8, v12
	v_lshrrev_b32_e32 v8, 4, v142
	v_and_b32_e32 v9, 0x30303030, v10
	v_and_b32_e32 v10, 0x3f00, v11
	v_lshrrev_b32_e32 v11, 16, v12
	v_add_nc_u16 v7, v7, 0xe000
	v_lshrrev_b16 v6, 8, v6
	v_and_or_b32 v8, 0xf0f0f0f, v8, v9
	v_and_b32_e32 v9, 0x3f00, v12
	v_lshlrev_b16 v12, 8, v11
	v_lshrrev_b16 v7, 8, v7
	v_or_b32_e32 v6, v10, v6
	v_lshlrev_b16 v10, 8, v8
	v_and_b32_e32 v5, 0xffff, v5
	v_add_nc_u16 v12, v12, 0xe000
	v_or_b32_e32 v7, v9, v7
	v_add_nc_u16 v6, v6, 0xe000
	v_add_nc_u16 v9, v10, 0xe000
	v_and_b32_e32 v10, 0x3f00, v11
	v_lshrrev_b16 v11, 8, v12
	v_and_b32_e32 v12, 0x3f00, v8
	v_lshrrev_b32_e32 v8, 16, v8
	v_lshrrev_b16 v9, 8, v9
	v_add_nc_u16 v7, v7, 0xe000
	v_or_b32_e32 v10, v10, v11
	v_ashrrev_i32_e32 v11, v65, v141
	v_lshlrev_b16 v14, 8, v8
	v_or_b32_e32 v9, v12, v9
	v_and_b32_e32 v12, 0xf0f0f0f, v140
	v_and_b32_e32 v8, 0x3f00, v8
	v_lshlrev_b32_e32 v13, 4, v11
	v_and_b32_e32 v11, 0x30303030, v11
	v_add_nc_u16 v10, v10, 0xe000
	v_lshlrev_b32_e32 v6, 16, v6
	v_and_b32_e32 v7, 0xffff, v7
	v_and_or_b32 v12, 0x30303030, v13, v12
	v_and_or_b32 v11, 0xf0f0f0f, v15, v11
	v_add_nc_u16 v13, v14, 0xe000
	v_add_nc_u16 v9, v9, 0xe000
	v_lshlrev_b32_e32 v10, 16, v10
	v_lshrrev_b32_e32 v14, 16, v12
	v_lshrrev_b32_e32 v16, 16, v11
	v_lshlrev_b16 v15, 8, v12
	v_lshlrev_b16 v134, 8, v11
	v_lshrrev_b16 v13, 8, v13
	v_lshlrev_b16 v132, 8, v14
	v_lshlrev_b16 v135, 8, v16
	v_add_nc_u16 v15, v15, 0xe000
	v_add_nc_u16 v134, v134, 0xe000
	v_and_b32_e32 v12, 0x3f00, v12
	v_add_nc_u16 v132, v132, 0xe000
	v_add_nc_u16 v135, v135, 0xe000
	v_lshrrev_b16 v15, 8, v15
	v_and_b32_e32 v14, 0x3f00, v14
	v_and_b32_e32 v11, 0x3f00, v11
	v_lshrrev_b16 v132, 8, v132
	v_lshrrev_b16 v134, 8, v134
	v_and_b32_e32 v16, 0x3f00, v16
	v_lshrrev_b16 v135, 8, v135
	v_or_b32_e32 v8, v8, v13
	v_or_b32_e32 v12, v12, v15
	;; [unrolled: 1-line block ×5, first 2 shown]
	v_add_nc_u16 v8, v8, 0xe000
	v_and_b32_e32 v9, 0xffff, v9
	v_add_nc_u16 v12, v12, 0xe000
	v_add_nc_u16 v13, v13, 0xe000
	;; [unrolled: 1-line block ×4, first 2 shown]
	v_lshlrev_b32_e32 v8, 16, v8
	v_or_b32_e32 v5, v5, v6
	v_or_b32_e32 v6, v7, v10
	v_add_nc_u32_e32 v10, 0x69a0, v62
	v_and_b32_e32 v12, 0xffff, v12
	v_lshlrev_b32_e32 v13, 16, v13
	v_and_b32_e32 v11, 0xffff, v11
	v_lshlrev_b32_e32 v14, 16, v14
	v_or_b32_e32 v7, v9, v8
	ds_store_2addr_b32 v10, v4, v5 offset1:16
	v_add_nc_u32_e32 v5, 0x71c0, v62
	v_or_b32_e32 v8, v12, v13
	v_or_b32_e32 v9, v11, v14
	v_cvt_f32_f16_e64 v4, v138
	v_add_nc_u32_e32 v132, s0, v2
	ds_store_2addr_b32 v5, v6, v7 offset1:16
	v_add_nc_u32_e32 v5, 0x79e0, v62
	ds_store_2addr_b32 v5, v8, v9 offset1:16
	scratch_load_b32 v5, off, off offset:16 ; 4-byte Folded Reload
	s_waitcnt vmcnt(0)
	ds_store_b32 v5, v4
	scratch_load_b32 v4, off, off offset:24 ; 4-byte Folded Reload
	s_waitcnt vmcnt(0)
	ds_store_b32 v4, v133
	ds_store_b32 v95, v3
.LBB155_6:                              ;   Parent Loop BB155_5 Depth=1
                                        ; =>  This Loop Header: Depth=2
                                        ;       Child Loop BB155_7 Depth 3
	v_lshl_add_u32 v3, s14, 5, v31
	v_lshl_add_u32 v16, s14, 2, v132
	s_lshl_b32 s14, s14, 4
	s_xor_b32 s1, s1, -1
	s_add_i32 s15, s14, 16
	v_lshrrev_b32_e32 v3, 3, v3
	s_delay_alu instid0(VALU_DEP_1) | instskip(NEXT) | instid1(VALU_DEP_1)
	v_add_nc_u32_e32 v15, s0, v3
	v_add_nc_u32_e32 v5, v15, v99
	;; [unrolled: 1-line block ×7, first 2 shown]
	v_mad_i64_i32 v[3:4], null, v5, 36, v[0:1]
	v_mad_i64_i32 v[5:6], null, v7, 36, v[0:1]
	;; [unrolled: 1-line block ×5, first 2 shown]
	v_mad_u64_u32 v[13:14], null, v16, 36, s[2:3]
	v_add_nc_u32_e32 v135, v15, v116
	v_add_nc_u32_e32 v137, v15, v118
	v_mad_i64_i32 v[15:16], null, v133, 36, v[0:1]
	s_delay_alu instid0(VALU_DEP_3) | instskip(NEXT) | instid1(VALU_DEP_3)
	v_mad_i64_i32 v[133:134], null, v135, 36, v[0:1]
	v_mad_i64_i32 v[135:136], null, v137, 36, v[0:1]
	s_clause 0x8
	global_load_b32 v13, v[13:14], off
	global_load_b32 v5, v[5:6], off offset:4
	global_load_b32 v6, v[7:8], off offset:4
	;; [unrolled: 1-line block ×8, first 2 shown]
	s_waitcnt vmcnt(8)
	v_cvt_f32_f16_e32 v4, v13
	s_waitcnt vmcnt(7)
	ds_store_b32 v103, v5
	s_waitcnt vmcnt(6)
	ds_store_b32 v106, v6
	;; [unrolled: 2-line block ×8, first 2 shown]
	ds_store_b32 v97, v4
	s_waitcnt lgkmcnt(0)
	s_waitcnt_vscnt null, 0x0
	s_barrier
	buffer_gl0_inv
	ds_load_b32 v133, v120
	ds_load_b32 v134, v121 offset:128
	ds_load_b32 v135, v122 offset:256
	;; [unrolled: 1-line block ×3, first 2 shown]
.LBB155_7:                              ;   Parent Loop BB155_5 Depth=1
                                        ;     Parent Loop BB155_6 Depth=2
                                        ; =>    This Inner Loop Header: Depth=3
	s_lshl_b32 s16, s14, 1
	s_lshl_b32 s17, s14, 3
	s_and_b32 s16, s16, 16
	v_add_nc_u32_e32 v138, s17, v125
	v_or_b32_e32 v137, s16, v44
	v_add_nc_u32_e32 v175, s17, v127
	v_add_nc_u32_e32 v176, s17, v129
	v_add_nc_u32_e32 v177, s17, v131
	s_delay_alu instid0(VALU_DEP_4)
	v_lshlrev_b32_e32 v174, 2, v137
	v_lshrrev_b32_e32 v137, 1, v137
	ds_load_2addr_b32 v[3:4], v138 offset0:14 offset1:15
	ds_load_b128 v[139:142], v174 offset:33328
	ds_load_2addr_b32 v[187:188], v138 offset0:12 offset1:13
	ds_load_2addr_b32 v[15:16], v175 offset0:12 offset1:13
	;; [unrolled: 1-line block ×4, first 2 shown]
	s_waitcnt lgkmcnt(4)
	v_dot4_i32_iu8 v5, v3, v141, 0 neg_lo:[1,1,0]
	s_waitcnt lgkmcnt(3)
	s_delay_alu instid0(VALU_DEP_1) | instskip(SKIP_3) | instid1(VALU_DEP_1)
	v_dot4_i32_iu8 v143, v187, v139, v5 neg_lo:[1,1,0]
	ds_load_2addr_b32 v[5:6], v175 offset0:14 offset1:15
	s_waitcnt lgkmcnt(0)
	v_dot4_i32_iu8 v7, v5, v141, 0 neg_lo:[1,1,0]
	v_dot4_i32_iu8 v144, v15, v139, v7 neg_lo:[1,1,0]
	ds_load_2addr_b32 v[7:8], v176 offset0:14 offset1:15
	s_waitcnt lgkmcnt(0)
	v_dot4_i32_iu8 v9, v7, v141, 0 neg_lo:[1,1,0]
	s_delay_alu instid0(VALU_DEP_1) | instskip(SKIP_3) | instid1(VALU_DEP_1)
	v_dot4_i32_iu8 v145, v13, v139, v9 neg_lo:[1,1,0]
	ds_load_2addr_b32 v[9:10], v177 offset0:14 offset1:15
	s_waitcnt lgkmcnt(0)
	v_dot4_i32_iu8 v141, v9, v141, 0 neg_lo:[1,1,0]
	v_dot4_i32_iu8 v139, v11, v139, v141 neg_lo:[1,1,0]
	v_dot4_i32_iu8 v141, v188, v140, v143 neg_lo:[1,1,0]
	v_dot4_i32_iu8 v143, v16, v140, v144 neg_lo:[1,1,0]
	v_dot4_i32_iu8 v144, v14, v140, v145 neg_lo:[1,1,0]
	s_delay_alu instid0(VALU_DEP_4) | instskip(NEXT) | instid1(VALU_DEP_4)
	v_dot4_i32_iu8 v139, v12, v140, v139 neg_lo:[1,1,0]
	v_dot4_i32_iu8 v169, v4, v142, v141 neg_lo:[1,1,0]
	s_delay_alu instid0(VALU_DEP_4) | instskip(NEXT) | instid1(VALU_DEP_4)
	v_dot4_i32_iu8 v165, v6, v142, v143 neg_lo:[1,1,0]
	v_dot4_i32_iu8 v162, v8, v142, v144 neg_lo:[1,1,0]
	s_delay_alu instid0(VALU_DEP_4) | instskip(SKIP_1) | instid1(VALU_DEP_1)
	v_dot4_i32_iu8 v161, v10, v142, v139 neg_lo:[1,1,0]
	v_or_b32_e32 v139, s16, v96
	v_lshlrev_b32_e32 v178, 2, v139
	ds_load_b128 v[143:146], v178 offset:33328
	s_waitcnt lgkmcnt(0)
	v_dot4_i32_iu8 v140, v145, v3, 0 neg_lo:[1,1,0]
	v_dot4_i32_iu8 v141, v145, v5, 0 neg_lo:[1,1,0]
	v_dot4_i32_iu8 v142, v145, v7, 0 neg_lo:[1,1,0]
	v_dot4_i32_iu8 v145, v145, v9, 0 neg_lo:[1,1,0]
	s_delay_alu instid0(VALU_DEP_4) | instskip(NEXT) | instid1(VALU_DEP_4)
	v_dot4_i32_iu8 v140, v143, v187, v140 neg_lo:[1,1,0]
	v_dot4_i32_iu8 v141, v143, v15, v141 neg_lo:[1,1,0]
	s_delay_alu instid0(VALU_DEP_4) | instskip(NEXT) | instid1(VALU_DEP_4)
	v_dot4_i32_iu8 v142, v143, v13, v142 neg_lo:[1,1,0]
	v_dot4_i32_iu8 v143, v143, v11, v145 neg_lo:[1,1,0]
	s_delay_alu instid0(VALU_DEP_4) | instskip(NEXT) | instid1(VALU_DEP_4)
	v_dot4_i32_iu8 v140, v144, v188, v140 neg_lo:[1,1,0]
	v_dot4_i32_iu8 v141, v144, v16, v141 neg_lo:[1,1,0]
	s_delay_alu instid0(VALU_DEP_4) | instskip(NEXT) | instid1(VALU_DEP_4)
	v_dot4_i32_iu8 v142, v144, v14, v142 neg_lo:[1,1,0]
	v_dot4_i32_iu8 v147, v144, v12, v143 neg_lo:[1,1,0]
	s_delay_alu instid0(VALU_DEP_4) | instskip(SKIP_4) | instid1(VALU_DEP_4)
	v_dot4_i32_iu8 v145, v146, v4, v140 neg_lo:[1,1,0]
	v_or_b32_e32 v140, s16, v98
	v_dot4_i32_iu8 v144, v146, v6, v141 neg_lo:[1,1,0]
	v_dot4_i32_iu8 v143, v146, v8, v142 neg_lo:[1,1,0]
	v_dot4_i32_iu8 v142, v146, v10, v147 neg_lo:[1,1,0]
	v_lshlrev_b32_e32 v179, 2, v140
	ds_load_b128 v[148:151], v179 offset:33328
	s_waitcnt lgkmcnt(0)
	v_dot4_i32_iu8 v141, v150, v3, 0 neg_lo:[1,1,0]
	v_dot4_i32_iu8 v146, v150, v5, 0 neg_lo:[1,1,0]
	v_dot4_i32_iu8 v147, v150, v7, 0 neg_lo:[1,1,0]
	v_dot4_i32_iu8 v150, v150, v9, 0 neg_lo:[1,1,0]
	s_delay_alu instid0(VALU_DEP_4) | instskip(NEXT) | instid1(VALU_DEP_4)
	v_dot4_i32_iu8 v141, v148, v187, v141 neg_lo:[1,1,0]
	v_dot4_i32_iu8 v146, v148, v15, v146 neg_lo:[1,1,0]
	s_delay_alu instid0(VALU_DEP_4) | instskip(NEXT) | instid1(VALU_DEP_4)
	v_dot4_i32_iu8 v147, v148, v13, v147 neg_lo:[1,1,0]
	v_dot4_i32_iu8 v148, v148, v11, v150 neg_lo:[1,1,0]
	s_delay_alu instid0(VALU_DEP_4) | instskip(NEXT) | instid1(VALU_DEP_4)
	v_dot4_i32_iu8 v141, v149, v188, v141 neg_lo:[1,1,0]
	v_dot4_i32_iu8 v146, v149, v16, v146 neg_lo:[1,1,0]
	s_delay_alu instid0(VALU_DEP_4) | instskip(NEXT) | instid1(VALU_DEP_4)
	v_dot4_i32_iu8 v147, v149, v14, v147 neg_lo:[1,1,0]
	v_dot4_i32_iu8 v152, v149, v12, v148 neg_lo:[1,1,0]
	s_delay_alu instid0(VALU_DEP_4) | instskip(SKIP_4) | instid1(VALU_DEP_4)
	v_dot4_i32_iu8 v150, v151, v4, v141 neg_lo:[1,1,0]
	v_or_b32_e32 v141, s16, v102
	v_dot4_i32_iu8 v149, v151, v6, v146 neg_lo:[1,1,0]
	v_dot4_i32_iu8 v148, v151, v8, v147 neg_lo:[1,1,0]
	v_dot4_i32_iu8 v147, v151, v10, v152 neg_lo:[1,1,0]
	;; [unrolled: 25-line block ×5, first 2 shown]
	v_lshlrev_b32_e32 v192, 2, v156
	ds_load_b128 v[183:186], v192 offset:33328
	s_waitcnt lgkmcnt(0)
	v_dot4_i32_iu8 v163, v185, v3, 0 neg_lo:[1,1,0]
	v_dot4_i32_iu8 v170, v185, v5, 0 neg_lo:[1,1,0]
	;; [unrolled: 1-line block ×4, first 2 shown]
	s_delay_alu instid0(VALU_DEP_4) | instskip(NEXT) | instid1(VALU_DEP_4)
	v_dot4_i32_iu8 v163, v183, v187, v163 neg_lo:[1,1,0]
	v_dot4_i32_iu8 v170, v183, v15, v170 neg_lo:[1,1,0]
	s_delay_alu instid0(VALU_DEP_4) | instskip(NEXT) | instid1(VALU_DEP_4)
	v_dot4_i32_iu8 v171, v183, v13, v171 neg_lo:[1,1,0]
	v_dot4_i32_iu8 v172, v183, v11, v172 neg_lo:[1,1,0]
	;; [unrolled: 3-line block ×4, first 2 shown]
	s_delay_alu instid0(VALU_DEP_4)
	v_dot4_i32_iu8 v173, v186, v4, v163 neg_lo:[1,1,0]
	v_or_b32_e32 v163, s16, v113
	v_dot4_i32_iu8 v172, v186, v6, v170 neg_lo:[1,1,0]
	v_dot4_i32_iu8 v171, v186, v8, v171 neg_lo:[1,1,0]
	;; [unrolled: 1-line block ×3, first 2 shown]
	s_lshr_b32 s16, s14, 1
	v_lshlrev_b32_e32 v202, 2, v163
	s_add_i32 s14, s14, 8
	s_delay_alu instid0(SALU_CYCLE_1)
	s_cmp_lt_u32 s14, s15
	ds_load_b128 v[183:186], v202 offset:33328
	s_waitcnt lgkmcnt(0)
	v_dot4_i32_iu8 v3, v185, v3, 0 neg_lo:[1,1,0]
	v_dot4_i32_iu8 v5, v185, v5, 0 neg_lo:[1,1,0]
	;; [unrolled: 1-line block ×4, first 2 shown]
	s_delay_alu instid0(VALU_DEP_4) | instskip(NEXT) | instid1(VALU_DEP_4)
	v_dot4_i32_iu8 v3, v183, v187, v3 neg_lo:[1,1,0]
	v_dot4_i32_iu8 v5, v183, v15, v5 neg_lo:[1,1,0]
	s_delay_alu instid0(VALU_DEP_4) | instskip(NEXT) | instid1(VALU_DEP_4)
	v_dot4_i32_iu8 v7, v183, v13, v7 neg_lo:[1,1,0]
	v_dot4_i32_iu8 v9, v183, v11, v9 neg_lo:[1,1,0]
	;; [unrolled: 3-line block ×6, first 2 shown]
	ds_load_2addr_b32 v[207:208], v138 offset0:10 offset1:11
	ds_load_b128 v[7:10], v174 offset:33312
	ds_load_2addr_b32 v[211:212], v175 offset0:10 offset1:11
	ds_load_2addr_b32 v[217:218], v176 offset0:8 offset1:9
	;; [unrolled: 1-line block ×7, first 2 shown]
	ds_load_b128 v[203:206], v202 offset:33312
	s_waitcnt lgkmcnt(8)
	v_dot4_i32_iu8 v11, v207, v9, 0 neg_lo:[1,1,0]
	s_waitcnt lgkmcnt(7)
	v_dot4_i32_iu8 v12, v211, v9, 0 neg_lo:[1,1,0]
	;; [unrolled: 2-line block ×6, first 2 shown]
	v_dot4_i32_iu8 v13, v217, v7, v13 neg_lo:[1,1,0]
	v_dot4_i32_iu8 v7, v221, v7, v9 neg_lo:[1,1,0]
	;; [unrolled: 1-line block ×3, first 2 shown]
	s_delay_alu instid0(VALU_DEP_4) | instskip(NEXT) | instid1(VALU_DEP_4)
	v_dot4_i32_iu8 v11, v214, v8, v12 neg_lo:[1,1,0]
	v_dot4_i32_iu8 v12, v218, v8, v13 neg_lo:[1,1,0]
	s_delay_alu instid0(VALU_DEP_4) | instskip(NEXT) | instid1(VALU_DEP_4)
	v_dot4_i32_iu8 v7, v222, v8, v7 neg_lo:[1,1,0]
	v_dot4_i32_iu8 v251, v208, v10, v9 neg_lo:[1,1,0]
	;; [unrolled: 3-line block ×3, first 2 shown]
	s_delay_alu instid0(VALU_DEP_4)
	v_dot4_i32_iu8 v254, v220, v10, v7 neg_lo:[1,1,0]
	ds_load_b128 v[7:10], v178 offset:33312
	s_waitcnt lgkmcnt(0)
	v_dot4_i32_iu8 v11, v9, v207, 0 neg_lo:[1,1,0]
	v_dot4_i32_iu8 v12, v9, v211, 0 neg_lo:[1,1,0]
	v_dot4_i32_iu8 v13, v9, v215, 0 neg_lo:[1,1,0]
	v_dot4_i32_iu8 v9, v9, v219, 0 neg_lo:[1,1,0]
	s_delay_alu instid0(VALU_DEP_4) | instskip(NEXT) | instid1(VALU_DEP_4)
	v_dot4_i32_iu8 v11, v7, v209, v11 neg_lo:[1,1,0]
	v_dot4_i32_iu8 v12, v7, v213, v12 neg_lo:[1,1,0]
	s_delay_alu instid0(VALU_DEP_4) | instskip(NEXT) | instid1(VALU_DEP_4)
	v_dot4_i32_iu8 v13, v7, v217, v13 neg_lo:[1,1,0]
	v_dot4_i32_iu8 v7, v7, v221, v9 neg_lo:[1,1,0]
	s_delay_alu instid0(VALU_DEP_4) | instskip(NEXT) | instid1(VALU_DEP_4)
	v_dot4_i32_iu8 v9, v8, v210, v11 neg_lo:[1,1,0]
	v_dot4_i32_iu8 v11, v8, v214, v12 neg_lo:[1,1,0]
	s_delay_alu instid0(VALU_DEP_4) | instskip(NEXT) | instid1(VALU_DEP_4)
	v_dot4_i32_iu8 v12, v8, v218, v13 neg_lo:[1,1,0]
	v_dot4_i32_iu8 v7, v8, v222, v7 neg_lo:[1,1,0]
	s_delay_alu instid0(VALU_DEP_4) | instskip(NEXT) | instid1(VALU_DEP_4)
	v_dot4_i32_iu8 v201, v10, v208, v9 neg_lo:[1,1,0]
	v_dot4_i32_iu8 v200, v10, v212, v11 neg_lo:[1,1,0]
	s_delay_alu instid0(VALU_DEP_4) | instskip(NEXT) | instid1(VALU_DEP_4)
	v_dot4_i32_iu8 v199, v10, v216, v12 neg_lo:[1,1,0]
	v_dot4_i32_iu8 v198, v10, v220, v7 neg_lo:[1,1,0]
	ds_load_b128 v[7:10], v179 offset:33312
	s_waitcnt lgkmcnt(0)
	v_dot4_i32_iu8 v11, v9, v207, 0 neg_lo:[1,1,0]
	v_dot4_i32_iu8 v12, v9, v211, 0 neg_lo:[1,1,0]
	v_dot4_i32_iu8 v13, v9, v215, 0 neg_lo:[1,1,0]
	v_dot4_i32_iu8 v9, v9, v219, 0 neg_lo:[1,1,0]
	s_delay_alu instid0(VALU_DEP_4) | instskip(NEXT) | instid1(VALU_DEP_4)
	v_dot4_i32_iu8 v11, v7, v209, v11 neg_lo:[1,1,0]
	v_dot4_i32_iu8 v12, v7, v213, v12 neg_lo:[1,1,0]
	s_delay_alu instid0(VALU_DEP_4) | instskip(NEXT) | instid1(VALU_DEP_4)
	v_dot4_i32_iu8 v13, v7, v217, v13 neg_lo:[1,1,0]
	v_dot4_i32_iu8 v7, v7, v221, v9 neg_lo:[1,1,0]
	s_delay_alu instid0(VALU_DEP_4) | instskip(NEXT) | instid1(VALU_DEP_4)
	v_dot4_i32_iu8 v9, v8, v210, v11 neg_lo:[1,1,0]
	v_dot4_i32_iu8 v11, v8, v214, v12 neg_lo:[1,1,0]
	s_delay_alu instid0(VALU_DEP_4) | instskip(NEXT) | instid1(VALU_DEP_4)
	v_dot4_i32_iu8 v12, v8, v218, v13 neg_lo:[1,1,0]
	v_dot4_i32_iu8 v7, v8, v222, v7 neg_lo:[1,1,0]
	s_delay_alu instid0(VALU_DEP_4) | instskip(NEXT) | instid1(VALU_DEP_4)
	v_dot4_i32_iu8 v197, v10, v208, v9 neg_lo:[1,1,0]
	v_dot4_i32_iu8 v196, v10, v212, v11 neg_lo:[1,1,0]
	s_delay_alu instid0(VALU_DEP_4) | instskip(NEXT) | instid1(VALU_DEP_4)
	v_dot4_i32_iu8 v195, v10, v216, v12 neg_lo:[1,1,0]
	;; [unrolled: 24-line block ×5, first 2 shown]
	v_dot4_i32_iu8 v15, v10, v220, v7 neg_lo:[1,1,0]
	ds_load_b128 v[7:10], v192 offset:33312
	s_waitcnt lgkmcnt(0)
	v_dot4_i32_iu8 v11, v9, v207, 0 neg_lo:[1,1,0]
	v_dot4_i32_iu8 v12, v9, v211, 0 neg_lo:[1,1,0]
	;; [unrolled: 1-line block ×4, first 2 shown]
	s_delay_alu instid0(VALU_DEP_4) | instskip(NEXT) | instid1(VALU_DEP_4)
	v_dot4_i32_iu8 v11, v7, v209, v11 neg_lo:[1,1,0]
	v_dot4_i32_iu8 v12, v7, v213, v12 neg_lo:[1,1,0]
	s_delay_alu instid0(VALU_DEP_4) | instskip(NEXT) | instid1(VALU_DEP_4)
	v_dot4_i32_iu8 v13, v7, v217, v13 neg_lo:[1,1,0]
	v_dot4_i32_iu8 v7, v7, v221, v9 neg_lo:[1,1,0]
	;; [unrolled: 3-line block ×4, first 2 shown]
	v_dot4_i32_iu8 v8, v205, v211, 0 neg_lo:[1,1,0]
	v_dot4_i32_iu8 v14, v10, v208, v9 neg_lo:[1,1,0]
	;; [unrolled: 1-line block ×9, first 2 shown]
	s_delay_alu instid0(VALU_DEP_4) | instskip(NEXT) | instid1(VALU_DEP_4)
	v_dot4_i32_iu8 v7, v203, v209, v7 neg_lo:[1,1,0]
	v_dot4_i32_iu8 v8, v204, v214, v8 neg_lo:[1,1,0]
	s_delay_alu instid0(VALU_DEP_4) | instskip(SKIP_1) | instid1(VALU_DEP_4)
	v_dot4_i32_iu8 v207, v204, v218, v9 neg_lo:[1,1,0]
	v_dot4_i32_iu8 v9, v205, v219, 0 neg_lo:[1,1,0]
	;; [unrolled: 1-line block ×3, first 2 shown]
	s_delay_alu instid0(VALU_DEP_2) | instskip(NEXT) | instid1(VALU_DEP_2)
	v_dot4_i32_iu8 v9, v203, v221, v9 neg_lo:[1,1,0]
	v_dot4_i32_iu8 v10, v206, v208, v7 neg_lo:[1,1,0]
	s_delay_alu instid0(VALU_DEP_2) | instskip(SKIP_2) | instid1(VALU_DEP_3)
	v_dot4_i32_iu8 v203, v204, v222, v9 neg_lo:[1,1,0]
	v_dot4_i32_iu8 v9, v206, v212, v8 neg_lo:[1,1,0]
	v_dot4_i32_iu8 v8, v206, v216, v207 neg_lo:[1,1,0]
	v_dot4_i32_iu8 v7, v206, v220, v203 neg_lo:[1,1,0]
	ds_load_2addr_b32 v[235:236], v138 offset0:6 offset1:7
	ds_load_b128 v[203:206], v174 offset:33296
	ds_load_2addr_b32 v[239:240], v175 offset0:6 offset1:7
	ds_load_2addr_b32 v[245:246], v176 offset0:4 offset1:5
	;; [unrolled: 1-line block ×7, first 2 shown]
	ds_load_b128 v[231:234], v202 offset:33296
	s_waitcnt lgkmcnt(8)
	v_dot4_i32_iu8 v207, v235, v205, 0 neg_lo:[1,1,0]
	s_waitcnt lgkmcnt(7)
	v_dot4_i32_iu8 v208, v239, v205, 0 neg_lo:[1,1,0]
	;; [unrolled: 2-line block ×6, first 2 shown]
	v_dot4_i32_iu8 v209, v245, v203, v209 neg_lo:[1,1,0]
	v_dot4_i32_iu8 v203, v249, v203, v205 neg_lo:[1,1,0]
	;; [unrolled: 1-line block ×3, first 2 shown]
	s_delay_alu instid0(VALU_DEP_4) | instskip(NEXT) | instid1(VALU_DEP_4)
	v_dot4_i32_iu8 v207, v242, v204, v208 neg_lo:[1,1,0]
	v_dot4_i32_iu8 v208, v246, v204, v209 neg_lo:[1,1,0]
	s_delay_alu instid0(VALU_DEP_4) | instskip(NEXT) | instid1(VALU_DEP_4)
	v_dot4_i32_iu8 v203, v250, v204, v203 neg_lo:[1,1,0]
	v_dot4_i32_iu8 v255, v236, v206, v205 neg_lo:[1,1,0]
	;; [unrolled: 3-line block ×3, first 2 shown]
	s_delay_alu instid0(VALU_DEP_4)
	v_dot4_i32_iu8 v40, v248, v206, v203 neg_lo:[1,1,0]
	ds_load_b128 v[203:206], v178 offset:33296
	s_waitcnt lgkmcnt(0)
	v_dot4_i32_iu8 v207, v205, v235, 0 neg_lo:[1,1,0]
	v_dot4_i32_iu8 v208, v205, v239, 0 neg_lo:[1,1,0]
	v_dot4_i32_iu8 v209, v205, v243, 0 neg_lo:[1,1,0]
	v_dot4_i32_iu8 v205, v205, v247, 0 neg_lo:[1,1,0]
	s_delay_alu instid0(VALU_DEP_4) | instskip(NEXT) | instid1(VALU_DEP_4)
	v_dot4_i32_iu8 v207, v203, v237, v207 neg_lo:[1,1,0]
	v_dot4_i32_iu8 v208, v203, v241, v208 neg_lo:[1,1,0]
	s_delay_alu instid0(VALU_DEP_4) | instskip(NEXT) | instid1(VALU_DEP_4)
	v_dot4_i32_iu8 v209, v203, v245, v209 neg_lo:[1,1,0]
	v_dot4_i32_iu8 v203, v203, v249, v205 neg_lo:[1,1,0]
	s_delay_alu instid0(VALU_DEP_4) | instskip(NEXT) | instid1(VALU_DEP_4)
	v_dot4_i32_iu8 v205, v204, v238, v207 neg_lo:[1,1,0]
	v_dot4_i32_iu8 v207, v204, v242, v208 neg_lo:[1,1,0]
	s_delay_alu instid0(VALU_DEP_4) | instskip(NEXT) | instid1(VALU_DEP_4)
	v_dot4_i32_iu8 v208, v204, v246, v209 neg_lo:[1,1,0]
	v_dot4_i32_iu8 v203, v204, v250, v203 neg_lo:[1,1,0]
	s_delay_alu instid0(VALU_DEP_4) | instskip(NEXT) | instid1(VALU_DEP_4)
	v_dot4_i32_iu8 v230, v206, v236, v205 neg_lo:[1,1,0]
	v_dot4_i32_iu8 v229, v206, v240, v207 neg_lo:[1,1,0]
	s_delay_alu instid0(VALU_DEP_4) | instskip(NEXT) | instid1(VALU_DEP_4)
	v_dot4_i32_iu8 v228, v206, v244, v208 neg_lo:[1,1,0]
	v_dot4_i32_iu8 v227, v206, v248, v203 neg_lo:[1,1,0]
	ds_load_b128 v[203:206], v179 offset:33296
	s_waitcnt lgkmcnt(0)
	v_dot4_i32_iu8 v207, v205, v235, 0 neg_lo:[1,1,0]
	v_dot4_i32_iu8 v208, v205, v239, 0 neg_lo:[1,1,0]
	v_dot4_i32_iu8 v209, v205, v243, 0 neg_lo:[1,1,0]
	v_dot4_i32_iu8 v205, v205, v247, 0 neg_lo:[1,1,0]
	s_delay_alu instid0(VALU_DEP_4) | instskip(NEXT) | instid1(VALU_DEP_4)
	v_dot4_i32_iu8 v207, v203, v237, v207 neg_lo:[1,1,0]
	v_dot4_i32_iu8 v208, v203, v241, v208 neg_lo:[1,1,0]
	s_delay_alu instid0(VALU_DEP_4) | instskip(NEXT) | instid1(VALU_DEP_4)
	v_dot4_i32_iu8 v209, v203, v245, v209 neg_lo:[1,1,0]
	v_dot4_i32_iu8 v203, v203, v249, v205 neg_lo:[1,1,0]
	s_delay_alu instid0(VALU_DEP_4) | instskip(NEXT) | instid1(VALU_DEP_4)
	v_dot4_i32_iu8 v205, v204, v238, v207 neg_lo:[1,1,0]
	v_dot4_i32_iu8 v207, v204, v242, v208 neg_lo:[1,1,0]
	s_delay_alu instid0(VALU_DEP_4) | instskip(NEXT) | instid1(VALU_DEP_4)
	v_dot4_i32_iu8 v208, v204, v246, v209 neg_lo:[1,1,0]
	v_dot4_i32_iu8 v203, v204, v250, v203 neg_lo:[1,1,0]
	s_delay_alu instid0(VALU_DEP_4) | instskip(NEXT) | instid1(VALU_DEP_4)
	v_dot4_i32_iu8 v226, v206, v236, v205 neg_lo:[1,1,0]
	v_dot4_i32_iu8 v225, v206, v240, v207 neg_lo:[1,1,0]
	s_delay_alu instid0(VALU_DEP_4) | instskip(NEXT) | instid1(VALU_DEP_4)
	v_dot4_i32_iu8 v224, v206, v244, v208 neg_lo:[1,1,0]
	;; [unrolled: 24-line block ×5, first 2 shown]
	v_dot4_i32_iu8 v211, v206, v248, v203 neg_lo:[1,1,0]
	ds_load_b128 v[203:206], v192 offset:33296
	s_waitcnt lgkmcnt(0)
	v_dot4_i32_iu8 v207, v205, v235, 0 neg_lo:[1,1,0]
	v_dot4_i32_iu8 v208, v205, v239, 0 neg_lo:[1,1,0]
	;; [unrolled: 1-line block ×4, first 2 shown]
	s_delay_alu instid0(VALU_DEP_4) | instskip(NEXT) | instid1(VALU_DEP_4)
	v_dot4_i32_iu8 v207, v203, v237, v207 neg_lo:[1,1,0]
	v_dot4_i32_iu8 v208, v203, v241, v208 neg_lo:[1,1,0]
	s_delay_alu instid0(VALU_DEP_4) | instskip(NEXT) | instid1(VALU_DEP_4)
	v_dot4_i32_iu8 v209, v203, v245, v209 neg_lo:[1,1,0]
	v_dot4_i32_iu8 v203, v203, v249, v205 neg_lo:[1,1,0]
	;; [unrolled: 3-line block ×4, first 2 shown]
	v_dot4_i32_iu8 v204, v233, v239, 0 neg_lo:[1,1,0]
	v_dot4_i32_iu8 v210, v206, v236, v205 neg_lo:[1,1,0]
	;; [unrolled: 1-line block ×9, first 2 shown]
	s_delay_alu instid0(VALU_DEP_4) | instskip(NEXT) | instid1(VALU_DEP_4)
	v_dot4_i32_iu8 v203, v231, v237, v203 neg_lo:[1,1,0]
	v_dot4_i32_iu8 v204, v232, v242, v204 neg_lo:[1,1,0]
	s_delay_alu instid0(VALU_DEP_4) | instskip(SKIP_1) | instid1(VALU_DEP_4)
	v_dot4_i32_iu8 v235, v232, v246, v205 neg_lo:[1,1,0]
	v_dot4_i32_iu8 v205, v233, v247, 0 neg_lo:[1,1,0]
	;; [unrolled: 1-line block ×3, first 2 shown]
	s_delay_alu instid0(VALU_DEP_2) | instskip(NEXT) | instid1(VALU_DEP_2)
	v_dot4_i32_iu8 v205, v231, v249, v205 neg_lo:[1,1,0]
	v_dot4_i32_iu8 v206, v234, v236, v203 neg_lo:[1,1,0]
	s_delay_alu instid0(VALU_DEP_2) | instskip(SKIP_2) | instid1(VALU_DEP_3)
	v_dot4_i32_iu8 v231, v232, v250, v205 neg_lo:[1,1,0]
	v_dot4_i32_iu8 v205, v234, v240, v204 neg_lo:[1,1,0]
	;; [unrolled: 1-line block ×4, first 2 shown]
	ds_load_2addr_b32 v[235:236], v138 offset0:2 offset1:3
	ds_load_2addr_b32 v[237:238], v138 offset1:1
	ds_load_b128 v[231:234], v174 offset:33280
	ds_load_2addr_b32 v[239:240], v175 offset0:2 offset1:3
	ds_load_2addr_b32 v[241:242], v175 offset1:1
	ds_load_2addr_b32 v[243:244], v176 offset0:2 offset1:3
	ds_load_2addr_b32 v[245:246], v176 offset1:1
	;; [unrolled: 2-line block ×3, first 2 shown]
	s_waitcnt lgkmcnt(6)
	v_dot4_i32_iu8 v138, v235, v233, 0 neg_lo:[1,1,0]
	s_waitcnt lgkmcnt(5)
	v_dot4_i32_iu8 v174, v239, v233, 0 neg_lo:[1,1,0]
	;; [unrolled: 2-line block ×4, first 2 shown]
	v_dot4_i32_iu8 v138, v237, v231, v138 neg_lo:[1,1,0]
	v_dot4_i32_iu8 v174, v241, v231, v174 neg_lo:[1,1,0]
	;; [unrolled: 1-line block ×3, first 2 shown]
	s_waitcnt lgkmcnt(0)
	v_dot4_i32_iu8 v176, v249, v231, v176 neg_lo:[1,1,0]
	v_dot4_i32_iu8 v138, v238, v232, v138 neg_lo:[1,1,0]
	;; [unrolled: 1-line block ×4, first 2 shown]
	s_delay_alu instid0(VALU_DEP_4) | instskip(NEXT) | instid1(VALU_DEP_4)
	v_dot4_i32_iu8 v176, v250, v232, v176 neg_lo:[1,1,0]
	v_dot4_i32_iu8 v231, v236, v234, v138 neg_lo:[1,1,0]
	s_delay_alu instid0(VALU_DEP_4) | instskip(NEXT) | instid1(VALU_DEP_4)
	v_dot4_i32_iu8 v232, v240, v234, v174 neg_lo:[1,1,0]
	v_dot4_i32_iu8 v233, v244, v234, v175 neg_lo:[1,1,0]
	s_delay_alu instid0(VALU_DEP_4)
	v_dot4_i32_iu8 v234, v248, v234, v176 neg_lo:[1,1,0]
	ds_load_b128 v[174:177], v178 offset:33280
	s_waitcnt lgkmcnt(0)
	v_dot4_i32_iu8 v138, v176, v235, 0 neg_lo:[1,1,0]
	v_dot4_i32_iu8 v178, v176, v239, 0 neg_lo:[1,1,0]
	v_dot4_i32_iu8 v60, v176, v243, 0 neg_lo:[1,1,0]
	v_dot4_i32_iu8 v176, v176, v247, 0 neg_lo:[1,1,0]
	s_delay_alu instid0(VALU_DEP_4) | instskip(NEXT) | instid1(VALU_DEP_4)
	v_dot4_i32_iu8 v138, v174, v237, v138 neg_lo:[1,1,0]
	v_dot4_i32_iu8 v178, v174, v241, v178 neg_lo:[1,1,0]
	s_delay_alu instid0(VALU_DEP_4) | instskip(NEXT) | instid1(VALU_DEP_4)
	v_dot4_i32_iu8 v60, v174, v245, v60 neg_lo:[1,1,0]
	v_dot4_i32_iu8 v174, v174, v249, v176 neg_lo:[1,1,0]
	s_delay_alu instid0(VALU_DEP_4) | instskip(NEXT) | instid1(VALU_DEP_4)
	v_dot4_i32_iu8 v138, v175, v238, v138 neg_lo:[1,1,0]
	v_dot4_i32_iu8 v176, v175, v242, v178 neg_lo:[1,1,0]
	s_delay_alu instid0(VALU_DEP_4) | instskip(NEXT) | instid1(VALU_DEP_4)
	v_dot4_i32_iu8 v60, v175, v246, v60 neg_lo:[1,1,0]
	v_dot4_i32_iu8 v174, v175, v250, v174 neg_lo:[1,1,0]
	s_delay_alu instid0(VALU_DEP_4) | instskip(NEXT) | instid1(VALU_DEP_4)
	v_dot4_i32_iu8 v67, v177, v236, v138 neg_lo:[1,1,0]
	v_dot4_i32_iu8 v68, v177, v240, v176 neg_lo:[1,1,0]
	s_delay_alu instid0(VALU_DEP_4) | instskip(NEXT) | instid1(VALU_DEP_4)
	v_dot4_i32_iu8 v60, v177, v244, v60 neg_lo:[1,1,0]
	v_dot4_i32_iu8 v69, v177, v248, v174 neg_lo:[1,1,0]
	ds_load_b128 v[174:177], v179 offset:33280
	s_waitcnt lgkmcnt(0)
	v_dot4_i32_iu8 v138, v176, v235, 0 neg_lo:[1,1,0]
	v_dot4_i32_iu8 v178, v176, v239, 0 neg_lo:[1,1,0]
	v_dot4_i32_iu8 v179, v176, v243, 0 neg_lo:[1,1,0]
	v_dot4_i32_iu8 v176, v176, v247, 0 neg_lo:[1,1,0]
	s_delay_alu instid0(VALU_DEP_4) | instskip(NEXT) | instid1(VALU_DEP_4)
	v_dot4_i32_iu8 v138, v174, v237, v138 neg_lo:[1,1,0]
	v_dot4_i32_iu8 v178, v174, v241, v178 neg_lo:[1,1,0]
	s_delay_alu instid0(VALU_DEP_4) | instskip(NEXT) | instid1(VALU_DEP_4)
	v_dot4_i32_iu8 v179, v174, v245, v179 neg_lo:[1,1,0]
	v_dot4_i32_iu8 v174, v174, v249, v176 neg_lo:[1,1,0]
	s_delay_alu instid0(VALU_DEP_4) | instskip(NEXT) | instid1(VALU_DEP_4)
	v_dot4_i32_iu8 v138, v175, v238, v138 neg_lo:[1,1,0]
	v_dot4_i32_iu8 v176, v175, v242, v178 neg_lo:[1,1,0]
	s_delay_alu instid0(VALU_DEP_4) | instskip(NEXT) | instid1(VALU_DEP_4)
	v_dot4_i32_iu8 v178, v175, v246, v179 neg_lo:[1,1,0]
	v_dot4_i32_iu8 v174, v175, v250, v174 neg_lo:[1,1,0]
	s_delay_alu instid0(VALU_DEP_4) | instskip(NEXT) | instid1(VALU_DEP_4)
	v_dot4_i32_iu8 v72, v177, v236, v138 neg_lo:[1,1,0]
	v_dot4_i32_iu8 v73, v177, v240, v176 neg_lo:[1,1,0]
	s_delay_alu instid0(VALU_DEP_4) | instskip(NEXT) | instid1(VALU_DEP_4)
	v_dot4_i32_iu8 v74, v177, v244, v178 neg_lo:[1,1,0]
	;; [unrolled: 24-line block ×6, first 2 shown]
	v_dot4_i32_iu8 v94, v177, v248, v174 neg_lo:[1,1,0]
	ds_load_b128 v[174:177], v202 offset:33280
	s_waitcnt lgkmcnt(0)
	v_dot4_i32_iu8 v138, v176, v235, 0 neg_lo:[1,1,0]
	v_dot4_i32_iu8 v178, v176, v239, 0 neg_lo:[1,1,0]
	v_dot4_i32_iu8 v179, v176, v243, 0 neg_lo:[1,1,0]
	v_dot4_i32_iu8 v176, v176, v247, 0 neg_lo:[1,1,0]
	s_delay_alu instid0(VALU_DEP_4) | instskip(NEXT) | instid1(VALU_DEP_4)
	v_dot4_i32_iu8 v138, v174, v237, v138 neg_lo:[1,1,0]
	v_dot4_i32_iu8 v178, v174, v241, v178 neg_lo:[1,1,0]
	s_delay_alu instid0(VALU_DEP_4) | instskip(NEXT) | instid1(VALU_DEP_4)
	v_dot4_i32_iu8 v179, v174, v245, v179 neg_lo:[1,1,0]
	v_dot4_i32_iu8 v174, v174, v249, v176 neg_lo:[1,1,0]
	;; [unrolled: 3-line block ×4, first 2 shown]
	s_delay_alu instid0(VALU_DEP_4) | instskip(SKIP_2) | instid1(VALU_DEP_4)
	v_dot4_i32_iu8 v202, v177, v236, v138 neg_lo:[1,1,0]
	v_add_nc_u32_e32 v138, s16, v124
	v_dot4_i32_iu8 v235, v177, v240, v178 neg_lo:[1,1,0]
	v_dot4_i32_iu8 v237, v177, v248, v174 neg_lo:[1,1,0]
	;; [unrolled: 1-line block ×3, first 2 shown]
	ds_load_b32 v176, v138
	s_waitcnt lgkmcnt(0)
	v_bfe_i32 v238, v176, 8, 8
	v_bfe_i32 v239, v176, 0, 8
	v_bfe_i32 v240, v176, 16, 8
	s_delay_alu instid0(VALU_DEP_3) | instskip(NEXT) | instid1(VALU_DEP_1)
	v_mul_lo_u32 v138, v255, v238
	v_mad_u64_u32 v[174:175], null, v231, v239, v[138:139]
	v_ashrrev_i32_e32 v231, 24, v176
	s_delay_alu instid0(VALU_DEP_1) | instskip(SKIP_1) | instid1(VALU_DEP_2)
	v_mul_lo_u32 v138, v169, v231
	v_mul_lo_u32 v3, v3, v231
	v_mad_u64_u32 v[175:176], null, v251, v240, v[138:139]
	v_add_nc_u32_e32 v138, s16, v126
	ds_load_b32 v169, v138
	s_waitcnt lgkmcnt(0)
	v_bfe_i32 v241, v169, 8, 8
	v_bfe_i32 v242, v169, 0, 8
	s_delay_alu instid0(VALU_DEP_2) | instskip(SKIP_2) | instid1(VALU_DEP_3)
	v_mul_lo_u32 v138, v30, v241
	v_ashrrev_i32_e32 v30, 24, v169
	v_bfe_i32 v169, v169, 16, 8
	v_mad_u64_u32 v[176:177], null, v232, v242, v[138:139]
	s_delay_alu instid0(VALU_DEP_3) | instskip(NEXT) | instid1(VALU_DEP_1)
	v_mul_lo_u32 v138, v165, v30
	v_mad_u64_u32 v[177:178], null, v252, v169, v[138:139]
	v_add_nc_u32_e32 v138, s16, v128
	ds_load_b32 v165, v138
	s_waitcnt lgkmcnt(0)
	v_bfe_i32 v232, v165, 8, 8
	v_bfe_i32 v243, v165, 0, 8
	s_delay_alu instid0(VALU_DEP_2) | instskip(SKIP_2) | instid1(VALU_DEP_3)
	v_mul_lo_u32 v138, v37, v232
	v_ashrrev_i32_e32 v37, 24, v165
	v_bfe_i32 v165, v165, 16, 8
	v_mad_u64_u32 v[178:179], null, v233, v243, v[138:139]
	s_delay_alu instid0(VALU_DEP_3) | instskip(NEXT) | instid1(VALU_DEP_1)
	v_mul_lo_u32 v138, v162, v37
	v_mad_u64_u32 v[179:180], null, v253, v165, v[138:139]
	v_add_nc_u32_e32 v138, s16, v130
	ds_load_b32 v162, v138
	s_waitcnt lgkmcnt(0)
	v_bfe_i32 v233, v162, 8, 8
	v_bfe_i32 v244, v162, 0, 8
	s_delay_alu instid0(VALU_DEP_2) | instskip(SKIP_1) | instid1(VALU_DEP_2)
	v_mul_lo_u32 v138, v40, v233
	v_ashrrev_i32_e32 v40, 24, v162
	v_mad_u64_u32 v[180:181], null, v234, v244, v[138:139]
	s_delay_alu instid0(VALU_DEP_2) | instskip(SKIP_1) | instid1(VALU_DEP_1)
	v_mul_lo_u32 v138, v161, v40
	v_bfe_i32 v181, v162, 16, 8
	v_mad_u64_u32 v[161:162], null, v254, v181, v[138:139]
	ds_load_b64 v[137:138], v137 offset:43584
	v_cvt_f32_i32_e32 v162, v174
	v_cvt_f32_i32_e32 v174, v175
	;; [unrolled: 1-line block ×8, first 2 shown]
	s_waitcnt lgkmcnt(0)
	v_fma_f32 v180, v137, v162, 0
	v_fma_f32 v234, v137, v175, 0
	;; [unrolled: 1-line block ×4, first 2 shown]
	v_mul_lo_u32 v137, v230, v238
	v_fmac_f32_e32 v180, v138, v174
	v_fmac_f32_e32 v234, v138, v176
	v_fmac_f32_e32 v245, v138, v178
	s_delay_alu instid0(VALU_DEP_3) | instskip(SKIP_2) | instid1(VALU_DEP_1)
	v_dual_fmac_f32 v246, v138, v161 :: v_dual_fmac_f32 v33, v133, v180
	v_mad_u64_u32 v[161:162], null, v67, v239, v[137:138]
	v_mul_lo_u32 v137, v145, v231
	v_mad_u64_u32 v[174:175], null, v201, v240, v[137:138]
	v_mul_lo_u32 v137, v229, v241
	s_delay_alu instid0(VALU_DEP_2) | instskip(NEXT) | instid1(VALU_DEP_2)
	v_cvt_f32_i32_e32 v67, v174
	v_mad_u64_u32 v[175:176], null, v68, v242, v[137:138]
	v_mul_lo_u32 v137, v144, v30
	s_delay_alu instid0(VALU_DEP_2) | instskip(NEXT) | instid1(VALU_DEP_2)
	v_cvt_f32_i32_e32 v68, v175
	v_mad_u64_u32 v[144:145], null, v200, v169, v[137:138]
	v_mul_lo_u32 v137, v228, v232
	s_delay_alu instid0(VALU_DEP_1) | instskip(SKIP_2) | instid1(VALU_DEP_2)
	v_mad_u64_u32 v[176:177], null, v60, v243, v[137:138]
	v_mul_lo_u32 v137, v143, v37
	v_cvt_f32_i32_e32 v60, v161
	v_mad_u64_u32 v[177:178], null, v199, v165, v[137:138]
	v_mul_lo_u32 v137, v227, v233
	s_delay_alu instid0(VALU_DEP_1) | instskip(SKIP_3) | instid1(VALU_DEP_4)
	v_mad_u64_u32 v[178:179], null, v69, v244, v[137:138]
	v_mul_lo_u32 v137, v142, v40
	v_cvt_f32_i32_e32 v69, v144
	v_cvt_f32_i32_e32 v144, v177
	;; [unrolled: 1-line block ×3, first 2 shown]
	s_delay_alu instid0(VALU_DEP_4)
	v_mad_u64_u32 v[142:143], null, v198, v181, v[137:138]
	v_lshrrev_b32_e32 v137, 1, v139
	v_cvt_f32_i32_e32 v143, v176
	ds_load_b64 v[137:138], v137 offset:43584
	v_cvt_f32_i32_e32 v142, v142
	s_waitcnt lgkmcnt(0)
	v_fma_f32 v60, v137, v60, 0
	s_delay_alu instid0(VALU_DEP_1) | instskip(SKIP_2) | instid1(VALU_DEP_3)
	v_fmac_f32_e32 v60, v138, v67
	v_fma_f32 v67, v137, v68, 0
	v_fma_f32 v68, v137, v143, 0
	v_fmac_f32_e32 v55, v133, v60
	s_delay_alu instid0(VALU_DEP_3) | instskip(SKIP_3) | instid1(VALU_DEP_4)
	v_fmac_f32_e32 v67, v138, v69
	v_fma_f32 v69, v137, v145, 0
	v_mul_lo_u32 v137, v226, v238
	v_fmac_f32_e32 v68, v138, v144
	v_fmac_f32_e32 v51, v134, v67
	s_delay_alu instid0(VALU_DEP_4) | instskip(NEXT) | instid1(VALU_DEP_4)
	v_fmac_f32_e32 v69, v138, v142
	v_mad_u64_u32 v[138:139], null, v72, v239, v[137:138]
	v_mul_lo_u32 v137, v150, v231
	s_delay_alu instid0(VALU_DEP_3) | instskip(NEXT) | instid1(VALU_DEP_3)
	v_fmac_f32_e32 v47, v136, v69
	v_cvt_f32_i32_e32 v72, v138
	s_delay_alu instid0(VALU_DEP_3) | instskip(SKIP_1) | instid1(VALU_DEP_1)
	v_mad_u64_u32 v[142:143], null, v197, v240, v[137:138]
	v_mul_lo_u32 v137, v225, v241
	v_mad_u64_u32 v[143:144], null, v73, v242, v[137:138]
	v_mul_lo_u32 v137, v149, v30
	s_delay_alu instid0(VALU_DEP_4) | instskip(NEXT) | instid1(VALU_DEP_2)
	v_cvt_f32_i32_e32 v73, v142
	v_mad_u64_u32 v[144:145], null, v196, v169, v[137:138]
	v_mul_lo_u32 v137, v224, v232
	s_delay_alu instid0(VALU_DEP_1) | instskip(SKIP_2) | instid1(VALU_DEP_3)
	v_mad_u64_u32 v[149:150], null, v74, v243, v[137:138]
	v_mul_lo_u32 v137, v148, v37
	v_cvt_f32_i32_e32 v74, v143
	v_cvt_f32_i32_e32 v139, v149
	s_delay_alu instid0(VALU_DEP_3) | instskip(SKIP_1) | instid1(VALU_DEP_2)
	v_mad_u64_u32 v[161:162], null, v195, v165, v[137:138]
	v_mul_lo_u32 v137, v223, v233
	v_cvt_f32_i32_e32 v142, v161
	s_delay_alu instid0(VALU_DEP_2) | instskip(SKIP_2) | instid1(VALU_DEP_3)
	v_mad_u64_u32 v[174:175], null, v76, v244, v[137:138]
	v_mul_lo_u32 v137, v147, v40
	v_cvt_f32_i32_e32 v76, v144
	v_cvt_f32_i32_e32 v143, v174
	s_delay_alu instid0(VALU_DEP_3)
	v_mad_u64_u32 v[147:148], null, v194, v181, v[137:138]
	v_lshrrev_b32_e32 v137, 1, v140
	ds_load_b64 v[137:138], v137 offset:43584
	v_cvt_f32_i32_e32 v144, v147
	s_waitcnt lgkmcnt(0)
	v_fma_f32 v72, v137, v72, 0
	s_delay_alu instid0(VALU_DEP_1) | instskip(SKIP_2) | instid1(VALU_DEP_2)
	v_fmac_f32_e32 v72, v138, v73
	v_fma_f32 v73, v137, v74, 0
	v_fma_f32 v74, v137, v139, 0
	v_fmac_f32_e32 v73, v138, v76
	v_fma_f32 v76, v137, v143, 0
	v_mul_lo_u32 v137, v222, v238
	s_delay_alu instid0(VALU_DEP_4) | instskip(NEXT) | instid1(VALU_DEP_4)
	v_fmac_f32_e32 v74, v138, v142
	v_fmac_f32_e32 v45, v134, v73
	s_delay_alu instid0(VALU_DEP_4) | instskip(NEXT) | instid1(VALU_DEP_4)
	v_fmac_f32_e32 v76, v138, v144
	v_mad_u64_u32 v[138:139], null, v77, v239, v[137:138]
	v_mul_lo_u32 v137, v155, v231
	s_delay_alu instid0(VALU_DEP_2) | instskip(NEXT) | instid1(VALU_DEP_2)
	v_cvt_f32_i32_e32 v77, v138
	v_mad_u64_u32 v[139:140], null, v193, v240, v[137:138]
	v_mul_lo_u32 v137, v221, v241
	s_delay_alu instid0(VALU_DEP_1) | instskip(SKIP_1) | instid1(VALU_DEP_4)
	v_mad_u64_u32 v[142:143], null, v78, v242, v[137:138]
	v_mul_lo_u32 v137, v154, v30
	v_cvt_f32_i32_e32 v78, v139
	s_delay_alu instid0(VALU_DEP_2) | instskip(SKIP_1) | instid1(VALU_DEP_1)
	v_mad_u64_u32 v[143:144], null, v191, v169, v[137:138]
	v_mul_lo_u32 v137, v220, v232
	v_mad_u64_u32 v[144:145], null, v80, v243, v[137:138]
	v_mul_lo_u32 v137, v153, v37
	v_cvt_f32_i32_e32 v80, v142
	s_delay_alu instid0(VALU_DEP_3) | instskip(NEXT) | instid1(VALU_DEP_3)
	v_cvt_f32_i32_e32 v139, v144
	v_mad_u64_u32 v[147:148], null, v190, v165, v[137:138]
	v_mul_lo_u32 v137, v219, v233
	s_delay_alu instid0(VALU_DEP_2) | instskip(NEXT) | instid1(VALU_DEP_2)
	v_cvt_f32_i32_e32 v140, v147
	v_mad_u64_u32 v[148:149], null, v81, v244, v[137:138]
	v_mul_lo_u32 v137, v152, v40
	v_cvt_f32_i32_e32 v81, v143
	s_delay_alu instid0(VALU_DEP_3) | instskip(NEXT) | instid1(VALU_DEP_3)
	v_cvt_f32_i32_e32 v142, v148
	v_mad_u64_u32 v[149:150], null, v189, v181, v[137:138]
	v_lshrrev_b32_e32 v137, 1, v141
	ds_load_b64 v[137:138], v137 offset:43584
	v_cvt_f32_i32_e32 v143, v149
	s_waitcnt lgkmcnt(0)
	v_fma_f32 v77, v137, v77, 0
	s_delay_alu instid0(VALU_DEP_1) | instskip(SKIP_2) | instid1(VALU_DEP_3)
	v_fmac_f32_e32 v77, v138, v78
	v_fma_f32 v78, v137, v80, 0
	v_fma_f32 v80, v137, v139, 0
	v_fmac_f32_e32 v41, v133, v77
	s_delay_alu instid0(VALU_DEP_3) | instskip(SKIP_3) | instid1(VALU_DEP_4)
	v_fmac_f32_e32 v78, v138, v81
	v_fma_f32 v81, v137, v142, 0
	v_mul_lo_u32 v137, v218, v238
	v_fmac_f32_e32 v80, v138, v140
	v_dual_fmac_f32 v70, v135, v245 :: v_dual_fmac_f32 v39, v134, v78
	s_delay_alu instid0(VALU_DEP_4) | instskip(NEXT) | instid1(VALU_DEP_4)
	v_fmac_f32_e32 v81, v138, v143
	v_mad_u64_u32 v[138:139], null, v83, v239, v[137:138]
	v_mul_lo_u32 v137, v160, v231
	s_delay_alu instid0(VALU_DEP_2) | instskip(NEXT) | instid1(VALU_DEP_2)
	v_cvt_f32_i32_e32 v83, v138
	v_mad_u64_u32 v[139:140], null, v188, v240, v[137:138]
	v_mul_lo_u32 v137, v217, v241
	s_delay_alu instid0(VALU_DEP_1) | instskip(SKIP_1) | instid1(VALU_DEP_4)
	v_mad_u64_u32 v[140:141], null, v84, v242, v[137:138]
	v_mul_lo_u32 v137, v159, v30
	v_cvt_f32_i32_e32 v84, v139
	s_delay_alu instid0(VALU_DEP_2) | instskip(SKIP_1) | instid1(VALU_DEP_1)
	v_mad_u64_u32 v[141:142], null, v187, v169, v[137:138]
	v_mul_lo_u32 v137, v216, v232
	v_mad_u64_u32 v[142:143], null, v85, v243, v[137:138]
	v_mul_lo_u32 v137, v158, v37
	v_cvt_f32_i32_e32 v85, v140
	s_delay_alu instid0(VALU_DEP_3) | instskip(NEXT) | instid1(VALU_DEP_3)
	v_cvt_f32_i32_e32 v139, v142
	v_mad_u64_u32 v[143:144], null, v186, v165, v[137:138]
	v_mul_lo_u32 v137, v215, v233
	s_delay_alu instid0(VALU_DEP_2) | instskip(NEXT) | instid1(VALU_DEP_2)
	v_cvt_f32_i32_e32 v140, v143
	v_mad_u64_u32 v[144:145], null, v87, v244, v[137:138]
	v_mul_lo_u32 v137, v157, v40
	v_cvt_f32_i32_e32 v87, v141
	s_delay_alu instid0(VALU_DEP_3) | instskip(NEXT) | instid1(VALU_DEP_3)
	v_cvt_f32_i32_e32 v141, v144
	v_mad_u64_u32 v[147:148], null, v185, v181, v[137:138]
	v_lshrrev_b32_e32 v137, 1, v146
	ds_load_b64 v[137:138], v137 offset:43584
	v_cvt_f32_i32_e32 v142, v147
	s_waitcnt lgkmcnt(0)
	v_fma_f32 v83, v137, v83, 0
	s_delay_alu instid0(VALU_DEP_1) | instskip(SKIP_2) | instid1(VALU_DEP_3)
	v_fmac_f32_e32 v83, v138, v84
	v_fma_f32 v84, v137, v85, 0
	v_fma_f32 v85, v137, v139, 0
	v_dual_fmac_f32 v86, v134, v234 :: v_dual_fmac_f32 v35, v133, v83
	s_delay_alu instid0(VALU_DEP_3) | instskip(SKIP_3) | instid1(VALU_DEP_3)
	v_fmac_f32_e32 v84, v138, v87
	v_fma_f32 v87, v137, v141, 0
	v_mul_lo_u32 v137, v214, v238
	v_fmac_f32_e32 v85, v138, v140
	v_fmac_f32_e32 v87, v138, v142
	s_delay_alu instid0(VALU_DEP_3) | instskip(SKIP_1) | instid1(VALU_DEP_1)
	v_mad_u64_u32 v[138:139], null, v182, v239, v[137:138]
	v_mul_lo_u32 v137, v168, v231
	v_mad_u64_u32 v[139:140], null, v184, v240, v[137:138]
	v_mul_lo_u32 v137, v213, v241
	s_delay_alu instid0(VALU_DEP_1) | instskip(SKIP_2) | instid1(VALU_DEP_2)
	v_mad_u64_u32 v[140:141], null, v88, v242, v[137:138]
	v_mul_lo_u32 v137, v167, v30
	v_cvt_f32_i32_e32 v88, v138
	v_mad_u64_u32 v[141:142], null, v183, v169, v[137:138]
	v_mul_lo_u32 v137, v212, v232
	s_delay_alu instid0(VALU_DEP_1) | instskip(SKIP_2) | instid1(VALU_DEP_2)
	v_mad_u64_u32 v[142:143], null, v89, v243, v[137:138]
	v_mul_lo_u32 v137, v166, v37
	v_cvt_f32_i32_e32 v89, v139
	v_mad_u64_u32 v[143:144], null, v16, v165, v[137:138]
	v_mul_lo_u32 v16, v211, v233
	v_cvt_f32_i32_e32 v138, v142
	v_cvt_f32_i32_e32 v137, v141
	s_delay_alu instid0(VALU_DEP_4) | instskip(NEXT) | instid1(VALU_DEP_4)
	v_cvt_f32_i32_e32 v139, v143
	v_mad_u64_u32 v[144:145], null, v91, v244, v[16:17]
	v_mul_lo_u32 v16, v164, v40
	v_cvt_f32_i32_e32 v91, v140
	s_delay_alu instid0(VALU_DEP_3) | instskip(NEXT) | instid1(VALU_DEP_3)
	v_cvt_f32_i32_e32 v140, v144
	v_mad_u64_u32 v[145:146], null, v15, v181, v[16:17]
	v_lshrrev_b32_e32 v15, 1, v151
	ds_load_b64 v[15:16], v15 offset:43584
	v_cvt_f32_i32_e32 v141, v145
	s_waitcnt lgkmcnt(0)
	v_fma_f32 v88, v15, v88, 0
	v_fma_f32 v144, v15, v140, 0
	s_delay_alu instid0(VALU_DEP_2) | instskip(NEXT) | instid1(VALU_DEP_2)
	v_fmac_f32_e32 v88, v16, v89
	v_fmac_f32_e32 v144, v16, v141
	v_fma_f32 v89, v15, v91, 0
	v_fma_f32 v91, v15, v138, 0
	v_mul_lo_u32 v15, v210, v238
	v_dual_fmac_f32 v46, v133, v72 :: v_dual_fmac_f32 v29, v136, v87
	s_delay_alu instid0(VALU_DEP_4) | instskip(NEXT) | instid1(VALU_DEP_4)
	v_fmac_f32_e32 v89, v16, v137
	v_fmac_f32_e32 v91, v16, v139
	;; [unrolled: 1-line block ×3, first 2 shown]
	v_dual_fmac_f32 v32, v135, v85 :: v_dual_fmac_f32 v25, v136, v144
	v_mad_u64_u32 v[137:138], null, v192, v239, v[15:16]
	v_mul_lo_u32 v15, v173, v231
	v_dual_fmac_f32 v28, v133, v88 :: v_dual_fmac_f32 v27, v134, v89
	v_fmac_f32_e32 v26, v135, v91
	s_delay_alu instid0(VALU_DEP_3) | instskip(SKIP_1) | instid1(VALU_DEP_1)
	v_mad_u64_u32 v[138:139], null, v14, v240, v[15:16]
	v_mul_lo_u32 v14, v209, v241
	v_mad_u64_u32 v[15:16], null, v92, v242, v[14:15]
	v_mul_lo_u32 v14, v172, v30
	s_delay_alu instid0(VALU_DEP_4) | instskip(NEXT) | instid1(VALU_DEP_2)
	v_cvt_f32_i32_e32 v16, v138
	v_mad_u64_u32 v[139:140], null, v13, v169, v[14:15]
	v_mul_lo_u32 v13, v208, v232
	v_cvt_f32_i32_e32 v15, v15
	s_delay_alu instid0(VALU_DEP_3) | instskip(NEXT) | instid1(VALU_DEP_3)
	v_cvt_f32_i32_e32 v92, v139
	v_mad_u64_u32 v[140:141], null, v93, v243, v[13:14]
	v_mul_lo_u32 v13, v171, v37
	s_delay_alu instid0(VALU_DEP_2) | instskip(NEXT) | instid1(VALU_DEP_2)
	v_cvt_f32_i32_e32 v93, v140
	v_mad_u64_u32 v[141:142], null, v12, v165, v[13:14]
	v_mul_lo_u32 v12, v207, v233
	s_delay_alu instid0(VALU_DEP_1) | instskip(SKIP_3) | instid1(VALU_DEP_3)
	v_mad_u64_u32 v[13:14], null, v94, v244, v[12:13]
	v_mul_lo_u32 v12, v170, v40
	v_cvt_f32_i32_e32 v14, v137
	v_cvt_f32_i32_e32 v94, v141
	v_mad_u64_u32 v[142:143], null, v11, v181, v[12:13]
	v_lshrrev_b32_e32 v11, 1, v156
	v_cvt_f32_i32_e32 v13, v13
	ds_load_b64 v[11:12], v11 offset:43584
	v_cvt_f32_i32_e32 v137, v142
	s_waitcnt lgkmcnt(0)
	v_fma_f32 v139, v11, v15, 0
	v_fma_f32 v138, v11, v14, 0
	s_delay_alu instid0(VALU_DEP_2)
	v_fmac_f32_e32 v139, v12, v92
	v_fma_f32 v92, v11, v93, 0
	v_fma_f32 v93, v11, v13, 0
	v_mul_lo_u32 v11, v206, v238
	v_fmac_f32_e32 v138, v12, v16
	v_dual_fmac_f32 v42, v136, v76 :: v_dual_fmac_f32 v23, v134, v139
	v_fmac_f32_e32 v92, v12, v94
	s_delay_alu instid0(VALU_DEP_3) | instskip(SKIP_3) | instid1(VALU_DEP_4)
	v_dual_fmac_f32 v93, v12, v137 :: v_dual_fmac_f32 v24, v133, v138
	v_mad_u64_u32 v[12:13], null, v202, v239, v[11:12]
	v_mad_u64_u32 v[13:14], null, v10, v240, v[3:4]
	v_mul_lo_u32 v3, v205, v241
	v_dual_fmac_f32 v22, v135, v92 :: v_dual_fmac_f32 v21, v136, v93
	s_delay_alu instid0(VALU_DEP_2) | instskip(SKIP_1) | instid1(VALU_DEP_1)
	v_mad_u64_u32 v[10:11], null, v235, v242, v[3:4]
	v_mul_lo_u32 v3, v4, v30
	v_mad_u64_u32 v[14:15], null, v9, v169, v[3:4]
	v_mul_lo_u32 v3, v204, v232
	s_delay_alu instid0(VALU_DEP_1) | instskip(SKIP_1) | instid1(VALU_DEP_2)
	v_mad_u64_u32 v[15:16], null, v236, v243, v[3:4]
	v_mul_lo_u32 v3, v5, v37
	v_cvt_f32_i32_e32 v11, v15
	s_delay_alu instid0(VALU_DEP_2) | instskip(SKIP_1) | instid1(VALU_DEP_1)
	v_mad_u64_u32 v[4:5], null, v8, v165, v[3:4]
	v_mul_lo_u32 v3, v203, v233
	v_mad_u64_u32 v[8:9], null, v237, v244, v[3:4]
	v_mul_lo_u32 v3, v6, v40
	v_cvt_f32_i32_e32 v9, v10
	v_cvt_f32_i32_e32 v10, v14
	s_delay_alu instid0(VALU_DEP_4) | instskip(NEXT) | instid1(VALU_DEP_4)
	v_cvt_f32_i32_e32 v8, v8
	v_mad_u64_u32 v[5:6], null, v7, v181, v[3:4]
	v_lshrrev_b32_e32 v3, 1, v163
	v_cvt_f32_i32_e32 v6, v12
	v_cvt_f32_i32_e32 v12, v4
	v_cvt_f32_i32_e32 v7, v13
	ds_load_b64 v[3:4], v3 offset:43584
	v_cvt_f32_i32_e32 v5, v5
	s_waitcnt lgkmcnt(0)
	v_fma_f32 v6, v3, v6, 0
	s_delay_alu instid0(VALU_DEP_1) | instskip(SKIP_3) | instid1(VALU_DEP_4)
	v_fmac_f32_e32 v6, v4, v7
	v_fma_f32 v7, v3, v9, 0
	v_fma_f32 v9, v3, v11, 0
	;; [unrolled: 1-line block ×3, first 2 shown]
	v_fmac_f32_e32 v20, v133, v6
	s_delay_alu instid0(VALU_DEP_4) | instskip(NEXT) | instid1(VALU_DEP_4)
	v_fmac_f32_e32 v7, v4, v10
	v_fmac_f32_e32 v9, v4, v12
	s_delay_alu instid0(VALU_DEP_4)
	v_fmac_f32_e32 v3, v4, v5
	v_fmac_f32_e32 v49, v135, v68
	;; [unrolled: 1-line block ×4, first 2 shown]
	v_dual_fmac_f32 v36, v136, v81 :: v_dual_fmac_f32 v19, v134, v7
	v_dual_fmac_f32 v34, v134, v84 :: v_dual_fmac_f32 v17, v136, v3
	v_fmac_f32_e32 v18, v135, v9
	s_cbranch_scc1 .LBB155_7
; %bb.8:                                ;   in Loop: Header=BB155_6 Depth=2
	s_mov_b32 s14, 1
	s_and_b32 vcc_lo, exec_lo, s1
	s_mov_b32 s1, 0
	s_barrier
	buffer_gl0_inv
	s_cbranch_vccz .LBB155_6
; %bb.9:                                ;   in Loop: Header=BB155_5 Depth=1
	s_add_i32 s13, s13, 1
	s_delay_alu instid0(SALU_CYCLE_1)
	s_cmp_eq_u32 s13, s11
	s_cbranch_scc0 .LBB155_5
; %bb.10:
	s_clause 0x1
	scratch_load_b32 v1, off, off offset:32
	scratch_load_b32 v2, off, off offset:36
	v_mov_b32_e32 v0, v31
.LBB155_11:
	s_mov_b32 s0, exec_lo
	s_waitcnt vmcnt(0)
	v_cmpx_gt_u32_e64 s4, v2
	s_cbranch_execz .LBB155_62
; %bb.12:
	v_add_nc_u32_e32 v0, s10, v0
	v_mul_lo_u32 v5, v2, s6
	s_delay_alu instid0(VALU_DEP_2)
	v_cmp_gt_u32_e32 vcc_lo, s6, v0
	s_and_saveexec_b32 s1, vcc_lo
	s_cbranch_execz .LBB155_14
; %bb.13:
	s_delay_alu instid0(VALU_DEP_2) | instskip(SKIP_1) | instid1(VALU_DEP_2)
	v_dual_mov_b32 v3, 0 :: v_dual_add_nc_u32 v2, v0, v5
	v_cvt_f16_f32_e32 v4, v33
	v_lshlrev_b64 v[2:3], 1, v[2:3]
	s_waitcnt lgkmcnt(0)
	s_delay_alu instid0(VALU_DEP_1) | instskip(NEXT) | instid1(VALU_DEP_1)
	v_add_co_u32 v2, s0, s8, v2
	v_add_co_ci_u32_e64 v3, s0, s9, v3, s0
	global_store_b16 v[2:3], v4, off
.LBB155_14:
	s_or_b32 exec_lo, exec_lo, s1
	v_add_nc_u32_e32 v2, 32, v0
	s_delay_alu instid0(VALU_DEP_1) | instskip(NEXT) | instid1(VALU_DEP_1)
	v_cmp_gt_u32_e64 s0, s6, v2
	s_and_saveexec_b32 s2, s0
	s_cbranch_execz .LBB155_16
; %bb.15:
	v_dual_mov_b32 v4, 0 :: v_dual_add_nc_u32 v3, v2, v5
	v_cvt_f16_f32_e32 v6, v86
	s_delay_alu instid0(VALU_DEP_2) | instskip(SKIP_1) | instid1(VALU_DEP_1)
	v_lshlrev_b64 v[3:4], 1, v[3:4]
	s_waitcnt lgkmcnt(0)
	v_add_co_u32 v3, s1, s8, v3
	s_delay_alu instid0(VALU_DEP_1)
	v_add_co_ci_u32_e64 v4, s1, s9, v4, s1
	global_store_b16 v[3:4], v6, off
.LBB155_16:
	s_or_b32 exec_lo, exec_lo, s2
	v_add_nc_u32_e32 v3, 64, v0
	s_delay_alu instid0(VALU_DEP_1) | instskip(NEXT) | instid1(VALU_DEP_1)
	v_cmp_gt_u32_e64 s1, s6, v3
	s_and_saveexec_b32 s3, s1
	s_cbranch_execz .LBB155_18
; %bb.17:
	v_dual_mov_b32 v7, 0 :: v_dual_add_nc_u32 v6, v3, v5
	v_cvt_f16_f32_e32 v4, v70
	s_delay_alu instid0(VALU_DEP_2) | instskip(SKIP_1) | instid1(VALU_DEP_1)
	v_lshlrev_b64 v[6:7], 1, v[6:7]
	s_waitcnt lgkmcnt(0)
	v_add_co_u32 v6, s2, s8, v6
	s_delay_alu instid0(VALU_DEP_1)
	v_add_co_ci_u32_e64 v7, s2, s9, v7, s2
	global_store_b16 v[6:7], v4, off
.LBB155_18:
	;; [unrolled: 17-line block ×3, first 2 shown]
	s_or_b32 exec_lo, exec_lo, s5
	v_add3_u32 v5, v1, s7, 8
	s_delay_alu instid0(VALU_DEP_1) | instskip(NEXT) | instid1(VALU_DEP_1)
	v_cmp_gt_u32_e64 s3, s4, v5
	s_and_b32 exec_lo, exec_lo, s3
	s_cbranch_execz .LBB155_62
; %bb.21:
	v_mul_lo_u32 v5, v5, s6
	s_and_saveexec_b32 s5, vcc_lo
	s_cbranch_execnz .LBB155_63
; %bb.22:
	s_or_b32 exec_lo, exec_lo, s5
	s_and_saveexec_b32 s5, s0
	s_cbranch_execnz .LBB155_64
.LBB155_23:
	s_or_b32 exec_lo, exec_lo, s5
	s_and_saveexec_b32 s5, s1
	s_cbranch_execnz .LBB155_65
.LBB155_24:
	s_or_b32 exec_lo, exec_lo, s5
	s_and_saveexec_b32 s5, s2
	s_cbranch_execz .LBB155_26
.LBB155_25:
	v_dual_mov_b32 v6, 0 :: v_dual_add_nc_u32 v5, v5, v4
	v_cvt_f16_f32_e32 v7, v47
	s_delay_alu instid0(VALU_DEP_2) | instskip(SKIP_1) | instid1(VALU_DEP_1)
	v_lshlrev_b64 v[5:6], 1, v[5:6]
	s_waitcnt lgkmcnt(0)
	v_add_co_u32 v5, s3, s8, v5
	s_delay_alu instid0(VALU_DEP_1)
	v_add_co_ci_u32_e64 v6, s3, s9, v6, s3
	global_store_b16 v[5:6], v7, off
.LBB155_26:
	s_or_b32 exec_lo, exec_lo, s5
	v_add3_u32 v5, v1, s7, 16
	s_delay_alu instid0(VALU_DEP_1) | instskip(NEXT) | instid1(VALU_DEP_1)
	v_cmp_gt_u32_e64 s3, s4, v5
	s_and_b32 exec_lo, exec_lo, s3
	s_cbranch_execz .LBB155_62
; %bb.27:
	v_mul_lo_u32 v5, v5, s6
	s_and_saveexec_b32 s5, vcc_lo
	s_cbranch_execnz .LBB155_66
; %bb.28:
	s_or_b32 exec_lo, exec_lo, s5
	s_and_saveexec_b32 s5, s0
	s_cbranch_execnz .LBB155_67
.LBB155_29:
	s_or_b32 exec_lo, exec_lo, s5
	s_and_saveexec_b32 s5, s1
	s_cbranch_execnz .LBB155_68
.LBB155_30:
	s_or_b32 exec_lo, exec_lo, s5
	s_and_saveexec_b32 s5, s2
	s_cbranch_execz .LBB155_32
.LBB155_31:
	v_dual_mov_b32 v6, 0 :: v_dual_add_nc_u32 v5, v5, v4
	v_cvt_f16_f32_e32 v7, v42
	s_delay_alu instid0(VALU_DEP_2) | instskip(SKIP_1) | instid1(VALU_DEP_1)
	v_lshlrev_b64 v[5:6], 1, v[5:6]
	s_waitcnt lgkmcnt(0)
	v_add_co_u32 v5, s3, s8, v5
	s_delay_alu instid0(VALU_DEP_1)
	v_add_co_ci_u32_e64 v6, s3, s9, v6, s3
	global_store_b16 v[5:6], v7, off
.LBB155_32:
	s_or_b32 exec_lo, exec_lo, s5
	v_add3_u32 v5, v1, s7, 24
	s_delay_alu instid0(VALU_DEP_1) | instskip(NEXT) | instid1(VALU_DEP_1)
	v_cmp_gt_u32_e64 s3, s4, v5
	s_and_b32 exec_lo, exec_lo, s3
	s_cbranch_execz .LBB155_62
; %bb.33:
	v_mul_lo_u32 v5, v5, s6
	s_and_saveexec_b32 s5, vcc_lo
	s_cbranch_execnz .LBB155_69
; %bb.34:
	s_or_b32 exec_lo, exec_lo, s5
	s_and_saveexec_b32 s5, s0
	s_cbranch_execnz .LBB155_70
.LBB155_35:
	s_or_b32 exec_lo, exec_lo, s5
	s_and_saveexec_b32 s5, s1
	s_cbranch_execnz .LBB155_71
.LBB155_36:
	s_or_b32 exec_lo, exec_lo, s5
	s_and_saveexec_b32 s5, s2
	s_cbranch_execz .LBB155_38
.LBB155_37:
	v_dual_mov_b32 v6, 0 :: v_dual_add_nc_u32 v5, v5, v4
	v_cvt_f16_f32_e32 v7, v36
	s_delay_alu instid0(VALU_DEP_2) | instskip(SKIP_1) | instid1(VALU_DEP_1)
	v_lshlrev_b64 v[5:6], 1, v[5:6]
	s_waitcnt lgkmcnt(0)
	v_add_co_u32 v5, s3, s8, v5
	s_delay_alu instid0(VALU_DEP_1)
	v_add_co_ci_u32_e64 v6, s3, s9, v6, s3
	global_store_b16 v[5:6], v7, off
.LBB155_38:
	s_or_b32 exec_lo, exec_lo, s5
	v_add3_u32 v5, v1, s7, 32
	s_delay_alu instid0(VALU_DEP_1) | instskip(NEXT) | instid1(VALU_DEP_1)
	v_cmp_gt_u32_e64 s3, s4, v5
	s_and_b32 exec_lo, exec_lo, s3
	s_cbranch_execz .LBB155_62
; %bb.39:
	v_mul_lo_u32 v5, v5, s6
	s_and_saveexec_b32 s5, vcc_lo
	s_cbranch_execnz .LBB155_72
; %bb.40:
	s_or_b32 exec_lo, exec_lo, s5
	s_and_saveexec_b32 s5, s0
	s_cbranch_execnz .LBB155_73
.LBB155_41:
	s_or_b32 exec_lo, exec_lo, s5
	s_and_saveexec_b32 s5, s1
	s_cbranch_execnz .LBB155_74
.LBB155_42:
	s_or_b32 exec_lo, exec_lo, s5
	s_and_saveexec_b32 s5, s2
	s_cbranch_execz .LBB155_44
.LBB155_43:
	v_dual_mov_b32 v6, 0 :: v_dual_add_nc_u32 v5, v5, v4
	v_cvt_f16_f32_e32 v7, v29
	s_delay_alu instid0(VALU_DEP_2) | instskip(SKIP_1) | instid1(VALU_DEP_1)
	v_lshlrev_b64 v[5:6], 1, v[5:6]
	s_waitcnt lgkmcnt(0)
	v_add_co_u32 v5, s3, s8, v5
	s_delay_alu instid0(VALU_DEP_1)
	v_add_co_ci_u32_e64 v6, s3, s9, v6, s3
	global_store_b16 v[5:6], v7, off
.LBB155_44:
	s_or_b32 exec_lo, exec_lo, s5
	v_add3_u32 v5, v1, s7, 40
	s_delay_alu instid0(VALU_DEP_1) | instskip(NEXT) | instid1(VALU_DEP_1)
	v_cmp_gt_u32_e64 s3, s4, v5
	s_and_b32 exec_lo, exec_lo, s3
	s_cbranch_execz .LBB155_62
; %bb.45:
	v_mul_lo_u32 v5, v5, s6
	s_and_saveexec_b32 s5, vcc_lo
	s_cbranch_execnz .LBB155_75
; %bb.46:
	s_or_b32 exec_lo, exec_lo, s5
	s_and_saveexec_b32 s5, s0
	s_cbranch_execnz .LBB155_76
.LBB155_47:
	s_or_b32 exec_lo, exec_lo, s5
	s_and_saveexec_b32 s5, s1
	s_cbranch_execnz .LBB155_77
.LBB155_48:
	s_or_b32 exec_lo, exec_lo, s5
	s_and_saveexec_b32 s5, s2
	s_cbranch_execz .LBB155_50
.LBB155_49:
	v_dual_mov_b32 v6, 0 :: v_dual_add_nc_u32 v5, v5, v4
	v_cvt_f16_f32_e32 v7, v25
	s_delay_alu instid0(VALU_DEP_2) | instskip(SKIP_1) | instid1(VALU_DEP_1)
	v_lshlrev_b64 v[5:6], 1, v[5:6]
	s_waitcnt lgkmcnt(0)
	v_add_co_u32 v5, s3, s8, v5
	s_delay_alu instid0(VALU_DEP_1)
	v_add_co_ci_u32_e64 v6, s3, s9, v6, s3
	global_store_b16 v[5:6], v7, off
.LBB155_50:
	s_or_b32 exec_lo, exec_lo, s5
	v_add3_u32 v5, v1, s7, 48
	s_delay_alu instid0(VALU_DEP_1) | instskip(NEXT) | instid1(VALU_DEP_1)
	v_cmp_gt_u32_e64 s3, s4, v5
	s_and_b32 exec_lo, exec_lo, s3
	s_cbranch_execz .LBB155_62
; %bb.51:
	v_mul_lo_u32 v5, v5, s6
	s_and_saveexec_b32 s5, vcc_lo
	s_cbranch_execnz .LBB155_78
; %bb.52:
	s_or_b32 exec_lo, exec_lo, s5
	s_and_saveexec_b32 s5, s0
	s_cbranch_execnz .LBB155_79
.LBB155_53:
	s_or_b32 exec_lo, exec_lo, s5
	s_and_saveexec_b32 s5, s1
	s_cbranch_execnz .LBB155_80
.LBB155_54:
	s_or_b32 exec_lo, exec_lo, s5
	s_and_saveexec_b32 s5, s2
	s_cbranch_execz .LBB155_56
.LBB155_55:
	v_dual_mov_b32 v6, 0 :: v_dual_add_nc_u32 v5, v5, v4
	v_cvt_f16_f32_e32 v7, v21
	s_delay_alu instid0(VALU_DEP_2) | instskip(SKIP_1) | instid1(VALU_DEP_1)
	v_lshlrev_b64 v[5:6], 1, v[5:6]
	s_waitcnt lgkmcnt(0)
	v_add_co_u32 v5, s3, s8, v5
	s_delay_alu instid0(VALU_DEP_1)
	v_add_co_ci_u32_e64 v6, s3, s9, v6, s3
	global_store_b16 v[5:6], v7, off
.LBB155_56:
	s_or_b32 exec_lo, exec_lo, s5
	v_add3_u32 v1, v1, s7, 56
	s_delay_alu instid0(VALU_DEP_1) | instskip(NEXT) | instid1(VALU_DEP_1)
	v_cmp_gt_u32_e64 s3, s4, v1
	s_and_b32 exec_lo, exec_lo, s3
	s_cbranch_execz .LBB155_62
; %bb.57:
	v_mul_lo_u32 v1, v1, s6
	s_and_saveexec_b32 s3, vcc_lo
	s_cbranch_execnz .LBB155_81
; %bb.58:
	s_or_b32 exec_lo, exec_lo, s3
	s_and_saveexec_b32 s3, s0
	s_cbranch_execnz .LBB155_82
.LBB155_59:
	s_or_b32 exec_lo, exec_lo, s3
	s_and_saveexec_b32 s0, s1
	s_cbranch_execnz .LBB155_83
.LBB155_60:
	s_or_b32 exec_lo, exec_lo, s0
	s_delay_alu instid0(SALU_CYCLE_1)
	s_and_b32 exec_lo, exec_lo, s2
	s_cbranch_execz .LBB155_62
.LBB155_61:
	v_dual_mov_b32 v1, 0 :: v_dual_add_nc_u32 v0, v1, v4
	v_cvt_f16_f32_e32 v2, v17
	s_delay_alu instid0(VALU_DEP_2) | instskip(SKIP_1) | instid1(VALU_DEP_1)
	v_lshlrev_b64 v[0:1], 1, v[0:1]
	s_waitcnt lgkmcnt(0)
	v_add_co_u32 v0, vcc_lo, s8, v0
	s_delay_alu instid0(VALU_DEP_2)
	v_add_co_ci_u32_e32 v1, vcc_lo, s9, v1, vcc_lo
	global_store_b16 v[0:1], v2, off
.LBB155_62:
	s_nop 0
	s_sendmsg sendmsg(MSG_DEALLOC_VGPRS)
	s_endpgm
.LBB155_63:
	s_delay_alu instid0(VALU_DEP_1) | instskip(SKIP_1) | instid1(VALU_DEP_2)
	v_dual_mov_b32 v7, 0 :: v_dual_add_nc_u32 v6, v5, v0
	v_cvt_f16_f32_e32 v8, v55
	v_lshlrev_b64 v[6:7], 1, v[6:7]
	s_waitcnt lgkmcnt(0)
	s_delay_alu instid0(VALU_DEP_1) | instskip(NEXT) | instid1(VALU_DEP_1)
	v_add_co_u32 v6, s3, s8, v6
	v_add_co_ci_u32_e64 v7, s3, s9, v7, s3
	global_store_b16 v[6:7], v8, off
	s_or_b32 exec_lo, exec_lo, s5
	s_and_saveexec_b32 s5, s0
	s_cbranch_execz .LBB155_23
.LBB155_64:
	s_delay_alu instid0(VALU_DEP_1) | instskip(SKIP_1) | instid1(VALU_DEP_2)
	v_dual_mov_b32 v7, 0 :: v_dual_add_nc_u32 v6, v5, v2
	v_cvt_f16_f32_e32 v8, v51
	v_lshlrev_b64 v[6:7], 1, v[6:7]
	s_waitcnt lgkmcnt(0)
	s_delay_alu instid0(VALU_DEP_1) | instskip(NEXT) | instid1(VALU_DEP_1)
	v_add_co_u32 v6, s3, s8, v6
	v_add_co_ci_u32_e64 v7, s3, s9, v7, s3
	global_store_b16 v[6:7], v8, off
	s_or_b32 exec_lo, exec_lo, s5
	s_and_saveexec_b32 s5, s1
	s_cbranch_execz .LBB155_24
.LBB155_65:
	v_dual_mov_b32 v7, 0 :: v_dual_add_nc_u32 v6, v5, v3
	v_cvt_f16_f32_e32 v8, v49
	s_delay_alu instid0(VALU_DEP_2) | instskip(SKIP_1) | instid1(VALU_DEP_1)
	v_lshlrev_b64 v[6:7], 1, v[6:7]
	s_waitcnt lgkmcnt(0)
	v_add_co_u32 v6, s3, s8, v6
	s_delay_alu instid0(VALU_DEP_1)
	v_add_co_ci_u32_e64 v7, s3, s9, v7, s3
	global_store_b16 v[6:7], v8, off
	s_or_b32 exec_lo, exec_lo, s5
	s_and_saveexec_b32 s5, s2
	s_cbranch_execnz .LBB155_25
	s_branch .LBB155_26
.LBB155_66:
	s_delay_alu instid0(VALU_DEP_1) | instskip(SKIP_1) | instid1(VALU_DEP_2)
	v_dual_mov_b32 v7, 0 :: v_dual_add_nc_u32 v6, v5, v0
	v_cvt_f16_f32_e32 v8, v46
	v_lshlrev_b64 v[6:7], 1, v[6:7]
	s_waitcnt lgkmcnt(0)
	s_delay_alu instid0(VALU_DEP_1) | instskip(NEXT) | instid1(VALU_DEP_1)
	v_add_co_u32 v6, s3, s8, v6
	v_add_co_ci_u32_e64 v7, s3, s9, v7, s3
	global_store_b16 v[6:7], v8, off
	s_or_b32 exec_lo, exec_lo, s5
	s_and_saveexec_b32 s5, s0
	s_cbranch_execz .LBB155_29
.LBB155_67:
	s_delay_alu instid0(VALU_DEP_1) | instskip(SKIP_1) | instid1(VALU_DEP_2)
	v_dual_mov_b32 v7, 0 :: v_dual_add_nc_u32 v6, v5, v2
	v_cvt_f16_f32_e32 v8, v45
	v_lshlrev_b64 v[6:7], 1, v[6:7]
	s_waitcnt lgkmcnt(0)
	s_delay_alu instid0(VALU_DEP_1) | instskip(NEXT) | instid1(VALU_DEP_1)
	v_add_co_u32 v6, s3, s8, v6
	v_add_co_ci_u32_e64 v7, s3, s9, v7, s3
	global_store_b16 v[6:7], v8, off
	s_or_b32 exec_lo, exec_lo, s5
	s_and_saveexec_b32 s5, s1
	s_cbranch_execz .LBB155_30
.LBB155_68:
	v_dual_mov_b32 v7, 0 :: v_dual_add_nc_u32 v6, v5, v3
	v_cvt_f16_f32_e32 v8, v43
	s_delay_alu instid0(VALU_DEP_2) | instskip(SKIP_1) | instid1(VALU_DEP_1)
	v_lshlrev_b64 v[6:7], 1, v[6:7]
	s_waitcnt lgkmcnt(0)
	v_add_co_u32 v6, s3, s8, v6
	s_delay_alu instid0(VALU_DEP_1)
	v_add_co_ci_u32_e64 v7, s3, s9, v7, s3
	global_store_b16 v[6:7], v8, off
	s_or_b32 exec_lo, exec_lo, s5
	s_and_saveexec_b32 s5, s2
	s_cbranch_execnz .LBB155_31
	s_branch .LBB155_32
.LBB155_69:
	s_delay_alu instid0(VALU_DEP_1) | instskip(SKIP_1) | instid1(VALU_DEP_2)
	v_dual_mov_b32 v7, 0 :: v_dual_add_nc_u32 v6, v5, v0
	v_cvt_f16_f32_e32 v8, v41
	v_lshlrev_b64 v[6:7], 1, v[6:7]
	s_waitcnt lgkmcnt(0)
	s_delay_alu instid0(VALU_DEP_1) | instskip(NEXT) | instid1(VALU_DEP_1)
	v_add_co_u32 v6, s3, s8, v6
	v_add_co_ci_u32_e64 v7, s3, s9, v7, s3
	global_store_b16 v[6:7], v8, off
	s_or_b32 exec_lo, exec_lo, s5
	s_and_saveexec_b32 s5, s0
	s_cbranch_execz .LBB155_35
.LBB155_70:
	s_delay_alu instid0(VALU_DEP_1) | instskip(SKIP_1) | instid1(VALU_DEP_2)
	v_dual_mov_b32 v7, 0 :: v_dual_add_nc_u32 v6, v5, v2
	v_cvt_f16_f32_e32 v8, v39
	v_lshlrev_b64 v[6:7], 1, v[6:7]
	s_waitcnt lgkmcnt(0)
	s_delay_alu instid0(VALU_DEP_1) | instskip(NEXT) | instid1(VALU_DEP_1)
	v_add_co_u32 v6, s3, s8, v6
	v_add_co_ci_u32_e64 v7, s3, s9, v7, s3
	global_store_b16 v[6:7], v8, off
	s_or_b32 exec_lo, exec_lo, s5
	s_and_saveexec_b32 s5, s1
	s_cbranch_execz .LBB155_36
.LBB155_71:
	v_dual_mov_b32 v7, 0 :: v_dual_add_nc_u32 v6, v5, v3
	v_cvt_f16_f32_e32 v8, v38
	s_delay_alu instid0(VALU_DEP_2) | instskip(SKIP_1) | instid1(VALU_DEP_1)
	v_lshlrev_b64 v[6:7], 1, v[6:7]
	s_waitcnt lgkmcnt(0)
	v_add_co_u32 v6, s3, s8, v6
	s_delay_alu instid0(VALU_DEP_1)
	v_add_co_ci_u32_e64 v7, s3, s9, v7, s3
	global_store_b16 v[6:7], v8, off
	s_or_b32 exec_lo, exec_lo, s5
	s_and_saveexec_b32 s5, s2
	s_cbranch_execnz .LBB155_37
	s_branch .LBB155_38
.LBB155_72:
	s_delay_alu instid0(VALU_DEP_1) | instskip(SKIP_1) | instid1(VALU_DEP_2)
	v_dual_mov_b32 v7, 0 :: v_dual_add_nc_u32 v6, v5, v0
	v_cvt_f16_f32_e32 v8, v35
	v_lshlrev_b64 v[6:7], 1, v[6:7]
	s_waitcnt lgkmcnt(0)
	s_delay_alu instid0(VALU_DEP_1) | instskip(NEXT) | instid1(VALU_DEP_1)
	v_add_co_u32 v6, s3, s8, v6
	v_add_co_ci_u32_e64 v7, s3, s9, v7, s3
	global_store_b16 v[6:7], v8, off
	s_or_b32 exec_lo, exec_lo, s5
	s_and_saveexec_b32 s5, s0
	s_cbranch_execz .LBB155_41
.LBB155_73:
	s_delay_alu instid0(VALU_DEP_1) | instskip(SKIP_1) | instid1(VALU_DEP_2)
	v_dual_mov_b32 v7, 0 :: v_dual_add_nc_u32 v6, v5, v2
	v_cvt_f16_f32_e32 v8, v34
	v_lshlrev_b64 v[6:7], 1, v[6:7]
	s_waitcnt lgkmcnt(0)
	s_delay_alu instid0(VALU_DEP_1) | instskip(NEXT) | instid1(VALU_DEP_1)
	v_add_co_u32 v6, s3, s8, v6
	v_add_co_ci_u32_e64 v7, s3, s9, v7, s3
	global_store_b16 v[6:7], v8, off
	s_or_b32 exec_lo, exec_lo, s5
	s_and_saveexec_b32 s5, s1
	s_cbranch_execz .LBB155_42
.LBB155_74:
	v_dual_mov_b32 v7, 0 :: v_dual_add_nc_u32 v6, v5, v3
	v_cvt_f16_f32_e32 v8, v32
	s_delay_alu instid0(VALU_DEP_2) | instskip(SKIP_1) | instid1(VALU_DEP_1)
	v_lshlrev_b64 v[6:7], 1, v[6:7]
	s_waitcnt lgkmcnt(0)
	v_add_co_u32 v6, s3, s8, v6
	s_delay_alu instid0(VALU_DEP_1)
	v_add_co_ci_u32_e64 v7, s3, s9, v7, s3
	global_store_b16 v[6:7], v8, off
	s_or_b32 exec_lo, exec_lo, s5
	s_and_saveexec_b32 s5, s2
	s_cbranch_execnz .LBB155_43
	s_branch .LBB155_44
.LBB155_75:
	s_delay_alu instid0(VALU_DEP_1) | instskip(SKIP_1) | instid1(VALU_DEP_2)
	v_dual_mov_b32 v7, 0 :: v_dual_add_nc_u32 v6, v5, v0
	v_cvt_f16_f32_e32 v8, v28
	v_lshlrev_b64 v[6:7], 1, v[6:7]
	s_waitcnt lgkmcnt(0)
	s_delay_alu instid0(VALU_DEP_1) | instskip(NEXT) | instid1(VALU_DEP_1)
	v_add_co_u32 v6, s3, s8, v6
	v_add_co_ci_u32_e64 v7, s3, s9, v7, s3
	global_store_b16 v[6:7], v8, off
	s_or_b32 exec_lo, exec_lo, s5
	s_and_saveexec_b32 s5, s0
	s_cbranch_execz .LBB155_47
.LBB155_76:
	s_delay_alu instid0(VALU_DEP_1) | instskip(SKIP_1) | instid1(VALU_DEP_2)
	v_dual_mov_b32 v7, 0 :: v_dual_add_nc_u32 v6, v5, v2
	v_cvt_f16_f32_e32 v8, v27
	v_lshlrev_b64 v[6:7], 1, v[6:7]
	s_waitcnt lgkmcnt(0)
	s_delay_alu instid0(VALU_DEP_1) | instskip(NEXT) | instid1(VALU_DEP_1)
	v_add_co_u32 v6, s3, s8, v6
	v_add_co_ci_u32_e64 v7, s3, s9, v7, s3
	global_store_b16 v[6:7], v8, off
	s_or_b32 exec_lo, exec_lo, s5
	s_and_saveexec_b32 s5, s1
	s_cbranch_execz .LBB155_48
.LBB155_77:
	v_dual_mov_b32 v7, 0 :: v_dual_add_nc_u32 v6, v5, v3
	v_cvt_f16_f32_e32 v8, v26
	s_delay_alu instid0(VALU_DEP_2) | instskip(SKIP_1) | instid1(VALU_DEP_1)
	v_lshlrev_b64 v[6:7], 1, v[6:7]
	s_waitcnt lgkmcnt(0)
	v_add_co_u32 v6, s3, s8, v6
	s_delay_alu instid0(VALU_DEP_1)
	v_add_co_ci_u32_e64 v7, s3, s9, v7, s3
	global_store_b16 v[6:7], v8, off
	s_or_b32 exec_lo, exec_lo, s5
	s_and_saveexec_b32 s5, s2
	s_cbranch_execnz .LBB155_49
	s_branch .LBB155_50
.LBB155_78:
	s_delay_alu instid0(VALU_DEP_1) | instskip(SKIP_1) | instid1(VALU_DEP_2)
	v_dual_mov_b32 v7, 0 :: v_dual_add_nc_u32 v6, v5, v0
	v_cvt_f16_f32_e32 v8, v24
	v_lshlrev_b64 v[6:7], 1, v[6:7]
	s_waitcnt lgkmcnt(0)
	s_delay_alu instid0(VALU_DEP_1) | instskip(NEXT) | instid1(VALU_DEP_1)
	v_add_co_u32 v6, s3, s8, v6
	v_add_co_ci_u32_e64 v7, s3, s9, v7, s3
	global_store_b16 v[6:7], v8, off
	s_or_b32 exec_lo, exec_lo, s5
	s_and_saveexec_b32 s5, s0
	s_cbranch_execz .LBB155_53
.LBB155_79:
	s_delay_alu instid0(VALU_DEP_1) | instskip(SKIP_1) | instid1(VALU_DEP_2)
	v_dual_mov_b32 v7, 0 :: v_dual_add_nc_u32 v6, v5, v2
	v_cvt_f16_f32_e32 v8, v23
	v_lshlrev_b64 v[6:7], 1, v[6:7]
	s_waitcnt lgkmcnt(0)
	s_delay_alu instid0(VALU_DEP_1) | instskip(NEXT) | instid1(VALU_DEP_1)
	v_add_co_u32 v6, s3, s8, v6
	v_add_co_ci_u32_e64 v7, s3, s9, v7, s3
	global_store_b16 v[6:7], v8, off
	s_or_b32 exec_lo, exec_lo, s5
	s_and_saveexec_b32 s5, s1
	s_cbranch_execz .LBB155_54
.LBB155_80:
	v_dual_mov_b32 v7, 0 :: v_dual_add_nc_u32 v6, v5, v3
	v_cvt_f16_f32_e32 v8, v22
	s_delay_alu instid0(VALU_DEP_2) | instskip(SKIP_1) | instid1(VALU_DEP_1)
	v_lshlrev_b64 v[6:7], 1, v[6:7]
	s_waitcnt lgkmcnt(0)
	v_add_co_u32 v6, s3, s8, v6
	s_delay_alu instid0(VALU_DEP_1)
	v_add_co_ci_u32_e64 v7, s3, s9, v7, s3
	global_store_b16 v[6:7], v8, off
	s_or_b32 exec_lo, exec_lo, s5
	s_and_saveexec_b32 s5, s2
	s_cbranch_execnz .LBB155_55
	s_branch .LBB155_56
.LBB155_81:
	s_delay_alu instid0(VALU_DEP_1) | instskip(SKIP_1) | instid1(VALU_DEP_2)
	v_dual_mov_b32 v6, 0 :: v_dual_add_nc_u32 v5, v1, v0
	v_cvt_f16_f32_e32 v0, v20
	v_lshlrev_b64 v[5:6], 1, v[5:6]
	s_waitcnt lgkmcnt(0)
	s_delay_alu instid0(VALU_DEP_1) | instskip(NEXT) | instid1(VALU_DEP_2)
	v_add_co_u32 v5, vcc_lo, s8, v5
	v_add_co_ci_u32_e32 v6, vcc_lo, s9, v6, vcc_lo
	global_store_b16 v[5:6], v0, off
	s_or_b32 exec_lo, exec_lo, s3
	s_and_saveexec_b32 s3, s0
	s_cbranch_execz .LBB155_59
.LBB155_82:
	s_delay_alu instid0(VALU_DEP_1) | instskip(SKIP_1) | instid1(VALU_DEP_2)
	v_dual_mov_b32 v6, 0 :: v_dual_add_nc_u32 v5, v1, v2
	v_cvt_f16_f32_e32 v0, v19
	v_lshlrev_b64 v[5:6], 1, v[5:6]
	s_waitcnt lgkmcnt(0)
	s_delay_alu instid0(VALU_DEP_1) | instskip(NEXT) | instid1(VALU_DEP_2)
	v_add_co_u32 v5, vcc_lo, s8, v5
	v_add_co_ci_u32_e32 v6, vcc_lo, s9, v6, vcc_lo
	global_store_b16 v[5:6], v0, off
	s_or_b32 exec_lo, exec_lo, s3
	s_and_saveexec_b32 s0, s1
	s_cbranch_execz .LBB155_60
.LBB155_83:
	v_dual_mov_b32 v3, 0 :: v_dual_add_nc_u32 v2, v1, v3
	v_cvt_f16_f32_e32 v0, v18
	s_delay_alu instid0(VALU_DEP_2) | instskip(SKIP_1) | instid1(VALU_DEP_1)
	v_lshlrev_b64 v[2:3], 1, v[2:3]
	s_waitcnt lgkmcnt(0)
	v_add_co_u32 v2, vcc_lo, s8, v2
	s_delay_alu instid0(VALU_DEP_2) | instskip(SKIP_2) | instid1(SALU_CYCLE_1)
	v_add_co_ci_u32_e32 v3, vcc_lo, s9, v3, vcc_lo
	global_store_b16 v[2:3], v0, off
	s_or_b32 exec_lo, exec_lo, s0
	s_and_b32 exec_lo, exec_lo, s2
	s_cbranch_execnz .LBB155_61
	s_branch .LBB155_62
	.section	.rodata,"a",@progbits
	.p2align	6, 0x0
	.amdhsa_kernel _ZL12mul_mat_q6_KIN3c104HalfELb0EEvPKvS3_PT_iiiii
		.amdhsa_group_segment_fixed_size 45136
		.amdhsa_private_segment_fixed_size 44
		.amdhsa_kernarg_size 44
		.amdhsa_user_sgpr_count 14
		.amdhsa_user_sgpr_dispatch_ptr 0
		.amdhsa_user_sgpr_queue_ptr 0
		.amdhsa_user_sgpr_kernarg_segment_ptr 1
		.amdhsa_user_sgpr_dispatch_id 0
		.amdhsa_user_sgpr_private_segment_size 0
		.amdhsa_wavefront_size32 1
		.amdhsa_uses_dynamic_stack 0
		.amdhsa_enable_private_segment 1
		.amdhsa_system_sgpr_workgroup_id_x 1
		.amdhsa_system_sgpr_workgroup_id_y 1
		.amdhsa_system_sgpr_workgroup_id_z 0
		.amdhsa_system_sgpr_workgroup_info 0
		.amdhsa_system_vgpr_workitem_id 1
		.amdhsa_next_free_vgpr 256
		.amdhsa_next_free_sgpr 18
		.amdhsa_reserve_vcc 1
		.amdhsa_float_round_mode_32 0
		.amdhsa_float_round_mode_16_64 0
		.amdhsa_float_denorm_mode_32 3
		.amdhsa_float_denorm_mode_16_64 3
		.amdhsa_dx10_clamp 1
		.amdhsa_ieee_mode 1
		.amdhsa_fp16_overflow 0
		.amdhsa_workgroup_processor_mode 1
		.amdhsa_memory_ordered 1
		.amdhsa_forward_progress 0
		.amdhsa_shared_vgpr_count 0
		.amdhsa_exception_fp_ieee_invalid_op 0
		.amdhsa_exception_fp_denorm_src 0
		.amdhsa_exception_fp_ieee_div_zero 0
		.amdhsa_exception_fp_ieee_overflow 0
		.amdhsa_exception_fp_ieee_underflow 0
		.amdhsa_exception_fp_ieee_inexact 0
		.amdhsa_exception_int_div_zero 0
	.end_amdhsa_kernel
	.section	.text._ZL12mul_mat_q6_KIN3c104HalfELb0EEvPKvS3_PT_iiiii,"axG",@progbits,_ZL12mul_mat_q6_KIN3c104HalfELb0EEvPKvS3_PT_iiiii,comdat
.Lfunc_end155:
	.size	_ZL12mul_mat_q6_KIN3c104HalfELb0EEvPKvS3_PT_iiiii, .Lfunc_end155-_ZL12mul_mat_q6_KIN3c104HalfELb0EEvPKvS3_PT_iiiii
                                        ; -- End function
	.section	.AMDGPU.csdata,"",@progbits
; Kernel info:
; codeLenInByte = 19108
; NumSgprs: 20
; NumVgprs: 256
; ScratchSize: 44
; MemoryBound: 0
; FloatMode: 240
; IeeeMode: 1
; LDSByteSize: 45136 bytes/workgroup (compile time only)
; SGPRBlocks: 2
; VGPRBlocks: 31
; NumSGPRsForWavesPerEU: 20
; NumVGPRsForWavesPerEU: 256
; Occupancy: 4
; WaveLimiterHint : 0
; COMPUTE_PGM_RSRC2:SCRATCH_EN: 1
; COMPUTE_PGM_RSRC2:USER_SGPR: 14
; COMPUTE_PGM_RSRC2:TRAP_HANDLER: 0
; COMPUTE_PGM_RSRC2:TGID_X_EN: 1
; COMPUTE_PGM_RSRC2:TGID_Y_EN: 1
; COMPUTE_PGM_RSRC2:TGID_Z_EN: 0
; COMPUTE_PGM_RSRC2:TIDIG_COMP_CNT: 1
	.section	.text._ZL12mul_mat_q6_KIN3c104HalfELb1EEvPKvS3_PT_iiiii,"axG",@progbits,_ZL12mul_mat_q6_KIN3c104HalfELb1EEvPKvS3_PT_iiiii,comdat
	.globl	_ZL12mul_mat_q6_KIN3c104HalfELb1EEvPKvS3_PT_iiiii ; -- Begin function _ZL12mul_mat_q6_KIN3c104HalfELb1EEvPKvS3_PT_iiiii
	.p2align	8
	.type	_ZL12mul_mat_q6_KIN3c104HalfELb1EEvPKvS3_PT_iiiii,@function
_ZL12mul_mat_q6_KIN3c104HalfELb1EEvPKvS3_PT_iiiii: ; @_ZL12mul_mat_q6_KIN3c104HalfELb1EEvPKvS3_PT_iiiii
; %bb.0:
	s_clause 0x1
	s_load_b128 s[4:7], s[0:1], 0x18
	s_load_b32 s10, s[0:1], 0x28
	v_bfe_u32 v43, v0, 10, 10
	v_and_b32_e32 v44, 0x3ff, v0
	s_lshl_b32 s11, s15, 6
	s_waitcnt lgkmcnt(0)
	s_cmpk_gt_i32 s4, 0xff
	s_cbranch_scc1 .LBB156_2
; %bb.1:
	v_bfe_u32 v1, v0, 10, 10
	v_and_b32_e32 v0, 0x3ff, v0
	s_mov_b32 s2, 0
	s_mov_b32 s3, 0
	s_delay_alu instid0(VALU_DEP_2)
	v_add_nc_u32_e32 v2, s11, v1
	s_branch .LBB156_3
.LBB156_2:
	s_mov_b32 s2, -1
                                        ; implicit-def: $sgpr3
                                        ; implicit-def: $vgpr1
                                        ; implicit-def: $vgpr0
                                        ; implicit-def: $vgpr2
.LBB156_3:
	s_load_b64 s[8:9], s[0:1], 0x10
	v_dual_mov_b32 v33, s3 :: v_dual_mov_b32 v48, s3
	v_dual_mov_b32 v37, s3 :: v_dual_mov_b32 v54, s3
	;; [unrolled: 1-line block ×16, first 2 shown]
	s_and_not1_b32 vcc_lo, exec_lo, s2
	s_lshl_b32 s12, s14, 7
	s_cbranch_vccnz .LBB156_11
; %bb.4:
	s_load_b128 s[0:3], s[0:1], 0x0
	s_ashr_i32 s13, s4, 31
	v_dual_mov_b32 v63, 0 :: v_dual_and_b32 v36, 31, v44
	s_lshr_b32 s13, s13, 24
	s_ashr_i32 s14, s7, 31
	s_add_i32 s4, s4, s13
	s_lshr_b32 s14, s14, 27
	s_ashr_i32 s4, s4, 8
	v_add_nc_u16 v1, v36, -16
	v_cmp_gt_u32_e32 vcc_lo, 16, v36
	s_add_i32 s7, s7, s14
	s_mul_i32 s13, s4, s12
	s_ashr_i32 s14, s7, 5
	s_mul_i32 s7, s13, 0xd2
	s_mul_hi_i32 s13, s13, 0xd2
	v_and_b32_e32 v0, 7, v44
	v_dual_mov_b32 v89, 0 :: v_dual_and_b32 v2, 15, v44
	v_cndmask_b32_e32 v1, v1, v36, vcc_lo
	s_waitcnt lgkmcnt(0)
	s_add_u32 s7, s0, s7
	v_cmp_lt_u32_e32 vcc_lo, 15, v36
	v_lshlrev_b32_e32 v2, 2, v2
	s_addc_u32 s13, s1, s13
	s_not_b32 s0, s12
	v_dual_mov_b32 v86, 0 :: v_dual_add_nc_u32 v31, s11, v43
	s_add_i32 s0, s0, s5
	v_lshlrev_b32_e32 v0, 2, v0
	v_cndmask_b32_e64 v3, 0, 1, vcc_lo
	v_min_i32_e32 v4, s0, v43
	v_cmp_lt_u16_e32 vcc_lo, 7, v1
	v_dual_mov_b32 v70, 0 :: v_dual_add_nc_u32 v13, 16, v31
	v_dual_mov_b32 v75, 0 :: v_dual_add_nc_u32 v16, 0x50, v43
	;; [unrolled: 1-line block ×3, first 2 shown]
	v_lshl_or_b32 v57, v3, 5, v0
	v_mul_lo_u32 v0, v4, s4
	v_cndmask_b32_e64 v1, 0, 1, vcc_lo
	v_lshl_or_b32 v17, v3, 7, v2
	v_cvt_f64_u32_e32 v[22:23], v13
	v_min_i32_e32 v13, s0, v16
	v_min_i32_e32 v3, s0, v37
	v_dual_mov_b32 v77, 0 :: v_dual_lshlrev_b32 v58, 1, v1
	v_dual_mov_b32 v71, 0 :: v_dual_add_nc_u32 v38, 16, v43
	s_delay_alu instid0(VALU_DEP_4)
	v_mul_lo_u32 v16, v13, s4
	scratch_store_b32 off, v0, off          ; 4-byte Folded Spill
	v_mad_u64_u32 v[0:1], null, 0x104, v4, v[17:18]
	v_mul_lo_u32 v1, v3, s4
	v_min_i32_e32 v4, s0, v38
	v_dual_mov_b32 v72, 0 :: v_dual_add_nc_u32 v39, 24, v43
	v_dual_mov_b32 v59, 0 :: v_dual_add_nc_u32 v40, 32, v43
	v_add_nc_u32_e32 v41, 40, v43
	s_delay_alu instid0(VALU_DEP_3)
	v_min_i32_e32 v5, s0, v39
	s_clause 0x1
	scratch_store_b32 off, v1, off offset:4
	scratch_store_b32 off, v43, off offset:88
	v_mad_u64_u32 v[1:2], null, 0x104, v3, v[17:18]
	v_mul_lo_u32 v2, v4, s4
	v_min_i32_e32 v6, s0, v40
	v_dual_mov_b32 v40, 0 :: v_dual_lshlrev_b32 v103, 5, v40
	v_min_i32_e32 v7, s0, v41
	v_add_nc_u32_e32 v42, 48, v43
	v_add_nc_u32_e32 v45, 56, v43
	s_add_i32 s1, s6, -1
	s_clause 0x1
	scratch_store_b32 off, v2, off offset:8
	scratch_store_b32 off, v31, off offset:92
	v_mad_u64_u32 v[2:3], null, 0x104, v4, v[17:18]
	v_mul_lo_u32 v3, v5, s4
	v_min_i32_e32 v9, s0, v45
	v_lshlrev_b32_e32 v113, 5, v45
	v_mov_b32_e32 v45, 0
	v_min_i32_e32 v8, s0, v42
	v_add_nc_u32_e32 v10, 64, v43
	v_dual_mov_b32 v39, 0 :: v_dual_lshlrev_b32 v100, 5, v39
	scratch_store_b32 off, v3, off offset:12 ; 4-byte Folded Spill
	v_mad_u64_u32 v[3:4], null, 0x104, v5, v[17:18]
	v_mul_lo_u32 v4, v6, s4
	v_min_i32_e32 v10, s0, v10
	v_add_nc_u32_e32 v11, 0x48, v43
	v_add_nc_u32_e32 v12, 8, v31
	v_cvt_f64_u32_e32 v[14:15], v31
	v_mov_b32_e32 v55, 0
	scratch_store_b32 off, v16, off offset:40 ; 4-byte Folded Spill
	v_min_i32_e32 v11, s0, v11
	scratch_store_b32 off, v4, off offset:16 ; 4-byte Folded Spill
	v_mad_u64_u32 v[4:5], null, 0x104, v6, v[17:18]
	v_mul_lo_u32 v5, v7, s4
	v_cvt_f64_u32_e32 v[20:21], v12
	v_add_nc_u32_e32 v12, 24, v31
	v_lshlrev_b32_e32 v108, 5, v42
	v_add_nc_u32_e32 v30, 0x60, v43
	v_lshlrev_b32_e32 v105, 5, v41
	v_mov_b32_e32 v41, 0
	v_cvt_f64_u32_e32 v[24:25], v12
	scratch_store_b32 off, v5, off offset:20 ; 4-byte Folded Spill
	v_mad_u64_u32 v[5:6], null, 0x104, v7, v[17:18]
	v_mul_lo_u32 v6, v8, s4
	v_add_nc_u32_e32 v12, 40, v31
	v_lshlrev_b32_e32 v94, 5, v37
	v_lshlrev_b32_e32 v97, 5, v38
	v_mov_b32_e32 v37, 0
	v_min_i32_e32 v34, s0, v30
	v_cvt_f64_u32_e32 v[28:29], v12
	v_add_nc_u32_e32 v12, 48, v31
	scratch_store_b32 off, v6, off offset:24 ; 4-byte Folded Spill
	v_mad_u64_u32 v[6:7], null, 0x104, v8, v[17:18]
	v_mul_lo_u32 v7, v9, s4
	v_dual_mov_b32 v82, 0 :: v_dual_lshlrev_b32 v81, 5, v43
	v_mov_b32_e32 v68, 0
	v_add_nc_u32_e32 v50, 0x78, v43
	v_lshrrev_b32_e32 v52, 5, v44
	s_delay_alu instid0(VALU_DEP_4)
	v_dual_mov_b32 v46, 0 :: v_dual_add_nc_u32 v35, v81, v44
	v_lshlrev_b32_e32 v53, 2, v36
	scratch_store_b32 off, v7, off offset:28 ; 4-byte Folded Spill
	v_mad_u64_u32 v[7:8], null, 0x104, v9, v[17:18]
	v_cvt_f64_i32_e32 v[18:19], s1
	v_mul_lo_u32 v8, v10, s4
	v_and_b32_e32 v47, 0x7f, v35
	v_mul_u32_u24_e32 v123, 0x104, v44
	s_mov_b32 s5, 0
	v_mov_b32_e32 v42, 0
	v_mov_b32_e32 v38, 0
	v_min_i32_e32 v47, s0, v47
	v_mov_b32_e32 v74, 0
	scratch_store_b32 off, v8, off offset:32 ; 4-byte Folded Spill
	v_mad_u64_u32 v[8:9], null, 0x104, v10, v[17:18]
	v_mul_lo_u32 v9, v11, s4
	v_min_f64 v[20:21], v[20:21], v[18:19]
	v_min_f64 v[22:23], v[22:23], v[18:19]
	;; [unrolled: 1-line block ×4, first 2 shown]
	scratch_store_b32 off, v9, off offset:36 ; 4-byte Folded Spill
	v_mad_u64_u32 v[9:10], null, 0x104, v11, v[17:18]
	v_add_nc_u32_e32 v10, 0x58, v43
	v_add_nc_u32_e32 v11, 32, v31
	s_delay_alu instid0(VALU_DEP_2) | instskip(NEXT) | instid1(VALU_DEP_2)
	v_min_i32_e32 v16, s0, v10
	v_cvt_f64_u32_e32 v[26:27], v11
	v_mad_u64_u32 v[10:11], null, 0x104, v13, v[17:18]
	v_add_nc_u32_e32 v11, 56, v31
	v_cvt_f64_u32_e32 v[30:31], v12
	v_mul_lo_u32 v13, v16, s4
	s_delay_alu instid0(VALU_DEP_3)
	v_cvt_f64_u32_e32 v[32:33], v11
	v_mad_u64_u32 v[11:12], null, 0x104, v16, v[17:18]
	v_mul_lo_u32 v12, v34, s4
	v_add_nc_u32_e32 v16, 0x68, v43
	scratch_store_b32 off, v13, off offset:44 ; 4-byte Folded Spill
	v_min_i32_e32 v16, s0, v16
	scratch_store_b32 off, v12, off offset:48 ; 4-byte Folded Spill
	v_mad_u64_u32 v[12:13], null, 0x104, v34, v[17:18]
	v_add_nc_u32_e32 v13, 0x70, v43
	v_min_f64 v[34:35], v[14:15], v[18:19]
	v_mul_lo_u32 v15, v16, s4
	v_lshrrev_b32_e32 v14, 2, v44
	v_cvt_i32_f64_e32 v20, v[20:21]
	v_min_i32_e32 v48, s0, v13
	v_cvt_i32_f64_e32 v21, v[22:23]
	v_cvt_i32_f64_e32 v23, v[24:25]
	v_lshl_add_u32 v49, v43, 3, v14
	v_mad_u64_u32 v[13:14], null, 0x104, v16, v[17:18]
	scratch_store_b32 off, v15, off offset:52 ; 4-byte Folded Spill
	v_mul_lo_u32 v15, v48, s4
	v_ashrrev_i32_e32 v14, 31, v47
	v_and_b32_e32 v16, 0x7f, v49
	v_and_b32_e32 v25, 63, v49
	v_min_f64 v[26:27], v[26:27], v[18:19]
	v_cvt_i32_f64_e32 v28, v[28:29]
	v_lshrrev_b32_e32 v51, 27, v14
	v_min_i32_e32 v54, s0, v16
	scratch_store_b32 off, v15, off offset:56 ; 4-byte Folded Spill
	v_mad_u64_u32 v[14:15], null, 0x104, v48, v[17:18]
	v_min_f64 v[30:31], v[30:31], v[18:19]
	v_min_f64 v[18:19], v[32:33], v[18:19]
	v_min_i32_e32 v48, s0, v50
	v_add_nc_u32_e32 v15, v47, v51
	v_ashrrev_i32_e32 v50, 31, v54
	v_xor_b32_e32 v16, 64, v16
	v_lshlrev_b32_e32 v24, 4, v54
	v_mul_lo_u32 v43, v48, s4
	v_ashrrev_i32_e32 v32, 5, v15
	v_lshrrev_b32_e32 v33, 29, v50
	v_min_i32_e32 v50, s0, v16
	v_mov_b32_e32 v51, 0
	v_mov_b32_e32 v49, 0
	v_cvt_i32_f64_e32 v34, v[34:35]
	v_lshlrev_b32_e32 v35, 2, v47
	v_mul_lo_u32 v99, s14, v20
	v_or_b32_e32 v20, v100, v36
	v_mul_lo_u32 v102, s14, v21
	v_mul_lo_u32 v106, s14, v23
	v_add_nc_u32_e32 v23, 64, v44
	s_delay_alu instid0(VALU_DEP_4) | instskip(SKIP_2) | instid1(VALU_DEP_2)
	v_lshl_add_u32 v107, v20, 2, 0x8200
	v_or_b32_e32 v20, v105, v36
	v_cvt_i32_f64_e32 v26, v[26:27]
	v_lshl_add_u32 v112, v20, 2, 0x8200
	v_add_nc_u32_e32 v20, 32, v44
	v_lshlrev_b32_e32 v27, 2, v44
	v_mul_lo_u32 v111, s14, v28
	v_lshrrev_b32_e32 v28, 1, v44
	v_cvt_i32_f64_e32 v30, v[30:31]
	v_mad_u64_u32 v[15:16], null, 0x104, v48, v[17:18]
	v_mul_lo_u32 v16, v47, s4
	scratch_store_b32 off, v43, off offset:60 ; 4-byte Folded Spill
	v_ashrrev_i32_e32 v17, 31, v50
	v_mov_b32_e32 v48, 0
	v_lshrrev_b32_e32 v21, 3, v20
	v_dual_mov_b32 v47, 0 :: v_dual_and_b32 v28, 0x7c, v28
	s_delay_alu instid0(VALU_DEP_4)
	v_lshrrev_b32_e32 v17, 29, v17
	scratch_store_b32 off, v16, off offset:64 ; 4-byte Folded Spill
	v_add_nc_u32_e32 v16, v54, v33
	v_lshlrev_b32_e32 v33, 2, v32
	v_and_b32_e32 v32, 3, v44
	v_add_nc_u32_e32 v17, v50, v17
	v_mul_lo_u32 v96, s14, v34
	v_ashrrev_i32_e32 v16, 3, v16
	v_add3_u32 v22, v33, v35, 0xae40
	v_lshlrev_b32_e32 v90, 2, v32
	v_lshlrev_b32_e32 v33, 4, v50
	v_cvt_i32_f64_e32 v35, v[18:19]
	v_lshlrev_b32_e32 v16, 2, v16
	scratch_store_b32 off, v22, off offset:68 ; 4-byte Folded Spill
	v_mul_lo_u32 v22, v54, s4
	v_mov_b32_e32 v34, 0
	v_mov_b32_e32 v54, 0
	v_mul_lo_u32 v109, s14, v26
	scratch_store_b32 off, v22, off offset:72 ; 4-byte Folded Spill
	v_add3_u32 v22, v16, v90, 0xa200
	v_ashrrev_i32_e32 v16, 3, v17
	v_mul_lo_u32 v17, v50, s4
	v_add_nc_u32_e32 v26, 0x60, v44
	v_mov_b32_e32 v50, 0
	v_mul_lo_u32 v114, s14, v30
	v_lshlrev_b32_e32 v16, 2, v16
	v_lshlrev_b32_e32 v30, 4, v44
	scratch_store_b32 off, v17, off offset:76 ; 4-byte Folded Spill
	v_or_b32_e32 v17, s11, v25
	v_lshl_or_b32 v25, v25, 4, v90
	v_add3_u32 v29, v16, v90, 0xa200
	v_and_b32_e32 v16, 28, v27
	v_add3_u32 v122, v30, v28, 0xa200
	v_min_i32_e32 v31, s1, v17
	v_add_nc_u32_e32 v95, 0xaa40, v25
	v_or_b32_e32 v25, v94, v36
	v_add_co_u32 v16, s0, s2, v16
	s_delay_alu instid0(VALU_DEP_4) | instskip(SKIP_1) | instid1(VALU_DEP_4)
	v_mad_u64_u32 v[18:19], null, v31, s14, v[32:33]
	v_or_b32_e32 v19, v81, v36
	v_lshl_add_u32 v101, v25, 2, 0x8200
	v_lshlrev_b32_e32 v25, 2, v52
	v_add_co_ci_u32_e64 v17, null, s3, 0, s0
	s_delay_alu instid0(VALU_DEP_4) | instskip(SKIP_1) | instid1(VALU_DEP_4)
	v_lshl_add_u32 v98, v19, 2, 0x8200
	v_or_b32_e32 v19, v97, v36
	v_add3_u32 v118, v25, v27, 0xae40
	v_lshrrev_b32_e32 v25, 3, v26
	s_movk_i32 s0, 0x2080
	v_mul_lo_u32 v116, s14, v35
	v_lshl_add_u32 v104, v19, 2, 0x8200
	v_or_b32_e32 v19, v103, v36
	v_and_b32_e32 v25, 60, v25
	v_mad_u32_u24 v125, 0x104, v44, s0
	s_movk_i32 s0, 0x4100
	v_mov_b32_e32 v35, 0
	v_lshl_add_u32 v110, v19, 2, 0x8200
	v_or_b32_e32 v19, v108, v36
	v_mad_u32_u24 v127, 0x104, v44, s0
	s_movk_i32 s0, 0x6180
	v_add3_u32 v121, v27, v25, 0xae40
	v_mad_u32_u24 v129, 0x104, v44, s0
	v_lshl_add_u32 v115, v19, 2, 0x8200
	v_or_b32_e32 v19, v113, v36
	v_mov_b32_e32 v36, 0
	s_delay_alu instid0(VALU_DEP_2) | instskip(SKIP_2) | instid1(VALU_DEP_2)
	v_lshl_add_u32 v117, v19, 2, 0x8200
	v_and_b32_e32 v19, 60, v21
	v_lshrrev_b32_e32 v21, 3, v23
	v_add3_u32 v119, v27, v19, 0xae40
	s_delay_alu instid0(VALU_DEP_2) | instskip(SKIP_2) | instid1(VALU_DEP_3)
	v_and_b32_e32 v19, 60, v21
	v_lshrrev_b32_e32 v21, 1, v20
	v_lshlrev_b32_e32 v20, 4, v20
	v_add3_u32 v120, v27, v19, 0xae40
	s_delay_alu instid0(VALU_DEP_3) | instskip(SKIP_1) | instid1(VALU_DEP_2)
	v_and_b32_e32 v19, 0xfc, v21
	v_lshrrev_b32_e32 v21, 1, v23
	v_add3_u32 v124, v20, v19, 0xa200
	v_lshrrev_b32_e32 v19, 1, v26
	s_delay_alu instid0(VALU_DEP_3) | instskip(SKIP_2) | instid1(VALU_DEP_4)
	v_and_b32_e32 v20, 0xfc, v21
	v_lshlrev_b32_e32 v21, 4, v23
	v_lshlrev_b32_e32 v23, 4, v26
	v_and_b32_e32 v19, 0xfc, v19
	s_delay_alu instid0(VALU_DEP_3) | instskip(NEXT) | instid1(VALU_DEP_2)
	v_add3_u32 v126, v21, v20, 0xa200
	v_add3_u32 v128, v23, v19, 0xa200
	v_add_nc_u32_e32 v19, v22, v24
	scratch_store_b32 off, v19, off offset:80 ; 4-byte Folded Spill
	v_add_nc_u32_e32 v19, v29, v33
	v_mov_b32_e32 v33, 0
	scratch_store_b32 off, v19, off offset:84 ; 4-byte Folded Spill
.LBB156_5:                              ; =>This Loop Header: Depth=1
                                        ;     Child Loop BB156_6 Depth 2
                                        ;       Child Loop BB156_7 Depth 3
	s_clause 0x3
	scratch_load_b32 v23, off, off
	scratch_load_b32 v25, off, off offset:4
	scratch_load_b32 v27, off, off offset:8
	scratch_load_b32 v43, off, off offset:12
	s_mul_i32 s0, s5, 0xd2
	v_lshrrev_b32_e32 v21, 5, v44
	s_mul_hi_u32 s1, s5, 0xd2
	s_add_u32 s0, s7, s0
	s_addc_u32 s1, s13, s1
	s_mov_b32 s14, 0
	v_mad_u64_u32 v[19:20], null, 0xd2, v21, s[0:1]
	s_waitcnt vmcnt(3)
	s_delay_alu instid0(VALU_DEP_1)
	v_mad_i64_i32 v[21:22], null, 0xd2, v23, v[19:20]
	s_waitcnt vmcnt(2)
	v_mad_i64_i32 v[23:24], null, 0xd2, v25, v[19:20]
	s_waitcnt vmcnt(0)
	v_mad_i64_i32 v[132:133], null, 0xd2, v43, v[19:20]
	scratch_load_b32 v43, off, off offset:16 ; 4-byte Folded Reload
	v_mad_i64_i32 v[25:26], null, 0xd2, v27, v[19:20]
	v_add_co_u32 v27, vcc_lo, v21, v53
	v_add_co_ci_u32_e32 v28, vcc_lo, 0, v22, vcc_lo
	v_add_co_u32 v21, vcc_lo, v21, v57
	v_add_co_ci_u32_e32 v22, vcc_lo, 0, v22, vcc_lo
	;; [unrolled: 2-line block ×8, first 2 shown]
	s_waitcnt vmcnt(0)
	v_mad_i64_i32 v[139:140], null, 0xd2, v43, v[19:20]
	s_delay_alu instid0(VALU_DEP_1) | instskip(NEXT) | instid1(VALU_DEP_2)
	v_add_co_u32 v145, vcc_lo, v139, v53
	v_add_co_ci_u32_e32 v146, vcc_lo, 0, v140, vcc_lo
	s_clause 0x8
	global_load_b32 v137, v[27:28], off
	global_load_b32 v138, v[21:22], off offset:128
	global_load_b32 v135, v[29:30], off
	global_load_b32 v136, v[23:24], off offset:128
	global_load_b32 v132, v[31:32], off
	global_load_b32 v133, v[25:26], off offset:128
	global_load_b32 v31, v[141:142], off
	global_load_b32 v32, v[143:144], off offset:128
	global_load_b32 v134, v[145:146], off
	s_clause 0x1
	scratch_load_b32 v23, off, off offset:20
	scratch_load_b32 v27, off, off offset:24
	s_waitcnt vmcnt(9)
	v_ashrrev_i32_e32 v138, v58, v138
	s_waitcnt vmcnt(7)
	v_ashrrev_i32_e32 v136, v58, v136
	;; [unrolled: 2-line block ×4, first 2 shown]
	s_waitcnt vmcnt(1)
	v_mad_i64_i32 v[21:22], null, 0xd2, v23, v[19:20]
	v_add_co_u32 v23, vcc_lo, v139, v57
	s_waitcnt vmcnt(0)
	v_mad_i64_i32 v[25:26], null, 0xd2, v27, v[19:20]
	v_add_co_ci_u32_e32 v24, vcc_lo, 0, v140, vcc_lo
	s_delay_alu instid0(VALU_DEP_4)
	v_add_co_u32 v27, vcc_lo, v21, v53
	v_add_co_ci_u32_e32 v28, vcc_lo, 0, v22, vcc_lo
	v_add_co_u32 v21, vcc_lo, v21, v57
	v_add_co_ci_u32_e32 v22, vcc_lo, 0, v22, vcc_lo
	;; [unrolled: 2-line block ×3, first 2 shown]
	s_clause 0x3
	global_load_b32 v157, v[23:24], off offset:128
	global_load_b32 v158, v[27:28], off
	global_load_b32 v159, v[21:22], off offset:128
	global_load_b32 v160, v[29:30], off offset:128
	v_add_co_u32 v21, vcc_lo, v25, v53
	v_add_co_ci_u32_e32 v22, vcc_lo, 0, v26, vcc_lo
	global_load_b32 v22, v[21:22], off
	scratch_load_b32 v21, off, off offset:28 ; 4-byte Folded Reload
	s_waitcnt vmcnt(0)
	v_mad_i64_i32 v[23:24], null, 0xd2, v21, v[19:20]
	scratch_load_b32 v21, off, off offset:32 ; 4-byte Folded Reload
	v_add_co_u32 v145, vcc_lo, v23, v53
	v_add_co_ci_u32_e32 v146, vcc_lo, 0, v24, vcc_lo
	v_add_co_u32 v23, vcc_lo, v23, v57
	v_add_co_ci_u32_e32 v24, vcc_lo, 0, v24, vcc_lo
	s_waitcnt vmcnt(0)
	v_mad_i64_i32 v[25:26], null, 0xd2, v21, v[19:20]
	scratch_load_b32 v21, off, off offset:36 ; 4-byte Folded Reload
	v_add_co_u32 v147, vcc_lo, v25, v53
	v_add_co_ci_u32_e32 v148, vcc_lo, 0, v26, vcc_lo
	v_add_co_u32 v25, vcc_lo, v25, v57
	v_add_co_ci_u32_e32 v26, vcc_lo, 0, v26, vcc_lo
	;; [unrolled: 7-line block ×4, first 2 shown]
	s_waitcnt vmcnt(0)
	v_mad_i64_i32 v[139:140], null, 0xd2, v21, v[19:20]
	scratch_load_b32 v21, off, off offset:48 ; 4-byte Folded Reload
	s_waitcnt vmcnt(0)
	v_mad_i64_i32 v[141:142], null, 0xd2, v21, v[19:20]
	scratch_load_b32 v21, off, off offset:52 ; 4-byte Folded Reload
	s_clause 0x1
	global_load_b32 v161, v[145:146], off
	global_load_b32 v162, v[23:24], off offset:128
	v_add_co_u32 v23, vcc_lo, v139, v53
	v_add_co_ci_u32_e32 v24, vcc_lo, 0, v140, vcc_lo
	v_add_co_u32 v139, vcc_lo, v139, v57
	v_add_co_ci_u32_e32 v140, vcc_lo, 0, v140, vcc_lo
	;; [unrolled: 2-line block ×4, first 2 shown]
	s_waitcnt vmcnt(2)
	v_mad_i64_i32 v[143:144], null, 0xd2, v21, v[19:20]
	s_delay_alu instid0(VALU_DEP_1) | instskip(NEXT) | instid1(VALU_DEP_2)
	v_add_co_u32 v155, vcc_lo, v143, v53
	v_add_co_ci_u32_e32 v156, vcc_lo, 0, v144, vcc_lo
	v_add_co_u32 v143, vcc_lo, v143, v57
	v_add_co_ci_u32_e32 v144, vcc_lo, 0, v144, vcc_lo
	s_clause 0xb
	global_load_b32 v147, v[147:148], off
	global_load_b32 v148, v[25:26], off offset:128
	global_load_b32 v30, v[149:150], off
	global_load_b32 v149, v[27:28], off offset:128
	;; [unrolled: 2-line block ×6, first 2 shown]
	v_ashrrev_i32_e32 v144, v58, v157
	v_and_b32_e32 v139, 0xf0f0f0f, v137
	v_lshrrev_b32_e32 v137, 4, v137
	v_lshlrev_b32_e32 v152, 4, v138
	v_and_b32_e32 v138, 0x30303030, v138
	v_and_b32_e32 v140, 0xf0f0f0f, v135
	v_lshrrev_b32_e32 v135, 4, v135
	v_ashrrev_i32_e32 v150, v58, v159
	v_lshlrev_b32_e32 v153, 4, v136
	v_and_b32_e32 v136, 0x30303030, v136
	v_and_b32_e32 v141, 0xf0f0f0f, v132
	v_lshrrev_b32_e32 v132, 4, v132
	v_lshlrev_b32_e32 v154, 4, v133
	v_and_b32_e32 v133, 0x30303030, v133
	v_and_b32_e32 v142, 0xf0f0f0f, v31
	v_lshrrev_b32_e32 v31, 4, v31
	;; [unrolled: 4-line block ×3, first 2 shown]
	v_lshlrev_b32_e32 v156, 4, v144
	v_and_b32_e32 v144, 0x30303030, v144
	v_and_or_b32 v139, 0x30303030, v152, v139
	v_and_or_b32 v137, 0xf0f0f0f, v137, v138
	v_and_b32_e32 v145, 0xf0f0f0f, v158
	v_lshrrev_b32_e32 v146, 4, v158
	v_lshlrev_b32_e32 v157, 4, v150
	v_and_b32_e32 v150, 0x30303030, v150
	v_and_or_b32 v138, 0x30303030, v153, v140
	v_and_or_b32 v135, 0xf0f0f0f, v135, v136
	;; [unrolled: 1-line block ×8, first 2 shown]
	v_lshrrev_b32_e32 v142, 16, v139
	v_and_b32_e32 v143, 0x3f00, v139
	v_lshlrev_b16 v139, 8, v139
	v_lshrrev_b32_e32 v144, 16, v137
	v_and_or_b32 v140, 0x30303030, v157, v145
	v_and_or_b32 v141, 0xf0f0f0f, v146, v150
	v_and_b32_e32 v145, 0x3f00, v137
	v_lshlrev_b16 v137, 8, v137
	v_lshrrev_b32_e32 v146, 16, v138
	v_lshrrev_b32_e32 v152, 16, v135
	v_and_b32_e32 v150, 0x3f00, v138
	v_lshlrev_b16 v138, 8, v138
	v_lshrrev_b32_e32 v154, 16, v136
	v_lshrrev_b32_e32 v156, 16, v132
	v_ashrrev_i32_e32 v151, v58, v160
	v_and_b32_e32 v153, 0x3f00, v135
	v_lshlrev_b16 v135, 8, v135
	v_lshrrev_b32_e32 v158, 16, v133
	v_lshrrev_b32_e32 v160, 16, v31
	v_and_b32_e32 v155, 0x3f00, v136
	v_lshlrev_b16 v136, 8, v136
	v_lshrrev_b32_e32 v164, 16, v32
	v_lshrrev_b32_e32 v166, 16, v134
	v_add_nc_u16 v139, v139, 0xe000
	v_and_b32_e32 v172, 0x3f00, v142
	v_lshlrev_b16 v142, 8, v142
	v_and_b32_e32 v173, 0x3f00, v144
	v_lshlrev_b16 v144, 8, v144
	v_add_nc_u16 v137, v137, 0xe000
	v_and_b32_e32 v174, 0x3f00, v146
	v_lshlrev_b16 v146, 8, v146
	v_and_b32_e32 v175, 0x3f00, v152
	v_lshlrev_b16 v152, 8, v152
	v_and_b32_e32 v157, 0x3f00, v132
	v_lshlrev_b16 v132, 8, v132
	v_add_nc_u16 v138, v138, 0xe000
	v_and_b32_e32 v176, 0x3f00, v154
	v_lshlrev_b16 v154, 8, v154
	v_and_b32_e32 v177, 0x3f00, v156
	v_lshlrev_b16 v156, 8, v156
	v_and_b32_e32 v159, 0x3f00, v133
	v_lshlrev_b16 v133, 8, v133
	v_and_b32_e32 v163, 0x3f00, v31
	v_lshlrev_b16 v31, 8, v31
	v_add_nc_u16 v135, v135, 0xe000
	v_and_b32_e32 v178, 0x3f00, v158
	v_lshlrev_b16 v158, 8, v158
	;; [unrolled: 9-line block ×3, first 2 shown]
	v_and_b32_e32 v181, 0x3f00, v166
	v_lshlrev_b16 v166, 8, v166
	v_lshrrev_b16 v139, 8, v139
	v_add_nc_u16 v142, v142, 0xe000
	v_add_nc_u16 v144, v144, 0xe000
	v_lshrrev_b16 v137, 8, v137
	v_add_nc_u16 v146, v146, 0xe000
	v_add_nc_u16 v152, v152, 0xe000
	v_add_nc_u16 v132, v132, 0xe000
	v_lshrrev_b16 v138, 8, v138
	v_add_nc_u16 v154, v154, 0xe000
	v_add_nc_u16 v156, v156, 0xe000
	v_add_nc_u16 v133, v133, 0xe000
	v_add_nc_u16 v31, v31, 0xe000
	v_lshrrev_b16 v135, 8, v135
	v_add_nc_u16 v158, v158, 0xe000
	;; [unrolled: 5-line block ×3, first 2 shown]
	v_add_nc_u16 v166, v166, 0xe000
	v_or_b32_e32 v139, v143, v139
	v_lshrrev_b16 v142, 8, v142
	v_lshrrev_b16 v143, 8, v144
	v_or_b32_e32 v137, v145, v137
	v_lshrrev_b16 v144, 8, v146
	v_lshrrev_b16 v145, 8, v152
	v_lshrrev_b16 v132, 8, v132
	v_or_b32_e32 v138, v150, v138
	v_lshrrev_b16 v146, 8, v154
	v_lshrrev_b16 v150, 8, v156
	v_lshrrev_b16 v133, 8, v133
	v_lshrrev_b16 v31, 8, v31
	v_or_b32_e32 v135, v153, v135
	v_lshrrev_b16 v152, 8, v158
	;; [unrolled: 5-line block ×3, first 2 shown]
	v_lshrrev_b16 v155, 8, v166
	v_or_b32_e32 v142, v172, v142
	v_or_b32_e32 v143, v173, v143
	;; [unrolled: 1-line block ×15, first 2 shown]
	v_add_nc_u16 v139, v139, 0xe000
	v_add_nc_u16 v137, v137, 0xe000
	;; [unrolled: 1-line block ×20, first 2 shown]
	v_and_b32_e32 v139, 0xffff, v139
	v_and_b32_e32 v137, 0xffff, v137
	v_lshlrev_b32_e32 v142, 16, v142
	v_lshlrev_b32_e32 v143, 16, v143
	v_and_b32_e32 v138, 0xffff, v138
	v_and_b32_e32 v135, 0xffff, v135
	v_lshlrev_b32_e32 v144, 16, v144
	v_lshlrev_b32_e32 v145, 16, v145
	;; [unrolled: 4-line block ×5, first 2 shown]
	v_or_b32_e32 v139, v139, v142
	v_or_b32_e32 v137, v137, v143
	;; [unrolled: 1-line block ×10, first 2 shown]
	ds_store_2addr_b32 v0, v139, v137 offset1:16
	ds_store_2addr_b32 v1, v138, v135 offset1:16
	;; [unrolled: 1-line block ×5, first 2 shown]
	scratch_load_b32 v43, off, off offset:56 ; 4-byte Folded Reload
	v_lshrrev_b32_e32 v168, 16, v140
	v_and_b32_e32 v169, 0x3f00, v140
	v_lshlrev_b16 v140, 8, v140
	v_lshrrev_b32_e32 v170, 16, v141
	v_and_b32_e32 v171, 0x3f00, v141
	v_and_b32_e32 v182, 0x3f00, v168
	v_lshlrev_b16 v168, 8, v168
	v_lshlrev_b16 v141, 8, v141
	v_add_nc_u16 v140, v140, 0xe000
	v_lshlrev_b16 v183, 8, v170
	v_and_b32_e32 v32, 0x3f00, v170
	v_add_nc_u16 v168, v168, 0xe000
	v_add_nc_u16 v141, v141, 0xe000
	v_lshrrev_b16 v140, 8, v140
	v_add_nc_u16 v183, v183, 0xe000
	v_and_b32_e32 v133, 0xf0f0f0f, v22
	v_lshrrev_b16 v156, 8, v168
	v_lshrrev_b16 v141, 8, v141
	v_or_b32_e32 v140, v169, v140
	v_lshrrev_b16 v132, 8, v183
	v_lshlrev_b32_e32 v134, 4, v151
	v_or_b32_e32 v156, v182, v156
	v_or_b32_e32 v31, v171, v141
	v_add_nc_u16 v140, v140, 0xe000
	v_or_b32_e32 v132, v32, v132
	v_and_or_b32 v134, 0x30303030, v134, v133
	v_add_nc_u16 v156, v156, 0xe000
	v_add_nc_u16 v137, v31, 0xe000
	v_and_b32_e32 v135, 0xffff, v140
	v_lshrrev_b32_e32 v22, 4, v22
	v_lshrrev_b32_e32 v138, 16, v134
	v_lshlrev_b32_e32 v136, 16, v156
	v_and_b32_e32 v140, 0x30303030, v151
	v_lshlrev_b16 v139, 8, v134
	s_delay_alu instid0(VALU_DEP_4) | instskip(NEXT) | instid1(VALU_DEP_4)
	v_lshlrev_b16 v141, 8, v138
	v_or_b32_e32 v135, v135, v136
	v_and_b32_e32 v136, 0xffff, v137
	v_add_nc_u16 v137, v132, 0xe000
	v_and_or_b32 v22, 0xf0f0f0f, v22, v140
	v_add_nc_u16 v139, v139, 0xe000
	s_waitcnt vmcnt(7)
	v_ashrrev_i32_e32 v29, v58, v29
	s_waitcnt vmcnt(5)
	v_ashrrev_i32_e32 v27, v58, v27
	;; [unrolled: 2-line block ×4, first 2 shown]
	s_waitcnt vmcnt(0)
	v_mad_i64_i32 v[31:32], null, 0xd2, v43, v[19:20]
	s_delay_alu instid0(VALU_DEP_1) | instskip(NEXT) | instid1(VALU_DEP_2)
	v_add_co_u32 v132, vcc_lo, v31, v53
	v_add_co_ci_u32_e32 v133, vcc_lo, 0, v32, vcc_lo
	v_add_co_u32 v31, vcc_lo, v31, v57
	v_add_co_ci_u32_e32 v32, vcc_lo, 0, v32, vcc_lo
	s_clause 0x1
	global_load_b32 v142, v[132:133], off
	global_load_b32 v143, v[31:32], off offset:128
	scratch_load_b32 v43, off, off offset:60 ; 4-byte Folded Reload
	v_lshlrev_b32_e32 v31, 16, v137
	v_add_nc_u16 v32, v141, 0xe000
	v_and_b32_e32 v132, 0x3f00, v134
	v_and_b32_e32 v134, 0x3f00, v138
	v_lshrrev_b16 v133, 8, v139
	v_or_b32_e32 v31, v136, v31
	v_lshrrev_b16 v32, 8, v32
	v_lshlrev_b16 v136, 8, v22
	v_lshrrev_b32_e32 v137, 16, v22
	v_and_b32_e32 v22, 0x3f00, v22
	ds_store_2addr_b32 v5, v135, v31 offset1:16
	v_or_b32_e32 v32, v134, v32
	v_add_nc_u16 v31, v136, 0xe000
	v_ashrrev_i32_e32 v136, v58, v162
	v_or_b32_e32 v132, v132, v133
	v_lshlrev_b16 v133, 8, v137
	v_add_nc_u16 v134, v32, 0xe000
	v_lshrrev_b16 v135, 8, v31
	v_lshlrev_b32_e32 v138, 4, v136
	v_lshrrev_b32_e32 v139, 4, v161
	v_add_nc_u16 v133, v133, 0xe000
	v_add_nc_u16 v132, v132, 0xe000
	v_or_b32_e32 v22, v22, v135
	v_and_b32_e32 v135, 0x3f00, v137
	v_and_b32_e32 v137, 0xf0f0f0f, v161
	v_lshrrev_b16 v133, 8, v133
	v_and_b32_e32 v132, 0xffff, v132
	v_lshlrev_b32_e32 v134, 16, v134
	v_add_nc_u16 v22, v22, 0xe000
	s_delay_alu instid0(VALU_DEP_2) | instskip(NEXT) | instid1(VALU_DEP_2)
	v_or_b32_e32 v134, v132, v134
	v_and_b32_e32 v22, 0xffff, v22
	s_waitcnt vmcnt(0)
	v_mad_i64_i32 v[31:32], null, 0xd2, v43, v[19:20]
	s_delay_alu instid0(VALU_DEP_1) | instskip(NEXT) | instid1(VALU_DEP_2)
	v_add_co_u32 v19, vcc_lo, v31, v53
	v_add_co_ci_u32_e32 v20, vcc_lo, 0, v32, vcc_lo
	v_add_co_u32 v31, vcc_lo, v31, v57
	v_add_co_ci_u32_e32 v32, vcc_lo, 0, v32, vcc_lo
	s_clause 0x1
	global_load_b32 v140, v[19:20], off
	global_load_b32 v141, v[31:32], off offset:128
	v_and_or_b32 v20, 0x30303030, v138, v137
	v_and_b32_e32 v19, 0x30303030, v136
	v_or_b32_e32 v31, v135, v133
	scratch_load_b32 v43, off, off offset:72 ; 4-byte Folded Reload
	v_and_b32_e32 v138, 0xf0f0f0f, v147
	v_lshrrev_b32_e32 v32, 16, v20
	v_and_or_b32 v19, 0xf0f0f0f, v139, v19
	v_lshlrev_b16 v132, 8, v20
	v_add_nc_u16 v31, v31, 0xe000
	v_and_b32_e32 v20, 0x3f00, v20
	v_lshlrev_b16 v135, 8, v32
	v_lshrrev_b32_e32 v133, 16, v19
	v_and_b32_e32 v32, 0x3f00, v32
	v_add_nc_u16 v132, v132, 0xe000
	v_lshlrev_b32_e32 v31, 16, v31
	v_add_nc_u16 v135, v135, 0xe000
	v_lshlrev_b16 v137, 8, v133
	v_and_b32_e32 v133, 0x3f00, v133
	v_lshrrev_b16 v132, 8, v132
	v_or_b32_e32 v22, v22, v31
	v_lshrrev_b16 v135, 8, v135
	v_add_nc_u16 v137, v137, 0xe000
	v_lshlrev_b16 v136, 8, v19
	v_or_b32_e32 v20, v20, v132
	v_and_b32_e32 v19, 0x3f00, v19
	v_or_b32_e32 v32, v32, v135
	v_lshrrev_b16 v137, 8, v137
	v_add_nc_u16 v136, v136, 0xe000
	v_add_nc_u16 v20, v20, 0xe000
	v_ashrrev_i32_e32 v135, v58, v148
	v_add_nc_u16 v31, v32, 0xe000
	v_or_b32_e32 v132, v133, v137
	v_lshrrev_b16 v136, 8, v136
	s_delay_alu instid0(VALU_DEP_4) | instskip(NEXT) | instid1(VALU_DEP_4)
	v_lshlrev_b32_e32 v139, 4, v135
	v_lshlrev_b32_e32 v133, 16, v31
	scratch_load_b32 v31, off, off offset:64 ; 4-byte Folded Reload
	v_or_b32_e32 v19, v19, v136
	v_add_nc_u16 v32, v132, 0xe000
	v_and_b32_e32 v132, 0xffff, v20
	v_and_b32_e32 v135, 0x30303030, v135
	s_delay_alu instid0(VALU_DEP_4) | instskip(NEXT) | instid1(VALU_DEP_4)
	v_add_nc_u16 v19, v19, 0xe000
	v_lshlrev_b32_e32 v137, 16, v32
	s_delay_alu instid0(VALU_DEP_4) | instskip(NEXT) | instid1(VALU_DEP_3)
	v_or_b32_e32 v144, v132, v133
	v_and_b32_e32 v136, 0xffff, v19
	s_delay_alu instid0(VALU_DEP_1) | instskip(SKIP_2) | instid1(VALU_DEP_1)
	v_or_b32_e32 v136, v136, v137
	v_and_or_b32 v137, 0x30303030, v139, v138
	v_lshrrev_b32_e32 v139, 4, v147
	v_and_or_b32 v135, 0xf0f0f0f, v139, v135
	s_waitcnt vmcnt(0)
	v_mad_i64_i32 v[19:20], null, 0xd2, v31, s[0:1]
	v_add_co_u32 v31, s0, s0, v90
	s_delay_alu instid0(VALU_DEP_1) | instskip(SKIP_2) | instid1(VALU_DEP_1)
	v_add_co_ci_u32_e64 v32, null, s1, 0, s0
	s_lshl_b32 s0, s5, 3
	s_mov_b32 s1, -1
	v_mad_i64_i32 v[132:133], null, 0xd2, v43, v[31:32]
	global_load_u16 v138, v[19:20], off offset:208
	scratch_load_b32 v43, off, off offset:76 ; 4-byte Folded Reload
	ds_store_2addr_b32 v6, v134, v22 offset1:16
	ds_store_2addr_b32 v7, v144, v136 offset1:16
	v_ashrrev_i32_e32 v136, v58, v149
	global_load_b32 v133, v[132:133], off offset:192
	s_waitcnt vmcnt(1)
	v_mad_i64_i32 v[19:20], null, 0xd2, v43, v[31:32]
	v_lshlrev_b16 v31, 8, v137
	v_lshrrev_b32_e32 v32, 16, v137
	s_delay_alu instid0(VALU_DEP_2)
	v_add_nc_u16 v31, v31, 0xe000
	global_load_b32 v19, v[19:20], off offset:192
	v_lshlrev_b16 v132, 8, v32
	v_and_b32_e32 v20, 0x3f00, v137
	v_lshlrev_b32_e32 v137, 4, v136
	v_lshrrev_b16 v31, 8, v31
	v_and_b32_e32 v136, 0x30303030, v136
	v_add_nc_u16 v22, v132, 0xe000
	v_lshrrev_b32_e32 v132, 16, v135
	s_delay_alu instid0(VALU_DEP_4) | instskip(SKIP_1) | instid1(VALU_DEP_4)
	v_or_b32_e32 v20, v20, v31
	v_and_b32_e32 v31, 0x3f00, v32
	v_lshrrev_b16 v22, 8, v22
	v_lshlrev_b16 v32, 8, v135
	v_lshlrev_b16 v134, 8, v132
	v_and_b32_e32 v135, 0x3f00, v135
	v_and_b32_e32 v132, 0x3f00, v132
	v_or_b32_e32 v22, v31, v22
	v_add_nc_u16 v31, v32, 0xe000
	v_add_nc_u16 v32, v134, 0xe000
	v_and_b32_e32 v134, 0xf0f0f0f, v30
	v_add_nc_u16 v20, v20, 0xe000
	v_add_nc_u16 v22, v22, 0xe000
	v_lshrrev_b16 v31, 8, v31
	v_lshrrev_b16 v32, 8, v32
	v_and_or_b32 v134, 0x30303030, v137, v134
	v_lshrrev_b32_e32 v30, 4, v30
	v_and_b32_e32 v20, 0xffff, v20
	v_or_b32_e32 v31, v135, v31
	v_or_b32_e32 v32, v132, v32
	v_lshlrev_b16 v132, 8, v134
	v_lshrrev_b32_e32 v135, 16, v134
	v_and_b32_e32 v134, 0x3f00, v134
	v_add_nc_u16 v31, v31, 0xe000
	v_add_nc_u16 v32, v32, 0xe000
	;; [unrolled: 1-line block ×3, first 2 shown]
	v_lshlrev_b16 v137, 8, v135
	v_lshlrev_b32_e32 v22, 16, v22
	v_and_b32_e32 v31, 0xffff, v31
	v_lshlrev_b32_e32 v32, 16, v32
	v_lshrrev_b16 v132, 8, v132
	v_add_nc_u16 v137, v137, 0xe000
	v_and_or_b32 v30, 0xf0f0f0f, v30, v136
	v_or_b32_e32 v20, v20, v22
	v_or_b32_e32 v31, v31, v32
	;; [unrolled: 1-line block ×3, first 2 shown]
	v_and_b32_e32 v134, 0x3f00, v135
	v_lshrrev_b16 v135, 8, v137
	v_lshrrev_b32_e32 v22, 16, v30
	v_and_b32_e32 v136, 0xf0f0f0f, v28
	v_add_nc_u16 v132, v132, 0xe000
	v_lshlrev_b32_e32 v137, 4, v29
	v_or_b32_e32 v32, v134, v135
	v_lshlrev_b16 v134, 8, v30
	v_lshlrev_b16 v135, 8, v22
	v_and_b32_e32 v132, 0xffff, v132
	v_and_b32_e32 v30, 0x3f00, v30
	v_add_nc_u16 v32, v32, 0xe000
	v_add_nc_u16 v134, v134, 0xe000
	;; [unrolled: 1-line block ×3, first 2 shown]
	v_and_or_b32 v136, 0x30303030, v137, v136
	v_and_b32_e32 v22, 0x3f00, v22
	v_lshlrev_b32_e32 v32, 16, v32
	v_lshrrev_b16 v134, 8, v134
	v_lshrrev_b16 v135, 8, v135
	ds_store_2addr_b32 v8, v20, v31 offset1:16
	v_lshrrev_b32_e32 v28, 4, v28
	v_or_b32_e32 v31, v132, v32
	v_or_b32_e32 v20, v30, v134
	v_lshlrev_b16 v30, 8, v136
	v_lshrrev_b32_e32 v32, 16, v136
	v_or_b32_e32 v22, v22, v135
	v_and_b32_e32 v29, 0x30303030, v29
	v_add_nc_u16 v20, v20, 0xe000
	v_add_nc_u16 v30, v30, 0xe000
	v_lshlrev_b16 v132, 8, v32
	v_add_nc_u16 v22, v22, 0xe000
	v_and_b32_e32 v134, 0x3f00, v136
	v_and_or_b32 v28, 0xf0f0f0f, v28, v29
	v_lshrrev_b16 v30, 8, v30
	v_add_nc_u16 v132, v132, 0xe000
	v_and_b32_e32 v20, 0xffff, v20
	v_lshlrev_b32_e32 v22, 16, v22
	s_delay_alu instid0(VALU_DEP_4)
	v_or_b32_e32 v29, v134, v30
	v_and_b32_e32 v30, 0x3f00, v32
	v_lshrrev_b16 v32, 8, v132
	v_lshrrev_b32_e32 v132, 16, v28
	v_or_b32_e32 v20, v20, v22
	v_lshlrev_b16 v22, 8, v28
	v_add_nc_u16 v29, v29, 0xe000
	v_or_b32_e32 v30, v30, v32
	v_lshlrev_b16 v32, 8, v132
	ds_store_2addr_b32 v9, v31, v20 offset1:16
	v_add_nc_u16 v20, v22, 0xe000
	v_and_b32_e32 v22, 0xffff, v29
	v_add_nc_u16 v29, v30, 0xe000
	v_add_nc_u16 v30, v32, 0xe000
	v_and_b32_e32 v28, 0x3f00, v28
	v_lshrrev_b16 v20, 8, v20
	v_and_b32_e32 v31, 0x3f00, v132
	v_and_b32_e32 v32, 0xf0f0f0f, v26
	v_lshrrev_b16 v30, 8, v30
	v_lshlrev_b32_e32 v132, 4, v27
	v_lshrrev_b32_e32 v26, 4, v26
	v_and_b32_e32 v27, 0x30303030, v27
	v_or_b32_e32 v20, v28, v20
	v_or_b32_e32 v28, v31, v30
	v_and_or_b32 v30, 0x30303030, v132, v32
	v_lshlrev_b32_e32 v29, 16, v29
	v_and_or_b32 v26, 0xf0f0f0f, v26, v27
	v_add_nc_u16 v20, v20, 0xe000
	v_add_nc_u16 v28, v28, 0xe000
	v_lshrrev_b32_e32 v27, 16, v30
	v_or_b32_e32 v22, v22, v29
	v_lshrrev_b32_e32 v31, 16, v26
	v_lshlrev_b16 v29, 8, v30
	v_lshlrev_b16 v132, 8, v26
	;; [unrolled: 1-line block ×3, first 2 shown]
	v_and_b32_e32 v30, 0x3f00, v30
	v_lshlrev_b16 v134, 8, v31
	v_add_nc_u16 v29, v29, 0xe000
	v_add_nc_u16 v132, v132, 0xe000
	;; [unrolled: 1-line block ×3, first 2 shown]
	v_and_b32_e32 v27, 0x3f00, v27
	v_add_nc_u16 v134, v134, 0xe000
	v_lshrrev_b16 v29, 8, v29
	v_and_b32_e32 v26, 0x3f00, v26
	v_lshrrev_b16 v32, 8, v32
	v_lshrrev_b16 v132, 8, v132
	v_and_b32_e32 v31, 0x3f00, v31
	v_lshrrev_b16 v134, 8, v134
	v_or_b32_e32 v29, v30, v29
	v_or_b32_e32 v27, v27, v32
	;; [unrolled: 1-line block ×3, first 2 shown]
	v_lshlrev_b32_e32 v32, 4, v25
	v_or_b32_e32 v30, v31, v134
	v_and_b32_e32 v31, 0xf0f0f0f, v24
	v_and_b32_e32 v20, 0xffff, v20
	v_lshlrev_b32_e32 v28, 16, v28
	v_add_nc_u16 v29, v29, 0xe000
	v_add_nc_u16 v27, v27, 0xe000
	;; [unrolled: 1-line block ×4, first 2 shown]
	v_and_or_b32 v31, 0x30303030, v32, v31
	v_and_b32_e32 v29, 0xffff, v29
	v_lshlrev_b32_e32 v27, 16, v27
	v_and_b32_e32 v26, 0xffff, v26
	v_lshlrev_b32_e32 v30, 16, v30
	v_or_b32_e32 v20, v20, v28
	v_lshrrev_b32_e32 v28, 16, v31
	v_lshrrev_b32_e32 v24, 4, v24
	v_and_b32_e32 v25, 0x30303030, v25
	v_lshlrev_b16 v32, 8, v31
	v_or_b32_e32 v27, v29, v27
	v_or_b32_e32 v26, v26, v30
	v_lshlrev_b16 v30, 8, v28
	ds_store_2addr_b32 v10, v22, v20 offset1:16
	v_and_or_b32 v20, 0xf0f0f0f, v24, v25
	v_add_nc_u16 v29, v32, 0xe000
	ds_store_2addr_b32 v11, v27, v26 offset1:16
	v_add_nc_u16 v22, v30, 0xe000
	v_and_b32_e32 v31, 0x3f00, v31
	v_lshrrev_b32_e32 v26, 16, v20
	v_lshrrev_b16 v29, 8, v29
	v_and_b32_e32 v25, 0x3f00, v28
	v_lshrrev_b16 v22, 8, v22
	v_lshlrev_b16 v27, 8, v20
	v_lshlrev_b16 v28, 8, v26
	v_or_b32_e32 v24, v31, v29
	v_lshlrev_b32_e32 v29, 4, v23
	v_or_b32_e32 v22, v25, v22
	v_add_nc_u16 v25, v27, 0xe000
	v_and_b32_e32 v27, 0xf0f0f0f, v21
	v_add_nc_u16 v28, v28, 0xe000
	v_and_b32_e32 v20, 0x3f00, v20
	v_and_b32_e32 v26, 0x3f00, v26
	v_lshrrev_b16 v25, 8, v25
	v_and_or_b32 v27, 0x30303030, v29, v27
	v_lshrrev_b16 v28, 8, v28
	v_lshrrev_b32_e32 v21, 4, v21
	v_and_b32_e32 v23, 0x30303030, v23
	v_or_b32_e32 v20, v20, v25
	v_lshrrev_b32_e32 v25, 16, v27
	v_or_b32_e32 v26, v26, v28
	v_lshlrev_b16 v28, 8, v27
	v_and_b32_e32 v27, 0x3f00, v27
	v_and_or_b32 v21, 0xf0f0f0f, v21, v23
	v_lshlrev_b16 v29, 8, v25
	v_add_nc_u16 v24, v24, 0xe000
	v_add_nc_u16 v28, v28, 0xe000
	;; [unrolled: 1-line block ×3, first 2 shown]
	v_and_b32_e32 v25, 0x3f00, v25
	v_add_nc_u16 v29, v29, 0xe000
	v_and_b32_e32 v24, 0xffff, v24
	v_lshrrev_b16 v28, 8, v28
	v_lshlrev_b32_e32 v22, 16, v22
	v_add_nc_u16 v20, v20, 0xe000
	v_lshrrev_b16 v23, 8, v29
	v_add_nc_u16 v26, v26, 0xe000
	v_or_b32_e32 v27, v27, v28
	v_lshlrev_b16 v28, 8, v21
	v_and_b32_e32 v20, 0xffff, v20
	v_or_b32_e32 v23, v25, v23
	v_lshlrev_b32_e32 v26, 16, v26
	v_or_b32_e32 v22, v24, v22
	v_add_nc_u16 v25, v28, 0xe000
	v_add_nc_u16 v24, v27, 0xe000
	v_lshrrev_b32_e32 v27, 16, v21
	v_and_b32_e32 v21, 0x3f00, v21
	v_or_b32_e32 v20, v20, v26
	v_lshrrev_b16 v25, 8, v25
	v_ashrrev_i32_e32 v26, v58, v143
	v_add_nc_u16 v23, v23, 0xe000
	v_and_b32_e32 v24, 0xffff, v24
	ds_store_2addr_b32 v12, v22, v20 offset1:16
	v_or_b32_e32 v21, v21, v25
	v_lshlrev_b16 v25, 8, v27
	v_lshlrev_b32_e32 v29, 4, v26
	v_lshlrev_b32_e32 v23, 16, v23
	v_and_b32_e32 v28, 0xf0f0f0f, v142
	v_add_nc_u16 v21, v21, 0xe000
	v_add_nc_u16 v22, v25, 0xe000
	v_and_b32_e32 v25, 0x30303030, v26
	v_and_b32_e32 v26, 0x3f00, v27
	v_or_b32_e32 v20, v24, v23
	v_and_b32_e32 v21, 0xffff, v21
	v_lshrrev_b16 v22, 8, v22
	v_and_or_b32 v28, 0x30303030, v29, v28
	v_lshrrev_b32_e32 v24, 4, v142
	v_lshrrev_b32_e32 v31, 4, v140
	s_delay_alu instid0(VALU_DEP_4) | instskip(NEXT) | instid1(VALU_DEP_4)
	v_or_b32_e32 v22, v26, v22
	v_lshlrev_b16 v23, 8, v28
	v_lshrrev_b32_e32 v27, 16, v28
	v_and_or_b32 v24, 0xf0f0f0f, v24, v25
	v_and_b32_e32 v25, 0x3f00, v28
	v_add_nc_u16 v22, v22, 0xe000
	v_add_nc_u16 v23, v23, 0xe000
	v_lshlrev_b16 v28, 8, v27
	v_lshlrev_b16 v26, 8, v24
	s_delay_alu instid0(VALU_DEP_4) | instskip(NEXT) | instid1(VALU_DEP_4)
	v_lshlrev_b32_e32 v22, 16, v22
	v_lshrrev_b16 v23, 8, v23
	s_delay_alu instid0(VALU_DEP_4) | instskip(NEXT) | instid1(VALU_DEP_3)
	v_add_nc_u16 v28, v28, 0xe000
	v_or_b32_e32 v21, v21, v22
	s_delay_alu instid0(VALU_DEP_3)
	v_or_b32_e32 v23, v25, v23
	v_add_nc_u16 v25, v26, 0xe000
	v_and_b32_e32 v26, 0x3f00, v27
	v_lshrrev_b16 v27, 8, v28
	ds_store_2addr_b32 v13, v20, v21 offset1:16
	scratch_load_b32 v21, off, off offset:68 ; 4-byte Folded Reload
	v_cvt_f32_f16_e64 v20, v138
	v_and_b32_e32 v28, 0x3f00, v24
	v_lshrrev_b16 v25, 8, v25
	v_or_b32_e32 v26, v26, v27
	v_ashrrev_i32_e32 v27, v58, v141
	v_lshrrev_b32_e32 v24, 16, v24
	v_add_nc_u16 v23, v23, 0xe000
	v_or_b32_e32 v25, v28, v25
	v_and_b32_e32 v28, 0xf0f0f0f, v140
	v_lshlrev_b32_e32 v29, 4, v27
	v_and_b32_e32 v27, 0x30303030, v27
	v_lshlrev_b16 v30, 8, v24
	v_and_b32_e32 v24, 0x3f00, v24
	v_add_nc_u16 v26, v26, 0xe000
	v_and_or_b32 v28, 0x30303030, v29, v28
	v_and_or_b32 v27, 0xf0f0f0f, v31, v27
	v_add_nc_u16 v29, v30, 0xe000
	v_add_nc_u16 v25, v25, 0xe000
	v_and_b32_e32 v23, 0xffff, v23
	v_lshrrev_b32_e32 v30, 16, v28
	v_lshrrev_b32_e32 v32, 16, v27
	v_lshlrev_b16 v31, 8, v28
	v_lshlrev_b16 v134, 8, v27
	v_lshrrev_b16 v29, 8, v29
	v_lshlrev_b16 v132, 8, v30
	v_lshlrev_b16 v135, 8, v32
	v_add_nc_u16 v31, v31, 0xe000
	v_add_nc_u16 v134, v134, 0xe000
	v_and_b32_e32 v28, 0x3f00, v28
	v_add_nc_u16 v132, v132, 0xe000
	v_add_nc_u16 v135, v135, 0xe000
	v_lshrrev_b16 v31, 8, v31
	v_and_b32_e32 v30, 0x3f00, v30
	v_and_b32_e32 v27, 0x3f00, v27
	v_lshrrev_b16 v132, 8, v132
	v_lshrrev_b16 v134, 8, v134
	v_and_b32_e32 v32, 0x3f00, v32
	v_lshrrev_b16 v135, 8, v135
	v_or_b32_e32 v24, v24, v29
	v_or_b32_e32 v28, v28, v31
	;; [unrolled: 1-line block ×5, first 2 shown]
	v_add_nc_u16 v24, v24, 0xe000
	v_add_nc_u16 v28, v28, 0xe000
	;; [unrolled: 1-line block ×5, first 2 shown]
	v_lshlrev_b32_e32 v26, 16, v26
	v_and_b32_e32 v25, 0xffff, v25
	v_lshlrev_b32_e32 v24, 16, v24
	v_and_b32_e32 v28, 0xffff, v28
	;; [unrolled: 2-line block ×3, first 2 shown]
	v_lshlrev_b32_e32 v30, 16, v30
	v_or_b32_e32 v22, v23, v26
	v_or_b32_e32 v23, v25, v24
	;; [unrolled: 1-line block ×3, first 2 shown]
	v_add_nc_u32_e32 v132, s0, v18
	v_or_b32_e32 v25, v27, v30
	ds_store_2addr_b32 v14, v22, v23 offset1:16
	ds_store_2addr_b32 v15, v24, v25 offset1:16
	s_waitcnt vmcnt(0)
	ds_store_b32 v21, v20
	scratch_load_b32 v20, off, off offset:80 ; 4-byte Folded Reload
	s_waitcnt vmcnt(0)
	ds_store_b32 v20, v133
	scratch_load_b32 v20, off, off offset:84 ; 4-byte Folded Reload
	s_waitcnt vmcnt(0)
	ds_store_b32 v20, v19
.LBB156_6:                              ;   Parent Loop BB156_5 Depth=1
                                        ; =>  This Loop Header: Depth=2
                                        ;       Child Loop BB156_7 Depth 3
	v_lshl_add_u32 v19, s14, 5, v44
	v_lshl_add_u32 v32, s14, 2, v132
	s_lshl_b32 s14, s14, 4
	s_xor_b32 s1, s1, -1
	s_add_i32 s15, s14, 16
	v_lshrrev_b32_e32 v19, 3, v19
	s_delay_alu instid0(VALU_DEP_1) | instskip(NEXT) | instid1(VALU_DEP_1)
	v_add_nc_u32_e32 v31, s0, v19
	v_add_nc_u32_e32 v21, v31, v96
	;; [unrolled: 1-line block ×7, first 2 shown]
	v_mad_i64_i32 v[19:20], null, v21, 36, v[16:17]
	v_mad_i64_i32 v[21:22], null, v23, 36, v[16:17]
	;; [unrolled: 1-line block ×5, first 2 shown]
	v_mad_u64_u32 v[29:30], null, v32, 36, s[2:3]
	v_add_nc_u32_e32 v135, v31, v114
	v_add_nc_u32_e32 v137, v31, v116
	v_mad_i64_i32 v[31:32], null, v133, 36, v[16:17]
	s_delay_alu instid0(VALU_DEP_3) | instskip(NEXT) | instid1(VALU_DEP_3)
	v_mad_i64_i32 v[133:134], null, v135, 36, v[16:17]
	v_mad_i64_i32 v[135:136], null, v137, 36, v[16:17]
	s_clause 0x8
	global_load_b32 v29, v[29:30], off
	global_load_b32 v21, v[21:22], off offset:4
	global_load_b32 v22, v[23:24], off offset:4
	;; [unrolled: 1-line block ×8, first 2 shown]
	s_waitcnt vmcnt(8)
	v_cvt_f32_f16_e32 v20, v29
	s_waitcnt vmcnt(7)
	ds_store_b32 v101, v21
	s_waitcnt vmcnt(6)
	ds_store_b32 v104, v22
	;; [unrolled: 2-line block ×8, first 2 shown]
	ds_store_b32 v95, v20
	s_waitcnt lgkmcnt(0)
	s_waitcnt_vscnt null, 0x0
	s_barrier
	buffer_gl0_inv
	ds_load_b32 v133, v118
	ds_load_b32 v134, v119 offset:128
	ds_load_b32 v135, v120 offset:256
	;; [unrolled: 1-line block ×3, first 2 shown]
.LBB156_7:                              ;   Parent Loop BB156_5 Depth=1
                                        ;     Parent Loop BB156_6 Depth=2
                                        ; =>    This Inner Loop Header: Depth=3
	s_lshl_b32 s16, s14, 1
	s_lshl_b32 s17, s14, 3
	s_and_b32 s16, s16, 16
	v_add_nc_u32_e32 v138, s17, v123
	v_or_b32_e32 v137, s16, v81
	v_add_nc_u32_e32 v175, s17, v125
	v_add_nc_u32_e32 v176, s17, v127
	;; [unrolled: 1-line block ×3, first 2 shown]
	s_delay_alu instid0(VALU_DEP_4)
	v_lshlrev_b32_e32 v174, 2, v137
	v_lshrrev_b32_e32 v137, 1, v137
	ds_load_2addr_b32 v[19:20], v138 offset0:14 offset1:15
	ds_load_b128 v[139:142], v174 offset:33328
	ds_load_2addr_b32 v[187:188], v138 offset0:12 offset1:13
	ds_load_2addr_b32 v[31:32], v175 offset0:12 offset1:13
	;; [unrolled: 1-line block ×4, first 2 shown]
	s_waitcnt lgkmcnt(4)
	v_dot4_i32_iu8 v21, v19, v141, 0 neg_lo:[1,1,0]
	s_waitcnt lgkmcnt(3)
	s_delay_alu instid0(VALU_DEP_1) | instskip(SKIP_3) | instid1(VALU_DEP_1)
	v_dot4_i32_iu8 v143, v187, v139, v21 neg_lo:[1,1,0]
	ds_load_2addr_b32 v[21:22], v175 offset0:14 offset1:15
	s_waitcnt lgkmcnt(0)
	v_dot4_i32_iu8 v23, v21, v141, 0 neg_lo:[1,1,0]
	v_dot4_i32_iu8 v144, v31, v139, v23 neg_lo:[1,1,0]
	ds_load_2addr_b32 v[23:24], v176 offset0:14 offset1:15
	s_waitcnt lgkmcnt(0)
	v_dot4_i32_iu8 v25, v23, v141, 0 neg_lo:[1,1,0]
	s_delay_alu instid0(VALU_DEP_1) | instskip(SKIP_3) | instid1(VALU_DEP_1)
	v_dot4_i32_iu8 v145, v29, v139, v25 neg_lo:[1,1,0]
	ds_load_2addr_b32 v[25:26], v177 offset0:14 offset1:15
	s_waitcnt lgkmcnt(0)
	v_dot4_i32_iu8 v141, v25, v141, 0 neg_lo:[1,1,0]
	v_dot4_i32_iu8 v139, v27, v139, v141 neg_lo:[1,1,0]
	;; [unrolled: 1-line block ×5, first 2 shown]
	s_delay_alu instid0(VALU_DEP_4) | instskip(NEXT) | instid1(VALU_DEP_4)
	v_dot4_i32_iu8 v139, v28, v140, v139 neg_lo:[1,1,0]
	v_dot4_i32_iu8 v169, v20, v142, v141 neg_lo:[1,1,0]
	s_delay_alu instid0(VALU_DEP_4) | instskip(NEXT) | instid1(VALU_DEP_4)
	v_dot4_i32_iu8 v165, v22, v142, v143 neg_lo:[1,1,0]
	v_dot4_i32_iu8 v162, v24, v142, v144 neg_lo:[1,1,0]
	s_delay_alu instid0(VALU_DEP_4) | instskip(SKIP_1) | instid1(VALU_DEP_1)
	v_dot4_i32_iu8 v161, v26, v142, v139 neg_lo:[1,1,0]
	v_or_b32_e32 v139, s16, v94
	v_lshlrev_b32_e32 v178, 2, v139
	ds_load_b128 v[143:146], v178 offset:33328
	s_waitcnt lgkmcnt(0)
	v_dot4_i32_iu8 v140, v145, v19, 0 neg_lo:[1,1,0]
	v_dot4_i32_iu8 v141, v145, v21, 0 neg_lo:[1,1,0]
	v_dot4_i32_iu8 v142, v145, v23, 0 neg_lo:[1,1,0]
	v_dot4_i32_iu8 v145, v145, v25, 0 neg_lo:[1,1,0]
	s_delay_alu instid0(VALU_DEP_4) | instskip(NEXT) | instid1(VALU_DEP_4)
	v_dot4_i32_iu8 v140, v143, v187, v140 neg_lo:[1,1,0]
	v_dot4_i32_iu8 v141, v143, v31, v141 neg_lo:[1,1,0]
	s_delay_alu instid0(VALU_DEP_4) | instskip(NEXT) | instid1(VALU_DEP_4)
	v_dot4_i32_iu8 v142, v143, v29, v142 neg_lo:[1,1,0]
	v_dot4_i32_iu8 v143, v143, v27, v145 neg_lo:[1,1,0]
	s_delay_alu instid0(VALU_DEP_4) | instskip(NEXT) | instid1(VALU_DEP_4)
	v_dot4_i32_iu8 v140, v144, v188, v140 neg_lo:[1,1,0]
	v_dot4_i32_iu8 v141, v144, v32, v141 neg_lo:[1,1,0]
	s_delay_alu instid0(VALU_DEP_4) | instskip(NEXT) | instid1(VALU_DEP_4)
	v_dot4_i32_iu8 v142, v144, v30, v142 neg_lo:[1,1,0]
	v_dot4_i32_iu8 v147, v144, v28, v143 neg_lo:[1,1,0]
	s_delay_alu instid0(VALU_DEP_4) | instskip(SKIP_4) | instid1(VALU_DEP_4)
	v_dot4_i32_iu8 v145, v146, v20, v140 neg_lo:[1,1,0]
	v_or_b32_e32 v140, s16, v97
	v_dot4_i32_iu8 v144, v146, v22, v141 neg_lo:[1,1,0]
	v_dot4_i32_iu8 v143, v146, v24, v142 neg_lo:[1,1,0]
	v_dot4_i32_iu8 v142, v146, v26, v147 neg_lo:[1,1,0]
	v_lshlrev_b32_e32 v179, 2, v140
	ds_load_b128 v[148:151], v179 offset:33328
	s_waitcnt lgkmcnt(0)
	v_dot4_i32_iu8 v141, v150, v19, 0 neg_lo:[1,1,0]
	v_dot4_i32_iu8 v146, v150, v21, 0 neg_lo:[1,1,0]
	v_dot4_i32_iu8 v147, v150, v23, 0 neg_lo:[1,1,0]
	v_dot4_i32_iu8 v150, v150, v25, 0 neg_lo:[1,1,0]
	s_delay_alu instid0(VALU_DEP_4) | instskip(NEXT) | instid1(VALU_DEP_4)
	v_dot4_i32_iu8 v141, v148, v187, v141 neg_lo:[1,1,0]
	v_dot4_i32_iu8 v146, v148, v31, v146 neg_lo:[1,1,0]
	s_delay_alu instid0(VALU_DEP_4) | instskip(NEXT) | instid1(VALU_DEP_4)
	v_dot4_i32_iu8 v147, v148, v29, v147 neg_lo:[1,1,0]
	v_dot4_i32_iu8 v148, v148, v27, v150 neg_lo:[1,1,0]
	s_delay_alu instid0(VALU_DEP_4) | instskip(NEXT) | instid1(VALU_DEP_4)
	v_dot4_i32_iu8 v141, v149, v188, v141 neg_lo:[1,1,0]
	v_dot4_i32_iu8 v146, v149, v32, v146 neg_lo:[1,1,0]
	s_delay_alu instid0(VALU_DEP_4) | instskip(NEXT) | instid1(VALU_DEP_4)
	v_dot4_i32_iu8 v147, v149, v30, v147 neg_lo:[1,1,0]
	v_dot4_i32_iu8 v152, v149, v28, v148 neg_lo:[1,1,0]
	s_delay_alu instid0(VALU_DEP_4) | instskip(SKIP_4) | instid1(VALU_DEP_4)
	v_dot4_i32_iu8 v150, v151, v20, v141 neg_lo:[1,1,0]
	v_or_b32_e32 v141, s16, v100
	v_dot4_i32_iu8 v149, v151, v22, v146 neg_lo:[1,1,0]
	v_dot4_i32_iu8 v148, v151, v24, v147 neg_lo:[1,1,0]
	v_dot4_i32_iu8 v147, v151, v26, v152 neg_lo:[1,1,0]
	;; [unrolled: 25-line block ×5, first 2 shown]
	v_lshlrev_b32_e32 v192, 2, v156
	ds_load_b128 v[183:186], v192 offset:33328
	s_waitcnt lgkmcnt(0)
	v_dot4_i32_iu8 v163, v185, v19, 0 neg_lo:[1,1,0]
	v_dot4_i32_iu8 v170, v185, v21, 0 neg_lo:[1,1,0]
	;; [unrolled: 1-line block ×4, first 2 shown]
	s_delay_alu instid0(VALU_DEP_4) | instskip(NEXT) | instid1(VALU_DEP_4)
	v_dot4_i32_iu8 v163, v183, v187, v163 neg_lo:[1,1,0]
	v_dot4_i32_iu8 v170, v183, v31, v170 neg_lo:[1,1,0]
	s_delay_alu instid0(VALU_DEP_4) | instskip(NEXT) | instid1(VALU_DEP_4)
	v_dot4_i32_iu8 v171, v183, v29, v171 neg_lo:[1,1,0]
	v_dot4_i32_iu8 v172, v183, v27, v172 neg_lo:[1,1,0]
	;; [unrolled: 3-line block ×4, first 2 shown]
	s_delay_alu instid0(VALU_DEP_4)
	v_dot4_i32_iu8 v173, v186, v20, v163 neg_lo:[1,1,0]
	v_or_b32_e32 v163, s16, v113
	v_dot4_i32_iu8 v172, v186, v22, v170 neg_lo:[1,1,0]
	v_dot4_i32_iu8 v171, v186, v24, v171 neg_lo:[1,1,0]
	;; [unrolled: 1-line block ×3, first 2 shown]
	s_lshr_b32 s16, s14, 1
	v_lshlrev_b32_e32 v202, 2, v163
	s_add_i32 s14, s14, 8
	s_delay_alu instid0(SALU_CYCLE_1)
	s_cmp_lt_u32 s14, s15
	ds_load_b128 v[183:186], v202 offset:33328
	s_waitcnt lgkmcnt(0)
	v_dot4_i32_iu8 v19, v185, v19, 0 neg_lo:[1,1,0]
	v_dot4_i32_iu8 v21, v185, v21, 0 neg_lo:[1,1,0]
	;; [unrolled: 1-line block ×4, first 2 shown]
	s_delay_alu instid0(VALU_DEP_4) | instskip(NEXT) | instid1(VALU_DEP_4)
	v_dot4_i32_iu8 v19, v183, v187, v19 neg_lo:[1,1,0]
	v_dot4_i32_iu8 v21, v183, v31, v21 neg_lo:[1,1,0]
	s_delay_alu instid0(VALU_DEP_4) | instskip(NEXT) | instid1(VALU_DEP_4)
	v_dot4_i32_iu8 v23, v183, v29, v23 neg_lo:[1,1,0]
	v_dot4_i32_iu8 v25, v183, v27, v25 neg_lo:[1,1,0]
	;; [unrolled: 3-line block ×6, first 2 shown]
	ds_load_2addr_b32 v[207:208], v138 offset0:10 offset1:11
	ds_load_b128 v[23:26], v174 offset:33312
	ds_load_2addr_b32 v[211:212], v175 offset0:10 offset1:11
	ds_load_2addr_b32 v[217:218], v176 offset0:8 offset1:9
	;; [unrolled: 1-line block ×7, first 2 shown]
	ds_load_b128 v[203:206], v202 offset:33312
	s_waitcnt lgkmcnt(8)
	v_dot4_i32_iu8 v27, v207, v25, 0 neg_lo:[1,1,0]
	s_waitcnt lgkmcnt(7)
	v_dot4_i32_iu8 v28, v211, v25, 0 neg_lo:[1,1,0]
	;; [unrolled: 2-line block ×6, first 2 shown]
	v_dot4_i32_iu8 v29, v217, v23, v29 neg_lo:[1,1,0]
	v_dot4_i32_iu8 v23, v221, v23, v25 neg_lo:[1,1,0]
	;; [unrolled: 1-line block ×3, first 2 shown]
	s_delay_alu instid0(VALU_DEP_4) | instskip(NEXT) | instid1(VALU_DEP_4)
	v_dot4_i32_iu8 v27, v214, v24, v28 neg_lo:[1,1,0]
	v_dot4_i32_iu8 v28, v218, v24, v29 neg_lo:[1,1,0]
	s_delay_alu instid0(VALU_DEP_4) | instskip(NEXT) | instid1(VALU_DEP_4)
	v_dot4_i32_iu8 v23, v222, v24, v23 neg_lo:[1,1,0]
	v_dot4_i32_iu8 v251, v208, v26, v25 neg_lo:[1,1,0]
	;; [unrolled: 3-line block ×3, first 2 shown]
	s_delay_alu instid0(VALU_DEP_4)
	v_dot4_i32_iu8 v254, v220, v26, v23 neg_lo:[1,1,0]
	ds_load_b128 v[23:26], v178 offset:33312
	s_waitcnt lgkmcnt(0)
	v_dot4_i32_iu8 v27, v25, v207, 0 neg_lo:[1,1,0]
	v_dot4_i32_iu8 v28, v25, v211, 0 neg_lo:[1,1,0]
	v_dot4_i32_iu8 v29, v25, v215, 0 neg_lo:[1,1,0]
	v_dot4_i32_iu8 v25, v25, v219, 0 neg_lo:[1,1,0]
	s_delay_alu instid0(VALU_DEP_4) | instskip(NEXT) | instid1(VALU_DEP_4)
	v_dot4_i32_iu8 v27, v23, v209, v27 neg_lo:[1,1,0]
	v_dot4_i32_iu8 v28, v23, v213, v28 neg_lo:[1,1,0]
	s_delay_alu instid0(VALU_DEP_4) | instskip(NEXT) | instid1(VALU_DEP_4)
	v_dot4_i32_iu8 v29, v23, v217, v29 neg_lo:[1,1,0]
	v_dot4_i32_iu8 v23, v23, v221, v25 neg_lo:[1,1,0]
	s_delay_alu instid0(VALU_DEP_4) | instskip(NEXT) | instid1(VALU_DEP_4)
	v_dot4_i32_iu8 v25, v24, v210, v27 neg_lo:[1,1,0]
	v_dot4_i32_iu8 v27, v24, v214, v28 neg_lo:[1,1,0]
	s_delay_alu instid0(VALU_DEP_4) | instskip(NEXT) | instid1(VALU_DEP_4)
	v_dot4_i32_iu8 v28, v24, v218, v29 neg_lo:[1,1,0]
	v_dot4_i32_iu8 v23, v24, v222, v23 neg_lo:[1,1,0]
	s_delay_alu instid0(VALU_DEP_4) | instskip(NEXT) | instid1(VALU_DEP_4)
	v_dot4_i32_iu8 v201, v26, v208, v25 neg_lo:[1,1,0]
	v_dot4_i32_iu8 v200, v26, v212, v27 neg_lo:[1,1,0]
	s_delay_alu instid0(VALU_DEP_4) | instskip(NEXT) | instid1(VALU_DEP_4)
	v_dot4_i32_iu8 v199, v26, v216, v28 neg_lo:[1,1,0]
	v_dot4_i32_iu8 v198, v26, v220, v23 neg_lo:[1,1,0]
	ds_load_b128 v[23:26], v179 offset:33312
	s_waitcnt lgkmcnt(0)
	v_dot4_i32_iu8 v27, v25, v207, 0 neg_lo:[1,1,0]
	v_dot4_i32_iu8 v28, v25, v211, 0 neg_lo:[1,1,0]
	v_dot4_i32_iu8 v29, v25, v215, 0 neg_lo:[1,1,0]
	v_dot4_i32_iu8 v25, v25, v219, 0 neg_lo:[1,1,0]
	s_delay_alu instid0(VALU_DEP_4) | instskip(NEXT) | instid1(VALU_DEP_4)
	v_dot4_i32_iu8 v27, v23, v209, v27 neg_lo:[1,1,0]
	v_dot4_i32_iu8 v28, v23, v213, v28 neg_lo:[1,1,0]
	s_delay_alu instid0(VALU_DEP_4) | instskip(NEXT) | instid1(VALU_DEP_4)
	v_dot4_i32_iu8 v29, v23, v217, v29 neg_lo:[1,1,0]
	v_dot4_i32_iu8 v23, v23, v221, v25 neg_lo:[1,1,0]
	s_delay_alu instid0(VALU_DEP_4) | instskip(NEXT) | instid1(VALU_DEP_4)
	v_dot4_i32_iu8 v25, v24, v210, v27 neg_lo:[1,1,0]
	v_dot4_i32_iu8 v27, v24, v214, v28 neg_lo:[1,1,0]
	s_delay_alu instid0(VALU_DEP_4) | instskip(NEXT) | instid1(VALU_DEP_4)
	v_dot4_i32_iu8 v28, v24, v218, v29 neg_lo:[1,1,0]
	v_dot4_i32_iu8 v23, v24, v222, v23 neg_lo:[1,1,0]
	s_delay_alu instid0(VALU_DEP_4) | instskip(NEXT) | instid1(VALU_DEP_4)
	v_dot4_i32_iu8 v197, v26, v208, v25 neg_lo:[1,1,0]
	v_dot4_i32_iu8 v196, v26, v212, v27 neg_lo:[1,1,0]
	s_delay_alu instid0(VALU_DEP_4) | instskip(NEXT) | instid1(VALU_DEP_4)
	v_dot4_i32_iu8 v195, v26, v216, v28 neg_lo:[1,1,0]
	;; [unrolled: 24-line block ×5, first 2 shown]
	v_dot4_i32_iu8 v31, v26, v220, v23 neg_lo:[1,1,0]
	ds_load_b128 v[23:26], v192 offset:33312
	s_waitcnt lgkmcnt(0)
	v_dot4_i32_iu8 v27, v25, v207, 0 neg_lo:[1,1,0]
	v_dot4_i32_iu8 v28, v25, v211, 0 neg_lo:[1,1,0]
	;; [unrolled: 1-line block ×4, first 2 shown]
	s_delay_alu instid0(VALU_DEP_4) | instskip(NEXT) | instid1(VALU_DEP_4)
	v_dot4_i32_iu8 v27, v23, v209, v27 neg_lo:[1,1,0]
	v_dot4_i32_iu8 v28, v23, v213, v28 neg_lo:[1,1,0]
	s_delay_alu instid0(VALU_DEP_4) | instskip(NEXT) | instid1(VALU_DEP_4)
	v_dot4_i32_iu8 v29, v23, v217, v29 neg_lo:[1,1,0]
	v_dot4_i32_iu8 v23, v23, v221, v25 neg_lo:[1,1,0]
	;; [unrolled: 3-line block ×4, first 2 shown]
	v_dot4_i32_iu8 v24, v205, v211, 0 neg_lo:[1,1,0]
	v_dot4_i32_iu8 v30, v26, v208, v25 neg_lo:[1,1,0]
	;; [unrolled: 1-line block ×9, first 2 shown]
	s_delay_alu instid0(VALU_DEP_4) | instskip(NEXT) | instid1(VALU_DEP_4)
	v_dot4_i32_iu8 v23, v203, v209, v23 neg_lo:[1,1,0]
	v_dot4_i32_iu8 v24, v204, v214, v24 neg_lo:[1,1,0]
	s_delay_alu instid0(VALU_DEP_4) | instskip(SKIP_1) | instid1(VALU_DEP_4)
	v_dot4_i32_iu8 v207, v204, v218, v25 neg_lo:[1,1,0]
	v_dot4_i32_iu8 v25, v205, v219, 0 neg_lo:[1,1,0]
	;; [unrolled: 1-line block ×3, first 2 shown]
	s_delay_alu instid0(VALU_DEP_2) | instskip(NEXT) | instid1(VALU_DEP_2)
	v_dot4_i32_iu8 v25, v203, v221, v25 neg_lo:[1,1,0]
	v_dot4_i32_iu8 v26, v206, v208, v23 neg_lo:[1,1,0]
	s_delay_alu instid0(VALU_DEP_2) | instskip(SKIP_2) | instid1(VALU_DEP_3)
	v_dot4_i32_iu8 v203, v204, v222, v25 neg_lo:[1,1,0]
	v_dot4_i32_iu8 v25, v206, v212, v24 neg_lo:[1,1,0]
	;; [unrolled: 1-line block ×4, first 2 shown]
	ds_load_2addr_b32 v[235:236], v138 offset0:6 offset1:7
	ds_load_b128 v[203:206], v174 offset:33296
	ds_load_2addr_b32 v[239:240], v175 offset0:6 offset1:7
	ds_load_2addr_b32 v[245:246], v176 offset0:4 offset1:5
	;; [unrolled: 1-line block ×7, first 2 shown]
	ds_load_b128 v[231:234], v202 offset:33296
	s_waitcnt lgkmcnt(8)
	v_dot4_i32_iu8 v207, v235, v205, 0 neg_lo:[1,1,0]
	s_waitcnt lgkmcnt(7)
	v_dot4_i32_iu8 v208, v239, v205, 0 neg_lo:[1,1,0]
	s_waitcnt lgkmcnt(5)
	v_dot4_i32_iu8 v209, v243, v205, 0 neg_lo:[1,1,0]
	s_waitcnt lgkmcnt(3)
	v_dot4_i32_iu8 v205, v247, v205, 0 neg_lo:[1,1,0]
	s_waitcnt lgkmcnt(2)
	v_dot4_i32_iu8 v207, v237, v203, v207 neg_lo:[1,1,0]
	s_waitcnt lgkmcnt(1)
	v_dot4_i32_iu8 v208, v241, v203, v208 neg_lo:[1,1,0]
	v_dot4_i32_iu8 v209, v245, v203, v209 neg_lo:[1,1,0]
	v_dot4_i32_iu8 v203, v249, v203, v205 neg_lo:[1,1,0]
	;; [unrolled: 1-line block ×3, first 2 shown]
	s_delay_alu instid0(VALU_DEP_4) | instskip(NEXT) | instid1(VALU_DEP_4)
	v_dot4_i32_iu8 v207, v242, v204, v208 neg_lo:[1,1,0]
	v_dot4_i32_iu8 v208, v246, v204, v209 neg_lo:[1,1,0]
	s_delay_alu instid0(VALU_DEP_4) | instskip(NEXT) | instid1(VALU_DEP_4)
	v_dot4_i32_iu8 v203, v250, v204, v203 neg_lo:[1,1,0]
	v_dot4_i32_iu8 v255, v236, v206, v205 neg_lo:[1,1,0]
	;; [unrolled: 3-line block ×3, first 2 shown]
	s_delay_alu instid0(VALU_DEP_4)
	v_dot4_i32_iu8 v60, v248, v206, v203 neg_lo:[1,1,0]
	ds_load_b128 v[203:206], v178 offset:33296
	s_waitcnt lgkmcnt(0)
	v_dot4_i32_iu8 v207, v205, v235, 0 neg_lo:[1,1,0]
	v_dot4_i32_iu8 v208, v205, v239, 0 neg_lo:[1,1,0]
	v_dot4_i32_iu8 v209, v205, v243, 0 neg_lo:[1,1,0]
	v_dot4_i32_iu8 v205, v205, v247, 0 neg_lo:[1,1,0]
	s_delay_alu instid0(VALU_DEP_4) | instskip(NEXT) | instid1(VALU_DEP_4)
	v_dot4_i32_iu8 v207, v203, v237, v207 neg_lo:[1,1,0]
	v_dot4_i32_iu8 v208, v203, v241, v208 neg_lo:[1,1,0]
	s_delay_alu instid0(VALU_DEP_4) | instskip(NEXT) | instid1(VALU_DEP_4)
	v_dot4_i32_iu8 v209, v203, v245, v209 neg_lo:[1,1,0]
	v_dot4_i32_iu8 v203, v203, v249, v205 neg_lo:[1,1,0]
	s_delay_alu instid0(VALU_DEP_4) | instskip(NEXT) | instid1(VALU_DEP_4)
	v_dot4_i32_iu8 v205, v204, v238, v207 neg_lo:[1,1,0]
	v_dot4_i32_iu8 v207, v204, v242, v208 neg_lo:[1,1,0]
	s_delay_alu instid0(VALU_DEP_4) | instskip(NEXT) | instid1(VALU_DEP_4)
	v_dot4_i32_iu8 v208, v204, v246, v209 neg_lo:[1,1,0]
	v_dot4_i32_iu8 v203, v204, v250, v203 neg_lo:[1,1,0]
	s_delay_alu instid0(VALU_DEP_4) | instskip(NEXT) | instid1(VALU_DEP_4)
	v_dot4_i32_iu8 v230, v206, v236, v205 neg_lo:[1,1,0]
	v_dot4_i32_iu8 v229, v206, v240, v207 neg_lo:[1,1,0]
	s_delay_alu instid0(VALU_DEP_4) | instskip(NEXT) | instid1(VALU_DEP_4)
	v_dot4_i32_iu8 v228, v206, v244, v208 neg_lo:[1,1,0]
	v_dot4_i32_iu8 v227, v206, v248, v203 neg_lo:[1,1,0]
	ds_load_b128 v[203:206], v179 offset:33296
	s_waitcnt lgkmcnt(0)
	v_dot4_i32_iu8 v207, v205, v235, 0 neg_lo:[1,1,0]
	v_dot4_i32_iu8 v208, v205, v239, 0 neg_lo:[1,1,0]
	v_dot4_i32_iu8 v209, v205, v243, 0 neg_lo:[1,1,0]
	v_dot4_i32_iu8 v205, v205, v247, 0 neg_lo:[1,1,0]
	s_delay_alu instid0(VALU_DEP_4) | instskip(NEXT) | instid1(VALU_DEP_4)
	v_dot4_i32_iu8 v207, v203, v237, v207 neg_lo:[1,1,0]
	v_dot4_i32_iu8 v208, v203, v241, v208 neg_lo:[1,1,0]
	s_delay_alu instid0(VALU_DEP_4) | instskip(NEXT) | instid1(VALU_DEP_4)
	v_dot4_i32_iu8 v209, v203, v245, v209 neg_lo:[1,1,0]
	v_dot4_i32_iu8 v203, v203, v249, v205 neg_lo:[1,1,0]
	s_delay_alu instid0(VALU_DEP_4) | instskip(NEXT) | instid1(VALU_DEP_4)
	v_dot4_i32_iu8 v205, v204, v238, v207 neg_lo:[1,1,0]
	v_dot4_i32_iu8 v207, v204, v242, v208 neg_lo:[1,1,0]
	s_delay_alu instid0(VALU_DEP_4) | instskip(NEXT) | instid1(VALU_DEP_4)
	v_dot4_i32_iu8 v208, v204, v246, v209 neg_lo:[1,1,0]
	v_dot4_i32_iu8 v203, v204, v250, v203 neg_lo:[1,1,0]
	s_delay_alu instid0(VALU_DEP_4) | instskip(NEXT) | instid1(VALU_DEP_4)
	v_dot4_i32_iu8 v226, v206, v236, v205 neg_lo:[1,1,0]
	v_dot4_i32_iu8 v225, v206, v240, v207 neg_lo:[1,1,0]
	s_delay_alu instid0(VALU_DEP_4) | instskip(NEXT) | instid1(VALU_DEP_4)
	v_dot4_i32_iu8 v224, v206, v244, v208 neg_lo:[1,1,0]
	;; [unrolled: 24-line block ×5, first 2 shown]
	v_dot4_i32_iu8 v211, v206, v248, v203 neg_lo:[1,1,0]
	ds_load_b128 v[203:206], v192 offset:33296
	s_waitcnt lgkmcnt(0)
	v_dot4_i32_iu8 v207, v205, v235, 0 neg_lo:[1,1,0]
	v_dot4_i32_iu8 v208, v205, v239, 0 neg_lo:[1,1,0]
	v_dot4_i32_iu8 v209, v205, v243, 0 neg_lo:[1,1,0]
	v_dot4_i32_iu8 v205, v205, v247, 0 neg_lo:[1,1,0]
	s_delay_alu instid0(VALU_DEP_4) | instskip(NEXT) | instid1(VALU_DEP_4)
	v_dot4_i32_iu8 v207, v203, v237, v207 neg_lo:[1,1,0]
	v_dot4_i32_iu8 v208, v203, v241, v208 neg_lo:[1,1,0]
	s_delay_alu instid0(VALU_DEP_4) | instskip(NEXT) | instid1(VALU_DEP_4)
	v_dot4_i32_iu8 v209, v203, v245, v209 neg_lo:[1,1,0]
	v_dot4_i32_iu8 v203, v203, v249, v205 neg_lo:[1,1,0]
	;; [unrolled: 3-line block ×4, first 2 shown]
	v_dot4_i32_iu8 v204, v233, v239, 0 neg_lo:[1,1,0]
	v_dot4_i32_iu8 v210, v206, v236, v205 neg_lo:[1,1,0]
	;; [unrolled: 1-line block ×9, first 2 shown]
	s_delay_alu instid0(VALU_DEP_4) | instskip(NEXT) | instid1(VALU_DEP_4)
	v_dot4_i32_iu8 v203, v231, v237, v203 neg_lo:[1,1,0]
	v_dot4_i32_iu8 v204, v232, v242, v204 neg_lo:[1,1,0]
	s_delay_alu instid0(VALU_DEP_4) | instskip(SKIP_1) | instid1(VALU_DEP_4)
	v_dot4_i32_iu8 v235, v232, v246, v205 neg_lo:[1,1,0]
	v_dot4_i32_iu8 v205, v233, v247, 0 neg_lo:[1,1,0]
	;; [unrolled: 1-line block ×3, first 2 shown]
	s_delay_alu instid0(VALU_DEP_2) | instskip(NEXT) | instid1(VALU_DEP_2)
	v_dot4_i32_iu8 v205, v231, v249, v205 neg_lo:[1,1,0]
	v_dot4_i32_iu8 v206, v234, v236, v203 neg_lo:[1,1,0]
	s_delay_alu instid0(VALU_DEP_2) | instskip(SKIP_2) | instid1(VALU_DEP_3)
	v_dot4_i32_iu8 v231, v232, v250, v205 neg_lo:[1,1,0]
	v_dot4_i32_iu8 v205, v234, v240, v204 neg_lo:[1,1,0]
	;; [unrolled: 1-line block ×4, first 2 shown]
	ds_load_2addr_b32 v[235:236], v138 offset0:2 offset1:3
	ds_load_2addr_b32 v[237:238], v138 offset1:1
	ds_load_b128 v[231:234], v174 offset:33280
	ds_load_2addr_b32 v[239:240], v175 offset0:2 offset1:3
	ds_load_2addr_b32 v[241:242], v175 offset1:1
	ds_load_2addr_b32 v[243:244], v176 offset0:2 offset1:3
	ds_load_2addr_b32 v[245:246], v176 offset1:1
	;; [unrolled: 2-line block ×3, first 2 shown]
	s_waitcnt lgkmcnt(6)
	v_dot4_i32_iu8 v138, v235, v233, 0 neg_lo:[1,1,0]
	s_waitcnt lgkmcnt(5)
	v_dot4_i32_iu8 v174, v239, v233, 0 neg_lo:[1,1,0]
	s_waitcnt lgkmcnt(3)
	v_dot4_i32_iu8 v175, v243, v233, 0 neg_lo:[1,1,0]
	s_waitcnt lgkmcnt(1)
	v_dot4_i32_iu8 v176, v247, v233, 0 neg_lo:[1,1,0]
	v_dot4_i32_iu8 v138, v237, v231, v138 neg_lo:[1,1,0]
	v_dot4_i32_iu8 v174, v241, v231, v174 neg_lo:[1,1,0]
	;; [unrolled: 1-line block ×3, first 2 shown]
	s_waitcnt lgkmcnt(0)
	v_dot4_i32_iu8 v176, v249, v231, v176 neg_lo:[1,1,0]
	v_dot4_i32_iu8 v138, v238, v232, v138 neg_lo:[1,1,0]
	;; [unrolled: 1-line block ×4, first 2 shown]
	s_delay_alu instid0(VALU_DEP_4) | instskip(NEXT) | instid1(VALU_DEP_4)
	v_dot4_i32_iu8 v176, v250, v232, v176 neg_lo:[1,1,0]
	v_dot4_i32_iu8 v231, v236, v234, v138 neg_lo:[1,1,0]
	s_delay_alu instid0(VALU_DEP_4) | instskip(NEXT) | instid1(VALU_DEP_4)
	v_dot4_i32_iu8 v232, v240, v234, v174 neg_lo:[1,1,0]
	v_dot4_i32_iu8 v233, v244, v234, v175 neg_lo:[1,1,0]
	s_delay_alu instid0(VALU_DEP_4)
	v_dot4_i32_iu8 v234, v248, v234, v176 neg_lo:[1,1,0]
	ds_load_b128 v[174:177], v178 offset:33280
	s_waitcnt lgkmcnt(0)
	v_dot4_i32_iu8 v138, v176, v235, 0 neg_lo:[1,1,0]
	v_dot4_i32_iu8 v178, v176, v239, 0 neg_lo:[1,1,0]
	v_dot4_i32_iu8 v61, v176, v243, 0 neg_lo:[1,1,0]
	v_dot4_i32_iu8 v176, v176, v247, 0 neg_lo:[1,1,0]
	s_delay_alu instid0(VALU_DEP_4) | instskip(NEXT) | instid1(VALU_DEP_4)
	v_dot4_i32_iu8 v138, v174, v237, v138 neg_lo:[1,1,0]
	v_dot4_i32_iu8 v178, v174, v241, v178 neg_lo:[1,1,0]
	s_delay_alu instid0(VALU_DEP_4) | instskip(NEXT) | instid1(VALU_DEP_4)
	v_dot4_i32_iu8 v61, v174, v245, v61 neg_lo:[1,1,0]
	v_dot4_i32_iu8 v174, v174, v249, v176 neg_lo:[1,1,0]
	s_delay_alu instid0(VALU_DEP_4) | instskip(NEXT) | instid1(VALU_DEP_4)
	v_dot4_i32_iu8 v138, v175, v238, v138 neg_lo:[1,1,0]
	v_dot4_i32_iu8 v176, v175, v242, v178 neg_lo:[1,1,0]
	s_delay_alu instid0(VALU_DEP_4) | instskip(NEXT) | instid1(VALU_DEP_4)
	v_dot4_i32_iu8 v61, v175, v246, v61 neg_lo:[1,1,0]
	v_dot4_i32_iu8 v174, v175, v250, v174 neg_lo:[1,1,0]
	s_delay_alu instid0(VALU_DEP_4) | instskip(NEXT) | instid1(VALU_DEP_4)
	v_dot4_i32_iu8 v62, v177, v236, v138 neg_lo:[1,1,0]
	v_dot4_i32_iu8 v64, v177, v240, v176 neg_lo:[1,1,0]
	s_delay_alu instid0(VALU_DEP_4) | instskip(NEXT) | instid1(VALU_DEP_4)
	v_dot4_i32_iu8 v61, v177, v244, v61 neg_lo:[1,1,0]
	v_dot4_i32_iu8 v65, v177, v248, v174 neg_lo:[1,1,0]
	ds_load_b128 v[174:177], v179 offset:33280
	s_waitcnt lgkmcnt(0)
	v_dot4_i32_iu8 v138, v176, v235, 0 neg_lo:[1,1,0]
	v_dot4_i32_iu8 v178, v176, v239, 0 neg_lo:[1,1,0]
	v_dot4_i32_iu8 v179, v176, v243, 0 neg_lo:[1,1,0]
	v_dot4_i32_iu8 v176, v176, v247, 0 neg_lo:[1,1,0]
	s_delay_alu instid0(VALU_DEP_4) | instskip(NEXT) | instid1(VALU_DEP_4)
	v_dot4_i32_iu8 v138, v174, v237, v138 neg_lo:[1,1,0]
	v_dot4_i32_iu8 v178, v174, v241, v178 neg_lo:[1,1,0]
	s_delay_alu instid0(VALU_DEP_4) | instskip(NEXT) | instid1(VALU_DEP_4)
	v_dot4_i32_iu8 v179, v174, v245, v179 neg_lo:[1,1,0]
	v_dot4_i32_iu8 v174, v174, v249, v176 neg_lo:[1,1,0]
	s_delay_alu instid0(VALU_DEP_4) | instskip(NEXT) | instid1(VALU_DEP_4)
	v_dot4_i32_iu8 v138, v175, v238, v138 neg_lo:[1,1,0]
	v_dot4_i32_iu8 v176, v175, v242, v178 neg_lo:[1,1,0]
	s_delay_alu instid0(VALU_DEP_4) | instskip(NEXT) | instid1(VALU_DEP_4)
	v_dot4_i32_iu8 v178, v175, v246, v179 neg_lo:[1,1,0]
	v_dot4_i32_iu8 v174, v175, v250, v174 neg_lo:[1,1,0]
	s_delay_alu instid0(VALU_DEP_4) | instskip(NEXT) | instid1(VALU_DEP_4)
	v_dot4_i32_iu8 v66, v177, v236, v138 neg_lo:[1,1,0]
	v_dot4_i32_iu8 v67, v177, v240, v176 neg_lo:[1,1,0]
	s_delay_alu instid0(VALU_DEP_4) | instskip(NEXT) | instid1(VALU_DEP_4)
	v_dot4_i32_iu8 v69, v177, v244, v178 neg_lo:[1,1,0]
	;; [unrolled: 24-line block ×6, first 2 shown]
	v_dot4_i32_iu8 v131, v177, v248, v174 neg_lo:[1,1,0]
	ds_load_b128 v[174:177], v202 offset:33280
	s_waitcnt lgkmcnt(0)
	v_dot4_i32_iu8 v138, v176, v235, 0 neg_lo:[1,1,0]
	v_dot4_i32_iu8 v178, v176, v239, 0 neg_lo:[1,1,0]
	;; [unrolled: 1-line block ×4, first 2 shown]
	s_delay_alu instid0(VALU_DEP_4) | instskip(NEXT) | instid1(VALU_DEP_4)
	v_dot4_i32_iu8 v138, v174, v237, v138 neg_lo:[1,1,0]
	v_dot4_i32_iu8 v178, v174, v241, v178 neg_lo:[1,1,0]
	s_delay_alu instid0(VALU_DEP_4) | instskip(NEXT) | instid1(VALU_DEP_4)
	v_dot4_i32_iu8 v179, v174, v245, v179 neg_lo:[1,1,0]
	v_dot4_i32_iu8 v174, v174, v249, v176 neg_lo:[1,1,0]
	;; [unrolled: 3-line block ×4, first 2 shown]
	s_delay_alu instid0(VALU_DEP_4) | instskip(SKIP_2) | instid1(VALU_DEP_4)
	v_dot4_i32_iu8 v202, v177, v236, v138 neg_lo:[1,1,0]
	v_add_nc_u32_e32 v138, s16, v122
	v_dot4_i32_iu8 v235, v177, v240, v178 neg_lo:[1,1,0]
	v_dot4_i32_iu8 v237, v177, v248, v174 neg_lo:[1,1,0]
	;; [unrolled: 1-line block ×3, first 2 shown]
	ds_load_b32 v176, v138
	s_waitcnt lgkmcnt(0)
	v_bfe_i32 v238, v176, 8, 8
	v_bfe_i32 v239, v176, 0, 8
	;; [unrolled: 1-line block ×3, first 2 shown]
	s_delay_alu instid0(VALU_DEP_3) | instskip(NEXT) | instid1(VALU_DEP_1)
	v_mul_lo_u32 v138, v255, v238
	v_mad_u64_u32 v[174:175], null, v231, v239, v[138:139]
	v_ashrrev_i32_e32 v231, 24, v176
	s_delay_alu instid0(VALU_DEP_1) | instskip(SKIP_1) | instid1(VALU_DEP_2)
	v_mul_lo_u32 v138, v169, v231
	v_mul_lo_u32 v19, v19, v231
	v_mad_u64_u32 v[175:176], null, v251, v240, v[138:139]
	v_add_nc_u32_e32 v138, s16, v124
	ds_load_b32 v169, v138
	s_waitcnt lgkmcnt(0)
	v_bfe_i32 v241, v169, 8, 8
	v_bfe_i32 v242, v169, 0, 8
	s_delay_alu instid0(VALU_DEP_2) | instskip(SKIP_2) | instid1(VALU_DEP_3)
	v_mul_lo_u32 v138, v43, v241
	v_ashrrev_i32_e32 v43, 24, v169
	v_bfe_i32 v169, v169, 16, 8
	v_mad_u64_u32 v[176:177], null, v232, v242, v[138:139]
	s_delay_alu instid0(VALU_DEP_3) | instskip(NEXT) | instid1(VALU_DEP_1)
	v_mul_lo_u32 v138, v165, v43
	v_mad_u64_u32 v[177:178], null, v252, v169, v[138:139]
	v_add_nc_u32_e32 v138, s16, v126
	ds_load_b32 v165, v138
	s_waitcnt lgkmcnt(0)
	v_bfe_i32 v232, v165, 8, 8
	v_bfe_i32 v243, v165, 0, 8
	s_delay_alu instid0(VALU_DEP_2) | instskip(SKIP_2) | instid1(VALU_DEP_3)
	v_mul_lo_u32 v138, v56, v232
	v_ashrrev_i32_e32 v56, 24, v165
	v_bfe_i32 v165, v165, 16, 8
	v_mad_u64_u32 v[178:179], null, v233, v243, v[138:139]
	s_delay_alu instid0(VALU_DEP_3) | instskip(NEXT) | instid1(VALU_DEP_1)
	v_mul_lo_u32 v138, v162, v56
	v_mad_u64_u32 v[179:180], null, v253, v165, v[138:139]
	v_add_nc_u32_e32 v138, s16, v128
	ds_load_b32 v162, v138
	s_waitcnt lgkmcnt(0)
	v_bfe_i32 v233, v162, 8, 8
	v_bfe_i32 v244, v162, 0, 8
	s_delay_alu instid0(VALU_DEP_2) | instskip(SKIP_1) | instid1(VALU_DEP_2)
	v_mul_lo_u32 v138, v60, v233
	v_ashrrev_i32_e32 v60, 24, v162
	v_mad_u64_u32 v[180:181], null, v234, v244, v[138:139]
	s_delay_alu instid0(VALU_DEP_2) | instskip(SKIP_1) | instid1(VALU_DEP_1)
	v_mul_lo_u32 v138, v161, v60
	v_bfe_i32 v181, v162, 16, 8
	v_mad_u64_u32 v[161:162], null, v254, v181, v[138:139]
	ds_load_b64 v[137:138], v137 offset:43584
	v_cvt_f32_i32_e32 v162, v174
	v_cvt_f32_i32_e32 v174, v175
	;; [unrolled: 1-line block ×8, first 2 shown]
	s_waitcnt lgkmcnt(0)
	v_fma_f32 v180, v137, v162, 0
	v_fma_f32 v234, v137, v175, 0
	v_fma_f32 v245, v137, v177, 0
	v_fma_f32 v246, v137, v179, 0
	v_mul_lo_u32 v137, v230, v238
	v_fmac_f32_e32 v180, v138, v174
	v_fmac_f32_e32 v234, v138, v176
	v_fmac_f32_e32 v245, v138, v178
	v_fmac_f32_e32 v246, v138, v161
	s_delay_alu instid0(VALU_DEP_3) | instskip(SKIP_2) | instid1(VALU_DEP_1)
	v_fmac_f32_e32 v89, v134, v234
	v_mad_u64_u32 v[161:162], null, v62, v239, v[137:138]
	v_mul_lo_u32 v137, v145, v231
	v_mad_u64_u32 v[174:175], null, v201, v240, v[137:138]
	v_mul_lo_u32 v137, v229, v241
	s_delay_alu instid0(VALU_DEP_2) | instskip(NEXT) | instid1(VALU_DEP_2)
	v_cvt_f32_i32_e32 v62, v174
	v_mad_u64_u32 v[175:176], null, v64, v242, v[137:138]
	v_mul_lo_u32 v137, v144, v43
	s_delay_alu instid0(VALU_DEP_2) | instskip(NEXT) | instid1(VALU_DEP_2)
	v_cvt_f32_i32_e32 v64, v175
	v_mad_u64_u32 v[144:145], null, v200, v169, v[137:138]
	v_mul_lo_u32 v137, v228, v232
	s_delay_alu instid0(VALU_DEP_1) | instskip(SKIP_2) | instid1(VALU_DEP_2)
	v_mad_u64_u32 v[176:177], null, v61, v243, v[137:138]
	v_mul_lo_u32 v137, v143, v56
	v_cvt_f32_i32_e32 v61, v161
	v_mad_u64_u32 v[177:178], null, v199, v165, v[137:138]
	v_mul_lo_u32 v137, v227, v233
	s_delay_alu instid0(VALU_DEP_1) | instskip(SKIP_3) | instid1(VALU_DEP_4)
	v_mad_u64_u32 v[178:179], null, v65, v244, v[137:138]
	v_mul_lo_u32 v137, v142, v60
	v_cvt_f32_i32_e32 v65, v144
	v_cvt_f32_i32_e32 v144, v177
	;; [unrolled: 1-line block ×3, first 2 shown]
	s_delay_alu instid0(VALU_DEP_4)
	v_mad_u64_u32 v[142:143], null, v198, v181, v[137:138]
	v_lshrrev_b32_e32 v137, 1, v139
	v_cvt_f32_i32_e32 v143, v176
	ds_load_b64 v[137:138], v137 offset:43584
	v_cvt_f32_i32_e32 v142, v142
	s_waitcnt lgkmcnt(0)
	v_fma_f32 v61, v137, v61, 0
	s_delay_alu instid0(VALU_DEP_1) | instskip(SKIP_2) | instid1(VALU_DEP_2)
	v_fmac_f32_e32 v61, v138, v62
	v_fma_f32 v62, v137, v64, 0
	v_fma_f32 v64, v137, v143, 0
	v_fmac_f32_e32 v62, v138, v65
	v_fma_f32 v65, v137, v145, 0
	v_mul_lo_u32 v137, v226, v238
	s_delay_alu instid0(VALU_DEP_4) | instskip(NEXT) | instid1(VALU_DEP_4)
	v_fmac_f32_e32 v64, v138, v144
	v_fmac_f32_e32 v77, v134, v62
	s_delay_alu instid0(VALU_DEP_4) | instskip(NEXT) | instid1(VALU_DEP_4)
	v_fmac_f32_e32 v65, v138, v142
	v_mad_u64_u32 v[138:139], null, v66, v239, v[137:138]
	v_mul_lo_u32 v137, v150, v231
	s_delay_alu instid0(VALU_DEP_1) | instskip(SKIP_1) | instid1(VALU_DEP_2)
	v_mad_u64_u32 v[142:143], null, v197, v240, v[137:138]
	v_mul_lo_u32 v137, v225, v241
	v_cvt_f32_i32_e32 v66, v142
	s_delay_alu instid0(VALU_DEP_2) | instskip(SKIP_1) | instid1(VALU_DEP_2)
	v_mad_u64_u32 v[143:144], null, v67, v242, v[137:138]
	v_mul_lo_u32 v137, v149, v43
	v_cvt_f32_i32_e32 v67, v143
	s_delay_alu instid0(VALU_DEP_2) | instskip(SKIP_1) | instid1(VALU_DEP_1)
	v_mad_u64_u32 v[144:145], null, v196, v169, v[137:138]
	v_mul_lo_u32 v137, v224, v232
	v_mad_u64_u32 v[149:150], null, v69, v243, v[137:138]
	v_mul_lo_u32 v137, v148, v56
	s_delay_alu instid0(VALU_DEP_4) | instskip(NEXT) | instid1(VALU_DEP_3)
	v_cvt_f32_i32_e32 v69, v144
	v_cvt_f32_i32_e32 v139, v149
	s_delay_alu instid0(VALU_DEP_3) | instskip(SKIP_1) | instid1(VALU_DEP_2)
	v_mad_u64_u32 v[161:162], null, v195, v165, v[137:138]
	v_mul_lo_u32 v137, v223, v233
	v_cvt_f32_i32_e32 v142, v161
	s_delay_alu instid0(VALU_DEP_2) | instskip(SKIP_2) | instid1(VALU_DEP_3)
	v_mad_u64_u32 v[174:175], null, v52, v244, v[137:138]
	v_mul_lo_u32 v137, v147, v60
	v_cvt_f32_i32_e32 v52, v138
	v_cvt_f32_i32_e32 v143, v174
	s_delay_alu instid0(VALU_DEP_3)
	v_mad_u64_u32 v[147:148], null, v194, v181, v[137:138]
	v_lshrrev_b32_e32 v137, 1, v140
	ds_load_b64 v[137:138], v137 offset:43584
	v_cvt_f32_i32_e32 v144, v147
	s_waitcnt lgkmcnt(0)
	v_fma_f32 v52, v137, v52, 0
	s_delay_alu instid0(VALU_DEP_1) | instskip(SKIP_2) | instid1(VALU_DEP_2)
	v_fmac_f32_e32 v52, v138, v66
	v_fma_f32 v66, v137, v67, 0
	v_fma_f32 v67, v137, v139, 0
	v_fmac_f32_e32 v66, v138, v69
	v_fma_f32 v69, v137, v143, 0
	v_mul_lo_u32 v137, v222, v238
	s_delay_alu instid0(VALU_DEP_4) | instskip(NEXT) | instid1(VALU_DEP_1)
	v_fmac_f32_e32 v67, v138, v142
	v_dual_fmac_f32 v69, v138, v144 :: v_dual_fmac_f32 v70, v135, v67
	s_delay_alu instid0(VALU_DEP_3) | instskip(SKIP_1) | instid1(VALU_DEP_2)
	v_mad_u64_u32 v[138:139], null, v73, v239, v[137:138]
	v_mul_lo_u32 v137, v155, v231
	v_cvt_f32_i32_e32 v73, v138
	s_delay_alu instid0(VALU_DEP_2) | instskip(SKIP_1) | instid1(VALU_DEP_1)
	v_mad_u64_u32 v[139:140], null, v193, v240, v[137:138]
	v_mul_lo_u32 v137, v221, v241
	v_mad_u64_u32 v[142:143], null, v76, v242, v[137:138]
	v_mul_lo_u32 v137, v154, v43
	s_delay_alu instid0(VALU_DEP_4) | instskip(NEXT) | instid1(VALU_DEP_2)
	v_cvt_f32_i32_e32 v76, v139
	v_mad_u64_u32 v[143:144], null, v191, v169, v[137:138]
	v_mul_lo_u32 v137, v220, v232
	s_delay_alu instid0(VALU_DEP_1) | instskip(SKIP_2) | instid1(VALU_DEP_3)
	v_mad_u64_u32 v[144:145], null, v79, v243, v[137:138]
	v_mul_lo_u32 v137, v153, v56
	v_cvt_f32_i32_e32 v79, v142
	v_cvt_f32_i32_e32 v139, v144
	s_delay_alu instid0(VALU_DEP_3) | instskip(SKIP_1) | instid1(VALU_DEP_2)
	v_mad_u64_u32 v[147:148], null, v190, v165, v[137:138]
	v_mul_lo_u32 v137, v219, v233
	v_cvt_f32_i32_e32 v140, v147
	s_delay_alu instid0(VALU_DEP_2) | instskip(SKIP_2) | instid1(VALU_DEP_3)
	v_mad_u64_u32 v[148:149], null, v80, v244, v[137:138]
	v_mul_lo_u32 v137, v152, v60
	v_cvt_f32_i32_e32 v80, v143
	v_cvt_f32_i32_e32 v142, v148
	s_delay_alu instid0(VALU_DEP_3)
	v_mad_u64_u32 v[149:150], null, v189, v181, v[137:138]
	v_lshrrev_b32_e32 v137, 1, v141
	ds_load_b64 v[137:138], v137 offset:43584
	v_cvt_f32_i32_e32 v143, v149
	s_waitcnt lgkmcnt(0)
	v_fma_f32 v73, v137, v73, 0
	s_delay_alu instid0(VALU_DEP_1) | instskip(SKIP_2) | instid1(VALU_DEP_2)
	v_fmac_f32_e32 v73, v138, v76
	v_fma_f32 v76, v137, v79, 0
	v_fma_f32 v79, v137, v139, 0
	v_dual_fmac_f32 v63, v133, v73 :: v_dual_fmac_f32 v76, v138, v80
	v_fma_f32 v80, v137, v142, 0
	v_mul_lo_u32 v137, v218, v238
	s_delay_alu instid0(VALU_DEP_4) | instskip(NEXT) | instid1(VALU_DEP_4)
	v_dual_fmac_f32 v79, v138, v140 :: v_dual_fmac_f32 v86, v135, v245
	v_fmac_f32_e32 v59, v134, v76
	s_delay_alu instid0(VALU_DEP_4) | instskip(NEXT) | instid1(VALU_DEP_4)
	v_fmac_f32_e32 v80, v138, v143
	v_mad_u64_u32 v[138:139], null, v83, v239, v[137:138]
	v_mul_lo_u32 v137, v160, v231
	s_delay_alu instid0(VALU_DEP_2) | instskip(NEXT) | instid1(VALU_DEP_2)
	v_cvt_f32_i32_e32 v83, v138
	v_mad_u64_u32 v[139:140], null, v188, v240, v[137:138]
	v_mul_lo_u32 v137, v217, v241
	s_delay_alu instid0(VALU_DEP_1) | instskip(SKIP_1) | instid1(VALU_DEP_4)
	v_mad_u64_u32 v[140:141], null, v84, v242, v[137:138]
	v_mul_lo_u32 v137, v159, v43
	v_cvt_f32_i32_e32 v84, v139
	s_delay_alu instid0(VALU_DEP_2) | instskip(SKIP_1) | instid1(VALU_DEP_1)
	v_mad_u64_u32 v[141:142], null, v187, v169, v[137:138]
	v_mul_lo_u32 v137, v216, v232
	v_mad_u64_u32 v[142:143], null, v85, v243, v[137:138]
	v_mul_lo_u32 v137, v158, v56
	v_cvt_f32_i32_e32 v85, v140
	s_delay_alu instid0(VALU_DEP_3) | instskip(NEXT) | instid1(VALU_DEP_3)
	v_cvt_f32_i32_e32 v139, v142
	v_mad_u64_u32 v[143:144], null, v186, v165, v[137:138]
	v_mul_lo_u32 v137, v215, v233
	s_delay_alu instid0(VALU_DEP_2) | instskip(NEXT) | instid1(VALU_DEP_2)
	v_cvt_f32_i32_e32 v140, v143
	v_mad_u64_u32 v[144:145], null, v87, v244, v[137:138]
	v_mul_lo_u32 v137, v157, v60
	v_cvt_f32_i32_e32 v87, v141
	s_delay_alu instid0(VALU_DEP_3) | instskip(NEXT) | instid1(VALU_DEP_3)
	v_cvt_f32_i32_e32 v141, v144
	v_mad_u64_u32 v[147:148], null, v185, v181, v[137:138]
	v_lshrrev_b32_e32 v137, 1, v146
	ds_load_b64 v[137:138], v137 offset:43584
	v_cvt_f32_i32_e32 v142, v147
	s_waitcnt lgkmcnt(0)
	v_fma_f32 v83, v137, v83, 0
	s_delay_alu instid0(VALU_DEP_1) | instskip(SKIP_2) | instid1(VALU_DEP_2)
	v_fmac_f32_e32 v83, v138, v84
	v_fma_f32 v84, v137, v85, 0
	v_fma_f32 v85, v137, v139, 0
	v_fmac_f32_e32 v84, v138, v87
	v_fma_f32 v87, v137, v141, 0
	v_mul_lo_u32 v137, v214, v238
	s_delay_alu instid0(VALU_DEP_4) | instskip(NEXT) | instid1(VALU_DEP_3)
	v_fmac_f32_e32 v85, v138, v140
	v_fmac_f32_e32 v87, v138, v142
	s_delay_alu instid0(VALU_DEP_3) | instskip(SKIP_1) | instid1(VALU_DEP_3)
	v_mad_u64_u32 v[138:139], null, v182, v239, v[137:138]
	v_mul_lo_u32 v137, v168, v231
	v_fmac_f32_e32 v48, v136, v87
	s_delay_alu instid0(VALU_DEP_2) | instskip(SKIP_1) | instid1(VALU_DEP_1)
	v_mad_u64_u32 v[139:140], null, v184, v240, v[137:138]
	v_mul_lo_u32 v137, v213, v241
	v_mad_u64_u32 v[140:141], null, v88, v242, v[137:138]
	v_mul_lo_u32 v137, v167, v43
	v_cvt_f32_i32_e32 v88, v138
	s_delay_alu instid0(VALU_DEP_2) | instskip(SKIP_1) | instid1(VALU_DEP_1)
	v_mad_u64_u32 v[141:142], null, v183, v169, v[137:138]
	v_mul_lo_u32 v137, v212, v232
	v_mad_u64_u32 v[142:143], null, v91, v243, v[137:138]
	v_mul_lo_u32 v137, v166, v56
	v_cvt_f32_i32_e32 v91, v139
	s_delay_alu instid0(VALU_DEP_2) | instskip(SKIP_3) | instid1(VALU_DEP_4)
	v_mad_u64_u32 v[143:144], null, v32, v165, v[137:138]
	v_mul_lo_u32 v32, v211, v233
	v_cvt_f32_i32_e32 v138, v142
	v_cvt_f32_i32_e32 v137, v141
	;; [unrolled: 1-line block ×3, first 2 shown]
	s_delay_alu instid0(VALU_DEP_4) | instskip(SKIP_2) | instid1(VALU_DEP_3)
	v_mad_u64_u32 v[144:145], null, v92, v244, v[32:33]
	v_mul_lo_u32 v32, v164, v60
	v_cvt_f32_i32_e32 v92, v140
	v_cvt_f32_i32_e32 v140, v144
	s_delay_alu instid0(VALU_DEP_3)
	v_mad_u64_u32 v[145:146], null, v31, v181, v[32:33]
	v_lshrrev_b32_e32 v31, 1, v151
	ds_load_b64 v[31:32], v31 offset:43584
	v_cvt_f32_i32_e32 v141, v145
	s_waitcnt lgkmcnt(0)
	v_fma_f32 v88, v31, v88, 0
	v_fma_f32 v144, v31, v140, 0
	s_delay_alu instid0(VALU_DEP_2) | instskip(NEXT) | instid1(VALU_DEP_2)
	v_fmac_f32_e32 v88, v32, v91
	v_fmac_f32_e32 v144, v32, v141
	v_fma_f32 v91, v31, v92, 0
	v_fma_f32 v92, v31, v138, 0
	v_mul_lo_u32 v31, v210, v238
	v_dual_fmac_f32 v55, v135, v79 :: v_dual_fmac_f32 v78, v133, v61
	v_fmac_f32_e32 v41, v136, v144
	v_fmac_f32_e32 v91, v32, v137
	;; [unrolled: 1-line block ×4, first 2 shown]
	v_dual_fmac_f32 v82, v136, v246 :: v_dual_fmac_f32 v51, v133, v83
	v_mad_u64_u32 v[137:138], null, v192, v239, v[31:32]
	v_mul_lo_u32 v31, v173, v231
	v_fmac_f32_e32 v71, v134, v66
	v_dual_fmac_f32 v49, v135, v85 :: v_dual_fmac_f32 v54, v136, v80
	v_fmac_f32_e32 v47, v133, v88
	v_dual_fmac_f32 v45, v134, v91 :: v_dual_fmac_f32 v42, v135, v92
	v_mad_u64_u32 v[138:139], null, v30, v240, v[31:32]
	v_mul_lo_u32 v30, v209, v241
	s_delay_alu instid0(VALU_DEP_1) | instskip(SKIP_1) | instid1(VALU_DEP_4)
	v_mad_u64_u32 v[31:32], null, v93, v242, v[30:31]
	v_mul_lo_u32 v30, v172, v43
	v_cvt_f32_i32_e32 v32, v138
	s_delay_alu instid0(VALU_DEP_2) | instskip(SKIP_2) | instid1(VALU_DEP_3)
	v_mad_u64_u32 v[139:140], null, v29, v169, v[30:31]
	v_mul_lo_u32 v29, v208, v232
	v_cvt_f32_i32_e32 v31, v31
	v_cvt_f32_i32_e32 v93, v139
	s_delay_alu instid0(VALU_DEP_3) | instskip(SKIP_1) | instid1(VALU_DEP_2)
	v_mad_u64_u32 v[140:141], null, v130, v243, v[29:30]
	v_mul_lo_u32 v29, v171, v56
	v_cvt_f32_i32_e32 v130, v140
	s_delay_alu instid0(VALU_DEP_2) | instskip(SKIP_1) | instid1(VALU_DEP_1)
	v_mad_u64_u32 v[141:142], null, v28, v165, v[29:30]
	v_mul_lo_u32 v28, v207, v233
	v_mad_u64_u32 v[29:30], null, v131, v244, v[28:29]
	v_mul_lo_u32 v28, v170, v60
	v_cvt_f32_i32_e32 v30, v137
	v_cvt_f32_i32_e32 v131, v141
	s_delay_alu instid0(VALU_DEP_3)
	v_mad_u64_u32 v[142:143], null, v27, v181, v[28:29]
	v_lshrrev_b32_e32 v27, 1, v156
	v_cvt_f32_i32_e32 v29, v29
	ds_load_b64 v[27:28], v27 offset:43584
	v_cvt_f32_i32_e32 v137, v142
	s_waitcnt lgkmcnt(0)
	v_fma_f32 v139, v27, v31, 0
	v_fma_f32 v138, v27, v30, 0
	s_delay_alu instid0(VALU_DEP_2)
	v_fmac_f32_e32 v139, v28, v93
	v_fma_f32 v93, v27, v130, 0
	v_fma_f32 v130, v27, v29, 0
	v_mul_lo_u32 v27, v206, v238
	v_fmac_f32_e32 v138, v28, v32
	v_dual_fmac_f32 v74, v136, v65 :: v_dual_fmac_f32 v39, v134, v139
	v_fmac_f32_e32 v93, v28, v131
	v_fmac_f32_e32 v130, v28, v137
	s_delay_alu instid0(VALU_DEP_4) | instskip(SKIP_4) | instid1(VALU_DEP_2)
	v_fmac_f32_e32 v40, v133, v138
	v_mad_u64_u32 v[28:29], null, v202, v239, v[27:28]
	v_mad_u64_u32 v[29:30], null, v26, v240, v[19:20]
	v_mul_lo_u32 v19, v205, v241
	v_dual_fmac_f32 v38, v135, v93 :: v_dual_fmac_f32 v37, v136, v130
	v_mad_u64_u32 v[26:27], null, v235, v242, v[19:20]
	v_mul_lo_u32 v19, v20, v43
	s_delay_alu instid0(VALU_DEP_1) | instskip(SKIP_1) | instid1(VALU_DEP_1)
	v_mad_u64_u32 v[30:31], null, v25, v169, v[19:20]
	v_mul_lo_u32 v19, v204, v232
	v_mad_u64_u32 v[31:32], null, v236, v243, v[19:20]
	v_mul_lo_u32 v19, v21, v56
	s_delay_alu instid0(VALU_DEP_2) | instskip(NEXT) | instid1(VALU_DEP_2)
	v_cvt_f32_i32_e32 v27, v31
	v_mad_u64_u32 v[20:21], null, v24, v165, v[19:20]
	v_mul_lo_u32 v19, v203, v233
	s_delay_alu instid0(VALU_DEP_1) | instskip(SKIP_3) | instid1(VALU_DEP_4)
	v_mad_u64_u32 v[24:25], null, v237, v244, v[19:20]
	v_mul_lo_u32 v19, v22, v60
	v_cvt_f32_i32_e32 v25, v26
	v_cvt_f32_i32_e32 v26, v30
	;; [unrolled: 1-line block ×3, first 2 shown]
	s_delay_alu instid0(VALU_DEP_4)
	v_mad_u64_u32 v[21:22], null, v23, v181, v[19:20]
	v_lshrrev_b32_e32 v19, 1, v163
	v_cvt_f32_i32_e32 v22, v28
	v_cvt_f32_i32_e32 v28, v20
	;; [unrolled: 1-line block ×3, first 2 shown]
	ds_load_b64 v[19:20], v19 offset:43584
	v_cvt_f32_i32_e32 v21, v21
	s_waitcnt lgkmcnt(0)
	v_fma_f32 v22, v19, v22, 0
	s_delay_alu instid0(VALU_DEP_1) | instskip(SKIP_3) | instid1(VALU_DEP_4)
	v_fmac_f32_e32 v22, v20, v23
	v_fma_f32 v23, v19, v25, 0
	v_fma_f32 v25, v19, v27, 0
	;; [unrolled: 1-line block ×3, first 2 shown]
	v_fmac_f32_e32 v36, v133, v22
	s_delay_alu instid0(VALU_DEP_4) | instskip(NEXT) | instid1(VALU_DEP_4)
	v_fmac_f32_e32 v23, v20, v26
	v_fmac_f32_e32 v25, v20, v28
	s_delay_alu instid0(VALU_DEP_4) | instskip(SKIP_3) | instid1(VALU_DEP_4)
	v_fmac_f32_e32 v19, v20, v21
	v_fmac_f32_e32 v75, v135, v64
	;; [unrolled: 1-line block ×3, first 2 shown]
	v_dual_fmac_f32 v68, v136, v69 :: v_dual_fmac_f32 v35, v134, v23
	v_dual_fmac_f32 v50, v134, v84 :: v_dual_fmac_f32 v33, v136, v19
	v_fmac_f32_e32 v34, v135, v25
	s_cbranch_scc1 .LBB156_7
; %bb.8:                                ;   in Loop: Header=BB156_6 Depth=2
	s_mov_b32 s14, 1
	s_and_b32 vcc_lo, exec_lo, s1
	s_mov_b32 s1, 0
	s_barrier
	buffer_gl0_inv
	s_cbranch_vccz .LBB156_6
; %bb.9:                                ;   in Loop: Header=BB156_5 Depth=1
	s_add_i32 s5, s5, 1
	s_delay_alu instid0(SALU_CYCLE_1)
	s_cmp_eq_u32 s5, s4
	s_cbranch_scc0 .LBB156_5
; %bb.10:
	s_clause 0x1
	scratch_load_b32 v1, off, off offset:88
	scratch_load_b32 v2, off, off offset:92
	v_mov_b32_e32 v0, v44
.LBB156_11:
	s_mov_b32 s0, exec_lo
	s_waitcnt vmcnt(0)
	v_cmpx_gt_u32_e64 s6, v2
	s_cbranch_execz .LBB156_62
; %bb.12:
	v_add_nc_u32_e32 v0, s12, v0
	v_mul_lo_u32 v5, v2, s10
	s_delay_alu instid0(VALU_DEP_2)
	v_cmp_gt_u32_e32 vcc_lo, s10, v0
	s_and_saveexec_b32 s1, vcc_lo
	s_cbranch_execz .LBB156_14
; %bb.13:
	s_delay_alu instid0(VALU_DEP_2) | instskip(SKIP_1) | instid1(VALU_DEP_2)
	v_dual_mov_b32 v3, 0 :: v_dual_add_nc_u32 v2, v0, v5
	v_cvt_f16_f32_e32 v4, v46
	v_lshlrev_b64 v[2:3], 1, v[2:3]
	s_waitcnt lgkmcnt(0)
	s_delay_alu instid0(VALU_DEP_1) | instskip(NEXT) | instid1(VALU_DEP_1)
	v_add_co_u32 v2, s0, s8, v2
	v_add_co_ci_u32_e64 v3, s0, s9, v3, s0
	global_store_b16 v[2:3], v4, off
.LBB156_14:
	s_or_b32 exec_lo, exec_lo, s1
	v_add_nc_u32_e32 v2, 32, v0
	s_delay_alu instid0(VALU_DEP_1) | instskip(NEXT) | instid1(VALU_DEP_1)
	v_cmp_gt_u32_e64 s0, s10, v2
	s_and_saveexec_b32 s2, s0
	s_cbranch_execz .LBB156_16
; %bb.15:
	v_dual_mov_b32 v4, 0 :: v_dual_add_nc_u32 v3, v2, v5
	v_cvt_f16_f32_e32 v6, v89
	s_delay_alu instid0(VALU_DEP_2) | instskip(SKIP_1) | instid1(VALU_DEP_1)
	v_lshlrev_b64 v[3:4], 1, v[3:4]
	s_waitcnt lgkmcnt(0)
	v_add_co_u32 v3, s1, s8, v3
	s_delay_alu instid0(VALU_DEP_1)
	v_add_co_ci_u32_e64 v4, s1, s9, v4, s1
	global_store_b16 v[3:4], v6, off
.LBB156_16:
	s_or_b32 exec_lo, exec_lo, s2
	v_add_nc_u32_e32 v3, 64, v0
	s_delay_alu instid0(VALU_DEP_1) | instskip(NEXT) | instid1(VALU_DEP_1)
	v_cmp_gt_u32_e64 s1, s10, v3
	s_and_saveexec_b32 s3, s1
	s_cbranch_execz .LBB156_18
; %bb.17:
	v_dual_mov_b32 v7, 0 :: v_dual_add_nc_u32 v6, v3, v5
	v_cvt_f16_f32_e32 v4, v86
	s_delay_alu instid0(VALU_DEP_2) | instskip(SKIP_1) | instid1(VALU_DEP_1)
	v_lshlrev_b64 v[6:7], 1, v[6:7]
	s_waitcnt lgkmcnt(0)
	v_add_co_u32 v6, s2, s8, v6
	s_delay_alu instid0(VALU_DEP_1)
	v_add_co_ci_u32_e64 v7, s2, s9, v7, s2
	global_store_b16 v[6:7], v4, off
.LBB156_18:
	;; [unrolled: 17-line block ×3, first 2 shown]
	s_or_b32 exec_lo, exec_lo, s4
	v_add3_u32 v5, v1, s11, 8
	s_delay_alu instid0(VALU_DEP_1) | instskip(NEXT) | instid1(VALU_DEP_1)
	v_cmp_gt_u32_e64 s3, s6, v5
	s_and_b32 exec_lo, exec_lo, s3
	s_cbranch_execz .LBB156_62
; %bb.21:
	v_mul_lo_u32 v5, v5, s10
	s_and_saveexec_b32 s4, vcc_lo
	s_cbranch_execnz .LBB156_63
; %bb.22:
	s_or_b32 exec_lo, exec_lo, s4
	s_and_saveexec_b32 s4, s0
	s_cbranch_execnz .LBB156_64
.LBB156_23:
	s_or_b32 exec_lo, exec_lo, s4
	s_and_saveexec_b32 s4, s1
	s_cbranch_execnz .LBB156_65
.LBB156_24:
	s_or_b32 exec_lo, exec_lo, s4
	s_and_saveexec_b32 s4, s2
	s_cbranch_execz .LBB156_26
.LBB156_25:
	v_dual_mov_b32 v6, 0 :: v_dual_add_nc_u32 v5, v5, v4
	v_cvt_f16_f32_e32 v7, v74
	s_delay_alu instid0(VALU_DEP_2) | instskip(SKIP_1) | instid1(VALU_DEP_1)
	v_lshlrev_b64 v[5:6], 1, v[5:6]
	s_waitcnt lgkmcnt(0)
	v_add_co_u32 v5, s3, s8, v5
	s_delay_alu instid0(VALU_DEP_1)
	v_add_co_ci_u32_e64 v6, s3, s9, v6, s3
	global_store_b16 v[5:6], v7, off
.LBB156_26:
	s_or_b32 exec_lo, exec_lo, s4
	v_add3_u32 v5, v1, s11, 16
	s_delay_alu instid0(VALU_DEP_1) | instskip(NEXT) | instid1(VALU_DEP_1)
	v_cmp_gt_u32_e64 s3, s6, v5
	s_and_b32 exec_lo, exec_lo, s3
	s_cbranch_execz .LBB156_62
; %bb.27:
	v_mul_lo_u32 v5, v5, s10
	s_and_saveexec_b32 s4, vcc_lo
	s_cbranch_execnz .LBB156_66
; %bb.28:
	s_or_b32 exec_lo, exec_lo, s4
	s_and_saveexec_b32 s4, s0
	s_cbranch_execnz .LBB156_67
.LBB156_29:
	s_or_b32 exec_lo, exec_lo, s4
	s_and_saveexec_b32 s4, s1
	s_cbranch_execnz .LBB156_68
.LBB156_30:
	s_or_b32 exec_lo, exec_lo, s4
	s_and_saveexec_b32 s4, s2
	s_cbranch_execz .LBB156_32
.LBB156_31:
	v_dual_mov_b32 v6, 0 :: v_dual_add_nc_u32 v5, v5, v4
	v_cvt_f16_f32_e32 v7, v68
	s_delay_alu instid0(VALU_DEP_2) | instskip(SKIP_1) | instid1(VALU_DEP_1)
	v_lshlrev_b64 v[5:6], 1, v[5:6]
	s_waitcnt lgkmcnt(0)
	v_add_co_u32 v5, s3, s8, v5
	s_delay_alu instid0(VALU_DEP_1)
	v_add_co_ci_u32_e64 v6, s3, s9, v6, s3
	global_store_b16 v[5:6], v7, off
.LBB156_32:
	s_or_b32 exec_lo, exec_lo, s4
	v_add3_u32 v5, v1, s11, 24
	s_delay_alu instid0(VALU_DEP_1) | instskip(NEXT) | instid1(VALU_DEP_1)
	v_cmp_gt_u32_e64 s3, s6, v5
	s_and_b32 exec_lo, exec_lo, s3
	s_cbranch_execz .LBB156_62
; %bb.33:
	v_mul_lo_u32 v5, v5, s10
	s_and_saveexec_b32 s4, vcc_lo
	s_cbranch_execnz .LBB156_69
; %bb.34:
	s_or_b32 exec_lo, exec_lo, s4
	s_and_saveexec_b32 s4, s0
	s_cbranch_execnz .LBB156_70
.LBB156_35:
	s_or_b32 exec_lo, exec_lo, s4
	s_and_saveexec_b32 s4, s1
	s_cbranch_execnz .LBB156_71
.LBB156_36:
	s_or_b32 exec_lo, exec_lo, s4
	s_and_saveexec_b32 s4, s2
	s_cbranch_execz .LBB156_38
.LBB156_37:
	v_dual_mov_b32 v6, 0 :: v_dual_add_nc_u32 v5, v5, v4
	v_cvt_f16_f32_e32 v7, v54
	s_delay_alu instid0(VALU_DEP_2) | instskip(SKIP_1) | instid1(VALU_DEP_1)
	v_lshlrev_b64 v[5:6], 1, v[5:6]
	s_waitcnt lgkmcnt(0)
	v_add_co_u32 v5, s3, s8, v5
	s_delay_alu instid0(VALU_DEP_1)
	v_add_co_ci_u32_e64 v6, s3, s9, v6, s3
	global_store_b16 v[5:6], v7, off
.LBB156_38:
	s_or_b32 exec_lo, exec_lo, s4
	v_add3_u32 v5, v1, s11, 32
	s_delay_alu instid0(VALU_DEP_1) | instskip(NEXT) | instid1(VALU_DEP_1)
	v_cmp_gt_u32_e64 s3, s6, v5
	s_and_b32 exec_lo, exec_lo, s3
	s_cbranch_execz .LBB156_62
; %bb.39:
	v_mul_lo_u32 v5, v5, s10
	s_and_saveexec_b32 s4, vcc_lo
	s_cbranch_execnz .LBB156_72
; %bb.40:
	s_or_b32 exec_lo, exec_lo, s4
	s_and_saveexec_b32 s4, s0
	s_cbranch_execnz .LBB156_73
.LBB156_41:
	s_or_b32 exec_lo, exec_lo, s4
	s_and_saveexec_b32 s4, s1
	s_cbranch_execnz .LBB156_74
.LBB156_42:
	s_or_b32 exec_lo, exec_lo, s4
	s_and_saveexec_b32 s4, s2
	s_cbranch_execz .LBB156_44
.LBB156_43:
	v_dual_mov_b32 v6, 0 :: v_dual_add_nc_u32 v5, v5, v4
	v_cvt_f16_f32_e32 v7, v48
	s_delay_alu instid0(VALU_DEP_2) | instskip(SKIP_1) | instid1(VALU_DEP_1)
	v_lshlrev_b64 v[5:6], 1, v[5:6]
	s_waitcnt lgkmcnt(0)
	v_add_co_u32 v5, s3, s8, v5
	s_delay_alu instid0(VALU_DEP_1)
	v_add_co_ci_u32_e64 v6, s3, s9, v6, s3
	global_store_b16 v[5:6], v7, off
.LBB156_44:
	s_or_b32 exec_lo, exec_lo, s4
	v_add3_u32 v5, v1, s11, 40
	s_delay_alu instid0(VALU_DEP_1) | instskip(NEXT) | instid1(VALU_DEP_1)
	v_cmp_gt_u32_e64 s3, s6, v5
	s_and_b32 exec_lo, exec_lo, s3
	s_cbranch_execz .LBB156_62
; %bb.45:
	v_mul_lo_u32 v5, v5, s10
	s_and_saveexec_b32 s4, vcc_lo
	s_cbranch_execnz .LBB156_75
; %bb.46:
	s_or_b32 exec_lo, exec_lo, s4
	s_and_saveexec_b32 s4, s0
	s_cbranch_execnz .LBB156_76
.LBB156_47:
	s_or_b32 exec_lo, exec_lo, s4
	s_and_saveexec_b32 s4, s1
	s_cbranch_execnz .LBB156_77
.LBB156_48:
	s_or_b32 exec_lo, exec_lo, s4
	s_and_saveexec_b32 s4, s2
	s_cbranch_execz .LBB156_50
.LBB156_49:
	v_dual_mov_b32 v6, 0 :: v_dual_add_nc_u32 v5, v5, v4
	v_cvt_f16_f32_e32 v7, v41
	s_delay_alu instid0(VALU_DEP_2) | instskip(SKIP_1) | instid1(VALU_DEP_1)
	v_lshlrev_b64 v[5:6], 1, v[5:6]
	s_waitcnt lgkmcnt(0)
	v_add_co_u32 v5, s3, s8, v5
	s_delay_alu instid0(VALU_DEP_1)
	v_add_co_ci_u32_e64 v6, s3, s9, v6, s3
	global_store_b16 v[5:6], v7, off
.LBB156_50:
	s_or_b32 exec_lo, exec_lo, s4
	v_add3_u32 v5, v1, s11, 48
	s_delay_alu instid0(VALU_DEP_1) | instskip(NEXT) | instid1(VALU_DEP_1)
	v_cmp_gt_u32_e64 s3, s6, v5
	s_and_b32 exec_lo, exec_lo, s3
	s_cbranch_execz .LBB156_62
; %bb.51:
	v_mul_lo_u32 v5, v5, s10
	s_and_saveexec_b32 s4, vcc_lo
	s_cbranch_execnz .LBB156_78
; %bb.52:
	s_or_b32 exec_lo, exec_lo, s4
	s_and_saveexec_b32 s4, s0
	s_cbranch_execnz .LBB156_79
.LBB156_53:
	s_or_b32 exec_lo, exec_lo, s4
	s_and_saveexec_b32 s4, s1
	s_cbranch_execnz .LBB156_80
.LBB156_54:
	s_or_b32 exec_lo, exec_lo, s4
	s_and_saveexec_b32 s4, s2
	s_cbranch_execz .LBB156_56
.LBB156_55:
	v_dual_mov_b32 v6, 0 :: v_dual_add_nc_u32 v5, v5, v4
	v_cvt_f16_f32_e32 v7, v37
	s_delay_alu instid0(VALU_DEP_2) | instskip(SKIP_1) | instid1(VALU_DEP_1)
	v_lshlrev_b64 v[5:6], 1, v[5:6]
	s_waitcnt lgkmcnt(0)
	v_add_co_u32 v5, s3, s8, v5
	s_delay_alu instid0(VALU_DEP_1)
	v_add_co_ci_u32_e64 v6, s3, s9, v6, s3
	global_store_b16 v[5:6], v7, off
.LBB156_56:
	s_or_b32 exec_lo, exec_lo, s4
	v_add3_u32 v1, v1, s11, 56
	s_delay_alu instid0(VALU_DEP_1) | instskip(NEXT) | instid1(VALU_DEP_1)
	v_cmp_gt_u32_e64 s3, s6, v1
	s_and_b32 exec_lo, exec_lo, s3
	s_cbranch_execz .LBB156_62
; %bb.57:
	v_mul_lo_u32 v1, v1, s10
	s_and_saveexec_b32 s3, vcc_lo
	s_cbranch_execnz .LBB156_81
; %bb.58:
	s_or_b32 exec_lo, exec_lo, s3
	s_and_saveexec_b32 s3, s0
	s_cbranch_execnz .LBB156_82
.LBB156_59:
	s_or_b32 exec_lo, exec_lo, s3
	s_and_saveexec_b32 s0, s1
	s_cbranch_execnz .LBB156_83
.LBB156_60:
	s_or_b32 exec_lo, exec_lo, s0
	s_delay_alu instid0(SALU_CYCLE_1)
	s_and_b32 exec_lo, exec_lo, s2
	s_cbranch_execz .LBB156_62
.LBB156_61:
	v_dual_mov_b32 v1, 0 :: v_dual_add_nc_u32 v0, v1, v4
	v_cvt_f16_f32_e32 v2, v33
	s_delay_alu instid0(VALU_DEP_2) | instskip(SKIP_1) | instid1(VALU_DEP_1)
	v_lshlrev_b64 v[0:1], 1, v[0:1]
	s_waitcnt lgkmcnt(0)
	v_add_co_u32 v0, vcc_lo, s8, v0
	s_delay_alu instid0(VALU_DEP_2)
	v_add_co_ci_u32_e32 v1, vcc_lo, s9, v1, vcc_lo
	global_store_b16 v[0:1], v2, off
.LBB156_62:
	s_nop 0
	s_sendmsg sendmsg(MSG_DEALLOC_VGPRS)
	s_endpgm
.LBB156_63:
	s_delay_alu instid0(VALU_DEP_1) | instskip(SKIP_1) | instid1(VALU_DEP_2)
	v_dual_mov_b32 v7, 0 :: v_dual_add_nc_u32 v6, v5, v0
	v_cvt_f16_f32_e32 v8, v78
	v_lshlrev_b64 v[6:7], 1, v[6:7]
	s_waitcnt lgkmcnt(0)
	s_delay_alu instid0(VALU_DEP_1) | instskip(NEXT) | instid1(VALU_DEP_1)
	v_add_co_u32 v6, s3, s8, v6
	v_add_co_ci_u32_e64 v7, s3, s9, v7, s3
	global_store_b16 v[6:7], v8, off
	s_or_b32 exec_lo, exec_lo, s4
	s_and_saveexec_b32 s4, s0
	s_cbranch_execz .LBB156_23
.LBB156_64:
	s_delay_alu instid0(VALU_DEP_1) | instskip(SKIP_1) | instid1(VALU_DEP_2)
	v_dual_mov_b32 v7, 0 :: v_dual_add_nc_u32 v6, v5, v2
	v_cvt_f16_f32_e32 v8, v77
	v_lshlrev_b64 v[6:7], 1, v[6:7]
	s_waitcnt lgkmcnt(0)
	s_delay_alu instid0(VALU_DEP_1) | instskip(NEXT) | instid1(VALU_DEP_1)
	v_add_co_u32 v6, s3, s8, v6
	v_add_co_ci_u32_e64 v7, s3, s9, v7, s3
	global_store_b16 v[6:7], v8, off
	s_or_b32 exec_lo, exec_lo, s4
	s_and_saveexec_b32 s4, s1
	s_cbranch_execz .LBB156_24
.LBB156_65:
	v_dual_mov_b32 v7, 0 :: v_dual_add_nc_u32 v6, v5, v3
	v_cvt_f16_f32_e32 v8, v75
	s_delay_alu instid0(VALU_DEP_2) | instskip(SKIP_1) | instid1(VALU_DEP_1)
	v_lshlrev_b64 v[6:7], 1, v[6:7]
	s_waitcnt lgkmcnt(0)
	v_add_co_u32 v6, s3, s8, v6
	s_delay_alu instid0(VALU_DEP_1)
	v_add_co_ci_u32_e64 v7, s3, s9, v7, s3
	global_store_b16 v[6:7], v8, off
	s_or_b32 exec_lo, exec_lo, s4
	s_and_saveexec_b32 s4, s2
	s_cbranch_execnz .LBB156_25
	s_branch .LBB156_26
.LBB156_66:
	s_delay_alu instid0(VALU_DEP_1) | instskip(SKIP_1) | instid1(VALU_DEP_2)
	v_dual_mov_b32 v7, 0 :: v_dual_add_nc_u32 v6, v5, v0
	v_cvt_f16_f32_e32 v8, v72
	v_lshlrev_b64 v[6:7], 1, v[6:7]
	s_waitcnt lgkmcnt(0)
	s_delay_alu instid0(VALU_DEP_1) | instskip(NEXT) | instid1(VALU_DEP_1)
	v_add_co_u32 v6, s3, s8, v6
	v_add_co_ci_u32_e64 v7, s3, s9, v7, s3
	global_store_b16 v[6:7], v8, off
	s_or_b32 exec_lo, exec_lo, s4
	s_and_saveexec_b32 s4, s0
	s_cbranch_execz .LBB156_29
.LBB156_67:
	s_delay_alu instid0(VALU_DEP_1) | instskip(SKIP_1) | instid1(VALU_DEP_2)
	v_dual_mov_b32 v7, 0 :: v_dual_add_nc_u32 v6, v5, v2
	v_cvt_f16_f32_e32 v8, v71
	v_lshlrev_b64 v[6:7], 1, v[6:7]
	s_waitcnt lgkmcnt(0)
	s_delay_alu instid0(VALU_DEP_1) | instskip(NEXT) | instid1(VALU_DEP_1)
	v_add_co_u32 v6, s3, s8, v6
	v_add_co_ci_u32_e64 v7, s3, s9, v7, s3
	global_store_b16 v[6:7], v8, off
	s_or_b32 exec_lo, exec_lo, s4
	s_and_saveexec_b32 s4, s1
	s_cbranch_execz .LBB156_30
.LBB156_68:
	v_dual_mov_b32 v7, 0 :: v_dual_add_nc_u32 v6, v5, v3
	v_cvt_f16_f32_e32 v8, v70
	s_delay_alu instid0(VALU_DEP_2) | instskip(SKIP_1) | instid1(VALU_DEP_1)
	v_lshlrev_b64 v[6:7], 1, v[6:7]
	s_waitcnt lgkmcnt(0)
	v_add_co_u32 v6, s3, s8, v6
	s_delay_alu instid0(VALU_DEP_1)
	v_add_co_ci_u32_e64 v7, s3, s9, v7, s3
	global_store_b16 v[6:7], v8, off
	s_or_b32 exec_lo, exec_lo, s4
	s_and_saveexec_b32 s4, s2
	s_cbranch_execnz .LBB156_31
	s_branch .LBB156_32
.LBB156_69:
	s_delay_alu instid0(VALU_DEP_1) | instskip(SKIP_1) | instid1(VALU_DEP_2)
	v_dual_mov_b32 v7, 0 :: v_dual_add_nc_u32 v6, v5, v0
	v_cvt_f16_f32_e32 v8, v63
	v_lshlrev_b64 v[6:7], 1, v[6:7]
	s_waitcnt lgkmcnt(0)
	s_delay_alu instid0(VALU_DEP_1) | instskip(NEXT) | instid1(VALU_DEP_1)
	v_add_co_u32 v6, s3, s8, v6
	v_add_co_ci_u32_e64 v7, s3, s9, v7, s3
	global_store_b16 v[6:7], v8, off
	s_or_b32 exec_lo, exec_lo, s4
	s_and_saveexec_b32 s4, s0
	s_cbranch_execz .LBB156_35
.LBB156_70:
	s_delay_alu instid0(VALU_DEP_1) | instskip(SKIP_1) | instid1(VALU_DEP_2)
	v_dual_mov_b32 v7, 0 :: v_dual_add_nc_u32 v6, v5, v2
	v_cvt_f16_f32_e32 v8, v59
	v_lshlrev_b64 v[6:7], 1, v[6:7]
	s_waitcnt lgkmcnt(0)
	s_delay_alu instid0(VALU_DEP_1) | instskip(NEXT) | instid1(VALU_DEP_1)
	v_add_co_u32 v6, s3, s8, v6
	v_add_co_ci_u32_e64 v7, s3, s9, v7, s3
	global_store_b16 v[6:7], v8, off
	s_or_b32 exec_lo, exec_lo, s4
	s_and_saveexec_b32 s4, s1
	s_cbranch_execz .LBB156_36
.LBB156_71:
	v_dual_mov_b32 v7, 0 :: v_dual_add_nc_u32 v6, v5, v3
	v_cvt_f16_f32_e32 v8, v55
	s_delay_alu instid0(VALU_DEP_2) | instskip(SKIP_1) | instid1(VALU_DEP_1)
	v_lshlrev_b64 v[6:7], 1, v[6:7]
	s_waitcnt lgkmcnt(0)
	v_add_co_u32 v6, s3, s8, v6
	s_delay_alu instid0(VALU_DEP_1)
	v_add_co_ci_u32_e64 v7, s3, s9, v7, s3
	global_store_b16 v[6:7], v8, off
	s_or_b32 exec_lo, exec_lo, s4
	s_and_saveexec_b32 s4, s2
	s_cbranch_execnz .LBB156_37
	s_branch .LBB156_38
.LBB156_72:
	s_delay_alu instid0(VALU_DEP_1) | instskip(SKIP_1) | instid1(VALU_DEP_2)
	v_dual_mov_b32 v7, 0 :: v_dual_add_nc_u32 v6, v5, v0
	v_cvt_f16_f32_e32 v8, v51
	v_lshlrev_b64 v[6:7], 1, v[6:7]
	s_waitcnt lgkmcnt(0)
	s_delay_alu instid0(VALU_DEP_1) | instskip(NEXT) | instid1(VALU_DEP_1)
	v_add_co_u32 v6, s3, s8, v6
	v_add_co_ci_u32_e64 v7, s3, s9, v7, s3
	global_store_b16 v[6:7], v8, off
	s_or_b32 exec_lo, exec_lo, s4
	s_and_saveexec_b32 s4, s0
	s_cbranch_execz .LBB156_41
.LBB156_73:
	s_delay_alu instid0(VALU_DEP_1) | instskip(SKIP_1) | instid1(VALU_DEP_2)
	v_dual_mov_b32 v7, 0 :: v_dual_add_nc_u32 v6, v5, v2
	v_cvt_f16_f32_e32 v8, v50
	v_lshlrev_b64 v[6:7], 1, v[6:7]
	s_waitcnt lgkmcnt(0)
	s_delay_alu instid0(VALU_DEP_1) | instskip(NEXT) | instid1(VALU_DEP_1)
	v_add_co_u32 v6, s3, s8, v6
	v_add_co_ci_u32_e64 v7, s3, s9, v7, s3
	global_store_b16 v[6:7], v8, off
	s_or_b32 exec_lo, exec_lo, s4
	s_and_saveexec_b32 s4, s1
	s_cbranch_execz .LBB156_42
.LBB156_74:
	v_dual_mov_b32 v7, 0 :: v_dual_add_nc_u32 v6, v5, v3
	v_cvt_f16_f32_e32 v8, v49
	s_delay_alu instid0(VALU_DEP_2) | instskip(SKIP_1) | instid1(VALU_DEP_1)
	v_lshlrev_b64 v[6:7], 1, v[6:7]
	s_waitcnt lgkmcnt(0)
	v_add_co_u32 v6, s3, s8, v6
	s_delay_alu instid0(VALU_DEP_1)
	v_add_co_ci_u32_e64 v7, s3, s9, v7, s3
	global_store_b16 v[6:7], v8, off
	s_or_b32 exec_lo, exec_lo, s4
	s_and_saveexec_b32 s4, s2
	s_cbranch_execnz .LBB156_43
	s_branch .LBB156_44
.LBB156_75:
	s_delay_alu instid0(VALU_DEP_1) | instskip(SKIP_1) | instid1(VALU_DEP_2)
	v_dual_mov_b32 v7, 0 :: v_dual_add_nc_u32 v6, v5, v0
	v_cvt_f16_f32_e32 v8, v47
	v_lshlrev_b64 v[6:7], 1, v[6:7]
	s_waitcnt lgkmcnt(0)
	s_delay_alu instid0(VALU_DEP_1) | instskip(NEXT) | instid1(VALU_DEP_1)
	v_add_co_u32 v6, s3, s8, v6
	v_add_co_ci_u32_e64 v7, s3, s9, v7, s3
	global_store_b16 v[6:7], v8, off
	s_or_b32 exec_lo, exec_lo, s4
	s_and_saveexec_b32 s4, s0
	s_cbranch_execz .LBB156_47
.LBB156_76:
	s_delay_alu instid0(VALU_DEP_1) | instskip(SKIP_1) | instid1(VALU_DEP_2)
	v_dual_mov_b32 v7, 0 :: v_dual_add_nc_u32 v6, v5, v2
	v_cvt_f16_f32_e32 v8, v45
	v_lshlrev_b64 v[6:7], 1, v[6:7]
	s_waitcnt lgkmcnt(0)
	s_delay_alu instid0(VALU_DEP_1) | instskip(NEXT) | instid1(VALU_DEP_1)
	v_add_co_u32 v6, s3, s8, v6
	v_add_co_ci_u32_e64 v7, s3, s9, v7, s3
	global_store_b16 v[6:7], v8, off
	s_or_b32 exec_lo, exec_lo, s4
	s_and_saveexec_b32 s4, s1
	s_cbranch_execz .LBB156_48
.LBB156_77:
	v_dual_mov_b32 v7, 0 :: v_dual_add_nc_u32 v6, v5, v3
	v_cvt_f16_f32_e32 v8, v42
	s_delay_alu instid0(VALU_DEP_2) | instskip(SKIP_1) | instid1(VALU_DEP_1)
	v_lshlrev_b64 v[6:7], 1, v[6:7]
	s_waitcnt lgkmcnt(0)
	v_add_co_u32 v6, s3, s8, v6
	s_delay_alu instid0(VALU_DEP_1)
	v_add_co_ci_u32_e64 v7, s3, s9, v7, s3
	global_store_b16 v[6:7], v8, off
	s_or_b32 exec_lo, exec_lo, s4
	s_and_saveexec_b32 s4, s2
	s_cbranch_execnz .LBB156_49
	s_branch .LBB156_50
.LBB156_78:
	s_delay_alu instid0(VALU_DEP_1) | instskip(SKIP_1) | instid1(VALU_DEP_2)
	v_dual_mov_b32 v7, 0 :: v_dual_add_nc_u32 v6, v5, v0
	v_cvt_f16_f32_e32 v8, v40
	v_lshlrev_b64 v[6:7], 1, v[6:7]
	s_waitcnt lgkmcnt(0)
	s_delay_alu instid0(VALU_DEP_1) | instskip(NEXT) | instid1(VALU_DEP_1)
	v_add_co_u32 v6, s3, s8, v6
	v_add_co_ci_u32_e64 v7, s3, s9, v7, s3
	global_store_b16 v[6:7], v8, off
	s_or_b32 exec_lo, exec_lo, s4
	s_and_saveexec_b32 s4, s0
	s_cbranch_execz .LBB156_53
.LBB156_79:
	s_delay_alu instid0(VALU_DEP_1) | instskip(SKIP_1) | instid1(VALU_DEP_2)
	v_dual_mov_b32 v7, 0 :: v_dual_add_nc_u32 v6, v5, v2
	v_cvt_f16_f32_e32 v8, v39
	v_lshlrev_b64 v[6:7], 1, v[6:7]
	s_waitcnt lgkmcnt(0)
	s_delay_alu instid0(VALU_DEP_1) | instskip(NEXT) | instid1(VALU_DEP_1)
	v_add_co_u32 v6, s3, s8, v6
	v_add_co_ci_u32_e64 v7, s3, s9, v7, s3
	global_store_b16 v[6:7], v8, off
	s_or_b32 exec_lo, exec_lo, s4
	s_and_saveexec_b32 s4, s1
	s_cbranch_execz .LBB156_54
.LBB156_80:
	v_dual_mov_b32 v7, 0 :: v_dual_add_nc_u32 v6, v5, v3
	v_cvt_f16_f32_e32 v8, v38
	s_delay_alu instid0(VALU_DEP_2) | instskip(SKIP_1) | instid1(VALU_DEP_1)
	v_lshlrev_b64 v[6:7], 1, v[6:7]
	s_waitcnt lgkmcnt(0)
	v_add_co_u32 v6, s3, s8, v6
	s_delay_alu instid0(VALU_DEP_1)
	v_add_co_ci_u32_e64 v7, s3, s9, v7, s3
	global_store_b16 v[6:7], v8, off
	s_or_b32 exec_lo, exec_lo, s4
	s_and_saveexec_b32 s4, s2
	s_cbranch_execnz .LBB156_55
	s_branch .LBB156_56
.LBB156_81:
	s_delay_alu instid0(VALU_DEP_1) | instskip(SKIP_1) | instid1(VALU_DEP_2)
	v_dual_mov_b32 v6, 0 :: v_dual_add_nc_u32 v5, v1, v0
	v_cvt_f16_f32_e32 v0, v36
	v_lshlrev_b64 v[5:6], 1, v[5:6]
	s_waitcnt lgkmcnt(0)
	s_delay_alu instid0(VALU_DEP_1) | instskip(NEXT) | instid1(VALU_DEP_2)
	v_add_co_u32 v5, vcc_lo, s8, v5
	v_add_co_ci_u32_e32 v6, vcc_lo, s9, v6, vcc_lo
	global_store_b16 v[5:6], v0, off
	s_or_b32 exec_lo, exec_lo, s3
	s_and_saveexec_b32 s3, s0
	s_cbranch_execz .LBB156_59
.LBB156_82:
	s_delay_alu instid0(VALU_DEP_1) | instskip(SKIP_1) | instid1(VALU_DEP_2)
	v_dual_mov_b32 v6, 0 :: v_dual_add_nc_u32 v5, v1, v2
	v_cvt_f16_f32_e32 v0, v35
	v_lshlrev_b64 v[5:6], 1, v[5:6]
	s_waitcnt lgkmcnt(0)
	s_delay_alu instid0(VALU_DEP_1) | instskip(NEXT) | instid1(VALU_DEP_2)
	v_add_co_u32 v5, vcc_lo, s8, v5
	v_add_co_ci_u32_e32 v6, vcc_lo, s9, v6, vcc_lo
	global_store_b16 v[5:6], v0, off
	s_or_b32 exec_lo, exec_lo, s3
	s_and_saveexec_b32 s0, s1
	s_cbranch_execz .LBB156_60
.LBB156_83:
	v_dual_mov_b32 v3, 0 :: v_dual_add_nc_u32 v2, v1, v3
	v_cvt_f16_f32_e32 v0, v34
	s_delay_alu instid0(VALU_DEP_2) | instskip(SKIP_1) | instid1(VALU_DEP_1)
	v_lshlrev_b64 v[2:3], 1, v[2:3]
	s_waitcnt lgkmcnt(0)
	v_add_co_u32 v2, vcc_lo, s8, v2
	s_delay_alu instid0(VALU_DEP_2) | instskip(SKIP_2) | instid1(SALU_CYCLE_1)
	v_add_co_ci_u32_e32 v3, vcc_lo, s9, v3, vcc_lo
	global_store_b16 v[2:3], v0, off
	s_or_b32 exec_lo, exec_lo, s0
	s_and_b32 exec_lo, exec_lo, s2
	s_cbranch_execnz .LBB156_61
	s_branch .LBB156_62
	.section	.rodata,"a",@progbits
	.p2align	6, 0x0
	.amdhsa_kernel _ZL12mul_mat_q6_KIN3c104HalfELb1EEvPKvS3_PT_iiiii
		.amdhsa_group_segment_fixed_size 45136
		.amdhsa_private_segment_fixed_size 100
		.amdhsa_kernarg_size 44
		.amdhsa_user_sgpr_count 14
		.amdhsa_user_sgpr_dispatch_ptr 0
		.amdhsa_user_sgpr_queue_ptr 0
		.amdhsa_user_sgpr_kernarg_segment_ptr 1
		.amdhsa_user_sgpr_dispatch_id 0
		.amdhsa_user_sgpr_private_segment_size 0
		.amdhsa_wavefront_size32 1
		.amdhsa_uses_dynamic_stack 0
		.amdhsa_enable_private_segment 1
		.amdhsa_system_sgpr_workgroup_id_x 1
		.amdhsa_system_sgpr_workgroup_id_y 1
		.amdhsa_system_sgpr_workgroup_id_z 0
		.amdhsa_system_sgpr_workgroup_info 0
		.amdhsa_system_vgpr_workitem_id 1
		.amdhsa_next_free_vgpr 256
		.amdhsa_next_free_sgpr 18
		.amdhsa_reserve_vcc 1
		.amdhsa_float_round_mode_32 0
		.amdhsa_float_round_mode_16_64 0
		.amdhsa_float_denorm_mode_32 3
		.amdhsa_float_denorm_mode_16_64 3
		.amdhsa_dx10_clamp 1
		.amdhsa_ieee_mode 1
		.amdhsa_fp16_overflow 0
		.amdhsa_workgroup_processor_mode 1
		.amdhsa_memory_ordered 1
		.amdhsa_forward_progress 0
		.amdhsa_shared_vgpr_count 0
		.amdhsa_exception_fp_ieee_invalid_op 0
		.amdhsa_exception_fp_denorm_src 0
		.amdhsa_exception_fp_ieee_div_zero 0
		.amdhsa_exception_fp_ieee_overflow 0
		.amdhsa_exception_fp_ieee_underflow 0
		.amdhsa_exception_fp_ieee_inexact 0
		.amdhsa_exception_int_div_zero 0
	.end_amdhsa_kernel
	.section	.text._ZL12mul_mat_q6_KIN3c104HalfELb1EEvPKvS3_PT_iiiii,"axG",@progbits,_ZL12mul_mat_q6_KIN3c104HalfELb1EEvPKvS3_PT_iiiii,comdat
.Lfunc_end156:
	.size	_ZL12mul_mat_q6_KIN3c104HalfELb1EEvPKvS3_PT_iiiii, .Lfunc_end156-_ZL12mul_mat_q6_KIN3c104HalfELb1EEvPKvS3_PT_iiiii
                                        ; -- End function
	.section	.AMDGPU.csdata,"",@progbits
; Kernel info:
; codeLenInByte = 19700
; NumSgprs: 20
; NumVgprs: 256
; ScratchSize: 100
; MemoryBound: 0
; FloatMode: 240
; IeeeMode: 1
; LDSByteSize: 45136 bytes/workgroup (compile time only)
; SGPRBlocks: 2
; VGPRBlocks: 31
; NumSGPRsForWavesPerEU: 20
; NumVGPRsForWavesPerEU: 256
; Occupancy: 4
; WaveLimiterHint : 0
; COMPUTE_PGM_RSRC2:SCRATCH_EN: 1
; COMPUTE_PGM_RSRC2:USER_SGPR: 14
; COMPUTE_PGM_RSRC2:TRAP_HANDLER: 0
; COMPUTE_PGM_RSRC2:TGID_X_EN: 1
; COMPUTE_PGM_RSRC2:TGID_Y_EN: 1
; COMPUTE_PGM_RSRC2:TGID_Z_EN: 0
; COMPUTE_PGM_RSRC2:TIDIG_COMP_CNT: 1
	.section	.text._ZL12mul_mat_q4_0IN3c108BFloat16ELb0EEvPKvS3_PT_iiiii,"axG",@progbits,_ZL12mul_mat_q4_0IN3c108BFloat16ELb0EEvPKvS3_PT_iiiii,comdat
	.globl	_ZL12mul_mat_q4_0IN3c108BFloat16ELb0EEvPKvS3_PT_iiiii ; -- Begin function _ZL12mul_mat_q4_0IN3c108BFloat16ELb0EEvPKvS3_PT_iiiii
	.p2align	8
	.type	_ZL12mul_mat_q4_0IN3c108BFloat16ELb0EEvPKvS3_PT_iiiii,@function
_ZL12mul_mat_q4_0IN3c108BFloat16ELb0EEvPKvS3_PT_iiiii: ; @_ZL12mul_mat_q4_0IN3c108BFloat16ELb0EEvPKvS3_PT_iiiii
; %bb.0:
	s_clause 0x1
	s_load_b32 s11, s[0:1], 0x18
	s_load_b128 s[4:7], s[0:1], 0x20
	v_bfe_u32 v30, v0, 10, 10
	v_and_b32_e32 v39, 0x3ff, v0
	s_waitcnt lgkmcnt(0)
	s_lshl_b32 s7, s15, 6
	s_cmp_gt_i32 s11, 31
	s_cbranch_scc1 .LBB157_2
; %bb.1:
	v_bfe_u32 v1, v0, 10, 10
	v_and_b32_e32 v0, 0x3ff, v0
	s_mov_b32 s2, 0
	s_mov_b32 s3, 0
	s_delay_alu instid0(VALU_DEP_2)
	v_add_nc_u32_e32 v2, s7, v1
	s_branch .LBB157_3
.LBB157_2:
	s_mov_b32 s2, -1
                                        ; implicit-def: $sgpr3
                                        ; implicit-def: $vgpr1
                                        ; implicit-def: $vgpr0
                                        ; implicit-def: $vgpr2
.LBB157_3:
	s_load_b64 s[8:9], s[0:1], 0x10
	v_dual_mov_b32 v5, s3 :: v_dual_mov_b32 v32, s3
	v_dual_mov_b32 v9, s3 :: v_dual_mov_b32 v6, s3
	v_dual_mov_b32 v13, s3 :: v_dual_mov_b32 v10, s3
	v_dual_mov_b32 v17, s3 :: v_dual_mov_b32 v14, s3
	v_dual_mov_b32 v21, s3 :: v_dual_mov_b32 v18, s3
	v_dual_mov_b32 v27, s3 :: v_dual_mov_b32 v22, s3
	v_dual_mov_b32 v37, s3 :: v_dual_mov_b32 v28, s3
	v_dual_mov_b32 v33, s3 :: v_dual_mov_b32 v38, s3
	v_dual_mov_b32 v7, s3 :: v_dual_mov_b32 v34, s3
	v_dual_mov_b32 v11, s3 :: v_dual_mov_b32 v42, s3
	v_dual_mov_b32 v15, s3 :: v_dual_mov_b32 v8, s3
	v_dual_mov_b32 v19, s3 :: v_dual_mov_b32 v12, s3
	v_dual_mov_b32 v23, s3 :: v_dual_mov_b32 v16, s3
	v_dual_mov_b32 v29, s3 :: v_dual_mov_b32 v20, s3
	v_dual_mov_b32 v24, s3 :: v_dual_mov_b32 v31, s3
	v_dual_mov_b32 v36, s3 :: v_dual_mov_b32 v35, s3
	s_and_not1_b32 vcc_lo, exec_lo, s2
	s_lshl_b32 s10, s14, 7
	s_cbranch_vccnz .LBB157_13
; %bb.4:
	s_load_b128 s[0:3], s[0:1], 0x0
	s_ashr_i32 s12, s11, 31
	s_ashr_i32 s13, s5, 31
	s_lshr_b32 s12, s12, 27
	s_lshr_b32 s13, s13, 27
	s_add_i32 s11, s11, s12
	v_dual_mov_b32 v36, 0 :: v_dual_add_nc_u32 v13, s7, v30
	s_add_i32 s12, s5, s13
	s_ashr_i32 s5, s11, 5
	s_ashr_i32 s12, s12, 5
	s_mul_i32 s13, s5, s10
	v_add_nc_u32_e32 v4, 16, v13
	v_add_nc_u32_e32 v8, 24, v13
	;; [unrolled: 1-line block ×3, first 2 shown]
	s_mul_hi_i32 s14, s13, 18
	s_mul_i32 s13, s13, 18
	v_add_nc_u32_e32 v14, 48, v13
	v_cvt_f64_u32_e32 v[4:5], v4
	v_cvt_f64_u32_e32 v[8:9], v8
	s_waitcnt lgkmcnt(0)
	s_add_u32 s0, s0, s13
	s_addc_u32 s1, s1, s14
	s_add_i32 s13, s4, -1
	v_cvt_f64_u32_e32 v[10:11], v10
	v_cvt_f64_i32_e32 v[6:7], s13
	v_cvt_f64_u32_e32 v[14:15], v14
	v_lshlrev_b32_e32 v19, 2, v39
	v_mul_lo_u32 v27, s5, v30
	v_dual_mov_b32 v35, 0 :: v_dual_add_nc_u32 v2, 8, v13
	v_add_nc_u32_e32 v12, 40, v13
	v_add_nc_u32_e32 v16, 56, v13
	v_and_b32_e32 v25, 12, v19
	v_mad_u32_u24 v26, 0x84, v30, v19
	v_cvt_f64_u32_e32 v[0:1], v13
	v_cvt_f64_u32_e32 v[2:3], v2
	;; [unrolled: 1-line block ×3, first 2 shown]
	v_lshrrev_b32_e32 v24, 2, v39
	v_and_b32_e32 v23, 7, v39
	v_lshrrev_b32_e32 v22, 3, v39
	scratch_store_b32 off, v25, off offset:28 ; 4-byte Folded Spill
	v_dual_mov_b32 v37, 0 :: v_dual_add_nc_u32 v28, 0x420, v26
	s_clause 0x1
	scratch_store_b32 off, v27, off offset:36
	scratch_store_b32 off, v13, off offset:244
	v_cvt_f64_u32_e32 v[12:13], v12
	scratch_store_b32 off, v28, off offset:44 ; 4-byte Folded Spill
	v_add_nc_u32_e32 v28, 0x840, v26
	s_lshl_b32 s14, s5, 3
	v_dual_mov_b32 v33, 0 :: v_dual_and_b32 v18, 3, v39
	v_dual_mov_b32 v38, 0 :: v_dual_add_nc_u32 v27, s14, v27
	scratch_store_b32 off, v28, off offset:48 ; 4-byte Folded Spill
	v_add_nc_u32_e32 v28, 0xc60, v26
	s_clause 0x2
	scratch_store_b32 off, v22, off offset:24
	scratch_store_b32 off, v23, off offset:20
	scratch_store_b32 off, v24, off offset:16
	v_lshl_add_u32 v24, v30, 3, v24
	scratch_store_b32 off, v28, off offset:52 ; 4-byte Folded Spill
	v_add_nc_u32_e32 v28, 0x1080, v26
	s_clause 0x1
	scratch_store_b32 off, v28, off offset:56
	scratch_store_b32 off, v27, off offset:40
	v_min_f64 v[4:5], v[4:5], v[6:7]
	v_min_f64 v[8:9], v[8:9], v[6:7]
	;; [unrolled: 1-line block ×4, first 2 shown]
	v_add_nc_u32_e32 v27, s14, v27
	v_add_nc_u32_e32 v28, 0x14a0, v26
	v_min_f64 v[0:1], v[0:1], v[6:7]
	v_min_f64 v[2:3], v[2:3], v[6:7]
	v_dual_mov_b32 v34, 0 :: v_dual_lshlrev_b32 v25, 2, v18
	scratch_store_b32 off, v27, off offset:60 ; 4-byte Folded Spill
	v_and_b32_e32 v24, 63, v24
	v_add_nc_u32_e32 v27, s14, v27
	v_and_b32_e32 v20, 31, v39
	v_lshlrev_b32_e32 v21, 7, v30
	v_lshl_add_u32 v22, v30, 2, v22
	s_and_not1_b32 s11, s11, 31
	v_min_f64 v[12:13], v[12:13], v[6:7]
	v_min_f64 v[6:7], v[16:17], v[6:7]
	v_add_nc_u32_e32 v16, 0x18c0, v26
	scratch_store_b32 off, v28, off offset:68 ; 4-byte Folded Spill
	v_add_nc_u32_e32 v17, 0x2100, v26
	v_lshl_or_b32 v20, v20, 2, v21
	v_mul_lo_u32 v31, s5, v22
	scratch_store_b32 off, v16, off offset:72 ; 4-byte Folded Spill
	v_add_nc_u32_e32 v16, 0x1ce0, v26
	s_clause 0x2
	scratch_store_b32 off, v16, off offset:76
	scratch_store_b32 off, v27, off offset:64
	;; [unrolled: 1-line block ×3, first 2 shown]
	v_add_nc_u32_e32 v17, 0x2520, v26
	v_add_nc_u32_e32 v16, s14, v27
	;; [unrolled: 1-line block ×6, first 2 shown]
	v_cvt_i32_f64_e32 v4, v[4:5]
	v_cvt_i32_f64_e32 v5, v[8:9]
	;; [unrolled: 1-line block ×4, first 2 shown]
	v_lshl_or_b32 v14, v24, 4, v25
	v_add_nc_u32_e32 v96, 0x5e00, v20
	v_dual_mov_b32 v42, 0 :: v_dual_and_b32 v19, 28, v19
	v_lshl_add_u32 v104, v30, 4, 0x7280
	s_delay_alu instid0(VALU_DEP_4)
	v_dual_mov_b32 v14, 0 :: v_dual_add_nc_u32 v83, 0x7280, v14
	scratch_store_b32 off, v17, off offset:88 ; 4-byte Folded Spill
	v_add_nc_u32_e32 v17, 0x2940, v26
	scratch_store_b32 off, v17, off offset:92 ; 4-byte Folded Spill
	v_add_nc_u32_e32 v17, 0x2d60, v26
	s_clause 0x1
	scratch_store_b32 off, v17, off offset:96
	scratch_store_b32 off, v16, off offset:80
	v_add_nc_u32_e32 v17, 0x3180, v26
	v_add_nc_u32_e32 v16, s14, v16
	v_cvt_i32_f64_e32 v6, v[6:7]
	v_cvt_i32_f64_e32 v9, v[12:13]
	scratch_store_b32 off, v17, off offset:104 ; 4-byte Folded Spill
	v_add_nc_u32_e32 v17, 0x35a0, v26
	v_add_nc_u32_e32 v27, s14, v16
	scratch_store_b32 off, v17, off offset:108 ; 4-byte Folded Spill
	v_add_nc_u32_e32 v17, 0x39c0, v26
	s_clause 0x1
	scratch_store_b32 off, v17, off offset:112
	scratch_store_b32 off, v26, off offset:32
	v_add_nc_u32_e32 v17, 0x3de0, v26
	v_add_nc_u32_e32 v28, s14, v27
	s_clause 0x4
	scratch_store_b32 off, v17, off offset:116
	scratch_store_b32 off, v16, off offset:100
	;; [unrolled: 1-line block ×3, first 2 shown]
	scratch_store_b32 off, v29, off
	scratch_store_b32 off, v28, off offset:128
	v_add_nc_u32_e32 v29, 0x4600, v20
	v_add_nc_u32_e32 v28, s14, v28
	v_and_b32_e32 v16, 0x7fc, v22
	v_lshlrev_b32_e32 v17, 5, v22
	v_add_nc_u32_e32 v26, 32, v22
	s_clause 0x1
	scratch_store_b32 off, v29, off offset:4
	scratch_store_b32 off, v31, off offset:124
	v_add_nc_u32_e32 v29, 0x4a00, v20
	v_add_nc_u32_e32 v32, s14, v28
	;; [unrolled: 1-line block ×4, first 2 shown]
	v_mul_lo_u32 v93, s12, v11
	scratch_store_b32 off, v29, off offset:8 ; 4-byte Folded Spill
	v_dual_mov_b32 v20, 0 :: v_dual_add_nc_u32 v29, 0x4e00, v20
	v_lshlrev_b32_e32 v23, 2, v23
	v_lshlrev_b32_e32 v13, 5, v22
	v_mul_u32_u24_e32 v11, 0x84, v39
	scratch_store_b32 off, v29, off offset:12 ; 4-byte Folded Spill
	v_cvt_i32_f64_e32 v29, v[2:3]
	v_add_nc_u32_e32 v3, s14, v32
	v_add3_u32 v10, v16, v23, 0x6200
	v_and_b32_e32 v2, 0xffc, v22
	v_mul_lo_u32 v88, s12, v4
	v_mul_lo_u32 v89, s12, v5
	v_add_nc_u32_e32 v16, s14, v3
	scratch_store_b32 off, v28, off offset:132 ; 4-byte Folded Spill
	v_cvt_i32_f64_e32 v28, v[0:1]
	v_and_b32_e32 v0, 0xffc, v26
	v_and_b32_e32 v1, 0xffc, v27
	v_add3_u32 v22, v2, v23, 0x6200
	v_add_nc_u32_e32 v2, s11, v31
	scratch_store_b32 off, v3, off offset:140 ; 4-byte Folded Spill
	v_or_b32_e32 v3, s7, v24
	v_add3_u32 v15, v0, v23, 0x6200
	v_add_nc_u32_e32 v0, s14, v16
	s_clause 0x1
	scratch_store_b32 off, v2, off offset:152
	scratch_store_b32 off, v32, off offset:136
	v_add_nc_u32_e32 v24, s11, v2
	scratch_store_b32 off, v16, off offset:144 ; 4-byte Folded Spill
	v_add3_u32 v16, v1, v23, 0x6200
	v_add_nc_u32_e32 v23, s14, v0
	scratch_store_b32 off, v0, off offset:148 ; 4-byte Folded Spill
	v_add_co_u32 v0, s15, s2, v19
	v_min_i32_e32 v19, s13, v3
	scratch_store_b32 off, v23, off offset:156 ; 4-byte Folded Spill
	v_add_nc_u32_e32 v23, s14, v23
	scratch_store_b32 off, v24, off offset:160 ; 4-byte Folded Spill
	v_mul_lo_u32 v95, s12, v6
	v_mad_u64_u32 v[2:3], null, v19, s12, v[18:19]
	v_add_nc_u32_e32 v3, s11, v24
	s_clause 0x1
	scratch_store_b32 off, v3, off offset:168
	scratch_store_b32 off, v23, off offset:164
	v_add_nc_u32_e32 v3, s14, v23
	v_add_nc_u32_e32 v4, 64, v39
	;; [unrolled: 1-line block ×3, first 2 shown]
	v_lshlrev_b32_e32 v6, 5, v39
	v_mul_lo_u32 v90, s12, v8
	scratch_store_b32 off, v3, off offset:172 ; 4-byte Folded Spill
	v_add_nc_u32_e32 v3, 0x60, v39
	v_and_b32_e32 v4, 0x1fc, v4
	v_and_b32_e32 v8, 0x1fc, v5
	v_lshrrev_b32_e32 v5, 3, v5
	v_mul_lo_u32 v91, s12, v9
	v_and_b32_e32 v3, 0x1fc, v3
	v_add_nc_u32_e32 v4, v6, v4
	v_and_b32_e32 v9, 0xfc, v39
	scratch_store_b32 off, v5, off offset:212 ; 4-byte Folded Spill
	v_add_nc_u32_e32 v8, v6, v8
	v_add_nc_u32_e32 v3, v6, v3
	scratch_store_b32 off, v30, off offset:236 ; 4-byte Folded Spill
	v_add_nc_u32_e32 v6, v6, v9
	v_lshlrev_b32_e32 v7, 5, v26
	v_lshlrev_b32_e32 v12, 5, v27
	v_add_nc_u32_e32 v5, 0x6e00, v3
	scratch_store_b32 off, v11, off offset:176 ; 4-byte Folded Spill
	v_add_nc_u32_e32 v3, 0x6e10, v3
	v_mul_lo_u32 v86, s12, v28
	v_mul_lo_u32 v87, s12, v29
	scratch_store_b32 off, v5, off offset:180 ; 4-byte Folded Spill
	v_add_nc_u32_e32 v5, 0x6a00, v4
	scratch_store_b32 off, v3, off offset:216 ; 4-byte Folded Spill
	v_add_nc_u32_e32 v3, 0x6a10, v4
	v_add_co_ci_u32_e64 v1, null, s3, 0, s15
	scratch_store_b32 off, v5, off offset:184 ; 4-byte Folded Spill
	v_add_nc_u32_e32 v5, 0x6600, v8
	scratch_store_b32 off, v3, off offset:220 ; 4-byte Folded Spill
	v_add_nc_u32_e32 v3, 0x6610, v8
	v_dual_mov_b32 v31, 0 :: v_dual_mov_b32 v24, 0
	scratch_store_b32 off, v5, off offset:188 ; 4-byte Folded Spill
	v_add_nc_u32_e32 v5, 0x6200, v6
	scratch_store_b32 off, v3, off offset:224 ; 4-byte Folded Spill
	v_dual_mov_b32 v8, 0 :: v_dual_add_nc_u32 v3, 0x6210, v6
	v_mov_b32_e32 v29, 0
	s_clause 0x2
	scratch_store_b32 off, v5, off offset:192
	scratch_store_b32 off, v3, off offset:228
	;; [unrolled: 1-line block ×3, first 2 shown]
	v_mad_u32_u24 v3, 0x84, v39, 64
	v_mov_b32_e32 v23, 0
	v_mov_b32_e32 v19, 0
	v_dual_mov_b32 v11, 0 :: v_dual_mov_b32 v28, 0
	scratch_store_b32 off, v3, off offset:232 ; 4-byte Folded Spill
	v_dual_mov_b32 v18, 0 :: v_dual_add_nc_u32 v3, v10, v17
	v_mov_b32_e32 v10, 0
	v_mov_b32_e32 v6, 0
	v_mov_b32_e32 v32, 0
	scratch_store_b32 off, v3, off offset:196 ; 4-byte Folded Spill
	v_add_nc_u32_e32 v3, v15, v7
	v_mov_b32_e32 v15, 0
	v_mov_b32_e32 v7, 0
	;; [unrolled: 1-line block ×4, first 2 shown]
	scratch_store_b32 off, v3, off offset:200 ; 4-byte Folded Spill
	v_dual_mov_b32 v16, 0 :: v_dual_add_nc_u32 v3, v16, v12
	v_dual_mov_b32 v12, 0 :: v_dual_add_nc_u32 v103, 0x4200, v21
	v_mov_b32_e32 v21, 0
	scratch_store_b32 off, v3, off offset:204 ; 4-byte Folded Spill
	v_dual_mov_b32 v22, 0 :: v_dual_add_nc_u32 v3, v22, v13
	v_mov_b32_e32 v13, 0
	v_mov_b32_e32 v9, 0
	;; [unrolled: 1-line block ×3, first 2 shown]
	s_mov_b32 s11, 0
	scratch_store_b32 off, v3, off offset:208 ; 4-byte Folded Spill
	s_branch .LBB157_6
.LBB157_5:                              ;   in Loop: Header=BB157_6 Depth=1
	s_add_i32 s11, s11, 8
	s_delay_alu instid0(SALU_CYCLE_1)
	s_cmp_ge_i32 s11, s5
	s_cbranch_scc1 .LBB157_12
.LBB157_6:                              ; =>This Loop Header: Depth=1
                                        ;     Child Loop BB157_7 Depth 2
                                        ;     Child Loop BB157_10 Depth 2
	s_clause 0x1
	scratch_load_b32 v25, off, off offset:16
	scratch_load_b32 v30, off, off offset:36
	s_mul_i32 s12, s11, 18
	s_mul_hi_u32 s13, s11, 18
	s_add_u32 s12, s0, s12
	s_addc_u32 s13, s1, s13
	v_dual_mov_b32 v115, v104 :: v_dual_add_nc_u32 v114, s11, v2
	v_mov_b32_e32 v116, v103
	s_waitcnt vmcnt(1)
	v_mad_u64_u32 v[3:4], null, v25, 18, s[12:13]
	scratch_load_b32 v25, off, off offset:28 ; 4-byte Folded Reload
	s_waitcnt vmcnt(0)
	v_add_co_u32 v3, vcc_lo, v3, v25
	v_add_co_ci_u32_e32 v4, vcc_lo, 0, v4, vcc_lo
	s_delay_alu instid0(VALU_DEP_2) | instskip(NEXT) | instid1(VALU_DEP_2)
	v_add_co_u32 v3, vcc_lo, v3, 2
	v_add_co_ci_u32_e32 v4, vcc_lo, 0, v4, vcc_lo
	s_delay_alu instid0(VALU_DEP_1)
	v_mad_u64_u32 v[25:26], null, v30, 18, v[3:4]
	scratch_load_b32 v30, off, off offset:40 ; 4-byte Folded Reload
	s_waitcnt vmcnt(0)
	v_mad_u64_u32 v[47:48], null, v30, 18, v[3:4]
	scratch_load_b32 v30, off, off offset:60 ; 4-byte Folded Reload
	s_waitcnt vmcnt(0)
	;; [unrolled: 3-line block ×7, first 2 shown]
	v_mad_u64_u32 v[64:65], null, v30, 18, v[3:4]
	s_clause 0x7
	global_load_b32 v30, v[25:26], off
	global_load_b32 v43, v[47:48], off
	;; [unrolled: 1-line block ×8, first 2 shown]
	scratch_load_b32 v39, off, off offset:132 ; 4-byte Folded Reload
	s_waitcnt vmcnt(0)
	v_mad_u64_u32 v[25:26], null, v39, 18, v[3:4]
	scratch_load_b32 v39, off, off offset:136 ; 4-byte Folded Reload
	s_waitcnt vmcnt(0)
	v_mad_u64_u32 v[47:48], null, v39, 18, v[3:4]
	;; [unrolled: 3-line block ×6, first 2 shown]
	scratch_load_b32 v39, off, off offset:156 ; 4-byte Folded Reload
	s_mov_b32 s12, -4
	s_waitcnt vmcnt(0)
	v_mad_u64_u32 v[62:63], null, v39, 18, v[3:4]
	scratch_load_b32 v39, off, off offset:164 ; 4-byte Folded Reload
	s_waitcnt vmcnt(0)
	v_mad_u64_u32 v[64:65], null, v39, 18, v[3:4]
	scratch_load_b32 v39, off, off offset:172 ; 4-byte Folded Reload
	;; [unrolled: 3-line block ×7, first 2 shown]
	s_clause 0xb
	global_load_b32 v111, v[25:26], off
	global_load_b32 v112, v[47:48], off
	;; [unrolled: 1-line block ×8, first 2 shown]
	global_load_u16 v85, v[3:4], off
	global_load_u16 v98, v[98:99], off
	;; [unrolled: 1-line block ×4, first 2 shown]
	s_waitcnt vmcnt(12)
	v_add_nc_u32_e32 v59, s11, v39
	s_delay_alu instid0(VALU_DEP_1)
	v_add_nc_u32_e32 v25, v59, v86
	v_add_nc_u32_e32 v47, v59, v87
	;; [unrolled: 1-line block ×5, first 2 shown]
	v_mad_i64_i32 v[3:4], null, v25, 36, v[0:1]
	v_add_nc_u32_e32 v60, v59, v91
	v_mad_i64_i32 v[25:26], null, v47, 36, v[0:1]
	v_add_nc_u32_e32 v62, v59, v93
	;; [unrolled: 2-line block ×3, first 2 shown]
	v_mad_i64_i32 v[49:50], null, v53, 36, v[0:1]
	v_mad_i64_i32 v[53:54], null, v57, 36, v[0:1]
	;; [unrolled: 1-line block ×5, first 2 shown]
	v_mad_u64_u32 v[64:65], null, v114, 36, s[2:3]
	s_clause 0x8
	global_load_b32 v3, v[3:4], off offset:4
	global_load_b32 v4, v[25:26], off offset:4
	;; [unrolled: 1-line block ×8, first 2 shown]
	global_load_b32 v53, v[64:65], off
	s_clause 0x5
	scratch_load_b32 v117, off, off offset:176
	scratch_load_b32 v118, off, off offset:192
	;; [unrolled: 1-line block ×6, first 2 shown]
	s_waitcnt vmcnt(18)
	v_cvt_f32_f16_e32 v54, v85
	s_waitcnt vmcnt(17)
	v_cvt_f32_f16_e32 v57, v98
	;; [unrolled: 2-line block ×4, first 2 shown]
	s_waitcnt vmcnt(0)
	ds_store_b32 v39, v30
	scratch_load_b32 v30, off, off offset:44 ; 4-byte Folded Reload
	s_waitcnt vmcnt(0)
	ds_store_b32 v30, v43
	scratch_load_b32 v30, off, off offset:48 ; 4-byte Folded Reload
	;; [unrolled: 3-line block ×19, first 2 shown]
	s_waitcnt vmcnt(0)
	ds_store_b32 v30, v59
	scratch_load_b32 v30, off, off          ; 4-byte Folded Reload
	s_waitcnt vmcnt(0)
	ds_store_b32 v30, v3
	scratch_load_b32 v3, off, off offset:4  ; 4-byte Folded Reload
	s_waitcnt vmcnt(0)
	ds_store_b32 v3, v4
	scratch_load_b32 v3, off, off offset:8  ; 4-byte Folded Reload
	s_waitcnt vmcnt(0)
	ds_store_b32 v3, v25
	scratch_load_b32 v3, off, off offset:12 ; 4-byte Folded Reload
	s_waitcnt vmcnt(0)
	ds_store_b32 v3, v26
	ds_store_b32 v74, v47
	;; [unrolled: 1-line block ×6, first 2 shown]
	s_waitcnt lgkmcnt(0)
	s_waitcnt_vscnt null, 0x0
	s_barrier
	buffer_gl0_inv
.LBB157_7:                              ;   Parent Loop BB157_6 Depth=1
                                        ; =>  This Inner Loop Header: Depth=2
	ds_load_b128 v[47:50], v116
	ds_load_b128 v[57:60], v116 offset:16
	ds_load_2addr_b32 v[3:4], v115 offset1:32
	s_add_i32 s12, s12, 4
	s_delay_alu instid0(SALU_CYCLE_1)
	s_cmp_lt_u32 s12, 12
	s_waitcnt lgkmcnt(2)
	v_bfe_i32 v30, v47, 0, 8
	s_waitcnt lgkmcnt(1)
	v_bfe_i32 v54, v57, 0, 8
	s_waitcnt lgkmcnt(0)
	v_lshrrev_b32_e32 v25, 16, v3
	v_bfe_i32 v63, v48, 0, 8
	v_bfe_i32 v84, v58, 0, 8
	;; [unrolled: 1-line block ×4, first 2 shown]
	v_cvt_f32_f16_e32 v25, v25
	v_bfe_i32 v53, v47, 16, 8
	v_ashrrev_i32_e32 v47, 24, v47
	v_bfe_i32 v102, v59, 0, 8
	v_bfe_i32 v107, v50, 0, 8
	v_mul_f32_e32 v254, 0x41000000, v25
	ds_load_b32 v197, v118
	ds_load_2addr_b32 v[25:26], v117 offset1:1
	v_bfe_i32 v55, v57, 8, 8
	v_bfe_i32 v62, v57, 16, 8
	v_ashrrev_i32_e32 v57, 24, v57
	v_bfe_i32 v64, v48, 8, 8
	v_bfe_i32 v65, v48, 16, 8
	v_ashrrev_i32_e32 v48, 24, v48
	v_bfe_i32 v85, v58, 8, 8
	v_bfe_i32 v110, v60, 0, 8
	;; [unrolled: 1-line block ×3, first 2 shown]
	v_ashrrev_i32_e32 v58, 24, v58
	v_bfe_i32 v100, v49, 8, 8
	v_bfe_i32 v101, v49, 16, 8
	v_ashrrev_i32_e32 v49, 24, v49
	v_bfe_i32 v105, v59, 8, 8
	v_bfe_i32 v106, v59, 16, 8
	;; [unrolled: 3-line block ×3, first 2 shown]
	v_ashrrev_i32_e32 v50, 24, v50
	s_waitcnt lgkmcnt(0)
	v_and_b32_e32 v231, 15, v26
	v_bfe_u32 v223, v25, 20, 4
	v_and_b32_e32 v224, 15, v25
	v_bfe_u32 v225, v25, 8, 4
	v_bfe_u32 v227, v25, 16, 4
	;; [unrolled: 1-line block ×5, first 2 shown]
	v_lshrrev_b32_e32 v230, 28, v25
	v_bfe_u32 v226, v26, 20, 4
	v_bfe_u32 v232, v26, 8, 4
	;; [unrolled: 1-line block ×6, first 2 shown]
	v_lshrrev_b32_e32 v238, 28, v26
	ds_load_2addr_b32 v[25:26], v117 offset0:2 offset1:3
	v_mul_i32_i24_e32 v122, v224, v30
	v_mul_i32_i24_e32 v129, v231, v63
	;; [unrolled: 1-line block ×5, first 2 shown]
	v_mad_i32_i24 v122, v222, v54, v122
	v_mul_i32_i24_e32 v125, v228, v47
	v_mul_i32_i24_e32 v126, v229, v55
	;; [unrolled: 1-line block ×4, first 2 shown]
	v_add3_u32 v122, v122, v129, v133
	v_mul_i32_i24_e32 v130, v232, v64
	v_mul_i32_i24_e32 v131, v233, v65
	;; [unrolled: 1-line block ×6, first 2 shown]
	v_bfe_i32 v111, v60, 8, 8
	v_bfe_i32 v112, v60, 16, 8
	s_waitcnt lgkmcnt(0)
	v_and_b32_e32 v239, 15, v25
	v_bfe_u32 v244, v25, 4, 4
	v_and_b32_e32 v247, 15, v26
	v_bfe_u32 v251, v26, 4, 4
	v_bfe_u32 v240, v25, 8, 4
	v_mul_i32_i24_e32 v137, v239, v99
	v_mul_i32_i24_e32 v141, v244, v102
	;; [unrolled: 1-line block ×4, first 2 shown]
	v_bfe_u32 v242, v25, 16, 4
	v_add3_u32 v122, v122, v137, v123
	v_mul_i32_i24_e32 v138, v240, v100
	v_bfe_u32 v243, v25, 24, 4
	v_bfe_u32 v245, v25, 12, 4
	v_mul_i32_i24_e32 v139, v242, v101
	v_add3_u32 v122, v122, v124, v125
	v_bfe_u32 v234, v25, 20, 4
	v_mul_i32_i24_e32 v140, v243, v49
	v_mul_i32_i24_e32 v142, v245, v105
	v_lshrrev_b32_e32 v246, 28, v25
	v_add3_u32 v122, v122, v141, v144
	v_mul_i32_i24_e32 v143, v234, v106
	v_bfe_u32 v248, v26, 8, 4
	v_bfe_u32 v249, v26, 16, 4
	v_mul_i32_i24_e32 v25, v246, v59
	v_add3_u32 v122, v122, v126, v127
	v_bfe_u32 v250, v26, 24, 4
	v_mul_i32_i24_e32 v145, v248, v108
	v_mul_i32_i24_e32 v146, v249, v109
	v_bfe_u32 v252, v26, 12, 4
	v_add3_u32 v122, v122, v128, v130
	v_ashrrev_i32_e32 v60, 24, v60
	v_bfe_u32 v241, v26, 20, 4
	v_mul_i32_i24_e32 v147, v250, v50
	v_mul_i32_i24_e32 v149, v252, v111
	v_add3_u32 v122, v122, v131, v132
	v_lshrrev_b32_e32 v253, 28, v26
	v_mul_i32_i24_e32 v150, v241, v112
	v_add_nc_u32_e32 v118, 4, v118
	s_delay_alu instid0(VALU_DEP_4) | instskip(NEXT) | instid1(VALU_DEP_4)
	v_add3_u32 v122, v122, v148, v134
	v_mul_i32_i24_e32 v26, v253, v60
	s_delay_alu instid0(VALU_DEP_2) | instskip(NEXT) | instid1(VALU_DEP_1)
	v_add3_u32 v122, v122, v135, v136
	v_add3_u32 v122, v122, v138, v139
	s_delay_alu instid0(VALU_DEP_1) | instskip(NEXT) | instid1(VALU_DEP_1)
	v_add3_u32 v122, v122, v140, v142
	v_add3_u32 v25, v122, v143, v25
	s_delay_alu instid0(VALU_DEP_1) | instskip(NEXT) | instid1(VALU_DEP_1)
	;; [unrolled: 3-line block ×3, first 2 shown]
	v_add3_u32 v25, v25, v150, v26
	v_cvt_f32_i32_e32 v25, v25
	s_delay_alu instid0(VALU_DEP_1) | instskip(NEXT) | instid1(VALU_DEP_1)
	v_fma_mix_f32 v25, v3, v25, -v254 op_sel_hi:[1,0,0]
	v_fmac_f32_e32 v35, v197, v25
	v_add_nc_u32_e32 v25, 0x1080, v117
	ds_load_b32 v188, v119
	ds_load_2addr_b32 v[25:26], v25 offset1:1
	v_add_nc_u32_e32 v119, 4, v119
	s_waitcnt lgkmcnt(0)
	v_bfe_u32 v190, v25, 20, 4
	v_and_b32_e32 v191, 15, v25
	v_bfe_u32 v192, v25, 8, 4
	v_bfe_u32 v194, v25, 16, 4
	;; [unrolled: 1-line block ×5, first 2 shown]
	v_lshrrev_b32_e32 v198, 28, v25
	v_add_nc_u32_e32 v25, 0x1088, v117
	v_bfe_u32 v193, v26, 20, 4
	v_and_b32_e32 v199, 15, v26
	v_bfe_u32 v200, v26, 8, 4
	v_bfe_u32 v201, v26, 16, 4
	;; [unrolled: 1-line block ×5, first 2 shown]
	v_lshrrev_b32_e32 v206, 28, v26
	ds_load_2addr_b32 v[25:26], v25 offset1:1
	v_mul_i32_i24_e32 v122, v191, v30
	v_mul_i32_i24_e32 v129, v199, v63
	;; [unrolled: 1-line block ×5, first 2 shown]
	v_mad_i32_i24 v122, v189, v54, v122
	v_mul_i32_i24_e32 v125, v195, v47
	v_mul_i32_i24_e32 v126, v196, v55
	;; [unrolled: 1-line block ×4, first 2 shown]
	v_add3_u32 v122, v122, v129, v133
	v_mul_i32_i24_e32 v130, v200, v64
	v_mul_i32_i24_e32 v131, v201, v65
	;; [unrolled: 1-line block ×6, first 2 shown]
	s_waitcnt lgkmcnt(0)
	v_and_b32_e32 v207, 15, v25
	v_bfe_u32 v212, v25, 4, 4
	v_and_b32_e32 v215, 15, v26
	v_bfe_u32 v219, v26, 4, 4
	v_bfe_u32 v208, v25, 8, 4
	v_mul_i32_i24_e32 v137, v207, v99
	v_mul_i32_i24_e32 v141, v212, v102
	;; [unrolled: 1-line block ×4, first 2 shown]
	v_bfe_u32 v210, v25, 16, 4
	v_add3_u32 v122, v122, v137, v123
	v_mul_i32_i24_e32 v138, v208, v100
	v_bfe_u32 v211, v25, 24, 4
	v_bfe_u32 v213, v25, 12, 4
	v_mul_i32_i24_e32 v139, v210, v101
	v_add3_u32 v122, v122, v124, v125
	v_bfe_u32 v203, v25, 20, 4
	v_mul_i32_i24_e32 v140, v211, v49
	v_mul_i32_i24_e32 v142, v213, v105
	v_lshrrev_b32_e32 v214, 28, v25
	v_add3_u32 v122, v122, v141, v144
	v_mul_i32_i24_e32 v143, v203, v106
	v_bfe_u32 v216, v26, 8, 4
	v_bfe_u32 v217, v26, 16, 4
	v_mul_i32_i24_e32 v25, v214, v59
	v_add3_u32 v122, v122, v126, v127
	v_bfe_u32 v218, v26, 24, 4
	v_mul_i32_i24_e32 v145, v216, v108
	v_mul_i32_i24_e32 v146, v217, v109
	v_bfe_u32 v220, v26, 12, 4
	v_add3_u32 v122, v122, v128, v130
	v_bfe_u32 v209, v26, 20, 4
	v_mul_i32_i24_e32 v147, v218, v50
	v_lshrrev_b32_e32 v221, 28, v26
	v_mul_i32_i24_e32 v149, v220, v111
	v_add3_u32 v122, v122, v131, v132
	v_mul_i32_i24_e32 v150, v209, v112
	s_delay_alu instid0(VALU_DEP_4) | instskip(NEXT) | instid1(VALU_DEP_3)
	v_mul_i32_i24_e32 v26, v221, v60
	v_add3_u32 v122, v122, v148, v134
	s_delay_alu instid0(VALU_DEP_1) | instskip(NEXT) | instid1(VALU_DEP_1)
	v_add3_u32 v122, v122, v135, v136
	v_add3_u32 v122, v122, v138, v139
	s_delay_alu instid0(VALU_DEP_1) | instskip(NEXT) | instid1(VALU_DEP_1)
	v_add3_u32 v122, v122, v140, v142
	;; [unrolled: 3-line block ×4, first 2 shown]
	v_cvt_f32_i32_e32 v25, v25
	s_delay_alu instid0(VALU_DEP_1) | instskip(NEXT) | instid1(VALU_DEP_1)
	v_fma_mix_f32 v25, v3, v25, -v254 op_sel_hi:[1,0,0]
	v_fmac_f32_e32 v42, v188, v25
	v_add_nc_u32_e32 v25, 0x2100, v117
	ds_load_b32 v155, v120
	ds_load_2addr_b32 v[25:26], v25 offset1:1
	v_add_nc_u32_e32 v120, 4, v120
	s_waitcnt lgkmcnt(0)
	v_bfe_u32 v157, v25, 20, 4
	v_and_b32_e32 v158, 15, v25
	v_bfe_u32 v159, v25, 8, 4
	v_bfe_u32 v161, v25, 16, 4
	;; [unrolled: 1-line block ×5, first 2 shown]
	v_lshrrev_b32_e32 v164, 28, v25
	v_add_nc_u32_e32 v25, 0x2108, v117
	v_bfe_u32 v160, v26, 20, 4
	v_and_b32_e32 v165, 15, v26
	v_bfe_u32 v166, v26, 8, 4
	v_bfe_u32 v167, v26, 16, 4
	;; [unrolled: 1-line block ×5, first 2 shown]
	v_lshrrev_b32_e32 v172, 28, v26
	ds_load_2addr_b32 v[25:26], v25 offset1:1
	v_mul_i32_i24_e32 v122, v158, v30
	v_mul_i32_i24_e32 v129, v165, v63
	;; [unrolled: 1-line block ×5, first 2 shown]
	v_mad_i32_i24 v122, v156, v54, v122
	v_mul_i32_i24_e32 v125, v162, v47
	v_mul_i32_i24_e32 v126, v163, v55
	;; [unrolled: 1-line block ×4, first 2 shown]
	v_add3_u32 v122, v122, v129, v133
	v_mul_i32_i24_e32 v130, v166, v64
	v_mul_i32_i24_e32 v131, v167, v65
	;; [unrolled: 1-line block ×6, first 2 shown]
	s_waitcnt lgkmcnt(0)
	v_and_b32_e32 v173, 15, v25
	v_bfe_u32 v178, v25, 4, 4
	v_and_b32_e32 v181, 15, v26
	v_bfe_u32 v185, v26, 4, 4
	v_bfe_u32 v174, v25, 8, 4
	v_mul_i32_i24_e32 v137, v173, v99
	v_mul_i32_i24_e32 v141, v178, v102
	v_mul_i32_i24_e32 v144, v181, v107
	v_mul_i32_i24_e32 v148, v185, v110
	v_bfe_u32 v176, v25, 16, 4
	v_add3_u32 v122, v122, v137, v123
	v_mul_i32_i24_e32 v138, v174, v100
	v_bfe_u32 v177, v25, 24, 4
	v_bfe_u32 v179, v25, 12, 4
	v_mul_i32_i24_e32 v139, v176, v101
	v_add3_u32 v122, v122, v124, v125
	v_bfe_u32 v169, v25, 20, 4
	v_mul_i32_i24_e32 v140, v177, v49
	v_mul_i32_i24_e32 v142, v179, v105
	v_lshrrev_b32_e32 v180, 28, v25
	v_add3_u32 v122, v122, v141, v144
	v_mul_i32_i24_e32 v143, v169, v106
	v_bfe_u32 v182, v26, 8, 4
	v_bfe_u32 v183, v26, 16, 4
	v_mul_i32_i24_e32 v25, v180, v59
	v_add3_u32 v122, v122, v126, v127
	v_bfe_u32 v184, v26, 24, 4
	v_mul_i32_i24_e32 v145, v182, v108
	v_mul_i32_i24_e32 v146, v183, v109
	v_bfe_u32 v186, v26, 12, 4
	v_add3_u32 v122, v122, v128, v130
	v_bfe_u32 v175, v26, 20, 4
	v_mul_i32_i24_e32 v147, v184, v50
	v_lshrrev_b32_e32 v187, 28, v26
	v_mul_i32_i24_e32 v149, v186, v111
	v_add3_u32 v122, v122, v131, v132
	v_mul_i32_i24_e32 v150, v175, v112
	s_delay_alu instid0(VALU_DEP_4) | instskip(NEXT) | instid1(VALU_DEP_3)
	v_mul_i32_i24_e32 v26, v187, v60
	v_add3_u32 v122, v122, v148, v134
	s_delay_alu instid0(VALU_DEP_1) | instskip(NEXT) | instid1(VALU_DEP_1)
	v_add3_u32 v122, v122, v135, v136
	v_add3_u32 v122, v122, v138, v139
	s_delay_alu instid0(VALU_DEP_1) | instskip(NEXT) | instid1(VALU_DEP_1)
	v_add3_u32 v122, v122, v140, v142
	;; [unrolled: 3-line block ×4, first 2 shown]
	v_cvt_f32_i32_e32 v25, v25
	s_delay_alu instid0(VALU_DEP_1) | instskip(NEXT) | instid1(VALU_DEP_1)
	v_fma_mix_f32 v25, v3, v25, -v254 op_sel_hi:[1,0,0]
	v_fmac_f32_e32 v38, v155, v25
	v_add_nc_u32_e32 v25, 0x3180, v117
	ds_load_b32 v122, v121
	ds_load_2addr_b32 v[25:26], v25 offset1:1
	v_add_nc_u32_e32 v121, 4, v121
	s_waitcnt lgkmcnt(0)
	v_bfe_u32 v124, v25, 20, 4
	v_and_b32_e32 v125, 15, v25
	v_bfe_u32 v126, v25, 8, 4
	v_bfe_u32 v128, v25, 16, 4
	;; [unrolled: 1-line block ×5, first 2 shown]
	v_lshrrev_b32_e32 v131, 28, v25
	v_add_nc_u32_e32 v25, 0x3188, v117
	v_bfe_u32 v127, v26, 20, 4
	v_and_b32_e32 v132, 15, v26
	v_bfe_u32 v133, v26, 8, 4
	v_bfe_u32 v134, v26, 16, 4
	;; [unrolled: 1-line block ×5, first 2 shown]
	v_lshrrev_b32_e32 v139, 28, v26
	ds_load_2addr_b32 v[25:26], v25 offset1:1
	v_mul_i32_i24_e32 v30, v125, v30
	v_mul_i32_i24_e32 v63, v132, v63
	;; [unrolled: 1-line block ×5, first 2 shown]
	v_mad_i32_i24 v30, v123, v54, v30
	v_mul_i32_i24_e32 v47, v129, v47
	v_mul_i32_i24_e32 v55, v130, v55
	;; [unrolled: 1-line block ×4, first 2 shown]
	v_add3_u32 v30, v30, v63, v84
	v_mul_i32_i24_e32 v64, v133, v64
	v_mul_i32_i24_e32 v65, v134, v65
	;; [unrolled: 1-line block ×6, first 2 shown]
	v_add_nc_u32_e32 v117, 16, v117
	s_waitcnt lgkmcnt(0)
	v_and_b32_e32 v140, 15, v25
	v_bfe_u32 v145, v25, 4, 4
	v_lshrrev_b32_e32 v147, 28, v25
	v_and_b32_e32 v148, 15, v26
	v_bfe_u32 v136, v25, 20, 4
	v_mul_i32_i24_e32 v99, v140, v99
	v_bfe_u32 v141, v25, 8, 4
	v_bfe_u32 v143, v25, 16, 4
	;; [unrolled: 1-line block ×3, first 2 shown]
	v_mul_i32_i24_e32 v102, v145, v102
	v_add3_u32 v30, v30, v99, v43
	v_bfe_u32 v146, v25, 12, 4
	v_mul_i32_i24_e32 v25, v147, v59
	v_mul_i32_i24_e32 v59, v148, v107
	v_bfe_u32 v149, v26, 8, 4
	v_add3_u32 v30, v30, v53, v47
	v_bfe_u32 v150, v26, 16, 4
	v_bfe_u32 v152, v26, 4, 4
	v_mul_i32_i24_e32 v100, v141, v100
	v_mul_i32_i24_e32 v107, v149, v108
	v_add3_u32 v30, v30, v102, v59
	v_mul_i32_i24_e32 v108, v150, v109
	v_mul_i32_i24_e32 v109, v152, v110
	;; [unrolled: 1-line block ×4, first 2 shown]
	v_add3_u32 v30, v30, v55, v62
	v_mul_i32_i24_e32 v105, v146, v105
	v_mul_i32_i24_e32 v106, v136, v106
	v_bfe_u32 v151, v26, 24, 4
	v_bfe_u32 v153, v26, 12, 4
	v_add3_u32 v30, v30, v57, v64
	v_bfe_u32 v142, v26, 20, 4
	v_lshrrev_b32_e32 v154, 28, v26
	v_mul_i32_i24_e32 v50, v151, v50
	v_mul_i32_i24_e32 v110, v153, v111
	v_add3_u32 v30, v30, v65, v48
	v_mul_i32_i24_e32 v111, v142, v112
	v_mul_i32_i24_e32 v26, v154, v60
	s_delay_alu instid0(VALU_DEP_3) | instskip(NEXT) | instid1(VALU_DEP_1)
	v_add3_u32 v30, v30, v109, v85
	v_add3_u32 v30, v30, v98, v58
	s_delay_alu instid0(VALU_DEP_1) | instskip(NEXT) | instid1(VALU_DEP_1)
	v_add3_u32 v30, v30, v100, v101
	v_add3_u32 v30, v30, v49, v105
	s_delay_alu instid0(VALU_DEP_1) | instskip(NEXT) | instid1(VALU_DEP_1)
	v_add3_u32 v25, v30, v106, v25
	v_add3_u32 v25, v25, v107, v108
	s_delay_alu instid0(VALU_DEP_1) | instskip(SKIP_4) | instid1(VALU_DEP_2)
	v_add3_u32 v25, v25, v50, v110
	ds_load_b128 v[47:50], v116 offset:1024
	ds_load_b128 v[57:60], v116 offset:1040
	v_lshrrev_b32_e32 v110, 16, v4
	v_add3_u32 v25, v25, v111, v26
	v_cvt_f32_f16_e32 v110, v110
	s_delay_alu instid0(VALU_DEP_2) | instskip(NEXT) | instid1(VALU_DEP_2)
	v_cvt_f32_i32_e32 v25, v25
	v_mul_f32_e32 v110, 0x41000000, v110
	s_delay_alu instid0(VALU_DEP_2) | instskip(NEXT) | instid1(VALU_DEP_1)
	v_fma_mix_f32 v3, v3, v25, -v254 op_sel_hi:[1,0,0]
	v_fmac_f32_e32 v37, v122, v3
	s_waitcnt lgkmcnt(1)
	v_bfe_i32 v3, v47, 0, 8
	v_bfe_i32 v25, v47, 8, 8
	;; [unrolled: 1-line block ×3, first 2 shown]
	s_waitcnt lgkmcnt(0)
	v_bfe_i32 v43, v57, 0, 8
	v_ashrrev_i32_e32 v30, 24, v47
	v_mul_i32_i24_e32 v111, v3, v224
	v_bfe_i32 v55, v48, 0, 8
	v_mul_i32_i24_e32 v112, v25, v225
	v_mul_i32_i24_e32 v254, v26, v227
	v_bfe_i32 v47, v57, 8, 8
	v_mad_i32_i24 v111, v43, v222, v111
	v_bfe_i32 v53, v57, 16, 8
	v_mul_i32_i24_e32 v255, v30, v228
	v_mul_i32_i24_e32 v40, v55, v231
	v_ashrrev_i32_e32 v54, 24, v57
	v_add3_u32 v111, v111, v112, v254
	v_bfe_i32 v63, v58, 0, 8
	v_mul_i32_i24_e32 v113, v47, v229
	v_mul_i32_i24_e32 v97, v53, v223
	v_bfe_i32 v57, v48, 8, 8
	v_add3_u32 v40, v111, v255, v40
	v_bfe_i32 v62, v48, 16, 8
	v_mul_i32_i24_e32 v39, v54, v230
	v_mul_i32_i24_e32 v51, v63, v236
	v_ashrrev_i32_e32 v48, 24, v48
	v_add3_u32 v40, v40, v113, v97
	v_bfe_i32 v84, v49, 0, 8
	v_mul_i32_i24_e32 v41, v57, v232
	v_mul_i32_i24_e32 v45, v62, v233
	v_bfe_i32 v64, v58, 8, 8
	v_add3_u32 v39, v40, v39, v51
	;; [unrolled: 10-line block ×6, first 2 shown]
	v_ashrrev_i32_e32 v60, 24, v60
	v_mul_i32_i24_e32 v82, v50, v250
	v_mul_i32_i24_e32 v69, v108, v252
	v_mul_i32_i24_e32 v71, v109, v241
	v_add3_u32 v39, v39, v80, v81
	v_mul_i32_i24_e32 v72, v60, v253
	v_mul_i32_i24_e32 v40, v25, v192
	v_mul_i32_i24_e32 v41, v26, v194
	v_mul_i32_i24_e32 v44, v30, v195
	v_add3_u32 v39, v39, v82, v69
	v_mul_i32_i24_e32 v52, v55, v199
	;; [unrolled: 5-line block ×3, first 2 shown]
	v_mul_i32_i24_e32 v56, v57, v200
	v_mul_i32_i24_e32 v61, v62, v201
	;; [unrolled: 1-line block ×3, first 2 shown]
	v_cvt_f32_i32_e32 v39, v39
	v_mul_i32_i24_e32 v71, v84, v207
	v_mul_i32_i24_e32 v68, v64, v205
	v_mul_i32_i24_e32 v69, v65, v193
	v_mul_i32_i24_e32 v70, v58, v206
	v_fma_mix_f32 v39, v4, v39, -v110 op_sel_hi:[1,0,0]
	v_mul_i32_i24_e32 v77, v99, v212
	v_mul_i32_i24_e32 v72, v85, v208
	;; [unrolled: 1-line block ×4, first 2 shown]
	v_fmac_f32_e32 v36, v197, v39
	v_mul_i32_i24_e32 v39, v3, v191
	v_mul_i32_i24_e32 v81, v102, v215
	;; [unrolled: 1-line block ×5, first 2 shown]
	v_mad_i32_i24 v39, v43, v189, v39
	v_mul_i32_i24_e32 v112, v107, v219
	v_mul_i32_i24_e32 v82, v105, v216
	v_mul_i32_i24_e32 v97, v106, v217
	v_mul_i32_i24_e32 v111, v50, v218
	v_add3_u32 v39, v39, v40, v41
	v_mul_i32_i24_e32 v113, v108, v220
	v_mul_i32_i24_e32 v254, v109, v209
	v_mul_i32_i24_e32 v255, v60, v221
	v_mul_i32_i24_e32 v40, v25, v159
	v_add3_u32 v39, v39, v44, v52
	;; [unrolled: 5-line block ×4, first 2 shown]
	v_mul_i32_i24_e32 v51, v54, v164
	v_mul_i32_i24_e32 v67, v63, v170
	s_delay_alu instid0(VALU_DEP_3) | instskip(SKIP_2) | instid1(VALU_DEP_3)
	v_add3_u32 v39, v39, v56, v61
	v_mul_i32_i24_e32 v56, v57, v166
	v_mul_i32_i24_e32 v61, v62, v167
	v_add3_u32 v39, v39, v66, v71
	v_mul_i32_i24_e32 v66, v48, v168
	v_mul_i32_i24_e32 v71, v84, v173
	s_delay_alu instid0(VALU_DEP_3) | instskip(SKIP_2) | instid1(VALU_DEP_3)
	v_add3_u32 v39, v39, v68, v69
	v_mul_i32_i24_e32 v68, v64, v171
	v_mul_i32_i24_e32 v69, v65, v160
	v_add3_u32 v39, v39, v70, v77
	;; [unrolled: 7-line block ×3, first 2 shown]
	v_mul_i32_i24_e32 v76, v49, v177
	v_mul_i32_i24_e32 v81, v102, v181
	v_mul_i32_i24_e32 v49, v49, v144
	s_delay_alu instid0(VALU_DEP_4) | instskip(SKIP_2) | instid1(VALU_DEP_3)
	v_add3_u32 v39, v39, v78, v79
	v_mul_i32_i24_e32 v78, v100, v179
	v_mul_i32_i24_e32 v79, v101, v169
	v_add3_u32 v39, v39, v80, v112
	v_mul_i32_i24_e32 v80, v59, v180
	v_mul_i32_i24_e32 v112, v107, v185
	;; [unrolled: 1-line block ×3, first 2 shown]
	s_delay_alu instid0(VALU_DEP_4) | instskip(SKIP_2) | instid1(VALU_DEP_3)
	v_add3_u32 v39, v39, v82, v97
	v_mul_i32_i24_e32 v82, v105, v182
	v_mul_i32_i24_e32 v97, v106, v183
	v_add3_u32 v39, v39, v111, v113
	v_mul_i32_i24_e32 v111, v50, v184
	v_mul_i32_i24_e32 v113, v108, v186
	v_mul_i32_i24_e32 v50, v50, v151
	s_delay_alu instid0(VALU_DEP_4) | instskip(SKIP_3) | instid1(VALU_DEP_4)
	v_add3_u32 v39, v39, v254, v255
	v_mul_i32_i24_e32 v254, v109, v175
	v_mul_i32_i24_e32 v255, v60, v187
	;; [unrolled: 1-line block ×3, first 2 shown]
	v_cvt_f32_i32_e32 v39, v39
	s_delay_alu instid0(VALU_DEP_1) | instskip(NEXT) | instid1(VALU_DEP_1)
	v_fma_mix_f32 v39, v4, v39, -v110 op_sel_hi:[1,0,0]
	v_fmac_f32_e32 v34, v188, v39
	v_mul_i32_i24_e32 v39, v3, v158
	v_mul_i32_i24_e32 v3, v3, v125
	s_delay_alu instid0(VALU_DEP_2) | instskip(NEXT) | instid1(VALU_DEP_2)
	v_mad_i32_i24 v39, v43, v156, v39
	v_mad_i32_i24 v3, v43, v123, v3
	s_delay_alu instid0(VALU_DEP_2) | instskip(NEXT) | instid1(VALU_DEP_2)
	v_add3_u32 v39, v39, v40, v41
	v_add3_u32 v3, v3, v25, v26
	v_mul_i32_i24_e32 v40, v53, v124
	v_mul_i32_i24_e32 v41, v54, v131
	v_mul_i32_i24_e32 v54, v84, v140
	v_add3_u32 v39, v39, v44, v52
	v_mul_i32_i24_e32 v44, v55, v132
	v_mul_i32_i24_e32 v52, v65, v127
	;; [unrolled: 1-line block ×4, first 2 shown]
	v_add3_u32 v39, v39, v45, v46
	v_add3_u32 v3, v3, v30, v44
	v_mul_i32_i24_e32 v45, v57, v133
	v_mul_i32_i24_e32 v46, v62, v134
	v_mul_i32_i24_e32 v57, v99, v145
	v_add3_u32 v39, v39, v51, v67
	v_mul_i32_i24_e32 v51, v64, v138
	v_mul_i32_i24_e32 v62, v102, v148
	v_mul_i32_i24_e32 v58, v100, v146
	v_mul_i32_i24_e32 v65, v107, v152
	v_add3_u32 v39, v39, v56, v61
	v_mul_i32_i24_e32 v56, v98, v143
	v_mul_i32_i24_e32 v61, v101, v136
	v_mul_i32_i24_e32 v64, v106, v150
	v_mul_i32_i24_e32 v67, v109, v142
	v_add3_u32 v39, v39, v66, v71
	v_mul_i32_i24_e32 v66, v108, v153
	s_delay_alu instid0(VALU_DEP_2) | instskip(NEXT) | instid1(VALU_DEP_1)
	v_add3_u32 v39, v39, v68, v69
	v_add3_u32 v39, v39, v70, v77
	s_delay_alu instid0(VALU_DEP_1) | instskip(NEXT) | instid1(VALU_DEP_1)
	v_add3_u32 v39, v39, v72, v75
	v_add3_u32 v39, v39, v76, v81
	s_delay_alu instid0(VALU_DEP_1) | instskip(NEXT) | instid1(VALU_DEP_1)
	;; [unrolled: 3-line block ×4, first 2 shown]
	v_add3_u32 v39, v39, v254, v255
	v_cvt_f32_i32_e32 v39, v39
	s_delay_alu instid0(VALU_DEP_1) | instskip(NEXT) | instid1(VALU_DEP_1)
	v_fma_mix_f32 v39, v4, v39, -v110 op_sel_hi:[1,0,0]
	v_fmac_f32_e32 v33, v155, v39
	v_mul_i32_i24_e32 v39, v47, v130
	v_mul_i32_i24_e32 v47, v48, v135
	;; [unrolled: 1-line block ×4, first 2 shown]
	s_delay_alu instid0(VALU_DEP_4) | instskip(NEXT) | instid1(VALU_DEP_1)
	v_add3_u32 v3, v3, v39, v40
	v_add3_u32 v3, v3, v41, v48
	s_delay_alu instid0(VALU_DEP_1) | instskip(NEXT) | instid1(VALU_DEP_1)
	v_add3_u32 v3, v3, v45, v46
	v_add3_u32 v3, v3, v47, v54
	s_delay_alu instid0(VALU_DEP_1) | instskip(NEXT) | instid1(VALU_DEP_1)
	;; [unrolled: 3-line block ×6, first 2 shown]
	v_add3_u32 v3, v3, v67, v60
	v_cvt_f32_i32_e32 v3, v3
	s_delay_alu instid0(VALU_DEP_1) | instskip(NEXT) | instid1(VALU_DEP_1)
	v_fma_mix_f32 v3, v4, v3, -v110 op_sel_hi:[1,0,0]
	v_fmac_f32_e32 v32, v122, v3
	ds_load_b128 v[47:50], v116 offset:2048
	ds_load_b128 v[57:60], v116 offset:2064
	ds_load_2addr_b32 v[3:4], v115 offset0:64 offset1:96
	s_waitcnt lgkmcnt(2)
	v_bfe_i32 v25, v47, 0, 8
	v_bfe_i32 v26, v47, 8, 8
	v_bfe_i32 v30, v47, 16, 8
	s_waitcnt lgkmcnt(1)
	v_bfe_i32 v40, v57, 0, 8
	v_ashrrev_i32_e32 v39, 24, v47
	v_mul_i32_i24_e32 v70, v25, v224
	v_bfe_i32 v45, v48, 0, 8
	v_mul_i32_i24_e32 v71, v26, v225
	v_mul_i32_i24_e32 v72, v30, v227
	v_bfe_i32 v41, v57, 8, 8
	v_mad_i32_i24 v70, v40, v222, v70
	v_bfe_i32 v43, v57, 16, 8
	v_mul_i32_i24_e32 v75, v39, v228
	v_mul_i32_i24_e32 v79, v45, v231
	v_ashrrev_i32_e32 v44, 24, v57
	v_add3_u32 v70, v70, v71, v72
	v_bfe_i32 v51, v58, 0, 8
	v_mul_i32_i24_e32 v76, v41, v229
	v_mul_i32_i24_e32 v77, v43, v223
	v_bfe_i32 v46, v48, 8, 8
	v_add3_u32 v70, v70, v75, v79
	v_bfe_i32 v47, v48, 16, 8
	v_mul_i32_i24_e32 v78, v44, v230
	v_mul_i32_i24_e32 v84, v51, v236
	v_ashrrev_i32_e32 v48, 24, v48
	v_add3_u32 v70, v70, v76, v77
	v_bfe_i32 v55, v49, 0, 8
	v_mul_i32_i24_e32 v80, v46, v232
	v_mul_i32_i24_e32 v81, v47, v233
	v_bfe_i32 v52, v58, 8, 8
	v_add3_u32 v70, v70, v78, v84
	;; [unrolled: 10-line block ×6, first 2 shown]
	v_ashrrev_i32_e32 v60, 24, v60
	v_mul_i32_i24_e32 v112, v50, v250
	v_mul_i32_i24_e32 v254, v67, v252
	s_waitcnt lgkmcnt(0)
	v_lshrrev_b32_e32 v69, 16, v3
	v_add3_u32 v70, v70, v110, v111
	v_mul_i32_i24_e32 v255, v68, v241
	v_mul_i32_i24_e32 v73, v60, v253
	;; [unrolled: 1-line block ×3, first 2 shown]
	v_cvt_f32_f16_e32 v69, v69
	v_add3_u32 v70, v70, v112, v254
	v_mul_i32_i24_e32 v72, v30, v194
	v_mul_i32_i24_e32 v78, v45, v199
	;; [unrolled: 1-line block ×3, first 2 shown]
	v_mul_f32_e32 v69, 0x41000000, v69
	v_add3_u32 v70, v70, v255, v73
	v_mul_i32_i24_e32 v73, v39, v195
	v_mul_i32_i24_e32 v76, v43, v190
	;; [unrolled: 1-line block ×4, first 2 shown]
	v_cvt_f32_i32_e32 v70, v70
	v_mul_i32_i24_e32 v79, v46, v200
	v_mul_i32_i24_e32 v80, v47, v201
	;; [unrolled: 1-line block ×4, first 2 shown]
	v_fma_mix_f32 v70, v3, v70, -v69 op_sel_hi:[1,0,0]
	v_mul_i32_i24_e32 v84, v52, v205
	v_mul_i32_i24_e32 v85, v53, v193
	;; [unrolled: 1-line block ×4, first 2 shown]
	v_fmac_f32_e32 v31, v197, v70
	v_mul_i32_i24_e32 v70, v25, v191
	v_mul_i32_i24_e32 v99, v56, v208
	;; [unrolled: 1-line block ×5, first 2 shown]
	v_mad_i32_i24 v70, v40, v189, v70
	v_mul_i32_i24_e32 v105, v61, v213
	v_mul_i32_i24_e32 v106, v62, v203
	v_mul_i32_i24_e32 v107, v59, v214
	v_mul_i32_i24_e32 v112, v66, v219
	v_add3_u32 v70, v70, v71, v72
	v_mul_i32_i24_e32 v109, v64, v216
	v_mul_i32_i24_e32 v110, v65, v217
	v_mul_i32_i24_e32 v111, v50, v218
	v_mul_i32_i24_e32 v113, v67, v220
	v_add3_u32 v70, v70, v73, v78
	;; [unrolled: 5-line block ×15, first 2 shown]
	v_mul_i32_i24_e32 v64, v64, v149
	v_mul_i32_i24_e32 v65, v65, v150
	;; [unrolled: 1-line block ×4, first 2 shown]
	v_cvt_f32_i32_e32 v70, v70
	v_mul_i32_i24_e32 v50, v50, v151
	v_mul_i32_i24_e32 v67, v67, v153
	;; [unrolled: 1-line block ×4, first 2 shown]
	v_fma_mix_f32 v70, v3, v70, -v69 op_sel_hi:[1,0,0]
	v_mul_i32_i24_e32 v68, v68, v142
	v_mul_i32_i24_e32 v60, v60, v154
	s_delay_alu instid0(VALU_DEP_3) | instskip(SKIP_2) | instid1(VALU_DEP_2)
	v_fmac_f32_e32 v29, v188, v70
	v_mul_i32_i24_e32 v70, v25, v158
	v_mul_i32_i24_e32 v25, v25, v125
	v_mad_i32_i24 v70, v40, v156, v70
	s_delay_alu instid0(VALU_DEP_2) | instskip(NEXT) | instid1(VALU_DEP_2)
	v_mad_i32_i24 v25, v40, v123, v25
	v_add3_u32 v70, v70, v71, v72
	s_delay_alu instid0(VALU_DEP_2) | instskip(NEXT) | instid1(VALU_DEP_2)
	v_add3_u32 v25, v25, v26, v30
	v_add3_u32 v70, v70, v73, v78
	s_delay_alu instid0(VALU_DEP_2) | instskip(NEXT) | instid1(VALU_DEP_2)
	v_add3_u32 v25, v25, v39, v45
	;; [unrolled: 3-line block ×14, first 2 shown]
	v_add3_u32 v70, v70, v254, v255
	s_delay_alu instid0(VALU_DEP_2)
	v_add3_u32 v25, v25, v68, v60
	ds_load_b128 v[47:50], v116 offset:3072
	ds_load_b128 v[57:60], v116 offset:3088
	v_lshrrev_b32_e32 v68, 16, v4
	v_cvt_f32_i32_e32 v70, v70
	v_cvt_f32_i32_e32 v25, v25
	s_delay_alu instid0(VALU_DEP_3) | instskip(NEXT) | instid1(VALU_DEP_3)
	v_cvt_f32_f16_e32 v68, v68
	v_fma_mix_f32 v70, v3, v70, -v69 op_sel_hi:[1,0,0]
	s_delay_alu instid0(VALU_DEP_3) | instskip(NEXT) | instid1(VALU_DEP_3)
	v_fma_mix_f32 v3, v3, v25, -v69 op_sel_hi:[1,0,0]
	v_mul_f32_e32 v68, 0x41000000, v68
	s_delay_alu instid0(VALU_DEP_2)
	v_dual_fmac_f32 v28, v155, v70 :: v_dual_fmac_f32 v27, v122, v3
	s_waitcnt lgkmcnt(1)
	v_bfe_i32 v3, v47, 0, 8
	v_bfe_i32 v25, v47, 8, 8
	;; [unrolled: 1-line block ×3, first 2 shown]
	s_waitcnt lgkmcnt(0)
	v_bfe_i32 v39, v57, 0, 8
	v_ashrrev_i32_e32 v30, 24, v47
	v_mul_i32_i24_e32 v69, v3, v224
	v_bfe_i32 v44, v48, 0, 8
	v_mul_i32_i24_e32 v70, v25, v225
	v_mul_i32_i24_e32 v71, v26, v227
	v_bfe_i32 v40, v57, 8, 8
	v_mad_i32_i24 v69, v39, v222, v69
	v_bfe_i32 v41, v57, 16, 8
	v_mul_i32_i24_e32 v72, v30, v228
	v_mul_i32_i24_e32 v77, v44, v231
	v_ashrrev_i32_e32 v43, 24, v57
	v_add3_u32 v69, v69, v70, v71
	v_bfe_i32 v45, v48, 8, 8
	v_bfe_i32 v46, v48, 16, 8
	v_ashrrev_i32_e32 v47, 24, v48
	v_bfe_i32 v48, v58, 0, 8
	v_mul_i32_i24_e32 v73, v40, v229
	v_mul_i32_i24_e32 v75, v41, v223
	v_add3_u32 v69, v69, v72, v77
	v_mul_i32_i24_e32 v76, v43, v230
	v_mul_i32_i24_e32 v81, v48, v236
	v_bfe_i32 v54, v49, 0, 8
	v_mul_i32_i24_e32 v78, v45, v232
	v_add3_u32 v69, v69, v73, v75
	v_mul_i32_i24_e32 v79, v46, v233
	v_bfe_i32 v51, v58, 8, 8
	v_bfe_i32 v52, v58, 16, 8
	v_mul_i32_i24_e32 v80, v47, v235
	v_add3_u32 v69, v69, v76, v81
	v_mul_i32_i24_e32 v97, v54, v239
	v_ashrrev_i32_e32 v53, 24, v58
	v_bfe_i32 v57, v59, 0, 8
	v_mul_i32_i24_e32 v82, v51, v237
	v_add3_u32 v69, v69, v78, v79
	v_mul_i32_i24_e32 v84, v52, v226
	v_bfe_i32 v55, v49, 8, 8
	v_bfe_i32 v56, v49, 16, 8
	v_mul_i32_i24_e32 v85, v53, v238
	v_add3_u32 v69, v69, v80, v97
	v_mul_i32_i24_e32 v101, v57, v244
	v_ashrrev_i32_e32 v49, 24, v49
	;; [unrolled: 10-line block ×4, first 2 shown]
	v_bfe_i32 v66, v60, 8, 8
	v_mul_i32_i24_e32 v108, v63, v248
	v_add3_u32 v69, v69, v102, v105
	v_mul_i32_i24_e32 v109, v64, v249
	v_bfe_i32 v67, v60, 16, 8
	v_ashrrev_i32_e32 v60, 24, v60
	v_mul_i32_i24_e32 v110, v50, v250
	v_add3_u32 v69, v69, v106, v111
	v_mul_i32_i24_e32 v112, v66, v252
	v_mul_i32_i24_e32 v113, v67, v241
	v_mul_i32_i24_e32 v254, v60, v253
	v_mul_i32_i24_e32 v70, v25, v192
	v_add3_u32 v69, v69, v108, v109
	v_mul_i32_i24_e32 v71, v26, v194
	v_mul_i32_i24_e32 v72, v30, v195
	v_mul_i32_i24_e32 v77, v44, v199
	;; [unrolled: 5-line block ×4, first 2 shown]
	v_mul_i32_i24_e32 v82, v51, v205
	v_cvt_f32_i32_e32 v69, v69
	v_mul_i32_i24_e32 v84, v52, v193
	v_mul_i32_i24_e32 v85, v53, v206
	v_mul_i32_i24_e32 v101, v57, v212
	v_mul_i32_i24_e32 v98, v55, v208
	v_fma_mix_f32 v69, v4, v69, -v68 op_sel_hi:[1,0,0]
	v_mul_i32_i24_e32 v99, v56, v210
	v_mul_i32_i24_e32 v100, v49, v211
	;; [unrolled: 1-line block ×4, first 2 shown]
	v_fmac_f32_e32 v24, v197, v69
	v_mul_i32_i24_e32 v69, v3, v191
	v_mul_i32_i24_e32 v105, v61, v203
	;; [unrolled: 1-line block ×5, first 2 shown]
	v_mad_i32_i24 v69, v39, v189, v69
	v_mul_i32_i24_e32 v109, v64, v217
	v_mul_i32_i24_e32 v110, v50, v218
	v_mul_i32_i24_e32 v112, v66, v220
	v_mul_i32_i24_e32 v113, v67, v209
	v_add3_u32 v69, v69, v70, v71
	v_mul_i32_i24_e32 v254, v60, v221
	v_mul_i32_i24_e32 v70, v25, v159
	v_mul_i32_i24_e32 v71, v26, v161
	v_mul_i32_i24_e32 v25, v25, v126
	v_add3_u32 v69, v69, v72, v77
	;; [unrolled: 5-line block ×15, first 2 shown]
	v_mul_i32_i24_e32 v66, v66, v153
	v_mul_i32_i24_e32 v113, v67, v175
	;; [unrolled: 1-line block ×4, first 2 shown]
	v_cvt_f32_i32_e32 v69, v69
	v_mul_i32_i24_e32 v60, v60, v154
	s_delay_alu instid0(VALU_DEP_2) | instskip(NEXT) | instid1(VALU_DEP_1)
	v_fma_mix_f32 v69, v4, v69, -v68 op_sel_hi:[1,0,0]
	v_fmac_f32_e32 v23, v188, v69
	v_mul_i32_i24_e32 v69, v3, v158
	v_mul_i32_i24_e32 v3, v3, v125
	s_delay_alu instid0(VALU_DEP_2) | instskip(NEXT) | instid1(VALU_DEP_2)
	v_mad_i32_i24 v69, v39, v156, v69
	v_mad_i32_i24 v3, v39, v123, v3
	s_delay_alu instid0(VALU_DEP_2) | instskip(NEXT) | instid1(VALU_DEP_2)
	v_add3_u32 v69, v69, v70, v71
	v_add3_u32 v3, v3, v25, v26
	s_delay_alu instid0(VALU_DEP_2) | instskip(NEXT) | instid1(VALU_DEP_2)
	v_add3_u32 v69, v69, v72, v77
	v_add3_u32 v3, v3, v30, v44
	;; [unrolled: 3-line block ×15, first 2 shown]
	s_delay_alu instid0(VALU_DEP_2) | instskip(NEXT) | instid1(VALU_DEP_2)
	v_cvt_f32_i32_e32 v69, v69
	v_cvt_f32_i32_e32 v3, v3
	s_delay_alu instid0(VALU_DEP_2) | instskip(NEXT) | instid1(VALU_DEP_2)
	v_fma_mix_f32 v69, v4, v69, -v68 op_sel_hi:[1,0,0]
	v_fma_mix_f32 v3, v4, v3, -v68 op_sel_hi:[1,0,0]
	s_delay_alu instid0(VALU_DEP_1)
	v_dual_fmac_f32 v22, v155, v69 :: v_dual_fmac_f32 v21, v122, v3
	ds_load_b128 v[47:50], v116 offset:4096
	ds_load_b128 v[57:60], v116 offset:4112
	ds_load_2addr_b32 v[3:4], v115 offset0:128 offset1:160
	s_waitcnt lgkmcnt(2)
	v_bfe_i32 v25, v47, 0, 8
	v_bfe_i32 v26, v47, 8, 8
	;; [unrolled: 1-line block ×3, first 2 shown]
	s_waitcnt lgkmcnt(1)
	v_bfe_i32 v40, v57, 0, 8
	v_ashrrev_i32_e32 v39, 24, v47
	v_mul_i32_i24_e32 v70, v25, v224
	v_bfe_i32 v45, v48, 0, 8
	v_mul_i32_i24_e32 v71, v26, v225
	v_mul_i32_i24_e32 v72, v30, v227
	v_bfe_i32 v41, v57, 8, 8
	v_mad_i32_i24 v70, v40, v222, v70
	v_bfe_i32 v43, v57, 16, 8
	v_mul_i32_i24_e32 v73, v39, v228
	v_mul_i32_i24_e32 v78, v45, v231
	v_ashrrev_i32_e32 v44, 24, v57
	v_add3_u32 v70, v70, v71, v72
	v_bfe_i32 v51, v58, 0, 8
	v_mul_i32_i24_e32 v75, v41, v229
	v_mul_i32_i24_e32 v76, v43, v223
	v_bfe_i32 v46, v48, 8, 8
	v_add3_u32 v70, v70, v73, v78
	v_bfe_i32 v47, v48, 16, 8
	v_mul_i32_i24_e32 v77, v44, v230
	v_mul_i32_i24_e32 v82, v51, v236
	v_ashrrev_i32_e32 v48, 24, v48
	v_add3_u32 v70, v70, v75, v76
	v_bfe_i32 v55, v49, 0, 8
	v_mul_i32_i24_e32 v79, v46, v232
	v_mul_i32_i24_e32 v80, v47, v233
	v_bfe_i32 v52, v58, 8, 8
	v_add3_u32 v70, v70, v77, v82
	;; [unrolled: 10-line block ×6, first 2 shown]
	v_ashrrev_i32_e32 v60, 24, v60
	v_mul_i32_i24_e32 v111, v50, v250
	v_mul_i32_i24_e32 v113, v67, v252
	s_waitcnt lgkmcnt(0)
	v_lshrrev_b32_e32 v69, 16, v3
	v_add3_u32 v70, v70, v109, v110
	v_mul_i32_i24_e32 v254, v68, v241
	v_mul_i32_i24_e32 v255, v60, v253
	;; [unrolled: 1-line block ×3, first 2 shown]
	v_cvt_f32_f16_e32 v69, v69
	v_add3_u32 v70, v70, v111, v113
	v_mul_i32_i24_e32 v72, v30, v194
	v_mul_i32_i24_e32 v73, v39, v195
	v_mul_i32_i24_e32 v78, v45, v199
	v_mul_f32_e32 v69, 0x41000000, v69
	v_add3_u32 v70, v70, v254, v255
	v_mul_i32_i24_e32 v75, v41, v196
	v_mul_i32_i24_e32 v76, v43, v190
	;; [unrolled: 1-line block ×4, first 2 shown]
	v_cvt_f32_i32_e32 v70, v70
	v_mul_i32_i24_e32 v79, v46, v200
	v_mul_i32_i24_e32 v80, v47, v201
	;; [unrolled: 1-line block ×4, first 2 shown]
	v_fma_mix_f32 v70, v3, v70, -v69 op_sel_hi:[1,0,0]
	v_mul_i32_i24_e32 v84, v52, v205
	v_mul_i32_i24_e32 v85, v53, v193
	;; [unrolled: 1-line block ×4, first 2 shown]
	v_fmac_f32_e32 v20, v197, v70
	v_mul_i32_i24_e32 v70, v25, v191
	v_mul_i32_i24_e32 v99, v56, v208
	;; [unrolled: 1-line block ×5, first 2 shown]
	v_mad_i32_i24 v70, v40, v189, v70
	v_mul_i32_i24_e32 v105, v61, v213
	v_mul_i32_i24_e32 v106, v62, v203
	v_mul_i32_i24_e32 v107, v59, v214
	v_mul_i32_i24_e32 v112, v66, v219
	v_add3_u32 v70, v70, v71, v72
	v_mul_i32_i24_e32 v109, v64, v216
	v_mul_i32_i24_e32 v110, v65, v217
	v_mul_i32_i24_e32 v111, v50, v218
	v_mul_i32_i24_e32 v113, v67, v220
	v_add3_u32 v70, v70, v73, v78
	;; [unrolled: 5-line block ×15, first 2 shown]
	v_mul_i32_i24_e32 v64, v64, v149
	v_mul_i32_i24_e32 v65, v65, v150
	;; [unrolled: 1-line block ×4, first 2 shown]
	v_cvt_f32_i32_e32 v70, v70
	v_mul_i32_i24_e32 v50, v50, v151
	v_mul_i32_i24_e32 v67, v67, v153
	v_mul_i32_i24_e32 v254, v68, v175
	v_mul_i32_i24_e32 v255, v60, v187
	v_fma_mix_f32 v70, v3, v70, -v69 op_sel_hi:[1,0,0]
	v_mul_i32_i24_e32 v68, v68, v142
	v_mul_i32_i24_e32 v60, v60, v154
	s_delay_alu instid0(VALU_DEP_3) | instskip(SKIP_2) | instid1(VALU_DEP_2)
	v_fmac_f32_e32 v19, v188, v70
	v_mul_i32_i24_e32 v70, v25, v158
	v_mul_i32_i24_e32 v25, v25, v125
	v_mad_i32_i24 v70, v40, v156, v70
	s_delay_alu instid0(VALU_DEP_2) | instskip(NEXT) | instid1(VALU_DEP_2)
	v_mad_i32_i24 v25, v40, v123, v25
	v_add3_u32 v70, v70, v71, v72
	s_delay_alu instid0(VALU_DEP_2) | instskip(NEXT) | instid1(VALU_DEP_2)
	v_add3_u32 v25, v25, v26, v30
	v_add3_u32 v70, v70, v73, v78
	s_delay_alu instid0(VALU_DEP_2) | instskip(NEXT) | instid1(VALU_DEP_2)
	v_add3_u32 v25, v25, v39, v45
	;; [unrolled: 3-line block ×14, first 2 shown]
	v_add3_u32 v70, v70, v254, v255
	s_delay_alu instid0(VALU_DEP_2)
	v_add3_u32 v25, v25, v68, v60
	ds_load_b128 v[47:50], v116 offset:5120
	ds_load_b128 v[57:60], v116 offset:5136
	v_lshrrev_b32_e32 v68, 16, v4
	v_cvt_f32_i32_e32 v70, v70
	v_cvt_f32_i32_e32 v25, v25
	s_delay_alu instid0(VALU_DEP_3) | instskip(NEXT) | instid1(VALU_DEP_3)
	v_cvt_f32_f16_e32 v68, v68
	v_fma_mix_f32 v70, v3, v70, -v69 op_sel_hi:[1,0,0]
	s_delay_alu instid0(VALU_DEP_3) | instskip(NEXT) | instid1(VALU_DEP_3)
	v_fma_mix_f32 v3, v3, v25, -v69 op_sel_hi:[1,0,0]
	v_mul_f32_e32 v68, 0x41000000, v68
	s_delay_alu instid0(VALU_DEP_2)
	v_dual_fmac_f32 v18, v155, v70 :: v_dual_fmac_f32 v17, v122, v3
	s_waitcnt lgkmcnt(1)
	v_bfe_i32 v3, v47, 0, 8
	v_bfe_i32 v25, v47, 8, 8
	;; [unrolled: 1-line block ×3, first 2 shown]
	s_waitcnt lgkmcnt(0)
	v_bfe_i32 v39, v57, 0, 8
	v_ashrrev_i32_e32 v30, 24, v47
	v_mul_i32_i24_e32 v69, v3, v224
	v_bfe_i32 v44, v48, 0, 8
	v_mul_i32_i24_e32 v70, v25, v225
	v_mul_i32_i24_e32 v71, v26, v227
	v_bfe_i32 v40, v57, 8, 8
	v_mad_i32_i24 v69, v39, v222, v69
	v_bfe_i32 v41, v57, 16, 8
	v_mul_i32_i24_e32 v72, v30, v228
	v_mul_i32_i24_e32 v77, v44, v231
	v_ashrrev_i32_e32 v43, 24, v57
	v_add3_u32 v69, v69, v70, v71
	v_bfe_i32 v45, v48, 8, 8
	v_bfe_i32 v46, v48, 16, 8
	v_ashrrev_i32_e32 v47, 24, v48
	v_bfe_i32 v48, v58, 0, 8
	v_mul_i32_i24_e32 v73, v40, v229
	v_mul_i32_i24_e32 v75, v41, v223
	v_add3_u32 v69, v69, v72, v77
	v_mul_i32_i24_e32 v76, v43, v230
	v_mul_i32_i24_e32 v81, v48, v236
	v_bfe_i32 v54, v49, 0, 8
	v_mul_i32_i24_e32 v78, v45, v232
	v_add3_u32 v69, v69, v73, v75
	v_mul_i32_i24_e32 v79, v46, v233
	v_bfe_i32 v51, v58, 8, 8
	v_bfe_i32 v52, v58, 16, 8
	v_mul_i32_i24_e32 v80, v47, v235
	v_add3_u32 v69, v69, v76, v81
	v_mul_i32_i24_e32 v97, v54, v239
	v_ashrrev_i32_e32 v53, 24, v58
	v_bfe_i32 v57, v59, 0, 8
	v_mul_i32_i24_e32 v82, v51, v237
	v_add3_u32 v69, v69, v78, v79
	v_mul_i32_i24_e32 v84, v52, v226
	v_bfe_i32 v55, v49, 8, 8
	v_bfe_i32 v56, v49, 16, 8
	v_mul_i32_i24_e32 v85, v53, v238
	v_add3_u32 v69, v69, v80, v97
	v_mul_i32_i24_e32 v101, v57, v244
	v_ashrrev_i32_e32 v49, 24, v49
	;; [unrolled: 10-line block ×4, first 2 shown]
	v_bfe_i32 v66, v60, 8, 8
	v_mul_i32_i24_e32 v108, v63, v248
	v_add3_u32 v69, v69, v102, v105
	v_mul_i32_i24_e32 v109, v64, v249
	v_bfe_i32 v67, v60, 16, 8
	v_ashrrev_i32_e32 v60, 24, v60
	v_mul_i32_i24_e32 v110, v50, v250
	v_add3_u32 v69, v69, v106, v111
	v_mul_i32_i24_e32 v112, v66, v252
	v_mul_i32_i24_e32 v113, v67, v241
	v_mul_i32_i24_e32 v254, v60, v253
	v_mul_i32_i24_e32 v70, v25, v192
	v_add3_u32 v69, v69, v108, v109
	v_mul_i32_i24_e32 v71, v26, v194
	v_mul_i32_i24_e32 v72, v30, v195
	v_mul_i32_i24_e32 v77, v44, v199
	;; [unrolled: 5-line block ×4, first 2 shown]
	v_mul_i32_i24_e32 v82, v51, v205
	v_cvt_f32_i32_e32 v69, v69
	v_mul_i32_i24_e32 v84, v52, v193
	v_mul_i32_i24_e32 v85, v53, v206
	;; [unrolled: 1-line block ×4, first 2 shown]
	v_fma_mix_f32 v69, v4, v69, -v68 op_sel_hi:[1,0,0]
	v_mul_i32_i24_e32 v99, v56, v210
	v_mul_i32_i24_e32 v100, v49, v211
	;; [unrolled: 1-line block ×4, first 2 shown]
	v_fmac_f32_e32 v16, v197, v69
	v_mul_i32_i24_e32 v69, v3, v191
	v_mul_i32_i24_e32 v105, v61, v203
	;; [unrolled: 1-line block ×5, first 2 shown]
	v_mad_i32_i24 v69, v39, v189, v69
	v_mul_i32_i24_e32 v109, v64, v217
	v_mul_i32_i24_e32 v110, v50, v218
	v_mul_i32_i24_e32 v112, v66, v220
	v_mul_i32_i24_e32 v113, v67, v209
	v_add3_u32 v69, v69, v70, v71
	v_mul_i32_i24_e32 v254, v60, v221
	v_mul_i32_i24_e32 v70, v25, v159
	v_mul_i32_i24_e32 v71, v26, v161
	v_mul_i32_i24_e32 v25, v25, v126
	v_add3_u32 v69, v69, v72, v77
	v_mul_i32_i24_e32 v26, v26, v128
	v_mul_i32_i24_e32 v72, v30, v162
	v_mul_i32_i24_e32 v77, v44, v165
	v_mul_i32_i24_e32 v30, v30, v129
	v_add3_u32 v69, v69, v73, v75
	v_mul_i32_i24_e32 v44, v44, v132
	v_mul_i32_i24_e32 v73, v40, v163
	v_mul_i32_i24_e32 v75, v41, v157
	v_mul_i32_i24_e32 v40, v40, v130
	v_add3_u32 v69, v69, v76, v81
	v_mul_i32_i24_e32 v41, v41, v124
	v_mul_i32_i24_e32 v76, v43, v164
	v_mul_i32_i24_e32 v81, v48, v170
	v_mul_i32_i24_e32 v43, v43, v131
	v_add3_u32 v69, v69, v78, v79
	v_mul_i32_i24_e32 v48, v48, v137
	v_mul_i32_i24_e32 v78, v45, v166
	v_mul_i32_i24_e32 v79, v46, v167
	v_mul_i32_i24_e32 v45, v45, v133
	v_add3_u32 v69, v69, v80, v97
	v_mul_i32_i24_e32 v46, v46, v134
	v_mul_i32_i24_e32 v80, v47, v168
	v_mul_i32_i24_e32 v97, v54, v173
	v_mul_i32_i24_e32 v47, v47, v135
	v_add3_u32 v69, v69, v82, v84
	v_mul_i32_i24_e32 v54, v54, v140
	v_mul_i32_i24_e32 v82, v51, v171
	v_mul_i32_i24_e32 v84, v52, v160
	v_mul_i32_i24_e32 v51, v51, v138
	v_add3_u32 v69, v69, v85, v101
	v_mul_i32_i24_e32 v52, v52, v127
	v_mul_i32_i24_e32 v85, v53, v172
	v_mul_i32_i24_e32 v101, v57, v178
	v_mul_i32_i24_e32 v53, v53, v139
	v_add3_u32 v69, v69, v98, v99
	v_mul_i32_i24_e32 v57, v57, v145
	v_mul_i32_i24_e32 v98, v55, v174
	v_mul_i32_i24_e32 v99, v56, v176
	v_mul_i32_i24_e32 v55, v55, v141
	v_add3_u32 v69, v69, v100, v107
	v_mul_i32_i24_e32 v56, v56, v143
	v_mul_i32_i24_e32 v100, v49, v177
	v_mul_i32_i24_e32 v107, v62, v181
	v_mul_i32_i24_e32 v49, v49, v144
	v_add3_u32 v69, v69, v102, v105
	v_mul_i32_i24_e32 v62, v62, v148
	v_mul_i32_i24_e32 v102, v58, v179
	v_mul_i32_i24_e32 v105, v61, v169
	v_mul_i32_i24_e32 v58, v58, v146
	v_add3_u32 v69, v69, v106, v111
	v_mul_i32_i24_e32 v61, v61, v136
	v_mul_i32_i24_e32 v106, v59, v180
	v_mul_i32_i24_e32 v111, v65, v185
	v_mul_i32_i24_e32 v59, v59, v147
	v_add3_u32 v69, v69, v108, v109
	v_mul_i32_i24_e32 v65, v65, v152
	v_mul_i32_i24_e32 v108, v63, v182
	v_mul_i32_i24_e32 v109, v64, v183
	v_mul_i32_i24_e32 v63, v63, v149
	v_add3_u32 v69, v69, v110, v112
	v_mul_i32_i24_e32 v64, v64, v150
	v_mul_i32_i24_e32 v110, v50, v184
	v_mul_i32_i24_e32 v112, v66, v186
	v_mul_i32_i24_e32 v50, v50, v151
	v_add3_u32 v69, v69, v113, v254
	v_mul_i32_i24_e32 v66, v66, v153
	v_mul_i32_i24_e32 v113, v67, v175
	;; [unrolled: 1-line block ×4, first 2 shown]
	v_cvt_f32_i32_e32 v69, v69
	v_mul_i32_i24_e32 v60, v60, v154
	s_delay_alu instid0(VALU_DEP_2) | instskip(NEXT) | instid1(VALU_DEP_1)
	v_fma_mix_f32 v69, v4, v69, -v68 op_sel_hi:[1,0,0]
	v_fmac_f32_e32 v15, v188, v69
	v_mul_i32_i24_e32 v69, v3, v158
	v_mul_i32_i24_e32 v3, v3, v125
	s_delay_alu instid0(VALU_DEP_2) | instskip(NEXT) | instid1(VALU_DEP_2)
	v_mad_i32_i24 v69, v39, v156, v69
	v_mad_i32_i24 v3, v39, v123, v3
	s_delay_alu instid0(VALU_DEP_2) | instskip(NEXT) | instid1(VALU_DEP_2)
	v_add3_u32 v69, v69, v70, v71
	v_add3_u32 v3, v3, v25, v26
	s_delay_alu instid0(VALU_DEP_2) | instskip(NEXT) | instid1(VALU_DEP_2)
	v_add3_u32 v69, v69, v72, v77
	v_add3_u32 v3, v3, v30, v44
	;; [unrolled: 3-line block ×15, first 2 shown]
	s_delay_alu instid0(VALU_DEP_2) | instskip(NEXT) | instid1(VALU_DEP_2)
	v_cvt_f32_i32_e32 v69, v69
	v_cvt_f32_i32_e32 v3, v3
	s_delay_alu instid0(VALU_DEP_2) | instskip(NEXT) | instid1(VALU_DEP_2)
	v_fma_mix_f32 v69, v4, v69, -v68 op_sel_hi:[1,0,0]
	v_fma_mix_f32 v3, v4, v3, -v68 op_sel_hi:[1,0,0]
	s_delay_alu instid0(VALU_DEP_1)
	v_dual_fmac_f32 v14, v155, v69 :: v_dual_fmac_f32 v13, v122, v3
	ds_load_b128 v[47:50], v116 offset:6144
	ds_load_b128 v[57:60], v116 offset:6160
	ds_load_2addr_b32 v[3:4], v115 offset0:192 offset1:224
	v_add_nc_u32_e32 v115, 4, v115
	s_waitcnt lgkmcnt(2)
	v_bfe_i32 v25, v47, 0, 8
	v_bfe_i32 v26, v47, 8, 8
	;; [unrolled: 1-line block ×3, first 2 shown]
	s_waitcnt lgkmcnt(1)
	v_bfe_i32 v40, v57, 0, 8
	v_ashrrev_i32_e32 v39, 24, v47
	v_mul_i32_i24_e32 v70, v25, v224
	v_bfe_i32 v45, v48, 0, 8
	v_mul_i32_i24_e32 v71, v26, v225
	v_mul_i32_i24_e32 v72, v30, v227
	v_bfe_i32 v41, v57, 8, 8
	v_mad_i32_i24 v70, v40, v222, v70
	v_bfe_i32 v43, v57, 16, 8
	v_mul_i32_i24_e32 v73, v39, v228
	v_mul_i32_i24_e32 v78, v45, v231
	v_ashrrev_i32_e32 v44, 24, v57
	v_add3_u32 v70, v70, v71, v72
	v_bfe_i32 v51, v58, 0, 8
	v_mul_i32_i24_e32 v75, v41, v229
	v_mul_i32_i24_e32 v76, v43, v223
	v_bfe_i32 v46, v48, 8, 8
	v_add3_u32 v70, v70, v73, v78
	v_bfe_i32 v47, v48, 16, 8
	v_mul_i32_i24_e32 v77, v44, v230
	v_mul_i32_i24_e32 v82, v51, v236
	v_ashrrev_i32_e32 v48, 24, v48
	v_add3_u32 v70, v70, v75, v76
	v_bfe_i32 v55, v49, 0, 8
	v_mul_i32_i24_e32 v79, v46, v232
	v_mul_i32_i24_e32 v80, v47, v233
	v_bfe_i32 v52, v58, 8, 8
	v_add3_u32 v70, v70, v77, v82
	;; [unrolled: 10-line block ×6, first 2 shown]
	v_ashrrev_i32_e32 v60, 24, v60
	v_mul_i32_i24_e32 v111, v50, v250
	v_mul_i32_i24_e32 v113, v67, v252
	s_waitcnt lgkmcnt(0)
	v_lshrrev_b32_e32 v69, 16, v3
	v_add3_u32 v70, v70, v109, v110
	v_mul_i32_i24_e32 v254, v68, v241
	v_mul_i32_i24_e32 v255, v60, v253
	;; [unrolled: 1-line block ×3, first 2 shown]
	v_cvt_f32_f16_e32 v69, v69
	v_add3_u32 v70, v70, v111, v113
	v_mul_i32_i24_e32 v72, v30, v194
	v_mul_i32_i24_e32 v73, v39, v195
	;; [unrolled: 1-line block ×3, first 2 shown]
	v_mul_f32_e32 v69, 0x41000000, v69
	v_add3_u32 v70, v70, v254, v255
	v_mul_i32_i24_e32 v75, v41, v196
	v_mul_i32_i24_e32 v76, v43, v190
	;; [unrolled: 1-line block ×4, first 2 shown]
	v_cvt_f32_i32_e32 v70, v70
	v_mul_i32_i24_e32 v79, v46, v200
	v_mul_i32_i24_e32 v80, v47, v201
	;; [unrolled: 1-line block ×4, first 2 shown]
	v_fma_mix_f32 v70, v3, v70, -v69 op_sel_hi:[1,0,0]
	v_mul_i32_i24_e32 v84, v52, v205
	v_mul_i32_i24_e32 v85, v53, v193
	;; [unrolled: 1-line block ×4, first 2 shown]
	v_fmac_f32_e32 v12, v197, v70
	v_mul_i32_i24_e32 v70, v25, v191
	v_mul_i32_i24_e32 v99, v56, v208
	;; [unrolled: 1-line block ×5, first 2 shown]
	v_mad_i32_i24 v70, v40, v189, v70
	v_mul_i32_i24_e32 v105, v61, v213
	v_mul_i32_i24_e32 v106, v62, v203
	v_mul_i32_i24_e32 v107, v59, v214
	v_mul_i32_i24_e32 v112, v66, v219
	v_add3_u32 v70, v70, v71, v72
	v_mul_i32_i24_e32 v109, v64, v216
	v_mul_i32_i24_e32 v110, v65, v217
	v_mul_i32_i24_e32 v111, v50, v218
	v_mul_i32_i24_e32 v113, v67, v220
	v_add3_u32 v70, v70, v73, v78
	;; [unrolled: 5-line block ×15, first 2 shown]
	v_mul_i32_i24_e32 v254, v68, v175
	v_mul_i32_i24_e32 v255, v60, v187
	;; [unrolled: 1-line block ×4, first 2 shown]
	v_cvt_f32_i32_e32 v70, v70
	v_mul_i32_i24_e32 v64, v64, v149
	v_mul_i32_i24_e32 v65, v65, v150
	;; [unrolled: 1-line block ×4, first 2 shown]
	v_fma_mix_f32 v70, v3, v70, -v69 op_sel_hi:[1,0,0]
	v_mul_i32_i24_e32 v68, v68, v142
	v_mul_i32_i24_e32 v60, v60, v154
	s_delay_alu instid0(VALU_DEP_3) | instskip(SKIP_1) | instid1(VALU_DEP_1)
	v_fmac_f32_e32 v11, v188, v70
	v_mul_i32_i24_e32 v70, v25, v158
	v_mad_i32_i24 v70, v40, v156, v70
	s_delay_alu instid0(VALU_DEP_1) | instskip(NEXT) | instid1(VALU_DEP_1)
	v_add3_u32 v70, v70, v71, v72
	v_add3_u32 v70, v70, v73, v78
	s_delay_alu instid0(VALU_DEP_1) | instskip(NEXT) | instid1(VALU_DEP_1)
	v_add3_u32 v70, v70, v75, v76
	v_add3_u32 v70, v70, v77, v82
	s_delay_alu instid0(VALU_DEP_1) | instskip(NEXT) | instid1(VALU_DEP_1)
	v_add3_u32 v70, v70, v79, v80
	v_add3_u32 v70, v70, v81, v98
	s_delay_alu instid0(VALU_DEP_1) | instskip(NEXT) | instid1(VALU_DEP_1)
	v_add3_u32 v70, v70, v84, v85
	v_add3_u32 v70, v70, v97, v102
	s_delay_alu instid0(VALU_DEP_1) | instskip(NEXT) | instid1(VALU_DEP_1)
	v_add3_u32 v70, v70, v99, v100
	v_add3_u32 v70, v70, v101, v108
	s_delay_alu instid0(VALU_DEP_1) | instskip(NEXT) | instid1(VALU_DEP_1)
	v_add3_u32 v70, v70, v105, v106
	v_add3_u32 v70, v70, v107, v112
	s_delay_alu instid0(VALU_DEP_1) | instskip(NEXT) | instid1(VALU_DEP_1)
	v_add3_u32 v70, v70, v109, v110
	v_add3_u32 v70, v70, v111, v113
	ds_load_b128 v[109:112], v116 offset:7168
	ds_load_b128 v[99:102], v116 offset:7184
	v_add_nc_u32_e32 v116, 32, v116
	v_add3_u32 v70, v70, v254, v255
	s_delay_alu instid0(VALU_DEP_1) | instskip(NEXT) | instid1(VALU_DEP_1)
	v_cvt_f32_i32_e32 v70, v70
	v_fma_mix_f32 v70, v3, v70, -v69 op_sel_hi:[1,0,0]
	s_delay_alu instid0(VALU_DEP_1)
	v_fmac_f32_e32 v10, v155, v70
	v_mul_i32_i24_e32 v25, v25, v125
	s_waitcnt lgkmcnt(1)
	v_bfe_i32 v255, v109, 0, 8
	s_waitcnt lgkmcnt(0)
	v_bfe_i32 v254, v99, 0, 8
	v_ashrrev_i32_e32 v98, 24, v109
	v_bfe_i32 v108, v110, 0, 8
	v_mad_i32_i24 v25, v40, v123, v25
	v_bfe_i32 v105, v99, 8, 8
	v_bfe_i32 v106, v99, 16, 8
	v_ashrrev_i32_e32 v107, 24, v99
	v_bfe_i32 v85, v102, 0, 8
	v_add3_u32 v25, v25, v26, v30
	v_bfe_i32 v26, v109, 16, 8
	v_bfe_i32 v30, v110, 16, 8
	v_ashrrev_i32_e32 v84, 24, v112
	v_mul_i32_i24_e32 v99, v85, v251
	v_add3_u32 v25, v25, v39, v45
	v_mul_i32_i24_e32 v39, v255, v224
	v_mul_i32_i24_e32 v45, v105, v229
	;; [unrolled: 1-line block ×4, first 2 shown]
	v_add3_u32 v25, v25, v41, v43
	v_mul_i32_i24_e32 v41, v26, v227
	v_mad_i32_i24 v39, v254, v222, v39
	v_ashrrev_i32_e32 v43, 24, v110
	s_delay_alu instid0(VALU_DEP_4) | instskip(SKIP_2) | instid1(VALU_DEP_3)
	v_add3_u32 v25, v25, v44, v51
	v_mul_i32_i24_e32 v44, v98, v228
	v_mul_i32_i24_e32 v51, v107, v230
	v_add3_u32 v25, v25, v46, v47
	v_bfe_i32 v47, v100, 0, 8
	v_mul_i32_i24_e32 v46, v106, v223
	s_delay_alu instid0(VALU_DEP_3) | instskip(SKIP_2) | instid1(VALU_DEP_3)
	v_add3_u32 v25, v25, v48, v55
	v_bfe_i32 v48, v100, 8, 8
	v_bfe_i32 v55, v111, 16, 8
	v_add3_u32 v25, v25, v52, v53
	v_mul_i32_i24_e32 v52, v108, v231
	v_bfe_i32 v53, v111, 0, 8
	s_delay_alu instid0(VALU_DEP_4) | instskip(NEXT) | instid1(VALU_DEP_4)
	v_mul_i32_i24_e32 v73, v55, v242
	v_add3_u32 v25, v25, v54, v58
	v_bfe_i32 v58, v101, 0, 8
	s_delay_alu instid0(VALU_DEP_4) | instskip(SKIP_1) | instid1(VALU_DEP_4)
	v_mul_i32_i24_e32 v71, v53, v239
	v_bfe_i32 v54, v111, 8, 8
	v_add3_u32 v25, v25, v56, v57
	s_delay_alu instid0(VALU_DEP_4) | instskip(SKIP_1) | instid1(VALU_DEP_4)
	v_mul_i32_i24_e32 v76, v58, v244
	v_ashrrev_i32_e32 v57, 24, v111
	v_mul_i32_i24_e32 v72, v54, v240
	v_bfe_i32 v111, v102, 16, 8
	v_add3_u32 v25, v25, v49, v63
	v_bfe_i32 v49, v100, 16, 8
	v_bfe_i32 v63, v112, 0, 8
	v_mul_i32_i24_e32 v75, v57, v243
	s_delay_alu instid0(VALU_DEP_4) | instskip(SKIP_1) | instid1(VALU_DEP_4)
	v_add3_u32 v25, v25, v61, v62
	v_mul_i32_i24_e32 v61, v30, v233
	v_mul_i32_i24_e32 v80, v63, v247
	v_ashrrev_i32_e32 v62, 24, v101
	s_delay_alu instid0(VALU_DEP_4) | instskip(SKIP_2) | instid1(VALU_DEP_4)
	v_add3_u32 v25, v25, v59, v66
	v_mul_i32_i24_e32 v66, v43, v235
	v_bfe_i32 v59, v101, 8, 8
	v_mul_i32_i24_e32 v79, v62, v246
	s_delay_alu instid0(VALU_DEP_4) | instskip(SKIP_1) | instid1(VALU_DEP_4)
	v_add3_u32 v25, v25, v64, v65
	v_bfe_i32 v64, v112, 8, 8
	v_mul_i32_i24_e32 v77, v59, v245
	v_bfe_i32 v65, v112, 16, 8
	v_ashrrev_i32_e32 v112, 24, v102
	v_add3_u32 v25, v25, v50, v67
	v_mul_i32_i24_e32 v67, v47, v236
	v_ashrrev_i32_e32 v50, 24, v100
	v_mul_i32_i24_e32 v81, v64, v248
	v_mul_i32_i24_e32 v82, v65, v249
	v_add3_u32 v25, v25, v68, v60
	v_mul_i32_i24_e32 v68, v48, v237
	v_mul_i32_i24_e32 v70, v50, v238
	v_bfe_i32 v60, v101, 16, 8
	v_mul_i32_i24_e32 v101, v111, v241
	v_cvt_f32_i32_e32 v25, v25
	s_delay_alu instid0(VALU_DEP_3) | instskip(NEXT) | instid1(VALU_DEP_2)
	v_mul_i32_i24_e32 v78, v60, v234
	v_fma_mix_f32 v3, v3, v25, -v69 op_sel_hi:[1,0,0]
	v_bfe_i32 v25, v109, 8, 8
	v_bfe_i32 v109, v110, 8, 8
	v_mul_i32_i24_e32 v69, v49, v226
	v_bfe_i32 v110, v102, 8, 8
	v_fmac_f32_e32 v9, v122, v3
	v_mul_i32_i24_e32 v40, v25, v225
	v_mul_i32_i24_e32 v56, v109, v232
	v_lshrrev_b32_e32 v3, 16, v4
	v_mul_i32_i24_e32 v100, v110, v252
	v_mul_i32_i24_e32 v102, v112, v253
	v_add3_u32 v39, v39, v40, v41
	v_mul_i32_i24_e32 v40, v25, v192
	v_cvt_f32_f16_e32 v3, v3
	v_mul_i32_i24_e32 v41, v26, v194
	s_delay_alu instid0(VALU_DEP_4) | instskip(SKIP_1) | instid1(VALU_DEP_4)
	v_add3_u32 v39, v39, v44, v52
	v_mul_i32_i24_e32 v44, v98, v195
	v_mul_f32_e32 v3, 0x41000000, v3
	v_mul_i32_i24_e32 v52, v108, v199
	s_delay_alu instid0(VALU_DEP_4) | instskip(SKIP_2) | instid1(VALU_DEP_3)
	v_add3_u32 v39, v39, v45, v46
	v_mul_i32_i24_e32 v45, v105, v196
	v_mul_i32_i24_e32 v46, v106, v190
	v_add3_u32 v39, v39, v51, v67
	v_mul_i32_i24_e32 v51, v107, v198
	v_mul_i32_i24_e32 v67, v47, v204
	s_delay_alu instid0(VALU_DEP_3) | instskip(SKIP_2) | instid1(VALU_DEP_3)
	v_add3_u32 v39, v39, v56, v61
	v_mul_i32_i24_e32 v56, v109, v200
	v_mul_i32_i24_e32 v61, v30, v201
	v_add3_u32 v39, v39, v66, v71
	v_mul_i32_i24_e32 v66, v43, v202
	v_mul_i32_i24_e32 v71, v53, v207
	s_delay_alu instid0(VALU_DEP_3) | instskip(SKIP_2) | instid1(VALU_DEP_3)
	;; [unrolled: 7-line block ×6, first 2 shown]
	v_add3_u32 v39, v39, v101, v102
	v_mul_i32_i24_e32 v101, v111, v209
	v_mul_i32_i24_e32 v102, v112, v221
	v_cvt_f32_i32_e32 v39, v39
	s_delay_alu instid0(VALU_DEP_1) | instskip(NEXT) | instid1(VALU_DEP_1)
	v_fma_mix_f32 v39, v4, v39, -v3 op_sel_hi:[1,0,0]
	v_fmac_f32_e32 v8, v197, v39
	v_mul_i32_i24_e32 v39, v255, v191
	s_delay_alu instid0(VALU_DEP_1) | instskip(NEXT) | instid1(VALU_DEP_1)
	v_mad_i32_i24 v39, v254, v189, v39
	v_add3_u32 v39, v39, v40, v41
	v_mul_i32_i24_e32 v40, v25, v159
	v_mul_i32_i24_e32 v41, v26, v161
	s_delay_alu instid0(VALU_DEP_3) | instskip(SKIP_2) | instid1(VALU_DEP_3)
	v_add3_u32 v39, v39, v44, v52
	v_mul_i32_i24_e32 v44, v98, v162
	v_mul_i32_i24_e32 v52, v108, v165
	v_add3_u32 v39, v39, v45, v46
	v_mul_i32_i24_e32 v45, v105, v163
	v_mul_i32_i24_e32 v46, v106, v157
	;; [unrolled: 1-line block ×3, first 2 shown]
	s_delay_alu instid0(VALU_DEP_4) | instskip(SKIP_2) | instid1(VALU_DEP_3)
	v_add3_u32 v39, v39, v51, v67
	v_mul_i32_i24_e32 v51, v107, v164
	v_mul_i32_i24_e32 v67, v47, v170
	v_add3_u32 v39, v39, v56, v61
	v_mul_i32_i24_e32 v56, v109, v166
	v_mul_i32_i24_e32 v61, v30, v167
	s_delay_alu instid0(VALU_DEP_3) | instskip(SKIP_2) | instid1(VALU_DEP_3)
	v_add3_u32 v39, v39, v66, v71
	v_mul_i32_i24_e32 v66, v43, v168
	v_mul_i32_i24_e32 v71, v53, v173
	v_add3_u32 v39, v39, v68, v69
	v_mul_i32_i24_e32 v68, v48, v171
	v_mul_i32_i24_e32 v69, v49, v160
	s_delay_alu instid0(VALU_DEP_3) | instskip(SKIP_3) | instid1(VALU_DEP_4)
	v_add3_u32 v39, v39, v70, v76
	v_mul_i32_i24_e32 v70, v50, v172
	v_mul_i32_i24_e32 v76, v58, v178
	;; [unrolled: 1-line block ×3, first 2 shown]
	v_add3_u32 v39, v39, v72, v73
	v_mul_i32_i24_e32 v72, v54, v174
	v_mul_i32_i24_e32 v73, v55, v176
	v_mul_i32_i24_e32 v55, v57, v144
	s_delay_alu instid0(VALU_DEP_4) | instskip(SKIP_3) | instid1(VALU_DEP_4)
	v_add3_u32 v39, v39, v75, v80
	v_mul_i32_i24_e32 v75, v57, v177
	v_mul_i32_i24_e32 v80, v63, v181
	;; [unrolled: 1-line block ×3, first 2 shown]
	v_add3_u32 v39, v39, v77, v78
	v_mul_i32_i24_e32 v77, v59, v179
	v_mul_i32_i24_e32 v78, v60, v169
	s_delay_alu instid0(VALU_DEP_3) | instskip(SKIP_2) | instid1(VALU_DEP_3)
	v_add3_u32 v39, v39, v79, v99
	v_mul_i32_i24_e32 v79, v62, v180
	v_mul_i32_i24_e32 v99, v85, v185
	v_add3_u32 v39, v39, v81, v82
	v_mul_i32_i24_e32 v81, v64, v182
	v_mul_i32_i24_e32 v82, v65, v183
	s_delay_alu instid0(VALU_DEP_3) | instskip(SKIP_2) | instid1(VALU_DEP_3)
	v_add3_u32 v39, v39, v97, v100
	v_mul_i32_i24_e32 v97, v84, v184
	v_mul_i32_i24_e32 v100, v110, v186
	v_add3_u32 v39, v39, v101, v102
	v_mul_i32_i24_e32 v101, v111, v175
	v_mul_i32_i24_e32 v102, v112, v187
	s_delay_alu instid0(VALU_DEP_3) | instskip(NEXT) | instid1(VALU_DEP_1)
	v_cvt_f32_i32_e32 v39, v39
	v_fma_mix_f32 v39, v4, v39, -v3 op_sel_hi:[1,0,0]
	s_delay_alu instid0(VALU_DEP_1) | instskip(SKIP_1) | instid1(VALU_DEP_1)
	v_fmac_f32_e32 v7, v188, v39
	v_mul_i32_i24_e32 v39, v255, v158
	v_mad_i32_i24 v39, v254, v156, v39
	s_delay_alu instid0(VALU_DEP_1)
	v_add3_u32 v39, v39, v40, v41
	v_mul_i32_i24_e32 v40, v25, v126
	v_mul_i32_i24_e32 v41, v26, v128
	v_mul_i32_i24_e32 v128, v107, v131
	v_mul_i32_i24_e32 v126, v30, v134
	v_add3_u32 v39, v39, v44, v52
	v_mul_i32_i24_e32 v44, v98, v129
	v_mul_i32_i24_e32 v129, v47, v137
	v_mul_i32_i24_e32 v107, v48, v138
	v_mul_i32_i24_e32 v98, v54, v141
	;; [unrolled: 5-line block ×4, first 2 shown]
	v_add3_u32 v39, v39, v56, v61
	v_mul_i32_i24_e32 v26, v112, v154
	s_delay_alu instid0(VALU_DEP_2) | instskip(NEXT) | instid1(VALU_DEP_1)
	v_add3_u32 v39, v39, v66, v71
	v_add3_u32 v39, v39, v68, v69
	s_delay_alu instid0(VALU_DEP_1) | instskip(NEXT) | instid1(VALU_DEP_1)
	v_add3_u32 v39, v39, v70, v76
	v_add3_u32 v39, v39, v72, v73
	s_delay_alu instid0(VALU_DEP_1) | instskip(NEXT) | instid1(VALU_DEP_1)
	;; [unrolled: 3-line block ×5, first 2 shown]
	v_cvt_f32_i32_e32 v39, v39
	v_fma_mix_f32 v39, v4, v39, -v3 op_sel_hi:[1,0,0]
	s_delay_alu instid0(VALU_DEP_1)
	v_fmac_f32_e32 v6, v155, v39
	v_mul_i32_i24_e32 v39, v255, v125
	v_mul_i32_i24_e32 v155, v106, v124
	;; [unrolled: 1-line block ×5, first 2 shown]
	v_mad_i32_i24 v39, v254, v123, v39
	v_mul_i32_i24_e32 v106, v50, v139
	v_mul_i32_i24_e32 v53, v59, v146
	;; [unrolled: 1-line block ×4, first 2 shown]
	v_add3_u32 v39, v39, v40, v41
	s_delay_alu instid0(VALU_DEP_1) | instskip(NEXT) | instid1(VALU_DEP_1)
	v_add3_u32 v39, v39, v44, v45
	v_add3_u32 v39, v39, v130, v155
	s_delay_alu instid0(VALU_DEP_1) | instskip(NEXT) | instid1(VALU_DEP_1)
	v_add3_u32 v39, v39, v128, v129
	;; [unrolled: 3-line block ×7, first 2 shown]
	v_add3_u32 v25, v30, v25, v26
	s_delay_alu instid0(VALU_DEP_1) | instskip(NEXT) | instid1(VALU_DEP_1)
	v_cvt_f32_i32_e32 v25, v25
	v_fma_mix_f32 v3, v4, v25, -v3 op_sel_hi:[1,0,0]
	s_delay_alu instid0(VALU_DEP_1)
	v_fmac_f32_e32 v5, v122, v3
	s_cbranch_scc1 .LBB157_7
; %bb.8:                                ;   in Loop: Header=BB157_6 Depth=1
	s_or_b32 s12, s11, 4
	s_delay_alu instid0(SALU_CYCLE_1)
	s_cmp_ge_i32 s12, s5
	s_barrier
	buffer_gl0_inv
	s_cbranch_scc1 .LBB157_5
; %bb.9:                                ;   in Loop: Header=BB157_6 Depth=1
	scratch_load_b32 v3, off, off offset:212 ; 4-byte Folded Reload
	s_mov_b32 s12, 12
	s_waitcnt vmcnt(0)
	v_dual_mov_b32 v115, v103 :: v_dual_add_nc_u32 v30, s11, v3
	s_delay_alu instid0(VALU_DEP_1) | instskip(SKIP_3) | instid1(VALU_DEP_4)
	v_add_nc_u32_e32 v40, v30, v88
	v_add_nc_u32_e32 v25, v30, v86
	;; [unrolled: 1-line block ×4, first 2 shown]
	v_mad_i64_i32 v[47:48], null, v40, 36, v[0:1]
	v_add_nc_u32_e32 v40, v30, v91
	s_delay_alu instid0(VALU_DEP_3) | instskip(NEXT) | instid1(VALU_DEP_2)
	v_mad_i64_i32 v[49:50], null, v41, 36, v[0:1]
	v_mad_i64_i32 v[57:58], null, v40, 36, v[0:1]
	v_add_nc_u32_e32 v40, 4, v114
	v_mov_b32_e32 v114, v104
	v_mad_i64_i32 v[3:4], null, v25, 36, v[0:1]
	v_mad_i64_i32 v[25:26], null, v39, 36, v[0:1]
	v_add_nc_u32_e32 v39, v30, v90
	v_mad_u64_u32 v[64:65], null, v40, 36, s[2:3]
	s_delay_alu instid0(VALU_DEP_2) | instskip(SKIP_2) | instid1(VALU_DEP_2)
	v_mad_i64_i32 v[53:54], null, v39, 36, v[0:1]
	v_add_nc_u32_e32 v39, v30, v93
	v_add_nc_u32_e32 v30, v30, v95
	v_mad_i64_i32 v[59:60], null, v39, 36, v[0:1]
	s_delay_alu instid0(VALU_DEP_2)
	v_mad_i64_i32 v[62:63], null, v30, 36, v[0:1]
	s_clause 0x8
	global_load_b32 v3, v[3:4], off offset:4
	global_load_b32 v4, v[25:26], off offset:4
	;; [unrolled: 1-line block ×8, first 2 shown]
	global_load_b32 v43, v[64:65], off
	s_clause 0x5
	scratch_load_b32 v116, off, off offset:232
	scratch_load_b32 v117, off, off offset:228
	;; [unrolled: 1-line block ×5, first 2 shown]
	scratch_load_b32 v44, off, off
	s_waitcnt vmcnt(0)
	ds_store_b32 v44, v3
	scratch_load_b32 v3, off, off offset:4  ; 4-byte Folded Reload
	s_waitcnt vmcnt(0)
	ds_store_b32 v3, v4
	scratch_load_b32 v3, off, off offset:8  ; 4-byte Folded Reload
	s_waitcnt vmcnt(0)
	ds_store_b32 v3, v25
	scratch_load_b32 v3, off, off offset:12 ; 4-byte Folded Reload
	s_waitcnt vmcnt(0)
	ds_store_b32 v3, v26
	ds_store_b32 v74, v30
	;; [unrolled: 1-line block ×6, first 2 shown]
	s_waitcnt lgkmcnt(0)
	s_barrier
	buffer_gl0_inv
.LBB157_10:                             ;   Parent Loop BB157_6 Depth=1
                                        ; =>  This Inner Loop Header: Depth=2
	ds_load_b128 v[47:50], v115
	ds_load_b128 v[57:60], v115 offset:16
	ds_load_2addr_b32 v[3:4], v114 offset1:32
	s_add_i32 s12, s12, 4
	s_delay_alu instid0(SALU_CYCLE_1)
	s_cmp_lt_u32 s12, 28
	s_waitcnt lgkmcnt(2)
	v_bfe_i32 v30, v47, 0, 8
	v_bfe_i32 v39, v47, 8, 8
	s_waitcnt lgkmcnt(0)
	v_lshrrev_b32_e32 v25, 16, v3
	v_bfe_i32 v40, v47, 16, 8
	v_ashrrev_i32_e32 v41, 24, v47
	v_bfe_i32 v43, v57, 0, 8
	v_bfe_i32 v47, v48, 0, 8
	v_cvt_f32_f16_e32 v25, v25
	v_bfe_i32 v53, v58, 0, 8
	v_bfe_i32 v44, v57, 8, 8
	;; [unrolled: 1-line block ×3, first 2 shown]
	v_ashrrev_i32_e32 v46, 24, v57
	v_mul_f32_e32 v71, 0x41000000, v25
	ds_load_b32 v196, v117
	ds_load_2addr_b32 v[25:26], v116 offset1:1
	v_bfe_i32 v57, v49, 0, 8
	v_bfe_i32 v62, v59, 0, 8
	;; [unrolled: 1-line block ×5, first 2 shown]
	v_ashrrev_i32_e32 v48, 24, v48
	v_bfe_i32 v54, v58, 8, 8
	v_bfe_i32 v68, v60, 0, 8
	;; [unrolled: 1-line block ×3, first 2 shown]
	v_ashrrev_i32_e32 v56, 24, v58
	v_bfe_i32 v58, v49, 8, 8
	v_bfe_i32 v61, v49, 16, 8
	v_ashrrev_i32_e32 v49, 24, v49
	v_bfe_i32 v63, v59, 8, 8
	v_bfe_i32 v64, v59, 16, 8
	;; [unrolled: 3-line block ×3, first 2 shown]
	v_ashrrev_i32_e32 v50, 24, v50
	s_waitcnt lgkmcnt(0)
	v_and_b32_e32 v230, 15, v26
	v_bfe_u32 v222, v25, 20, 4
	v_and_b32_e32 v223, 15, v25
	v_bfe_u32 v224, v25, 8, 4
	v_bfe_u32 v226, v25, 16, 4
	;; [unrolled: 1-line block ×5, first 2 shown]
	v_lshrrev_b32_e32 v229, 28, v25
	v_bfe_u32 v225, v26, 20, 4
	v_bfe_u32 v231, v26, 8, 4
	;; [unrolled: 1-line block ×6, first 2 shown]
	v_lshrrev_b32_e32 v237, 28, v26
	ds_load_2addr_b32 v[25:26], v116 offset0:2 offset1:3
	v_mul_i32_i24_e32 v72, v223, v30
	v_mul_i32_i24_e32 v80, v230, v47
	;; [unrolled: 1-line block ×5, first 2 shown]
	v_mad_i32_i24 v72, v221, v43, v72
	v_mul_i32_i24_e32 v76, v227, v41
	v_mul_i32_i24_e32 v77, v228, v44
	;; [unrolled: 1-line block ×4, first 2 shown]
	v_add3_u32 v72, v72, v80, v85
	v_mul_i32_i24_e32 v81, v231, v51
	v_mul_i32_i24_e32 v82, v232, v52
	;; [unrolled: 1-line block ×6, first 2 shown]
	v_bfe_i32 v69, v60, 8, 8
	v_bfe_i32 v70, v60, 16, 8
	s_waitcnt lgkmcnt(0)
	v_and_b32_e32 v238, 15, v25
	v_bfe_u32 v243, v25, 4, 4
	v_and_b32_e32 v246, 15, v26
	v_bfe_u32 v250, v26, 4, 4
	v_bfe_u32 v239, v25, 8, 4
	v_mul_i32_i24_e32 v100, v238, v57
	v_mul_i32_i24_e32 v106, v243, v62
	v_mul_i32_i24_e32 v109, v246, v65
	v_mul_i32_i24_e32 v113, v250, v68
	v_bfe_u32 v241, v25, 16, 4
	v_add3_u32 v72, v72, v100, v73
	v_mul_i32_i24_e32 v101, v239, v58
	v_bfe_u32 v242, v25, 24, 4
	v_bfe_u32 v244, v25, 12, 4
	v_mul_i32_i24_e32 v102, v241, v61
	v_add3_u32 v72, v72, v75, v76
	v_bfe_u32 v233, v25, 20, 4
	v_mul_i32_i24_e32 v105, v242, v49
	v_mul_i32_i24_e32 v107, v244, v63
	v_lshrrev_b32_e32 v245, 28, v25
	v_add3_u32 v72, v72, v106, v109
	v_mul_i32_i24_e32 v108, v233, v64
	v_bfe_u32 v247, v26, 8, 4
	v_bfe_u32 v248, v26, 16, 4
	v_mul_i32_i24_e32 v25, v245, v59
	v_add3_u32 v72, v72, v77, v78
	v_bfe_u32 v249, v26, 24, 4
	v_mul_i32_i24_e32 v110, v247, v66
	v_mul_i32_i24_e32 v111, v248, v67
	v_bfe_u32 v251, v26, 12, 4
	v_add3_u32 v72, v72, v79, v81
	v_ashrrev_i32_e32 v60, 24, v60
	v_bfe_u32 v240, v26, 20, 4
	v_mul_i32_i24_e32 v112, v249, v50
	v_mul_i32_i24_e32 v121, v251, v69
	v_add3_u32 v72, v72, v82, v84
	v_lshrrev_b32_e32 v252, 28, v26
	v_mul_i32_i24_e32 v122, v240, v70
	v_add_nc_u32_e32 v117, 4, v117
	s_delay_alu instid0(VALU_DEP_4) | instskip(NEXT) | instid1(VALU_DEP_4)
	v_add3_u32 v72, v72, v113, v97
	v_mul_i32_i24_e32 v26, v252, v60
	s_delay_alu instid0(VALU_DEP_2) | instskip(NEXT) | instid1(VALU_DEP_1)
	v_add3_u32 v72, v72, v98, v99
	v_add3_u32 v72, v72, v101, v102
	s_delay_alu instid0(VALU_DEP_1) | instskip(NEXT) | instid1(VALU_DEP_1)
	v_add3_u32 v72, v72, v105, v107
	v_add3_u32 v25, v72, v108, v25
	s_delay_alu instid0(VALU_DEP_1) | instskip(NEXT) | instid1(VALU_DEP_1)
	;; [unrolled: 3-line block ×3, first 2 shown]
	v_add3_u32 v25, v25, v122, v26
	v_cvt_f32_i32_e32 v25, v25
	s_delay_alu instid0(VALU_DEP_1) | instskip(NEXT) | instid1(VALU_DEP_1)
	v_fma_mix_f32 v25, v3, v25, -v71 op_sel_hi:[1,0,0]
	v_fmac_f32_e32 v35, v196, v25
	v_add_nc_u32_e32 v25, 0x1080, v116
	ds_load_b32 v187, v118
	ds_load_2addr_b32 v[25:26], v25 offset1:1
	v_add_nc_u32_e32 v118, 4, v118
	s_waitcnt lgkmcnt(0)
	v_bfe_u32 v189, v25, 20, 4
	v_and_b32_e32 v190, 15, v25
	v_bfe_u32 v191, v25, 8, 4
	v_bfe_u32 v193, v25, 16, 4
	;; [unrolled: 1-line block ×5, first 2 shown]
	v_lshrrev_b32_e32 v197, 28, v25
	v_add_nc_u32_e32 v25, 0x1088, v116
	v_bfe_u32 v192, v26, 20, 4
	v_and_b32_e32 v198, 15, v26
	v_bfe_u32 v199, v26, 8, 4
	v_bfe_u32 v200, v26, 16, 4
	v_bfe_u32 v201, v26, 24, 4
	v_bfe_u32 v203, v26, 4, 4
	v_bfe_u32 v204, v26, 12, 4
	v_lshrrev_b32_e32 v205, 28, v26
	ds_load_2addr_b32 v[25:26], v25 offset1:1
	v_mul_i32_i24_e32 v72, v190, v30
	v_mul_i32_i24_e32 v80, v198, v47
	;; [unrolled: 1-line block ×5, first 2 shown]
	v_mad_i32_i24 v72, v188, v43, v72
	v_mul_i32_i24_e32 v76, v194, v41
	v_mul_i32_i24_e32 v77, v195, v44
	;; [unrolled: 1-line block ×4, first 2 shown]
	v_add3_u32 v72, v72, v80, v85
	v_mul_i32_i24_e32 v81, v199, v51
	v_mul_i32_i24_e32 v82, v200, v52
	;; [unrolled: 1-line block ×6, first 2 shown]
	s_waitcnt lgkmcnt(0)
	v_and_b32_e32 v206, 15, v25
	v_bfe_u32 v211, v25, 4, 4
	v_and_b32_e32 v214, 15, v26
	v_bfe_u32 v218, v26, 4, 4
	v_bfe_u32 v207, v25, 8, 4
	v_mul_i32_i24_e32 v100, v206, v57
	v_mul_i32_i24_e32 v106, v211, v62
	;; [unrolled: 1-line block ×4, first 2 shown]
	v_bfe_u32 v209, v25, 16, 4
	v_add3_u32 v72, v72, v100, v73
	v_mul_i32_i24_e32 v101, v207, v58
	v_bfe_u32 v210, v25, 24, 4
	v_bfe_u32 v212, v25, 12, 4
	v_mul_i32_i24_e32 v102, v209, v61
	v_add3_u32 v72, v72, v75, v76
	v_bfe_u32 v202, v25, 20, 4
	v_mul_i32_i24_e32 v105, v210, v49
	v_mul_i32_i24_e32 v107, v212, v63
	v_lshrrev_b32_e32 v213, 28, v25
	v_add3_u32 v72, v72, v106, v109
	v_mul_i32_i24_e32 v108, v202, v64
	v_bfe_u32 v215, v26, 8, 4
	v_bfe_u32 v216, v26, 16, 4
	v_mul_i32_i24_e32 v25, v213, v59
	v_add3_u32 v72, v72, v77, v78
	v_bfe_u32 v217, v26, 24, 4
	v_mul_i32_i24_e32 v110, v215, v66
	v_mul_i32_i24_e32 v111, v216, v67
	v_bfe_u32 v219, v26, 12, 4
	v_add3_u32 v72, v72, v79, v81
	v_bfe_u32 v208, v26, 20, 4
	v_mul_i32_i24_e32 v112, v217, v50
	v_lshrrev_b32_e32 v220, 28, v26
	v_mul_i32_i24_e32 v121, v219, v69
	v_add3_u32 v72, v72, v82, v84
	v_mul_i32_i24_e32 v122, v208, v70
	s_delay_alu instid0(VALU_DEP_4) | instskip(NEXT) | instid1(VALU_DEP_3)
	v_mul_i32_i24_e32 v26, v220, v60
	v_add3_u32 v72, v72, v113, v97
	s_delay_alu instid0(VALU_DEP_1) | instskip(NEXT) | instid1(VALU_DEP_1)
	v_add3_u32 v72, v72, v98, v99
	v_add3_u32 v72, v72, v101, v102
	s_delay_alu instid0(VALU_DEP_1) | instskip(NEXT) | instid1(VALU_DEP_1)
	v_add3_u32 v72, v72, v105, v107
	;; [unrolled: 3-line block ×4, first 2 shown]
	v_cvt_f32_i32_e32 v25, v25
	s_delay_alu instid0(VALU_DEP_1) | instskip(NEXT) | instid1(VALU_DEP_1)
	v_fma_mix_f32 v25, v3, v25, -v71 op_sel_hi:[1,0,0]
	v_dual_fmac_f32 v42, v187, v25 :: v_dual_add_nc_u32 v25, 0x2100, v116
	ds_load_b32 v154, v119
	ds_load_2addr_b32 v[25:26], v25 offset1:1
	v_add_nc_u32_e32 v119, 4, v119
	s_waitcnt lgkmcnt(0)
	v_bfe_u32 v156, v25, 20, 4
	v_and_b32_e32 v157, 15, v25
	v_bfe_u32 v158, v25, 8, 4
	v_bfe_u32 v160, v25, 16, 4
	;; [unrolled: 1-line block ×5, first 2 shown]
	v_lshrrev_b32_e32 v163, 28, v25
	v_add_nc_u32_e32 v25, 0x2108, v116
	v_bfe_u32 v159, v26, 20, 4
	v_and_b32_e32 v164, 15, v26
	v_bfe_u32 v165, v26, 8, 4
	v_bfe_u32 v166, v26, 16, 4
	;; [unrolled: 1-line block ×5, first 2 shown]
	v_lshrrev_b32_e32 v171, 28, v26
	ds_load_2addr_b32 v[25:26], v25 offset1:1
	v_mul_i32_i24_e32 v72, v157, v30
	v_mul_i32_i24_e32 v80, v164, v47
	;; [unrolled: 1-line block ×5, first 2 shown]
	v_mad_i32_i24 v72, v155, v43, v72
	v_mul_i32_i24_e32 v76, v161, v41
	v_mul_i32_i24_e32 v77, v162, v44
	v_mul_i32_i24_e32 v78, v156, v45
	v_mul_i32_i24_e32 v79, v163, v46
	v_add3_u32 v72, v72, v80, v85
	v_mul_i32_i24_e32 v81, v165, v51
	v_mul_i32_i24_e32 v82, v166, v52
	;; [unrolled: 1-line block ×6, first 2 shown]
	s_waitcnt lgkmcnt(0)
	v_and_b32_e32 v172, 15, v25
	v_bfe_u32 v177, v25, 4, 4
	v_and_b32_e32 v180, 15, v26
	v_bfe_u32 v184, v26, 4, 4
	v_bfe_u32 v173, v25, 8, 4
	v_mul_i32_i24_e32 v100, v172, v57
	v_mul_i32_i24_e32 v106, v177, v62
	;; [unrolled: 1-line block ×4, first 2 shown]
	v_bfe_u32 v175, v25, 16, 4
	v_add3_u32 v72, v72, v100, v73
	v_mul_i32_i24_e32 v101, v173, v58
	v_bfe_u32 v176, v25, 24, 4
	v_bfe_u32 v178, v25, 12, 4
	v_mul_i32_i24_e32 v102, v175, v61
	v_add3_u32 v72, v72, v75, v76
	v_bfe_u32 v168, v25, 20, 4
	v_mul_i32_i24_e32 v105, v176, v49
	v_mul_i32_i24_e32 v107, v178, v63
	v_lshrrev_b32_e32 v179, 28, v25
	v_add3_u32 v72, v72, v106, v109
	v_mul_i32_i24_e32 v108, v168, v64
	v_bfe_u32 v181, v26, 8, 4
	v_bfe_u32 v182, v26, 16, 4
	v_mul_i32_i24_e32 v25, v179, v59
	v_add3_u32 v72, v72, v77, v78
	v_bfe_u32 v183, v26, 24, 4
	v_mul_i32_i24_e32 v110, v181, v66
	v_mul_i32_i24_e32 v111, v182, v67
	v_bfe_u32 v185, v26, 12, 4
	v_add3_u32 v72, v72, v79, v81
	v_bfe_u32 v174, v26, 20, 4
	v_mul_i32_i24_e32 v112, v183, v50
	v_lshrrev_b32_e32 v186, 28, v26
	v_mul_i32_i24_e32 v121, v185, v69
	v_add3_u32 v72, v72, v82, v84
	v_mul_i32_i24_e32 v122, v174, v70
	s_delay_alu instid0(VALU_DEP_4) | instskip(NEXT) | instid1(VALU_DEP_3)
	v_mul_i32_i24_e32 v26, v186, v60
	v_add3_u32 v72, v72, v113, v97
	s_delay_alu instid0(VALU_DEP_1) | instskip(NEXT) | instid1(VALU_DEP_1)
	v_add3_u32 v72, v72, v98, v99
	v_add3_u32 v72, v72, v101, v102
	s_delay_alu instid0(VALU_DEP_1) | instskip(NEXT) | instid1(VALU_DEP_1)
	v_add3_u32 v72, v72, v105, v107
	;; [unrolled: 3-line block ×4, first 2 shown]
	v_cvt_f32_i32_e32 v25, v25
	s_delay_alu instid0(VALU_DEP_1) | instskip(NEXT) | instid1(VALU_DEP_1)
	v_fma_mix_f32 v25, v3, v25, -v71 op_sel_hi:[1,0,0]
	v_dual_fmac_f32 v38, v154, v25 :: v_dual_add_nc_u32 v25, 0x3180, v116
	ds_load_b32 v121, v120
	ds_load_2addr_b32 v[25:26], v25 offset1:1
	v_add_nc_u32_e32 v120, 4, v120
	s_waitcnt lgkmcnt(0)
	v_bfe_u32 v123, v25, 20, 4
	v_and_b32_e32 v124, 15, v25
	v_bfe_u32 v125, v25, 8, 4
	v_bfe_u32 v127, v25, 16, 4
	;; [unrolled: 1-line block ×5, first 2 shown]
	v_lshrrev_b32_e32 v130, 28, v25
	v_add_nc_u32_e32 v25, 0x3188, v116
	v_bfe_u32 v126, v26, 20, 4
	v_and_b32_e32 v131, 15, v26
	v_bfe_u32 v132, v26, 8, 4
	v_bfe_u32 v133, v26, 16, 4
	v_bfe_u32 v134, v26, 24, 4
	v_bfe_u32 v136, v26, 4, 4
	v_bfe_u32 v137, v26, 12, 4
	v_lshrrev_b32_e32 v138, 28, v26
	ds_load_2addr_b32 v[25:26], v25 offset1:1
	v_mul_i32_i24_e32 v30, v124, v30
	v_mul_i32_i24_e32 v47, v131, v47
	;; [unrolled: 1-line block ×5, first 2 shown]
	v_mad_i32_i24 v30, v122, v43, v30
	v_mul_i32_i24_e32 v41, v128, v41
	v_mul_i32_i24_e32 v44, v129, v44
	;; [unrolled: 1-line block ×4, first 2 shown]
	v_add3_u32 v30, v30, v47, v53
	v_mul_i32_i24_e32 v51, v132, v51
	v_mul_i32_i24_e32 v52, v133, v52
	;; [unrolled: 1-line block ×6, first 2 shown]
	v_add_nc_u32_e32 v116, 16, v116
	s_waitcnt lgkmcnt(0)
	v_and_b32_e32 v139, 15, v25
	v_bfe_u32 v144, v25, 4, 4
	v_lshrrev_b32_e32 v146, 28, v25
	v_and_b32_e32 v147, 15, v26
	v_bfe_u32 v135, v25, 20, 4
	v_mul_i32_i24_e32 v57, v139, v57
	v_bfe_u32 v140, v25, 8, 4
	v_bfe_u32 v142, v25, 16, 4
	;; [unrolled: 1-line block ×3, first 2 shown]
	v_mul_i32_i24_e32 v62, v144, v62
	v_add3_u32 v30, v30, v57, v39
	v_bfe_u32 v145, v25, 12, 4
	v_mul_i32_i24_e32 v25, v146, v59
	v_mul_i32_i24_e32 v59, v147, v65
	v_bfe_u32 v148, v26, 8, 4
	v_add3_u32 v30, v30, v40, v41
	v_bfe_u32 v149, v26, 16, 4
	v_bfe_u32 v151, v26, 4, 4
	v_mul_i32_i24_e32 v58, v140, v58
	v_mul_i32_i24_e32 v65, v148, v66
	v_add3_u32 v30, v30, v62, v59
	v_mul_i32_i24_e32 v66, v149, v67
	v_mul_i32_i24_e32 v67, v151, v68
	;; [unrolled: 1-line block ×4, first 2 shown]
	v_add3_u32 v30, v30, v44, v45
	v_mul_i32_i24_e32 v63, v145, v63
	v_mul_i32_i24_e32 v64, v135, v64
	v_bfe_u32 v150, v26, 24, 4
	v_bfe_u32 v152, v26, 12, 4
	v_add3_u32 v30, v30, v46, v51
	v_bfe_u32 v141, v26, 20, 4
	v_lshrrev_b32_e32 v153, 28, v26
	v_mul_i32_i24_e32 v50, v150, v50
	v_mul_i32_i24_e32 v68, v152, v69
	v_add3_u32 v30, v30, v52, v48
	v_mul_i32_i24_e32 v69, v141, v70
	v_mul_i32_i24_e32 v26, v153, v60
	s_delay_alu instid0(VALU_DEP_3) | instskip(NEXT) | instid1(VALU_DEP_1)
	v_add3_u32 v30, v30, v67, v54
	v_add3_u32 v30, v30, v55, v56
	s_delay_alu instid0(VALU_DEP_1) | instskip(NEXT) | instid1(VALU_DEP_1)
	v_add3_u32 v30, v30, v58, v61
	v_add3_u32 v30, v30, v49, v63
	s_delay_alu instid0(VALU_DEP_1) | instskip(NEXT) | instid1(VALU_DEP_1)
	v_add3_u32 v25, v30, v64, v25
	v_add3_u32 v25, v25, v65, v66
	s_delay_alu instid0(VALU_DEP_1) | instskip(SKIP_4) | instid1(VALU_DEP_2)
	v_add3_u32 v25, v25, v50, v68
	ds_load_b128 v[47:50], v115 offset:1024
	ds_load_b128 v[57:60], v115 offset:1040
	v_lshrrev_b32_e32 v68, 16, v4
	v_add3_u32 v25, v25, v69, v26
	v_cvt_f32_f16_e32 v68, v68
	s_delay_alu instid0(VALU_DEP_2) | instskip(NEXT) | instid1(VALU_DEP_2)
	v_cvt_f32_i32_e32 v25, v25
	v_mul_f32_e32 v68, 0x41000000, v68
	s_delay_alu instid0(VALU_DEP_2) | instskip(NEXT) | instid1(VALU_DEP_1)
	v_fma_mix_f32 v3, v3, v25, -v71 op_sel_hi:[1,0,0]
	v_fmac_f32_e32 v37, v121, v3
	s_waitcnt lgkmcnt(1)
	v_bfe_i32 v3, v47, 0, 8
	v_bfe_i32 v25, v47, 8, 8
	;; [unrolled: 1-line block ×3, first 2 shown]
	s_waitcnt lgkmcnt(0)
	v_bfe_i32 v39, v57, 0, 8
	v_ashrrev_i32_e32 v30, 24, v47
	v_mul_i32_i24_e32 v69, v3, v223
	v_bfe_i32 v44, v48, 0, 8
	v_mul_i32_i24_e32 v70, v25, v224
	v_mul_i32_i24_e32 v71, v26, v226
	v_bfe_i32 v40, v57, 8, 8
	v_mad_i32_i24 v69, v39, v221, v69
	v_bfe_i32 v41, v57, 16, 8
	v_mul_i32_i24_e32 v72, v30, v227
	v_mul_i32_i24_e32 v77, v44, v230
	v_ashrrev_i32_e32 v43, 24, v57
	v_add3_u32 v69, v69, v70, v71
	v_bfe_i32 v45, v48, 8, 8
	v_bfe_i32 v46, v48, 16, 8
	v_ashrrev_i32_e32 v47, 24, v48
	v_bfe_i32 v48, v58, 0, 8
	v_mul_i32_i24_e32 v73, v40, v228
	v_mul_i32_i24_e32 v75, v41, v222
	v_add3_u32 v69, v69, v72, v77
	v_mul_i32_i24_e32 v76, v43, v229
	v_mul_i32_i24_e32 v81, v48, v235
	v_bfe_i32 v54, v49, 0, 8
	v_mul_i32_i24_e32 v78, v45, v231
	v_add3_u32 v69, v69, v73, v75
	v_mul_i32_i24_e32 v79, v46, v232
	v_bfe_i32 v51, v58, 8, 8
	v_bfe_i32 v52, v58, 16, 8
	v_mul_i32_i24_e32 v80, v47, v234
	v_add3_u32 v69, v69, v76, v81
	v_mul_i32_i24_e32 v97, v54, v238
	v_ashrrev_i32_e32 v53, 24, v58
	v_bfe_i32 v57, v59, 0, 8
	v_mul_i32_i24_e32 v82, v51, v236
	v_add3_u32 v69, v69, v78, v79
	v_mul_i32_i24_e32 v84, v52, v225
	v_bfe_i32 v55, v49, 8, 8
	v_bfe_i32 v56, v49, 16, 8
	v_mul_i32_i24_e32 v85, v53, v237
	v_add3_u32 v69, v69, v80, v97
	v_mul_i32_i24_e32 v101, v57, v243
	v_ashrrev_i32_e32 v49, 24, v49
	;; [unrolled: 10-line block ×4, first 2 shown]
	v_bfe_i32 v66, v60, 8, 8
	v_mul_i32_i24_e32 v108, v63, v247
	v_add3_u32 v69, v69, v102, v105
	v_mul_i32_i24_e32 v109, v64, v248
	v_bfe_i32 v67, v60, 16, 8
	v_ashrrev_i32_e32 v60, 24, v60
	v_mul_i32_i24_e32 v110, v50, v249
	v_add3_u32 v69, v69, v106, v111
	v_mul_i32_i24_e32 v112, v66, v251
	v_mul_i32_i24_e32 v113, v67, v240
	v_mul_i32_i24_e32 v253, v60, v252
	v_mul_i32_i24_e32 v70, v25, v191
	v_add3_u32 v69, v69, v108, v109
	v_mul_i32_i24_e32 v71, v26, v193
	v_mul_i32_i24_e32 v72, v30, v194
	v_mul_i32_i24_e32 v77, v44, v198
	;; [unrolled: 5-line block ×4, first 2 shown]
	v_mul_i32_i24_e32 v82, v51, v204
	v_cvt_f32_i32_e32 v69, v69
	v_mul_i32_i24_e32 v84, v52, v192
	v_mul_i32_i24_e32 v85, v53, v205
	;; [unrolled: 1-line block ×4, first 2 shown]
	v_fma_mix_f32 v69, v4, v69, -v68 op_sel_hi:[1,0,0]
	v_mul_i32_i24_e32 v99, v56, v209
	v_mul_i32_i24_e32 v100, v49, v210
	;; [unrolled: 1-line block ×4, first 2 shown]
	v_fmac_f32_e32 v36, v196, v69
	v_mul_i32_i24_e32 v69, v3, v190
	v_mul_i32_i24_e32 v105, v61, v202
	;; [unrolled: 1-line block ×5, first 2 shown]
	v_mad_i32_i24 v69, v39, v188, v69
	v_mul_i32_i24_e32 v109, v64, v216
	v_mul_i32_i24_e32 v110, v50, v217
	v_mul_i32_i24_e32 v112, v66, v219
	v_mul_i32_i24_e32 v113, v67, v208
	v_add3_u32 v69, v69, v70, v71
	v_mul_i32_i24_e32 v253, v60, v220
	v_mul_i32_i24_e32 v70, v25, v158
	v_mul_i32_i24_e32 v71, v26, v160
	v_mul_i32_i24_e32 v25, v25, v125
	v_add3_u32 v69, v69, v72, v77
	;; [unrolled: 5-line block ×15, first 2 shown]
	v_mul_i32_i24_e32 v66, v66, v152
	v_mul_i32_i24_e32 v113, v67, v174
	;; [unrolled: 1-line block ×4, first 2 shown]
	v_cvt_f32_i32_e32 v69, v69
	v_mul_i32_i24_e32 v60, v60, v153
	s_delay_alu instid0(VALU_DEP_2) | instskip(NEXT) | instid1(VALU_DEP_1)
	v_fma_mix_f32 v69, v4, v69, -v68 op_sel_hi:[1,0,0]
	v_fmac_f32_e32 v34, v187, v69
	v_mul_i32_i24_e32 v69, v3, v157
	v_mul_i32_i24_e32 v3, v3, v124
	s_delay_alu instid0(VALU_DEP_2) | instskip(NEXT) | instid1(VALU_DEP_2)
	v_mad_i32_i24 v69, v39, v155, v69
	v_mad_i32_i24 v3, v39, v122, v3
	s_delay_alu instid0(VALU_DEP_2) | instskip(NEXT) | instid1(VALU_DEP_2)
	v_add3_u32 v69, v69, v70, v71
	v_add3_u32 v3, v3, v25, v26
	s_delay_alu instid0(VALU_DEP_2) | instskip(NEXT) | instid1(VALU_DEP_2)
	v_add3_u32 v69, v69, v72, v77
	v_add3_u32 v3, v3, v30, v44
	;; [unrolled: 3-line block ×15, first 2 shown]
	s_delay_alu instid0(VALU_DEP_2) | instskip(NEXT) | instid1(VALU_DEP_2)
	v_cvt_f32_i32_e32 v69, v69
	v_cvt_f32_i32_e32 v3, v3
	s_delay_alu instid0(VALU_DEP_2) | instskip(NEXT) | instid1(VALU_DEP_2)
	v_fma_mix_f32 v69, v4, v69, -v68 op_sel_hi:[1,0,0]
	v_fma_mix_f32 v3, v4, v3, -v68 op_sel_hi:[1,0,0]
	s_delay_alu instid0(VALU_DEP_1)
	v_dual_fmac_f32 v33, v154, v69 :: v_dual_fmac_f32 v32, v121, v3
	ds_load_b128 v[47:50], v115 offset:2048
	ds_load_b128 v[57:60], v115 offset:2064
	ds_load_2addr_b32 v[3:4], v114 offset0:64 offset1:96
	s_waitcnt lgkmcnt(2)
	v_bfe_i32 v25, v47, 0, 8
	v_bfe_i32 v26, v47, 8, 8
	;; [unrolled: 1-line block ×3, first 2 shown]
	s_waitcnt lgkmcnt(1)
	v_bfe_i32 v40, v57, 0, 8
	v_ashrrev_i32_e32 v39, 24, v47
	v_mul_i32_i24_e32 v70, v25, v223
	v_bfe_i32 v45, v48, 0, 8
	v_mul_i32_i24_e32 v71, v26, v224
	v_mul_i32_i24_e32 v72, v30, v226
	v_bfe_i32 v41, v57, 8, 8
	v_mad_i32_i24 v70, v40, v221, v70
	v_bfe_i32 v43, v57, 16, 8
	v_mul_i32_i24_e32 v73, v39, v227
	v_mul_i32_i24_e32 v78, v45, v230
	v_ashrrev_i32_e32 v44, 24, v57
	v_add3_u32 v70, v70, v71, v72
	v_bfe_i32 v51, v58, 0, 8
	v_mul_i32_i24_e32 v75, v41, v228
	v_mul_i32_i24_e32 v76, v43, v222
	v_bfe_i32 v46, v48, 8, 8
	v_add3_u32 v70, v70, v73, v78
	v_bfe_i32 v47, v48, 16, 8
	v_mul_i32_i24_e32 v77, v44, v229
	v_mul_i32_i24_e32 v82, v51, v235
	v_ashrrev_i32_e32 v48, 24, v48
	v_add3_u32 v70, v70, v75, v76
	v_bfe_i32 v55, v49, 0, 8
	v_mul_i32_i24_e32 v79, v46, v231
	v_mul_i32_i24_e32 v80, v47, v232
	v_bfe_i32 v52, v58, 8, 8
	v_add3_u32 v70, v70, v77, v82
	;; [unrolled: 10-line block ×6, first 2 shown]
	v_ashrrev_i32_e32 v60, 24, v60
	v_mul_i32_i24_e32 v111, v50, v249
	v_mul_i32_i24_e32 v113, v67, v251
	s_waitcnt lgkmcnt(0)
	v_lshrrev_b32_e32 v69, 16, v3
	v_add3_u32 v70, v70, v109, v110
	v_mul_i32_i24_e32 v253, v68, v240
	v_mul_i32_i24_e32 v254, v60, v252
	v_mul_i32_i24_e32 v71, v26, v191
	v_cvt_f32_f16_e32 v69, v69
	v_add3_u32 v70, v70, v111, v113
	v_mul_i32_i24_e32 v72, v30, v193
	v_mul_i32_i24_e32 v73, v39, v194
	;; [unrolled: 1-line block ×3, first 2 shown]
	v_mul_f32_e32 v69, 0x41000000, v69
	v_add3_u32 v70, v70, v253, v254
	v_mul_i32_i24_e32 v75, v41, v195
	v_mul_i32_i24_e32 v76, v43, v189
	;; [unrolled: 1-line block ×4, first 2 shown]
	v_cvt_f32_i32_e32 v70, v70
	v_mul_i32_i24_e32 v79, v46, v199
	v_mul_i32_i24_e32 v80, v47, v200
	;; [unrolled: 1-line block ×4, first 2 shown]
	v_fma_mix_f32 v70, v3, v70, -v69 op_sel_hi:[1,0,0]
	v_mul_i32_i24_e32 v84, v52, v204
	v_mul_i32_i24_e32 v85, v53, v192
	;; [unrolled: 1-line block ×4, first 2 shown]
	v_fmac_f32_e32 v31, v196, v70
	v_mul_i32_i24_e32 v70, v25, v190
	v_mul_i32_i24_e32 v99, v56, v207
	;; [unrolled: 1-line block ×5, first 2 shown]
	v_mad_i32_i24 v70, v40, v188, v70
	v_mul_i32_i24_e32 v105, v61, v212
	v_mul_i32_i24_e32 v106, v62, v202
	v_mul_i32_i24_e32 v107, v59, v213
	v_mul_i32_i24_e32 v112, v66, v218
	v_add3_u32 v70, v70, v71, v72
	v_mul_i32_i24_e32 v109, v64, v215
	v_mul_i32_i24_e32 v110, v65, v216
	v_mul_i32_i24_e32 v111, v50, v217
	v_mul_i32_i24_e32 v113, v67, v219
	v_add3_u32 v70, v70, v73, v78
	;; [unrolled: 5-line block ×15, first 2 shown]
	v_mul_i32_i24_e32 v64, v64, v148
	v_mul_i32_i24_e32 v65, v65, v149
	;; [unrolled: 1-line block ×4, first 2 shown]
	v_cvt_f32_i32_e32 v70, v70
	v_mul_i32_i24_e32 v50, v50, v150
	v_mul_i32_i24_e32 v67, v67, v152
	;; [unrolled: 1-line block ×4, first 2 shown]
	v_fma_mix_f32 v70, v3, v70, -v69 op_sel_hi:[1,0,0]
	v_mul_i32_i24_e32 v68, v68, v141
	v_mul_i32_i24_e32 v60, v60, v153
	s_delay_alu instid0(VALU_DEP_3) | instskip(SKIP_2) | instid1(VALU_DEP_2)
	v_fmac_f32_e32 v29, v187, v70
	v_mul_i32_i24_e32 v70, v25, v157
	v_mul_i32_i24_e32 v25, v25, v124
	v_mad_i32_i24 v70, v40, v155, v70
	s_delay_alu instid0(VALU_DEP_2) | instskip(NEXT) | instid1(VALU_DEP_2)
	v_mad_i32_i24 v25, v40, v122, v25
	v_add3_u32 v70, v70, v71, v72
	s_delay_alu instid0(VALU_DEP_2) | instskip(NEXT) | instid1(VALU_DEP_2)
	v_add3_u32 v25, v25, v26, v30
	v_add3_u32 v70, v70, v73, v78
	s_delay_alu instid0(VALU_DEP_2) | instskip(NEXT) | instid1(VALU_DEP_2)
	v_add3_u32 v25, v25, v39, v45
	;; [unrolled: 3-line block ×14, first 2 shown]
	v_add3_u32 v70, v70, v253, v254
	s_delay_alu instid0(VALU_DEP_2)
	v_add3_u32 v25, v25, v68, v60
	ds_load_b128 v[47:50], v115 offset:3072
	ds_load_b128 v[57:60], v115 offset:3088
	v_lshrrev_b32_e32 v68, 16, v4
	v_cvt_f32_i32_e32 v70, v70
	v_cvt_f32_i32_e32 v25, v25
	s_delay_alu instid0(VALU_DEP_3) | instskip(NEXT) | instid1(VALU_DEP_3)
	v_cvt_f32_f16_e32 v68, v68
	v_fma_mix_f32 v70, v3, v70, -v69 op_sel_hi:[1,0,0]
	s_delay_alu instid0(VALU_DEP_3) | instskip(NEXT) | instid1(VALU_DEP_3)
	v_fma_mix_f32 v3, v3, v25, -v69 op_sel_hi:[1,0,0]
	v_mul_f32_e32 v68, 0x41000000, v68
	s_delay_alu instid0(VALU_DEP_2)
	v_dual_fmac_f32 v28, v154, v70 :: v_dual_fmac_f32 v27, v121, v3
	s_waitcnt lgkmcnt(1)
	v_bfe_i32 v3, v47, 0, 8
	v_bfe_i32 v25, v47, 8, 8
	;; [unrolled: 1-line block ×3, first 2 shown]
	s_waitcnt lgkmcnt(0)
	v_bfe_i32 v39, v57, 0, 8
	v_ashrrev_i32_e32 v30, 24, v47
	v_mul_i32_i24_e32 v69, v3, v223
	v_bfe_i32 v44, v48, 0, 8
	v_mul_i32_i24_e32 v70, v25, v224
	v_mul_i32_i24_e32 v71, v26, v226
	v_bfe_i32 v40, v57, 8, 8
	v_mad_i32_i24 v69, v39, v221, v69
	v_bfe_i32 v41, v57, 16, 8
	v_mul_i32_i24_e32 v72, v30, v227
	v_mul_i32_i24_e32 v77, v44, v230
	v_ashrrev_i32_e32 v43, 24, v57
	v_add3_u32 v69, v69, v70, v71
	v_bfe_i32 v45, v48, 8, 8
	v_bfe_i32 v46, v48, 16, 8
	v_ashrrev_i32_e32 v47, 24, v48
	v_bfe_i32 v48, v58, 0, 8
	v_mul_i32_i24_e32 v73, v40, v228
	v_mul_i32_i24_e32 v75, v41, v222
	v_add3_u32 v69, v69, v72, v77
	v_mul_i32_i24_e32 v76, v43, v229
	v_mul_i32_i24_e32 v81, v48, v235
	v_bfe_i32 v54, v49, 0, 8
	v_mul_i32_i24_e32 v78, v45, v231
	v_add3_u32 v69, v69, v73, v75
	v_mul_i32_i24_e32 v79, v46, v232
	v_bfe_i32 v51, v58, 8, 8
	v_bfe_i32 v52, v58, 16, 8
	v_mul_i32_i24_e32 v80, v47, v234
	v_add3_u32 v69, v69, v76, v81
	v_mul_i32_i24_e32 v97, v54, v238
	v_ashrrev_i32_e32 v53, 24, v58
	v_bfe_i32 v57, v59, 0, 8
	v_mul_i32_i24_e32 v82, v51, v236
	v_add3_u32 v69, v69, v78, v79
	v_mul_i32_i24_e32 v84, v52, v225
	v_bfe_i32 v55, v49, 8, 8
	v_bfe_i32 v56, v49, 16, 8
	v_mul_i32_i24_e32 v85, v53, v237
	v_add3_u32 v69, v69, v80, v97
	v_mul_i32_i24_e32 v101, v57, v243
	v_ashrrev_i32_e32 v49, 24, v49
	;; [unrolled: 10-line block ×4, first 2 shown]
	v_bfe_i32 v66, v60, 8, 8
	v_mul_i32_i24_e32 v108, v63, v247
	v_add3_u32 v69, v69, v102, v105
	v_mul_i32_i24_e32 v109, v64, v248
	v_bfe_i32 v67, v60, 16, 8
	v_ashrrev_i32_e32 v60, 24, v60
	v_mul_i32_i24_e32 v110, v50, v249
	v_add3_u32 v69, v69, v106, v111
	v_mul_i32_i24_e32 v112, v66, v251
	v_mul_i32_i24_e32 v113, v67, v240
	v_mul_i32_i24_e32 v253, v60, v252
	v_mul_i32_i24_e32 v70, v25, v191
	v_add3_u32 v69, v69, v108, v109
	v_mul_i32_i24_e32 v71, v26, v193
	v_mul_i32_i24_e32 v72, v30, v194
	v_mul_i32_i24_e32 v77, v44, v198
	;; [unrolled: 5-line block ×4, first 2 shown]
	v_mul_i32_i24_e32 v82, v51, v204
	v_cvt_f32_i32_e32 v69, v69
	v_mul_i32_i24_e32 v84, v52, v192
	v_mul_i32_i24_e32 v85, v53, v205
	;; [unrolled: 1-line block ×4, first 2 shown]
	v_fma_mix_f32 v69, v4, v69, -v68 op_sel_hi:[1,0,0]
	v_mul_i32_i24_e32 v99, v56, v209
	v_mul_i32_i24_e32 v100, v49, v210
	;; [unrolled: 1-line block ×4, first 2 shown]
	v_fmac_f32_e32 v24, v196, v69
	v_mul_i32_i24_e32 v69, v3, v190
	v_mul_i32_i24_e32 v105, v61, v202
	v_mul_i32_i24_e32 v106, v59, v213
	v_mul_i32_i24_e32 v111, v65, v218
	v_mul_i32_i24_e32 v108, v63, v215
	v_mad_i32_i24 v69, v39, v188, v69
	v_mul_i32_i24_e32 v109, v64, v216
	v_mul_i32_i24_e32 v110, v50, v217
	v_mul_i32_i24_e32 v112, v66, v219
	v_mul_i32_i24_e32 v113, v67, v208
	v_add3_u32 v69, v69, v70, v71
	v_mul_i32_i24_e32 v253, v60, v220
	v_mul_i32_i24_e32 v70, v25, v158
	v_mul_i32_i24_e32 v71, v26, v160
	v_mul_i32_i24_e32 v25, v25, v125
	v_add3_u32 v69, v69, v72, v77
	;; [unrolled: 5-line block ×10, first 2 shown]
	v_mul_i32_i24_e32 v100, v49, v176
	v_mul_i32_i24_e32 v56, v56, v142
	;; [unrolled: 1-line block ×3, first 2 shown]
	s_delay_alu instid0(VALU_DEP_4)
	v_add3_u32 v69, v69, v102, v105
	v_mul_i32_i24_e32 v102, v58, v178
	v_mul_i32_i24_e32 v105, v61, v168
	v_mul_i32_i24_e32 v58, v58, v145
	v_mul_i32_i24_e32 v61, v61, v135
	v_add3_u32 v69, v69, v106, v111
	v_mul_i32_i24_e32 v106, v59, v179
	v_mul_i32_i24_e32 v111, v65, v184
	v_mul_i32_i24_e32 v59, v59, v146
	v_mul_i32_i24_e32 v65, v65, v151
	v_add3_u32 v69, v69, v108, v109
	v_mul_i32_i24_e32 v108, v63, v181
	v_mul_i32_i24_e32 v109, v64, v182
	v_mul_i32_i24_e32 v63, v63, v148
	v_mul_i32_i24_e32 v64, v64, v149
	v_add3_u32 v69, v69, v110, v112
	v_mul_i32_i24_e32 v110, v50, v183
	v_mul_i32_i24_e32 v112, v66, v185
	v_mul_i32_i24_e32 v50, v50, v150
	v_mul_i32_i24_e32 v66, v66, v152
	v_add3_u32 v69, v69, v113, v253
	v_mul_i32_i24_e32 v113, v67, v174
	v_mul_i32_i24_e32 v253, v60, v186
	v_mul_i32_i24_e32 v67, v67, v141
	v_mul_i32_i24_e32 v60, v60, v153
	v_cvt_f32_i32_e32 v69, v69
	s_delay_alu instid0(VALU_DEP_1) | instskip(NEXT) | instid1(VALU_DEP_1)
	v_fma_mix_f32 v69, v4, v69, -v68 op_sel_hi:[1,0,0]
	v_fmac_f32_e32 v23, v187, v69
	v_mul_i32_i24_e32 v69, v3, v157
	v_mul_i32_i24_e32 v3, v3, v124
	;; [unrolled: 1-line block ×3, first 2 shown]
	s_delay_alu instid0(VALU_DEP_3) | instskip(NEXT) | instid1(VALU_DEP_3)
	v_mad_i32_i24 v69, v39, v155, v69
	v_mad_i32_i24 v3, v39, v122, v3
	s_delay_alu instid0(VALU_DEP_2) | instskip(NEXT) | instid1(VALU_DEP_2)
	v_add3_u32 v69, v69, v70, v71
	v_add3_u32 v3, v3, v25, v26
	s_delay_alu instid0(VALU_DEP_2) | instskip(NEXT) | instid1(VALU_DEP_2)
	v_add3_u32 v69, v69, v72, v77
	v_add3_u32 v3, v3, v30, v44
	;; [unrolled: 3-line block ×9, first 2 shown]
	s_delay_alu instid0(VALU_DEP_2) | instskip(NEXT) | instid1(VALU_DEP_1)
	v_add3_u32 v69, v69, v100, v107
	v_add3_u32 v69, v69, v102, v105
	s_delay_alu instid0(VALU_DEP_1) | instskip(NEXT) | instid1(VALU_DEP_1)
	v_add3_u32 v69, v69, v106, v111
	v_add3_u32 v69, v69, v108, v109
	s_delay_alu instid0(VALU_DEP_1) | instskip(NEXT) | instid1(VALU_DEP_1)
	v_add3_u32 v69, v69, v110, v112
	v_add3_u32 v69, v69, v113, v253
	s_delay_alu instid0(VALU_DEP_1) | instskip(NEXT) | instid1(VALU_DEP_1)
	v_cvt_f32_i32_e32 v69, v69
	v_fma_mix_f32 v69, v4, v69, -v68 op_sel_hi:[1,0,0]
	s_delay_alu instid0(VALU_DEP_1) | instskip(SKIP_1) | instid1(VALU_DEP_1)
	v_fmac_f32_e32 v22, v154, v69
	v_mul_i32_i24_e32 v62, v62, v147
	v_add3_u32 v3, v3, v49, v62
	s_delay_alu instid0(VALU_DEP_1) | instskip(NEXT) | instid1(VALU_DEP_1)
	v_add3_u32 v3, v3, v58, v61
	v_add3_u32 v3, v3, v59, v65
	s_delay_alu instid0(VALU_DEP_1) | instskip(NEXT) | instid1(VALU_DEP_1)
	v_add3_u32 v3, v3, v63, v64
	v_add3_u32 v3, v3, v50, v66
	s_delay_alu instid0(VALU_DEP_1) | instskip(NEXT) | instid1(VALU_DEP_1)
	v_add3_u32 v3, v3, v67, v60
	v_cvt_f32_i32_e32 v3, v3
	s_delay_alu instid0(VALU_DEP_1) | instskip(NEXT) | instid1(VALU_DEP_1)
	v_fma_mix_f32 v3, v4, v3, -v68 op_sel_hi:[1,0,0]
	v_fmac_f32_e32 v21, v121, v3
	ds_load_b128 v[47:50], v115 offset:4096
	ds_load_b128 v[57:60], v115 offset:4112
	ds_load_2addr_b32 v[3:4], v114 offset0:128 offset1:160
	s_waitcnt lgkmcnt(2)
	v_bfe_i32 v25, v47, 0, 8
	v_bfe_i32 v26, v47, 8, 8
	;; [unrolled: 1-line block ×3, first 2 shown]
	s_waitcnt lgkmcnt(1)
	v_bfe_i32 v40, v57, 0, 8
	v_ashrrev_i32_e32 v39, 24, v47
	v_mul_i32_i24_e32 v70, v25, v223
	v_bfe_i32 v45, v48, 0, 8
	v_mul_i32_i24_e32 v71, v26, v224
	v_mul_i32_i24_e32 v72, v30, v226
	v_bfe_i32 v41, v57, 8, 8
	v_mad_i32_i24 v70, v40, v221, v70
	v_bfe_i32 v43, v57, 16, 8
	v_mul_i32_i24_e32 v73, v39, v227
	v_mul_i32_i24_e32 v78, v45, v230
	v_ashrrev_i32_e32 v44, 24, v57
	v_add3_u32 v70, v70, v71, v72
	v_bfe_i32 v51, v58, 0, 8
	v_mul_i32_i24_e32 v75, v41, v228
	v_mul_i32_i24_e32 v76, v43, v222
	v_bfe_i32 v46, v48, 8, 8
	v_add3_u32 v70, v70, v73, v78
	v_bfe_i32 v47, v48, 16, 8
	v_mul_i32_i24_e32 v77, v44, v229
	v_mul_i32_i24_e32 v82, v51, v235
	v_ashrrev_i32_e32 v48, 24, v48
	v_add3_u32 v70, v70, v75, v76
	v_bfe_i32 v55, v49, 0, 8
	v_mul_i32_i24_e32 v79, v46, v231
	v_mul_i32_i24_e32 v80, v47, v232
	v_bfe_i32 v52, v58, 8, 8
	v_add3_u32 v70, v70, v77, v82
	;; [unrolled: 10-line block ×6, first 2 shown]
	v_ashrrev_i32_e32 v60, 24, v60
	v_mul_i32_i24_e32 v111, v50, v249
	v_mul_i32_i24_e32 v113, v67, v251
	s_waitcnt lgkmcnt(0)
	v_lshrrev_b32_e32 v69, 16, v3
	v_add3_u32 v70, v70, v109, v110
	v_mul_i32_i24_e32 v253, v68, v240
	v_mul_i32_i24_e32 v254, v60, v252
	;; [unrolled: 1-line block ×3, first 2 shown]
	v_cvt_f32_f16_e32 v69, v69
	v_add3_u32 v70, v70, v111, v113
	v_mul_i32_i24_e32 v72, v30, v193
	v_mul_i32_i24_e32 v73, v39, v194
	;; [unrolled: 1-line block ×3, first 2 shown]
	v_mul_f32_e32 v69, 0x41000000, v69
	v_add3_u32 v70, v70, v253, v254
	v_mul_i32_i24_e32 v75, v41, v195
	v_mul_i32_i24_e32 v76, v43, v189
	;; [unrolled: 1-line block ×4, first 2 shown]
	v_cvt_f32_i32_e32 v70, v70
	v_mul_i32_i24_e32 v79, v46, v199
	v_mul_i32_i24_e32 v80, v47, v200
	;; [unrolled: 1-line block ×4, first 2 shown]
	v_fma_mix_f32 v70, v3, v70, -v69 op_sel_hi:[1,0,0]
	v_mul_i32_i24_e32 v84, v52, v204
	v_mul_i32_i24_e32 v85, v53, v192
	;; [unrolled: 1-line block ×4, first 2 shown]
	v_fmac_f32_e32 v20, v196, v70
	v_mul_i32_i24_e32 v70, v25, v190
	v_mul_i32_i24_e32 v99, v56, v207
	;; [unrolled: 1-line block ×5, first 2 shown]
	v_mad_i32_i24 v70, v40, v188, v70
	v_mul_i32_i24_e32 v105, v61, v212
	v_mul_i32_i24_e32 v106, v62, v202
	v_mul_i32_i24_e32 v107, v59, v213
	v_mul_i32_i24_e32 v112, v66, v218
	v_add3_u32 v70, v70, v71, v72
	v_mul_i32_i24_e32 v109, v64, v215
	v_mul_i32_i24_e32 v110, v65, v216
	v_mul_i32_i24_e32 v111, v50, v217
	v_mul_i32_i24_e32 v113, v67, v219
	v_add3_u32 v70, v70, v73, v78
	;; [unrolled: 5-line block ×15, first 2 shown]
	v_mul_i32_i24_e32 v64, v64, v148
	v_mul_i32_i24_e32 v65, v65, v149
	;; [unrolled: 1-line block ×4, first 2 shown]
	v_cvt_f32_i32_e32 v70, v70
	v_mul_i32_i24_e32 v50, v50, v150
	v_mul_i32_i24_e32 v67, v67, v152
	;; [unrolled: 1-line block ×4, first 2 shown]
	v_fma_mix_f32 v70, v3, v70, -v69 op_sel_hi:[1,0,0]
	v_mul_i32_i24_e32 v68, v68, v141
	v_mul_i32_i24_e32 v60, v60, v153
	s_delay_alu instid0(VALU_DEP_3) | instskip(SKIP_2) | instid1(VALU_DEP_2)
	v_fmac_f32_e32 v19, v187, v70
	v_mul_i32_i24_e32 v70, v25, v157
	v_mul_i32_i24_e32 v25, v25, v124
	v_mad_i32_i24 v70, v40, v155, v70
	s_delay_alu instid0(VALU_DEP_2) | instskip(NEXT) | instid1(VALU_DEP_2)
	v_mad_i32_i24 v25, v40, v122, v25
	v_add3_u32 v70, v70, v71, v72
	s_delay_alu instid0(VALU_DEP_2) | instskip(NEXT) | instid1(VALU_DEP_2)
	v_add3_u32 v25, v25, v26, v30
	v_add3_u32 v70, v70, v73, v78
	s_delay_alu instid0(VALU_DEP_2) | instskip(NEXT) | instid1(VALU_DEP_2)
	v_add3_u32 v25, v25, v39, v45
	;; [unrolled: 3-line block ×14, first 2 shown]
	v_add3_u32 v70, v70, v253, v254
	s_delay_alu instid0(VALU_DEP_2)
	v_add3_u32 v25, v25, v68, v60
	ds_load_b128 v[47:50], v115 offset:5120
	ds_load_b128 v[57:60], v115 offset:5136
	v_lshrrev_b32_e32 v68, 16, v4
	v_cvt_f32_i32_e32 v70, v70
	v_cvt_f32_i32_e32 v25, v25
	s_delay_alu instid0(VALU_DEP_3) | instskip(NEXT) | instid1(VALU_DEP_3)
	v_cvt_f32_f16_e32 v68, v68
	v_fma_mix_f32 v70, v3, v70, -v69 op_sel_hi:[1,0,0]
	s_delay_alu instid0(VALU_DEP_2) | instskip(NEXT) | instid1(VALU_DEP_2)
	v_mul_f32_e32 v68, 0x41000000, v68
	v_fmac_f32_e32 v18, v154, v70
	v_fma_mix_f32 v3, v3, v25, -v69 op_sel_hi:[1,0,0]
	s_delay_alu instid0(VALU_DEP_1)
	v_fmac_f32_e32 v17, v121, v3
	s_waitcnt lgkmcnt(1)
	v_bfe_i32 v3, v47, 0, 8
	v_bfe_i32 v25, v47, 8, 8
	;; [unrolled: 1-line block ×3, first 2 shown]
	s_waitcnt lgkmcnt(0)
	v_bfe_i32 v39, v57, 0, 8
	v_ashrrev_i32_e32 v30, 24, v47
	v_mul_i32_i24_e32 v69, v3, v223
	v_bfe_i32 v44, v48, 0, 8
	v_mul_i32_i24_e32 v70, v25, v224
	v_mul_i32_i24_e32 v71, v26, v226
	v_bfe_i32 v40, v57, 8, 8
	v_mad_i32_i24 v69, v39, v221, v69
	v_bfe_i32 v41, v57, 16, 8
	v_mul_i32_i24_e32 v72, v30, v227
	v_mul_i32_i24_e32 v77, v44, v230
	v_ashrrev_i32_e32 v43, 24, v57
	v_add3_u32 v69, v69, v70, v71
	v_bfe_i32 v45, v48, 8, 8
	v_bfe_i32 v46, v48, 16, 8
	v_ashrrev_i32_e32 v47, 24, v48
	v_bfe_i32 v48, v58, 0, 8
	v_mul_i32_i24_e32 v73, v40, v228
	v_mul_i32_i24_e32 v75, v41, v222
	v_add3_u32 v69, v69, v72, v77
	v_mul_i32_i24_e32 v76, v43, v229
	v_mul_i32_i24_e32 v81, v48, v235
	v_bfe_i32 v54, v49, 0, 8
	v_mul_i32_i24_e32 v78, v45, v231
	v_add3_u32 v69, v69, v73, v75
	v_mul_i32_i24_e32 v79, v46, v232
	v_bfe_i32 v51, v58, 8, 8
	v_bfe_i32 v52, v58, 16, 8
	v_mul_i32_i24_e32 v80, v47, v234
	v_add3_u32 v69, v69, v76, v81
	v_mul_i32_i24_e32 v97, v54, v238
	v_ashrrev_i32_e32 v53, 24, v58
	v_bfe_i32 v57, v59, 0, 8
	v_mul_i32_i24_e32 v82, v51, v236
	v_add3_u32 v69, v69, v78, v79
	v_mul_i32_i24_e32 v84, v52, v225
	v_bfe_i32 v55, v49, 8, 8
	v_bfe_i32 v56, v49, 16, 8
	v_mul_i32_i24_e32 v85, v53, v237
	v_add3_u32 v69, v69, v80, v97
	v_mul_i32_i24_e32 v101, v57, v243
	v_ashrrev_i32_e32 v49, 24, v49
	v_bfe_i32 v62, v50, 0, 8
	v_mul_i32_i24_e32 v98, v55, v239
	v_add3_u32 v69, v69, v82, v84
	v_mul_i32_i24_e32 v99, v56, v241
	v_bfe_i32 v58, v59, 8, 8
	v_bfe_i32 v61, v59, 16, 8
	v_mul_i32_i24_e32 v100, v49, v242
	v_add3_u32 v69, v69, v85, v101
	v_mul_i32_i24_e32 v107, v62, v246
	v_ashrrev_i32_e32 v59, 24, v59
	v_bfe_i32 v65, v60, 0, 8
	v_mul_i32_i24_e32 v102, v58, v244
	v_add3_u32 v69, v69, v98, v99
	v_mul_i32_i24_e32 v105, v61, v233
	v_bfe_i32 v63, v50, 8, 8
	v_bfe_i32 v64, v50, 16, 8
	v_mul_i32_i24_e32 v106, v59, v245
	v_add3_u32 v69, v69, v100, v107
	v_mul_i32_i24_e32 v111, v65, v250
	v_ashrrev_i32_e32 v50, 24, v50
	v_bfe_i32 v66, v60, 8, 8
	v_mul_i32_i24_e32 v108, v63, v247
	v_add3_u32 v69, v69, v102, v105
	v_mul_i32_i24_e32 v109, v64, v248
	v_bfe_i32 v67, v60, 16, 8
	v_ashrrev_i32_e32 v60, 24, v60
	v_mul_i32_i24_e32 v110, v50, v249
	v_add3_u32 v69, v69, v106, v111
	v_mul_i32_i24_e32 v112, v66, v251
	v_mul_i32_i24_e32 v113, v67, v240
	v_mul_i32_i24_e32 v253, v60, v252
	v_mul_i32_i24_e32 v70, v25, v191
	v_add3_u32 v69, v69, v108, v109
	v_mul_i32_i24_e32 v71, v26, v193
	v_mul_i32_i24_e32 v72, v30, v194
	v_mul_i32_i24_e32 v77, v44, v198
	;; [unrolled: 5-line block ×4, first 2 shown]
	v_mul_i32_i24_e32 v82, v51, v204
	v_cvt_f32_i32_e32 v69, v69
	v_mul_i32_i24_e32 v84, v52, v192
	v_mul_i32_i24_e32 v85, v53, v205
	;; [unrolled: 1-line block ×4, first 2 shown]
	v_fma_mix_f32 v69, v4, v69, -v68 op_sel_hi:[1,0,0]
	v_mul_i32_i24_e32 v99, v56, v209
	v_mul_i32_i24_e32 v100, v49, v210
	;; [unrolled: 1-line block ×4, first 2 shown]
	v_fmac_f32_e32 v16, v196, v69
	v_mul_i32_i24_e32 v69, v3, v190
	v_mul_i32_i24_e32 v105, v61, v202
	;; [unrolled: 1-line block ×5, first 2 shown]
	v_mad_i32_i24 v69, v39, v188, v69
	v_mul_i32_i24_e32 v109, v64, v216
	v_mul_i32_i24_e32 v110, v50, v217
	v_mul_i32_i24_e32 v112, v66, v219
	v_mul_i32_i24_e32 v113, v67, v208
	v_add3_u32 v69, v69, v70, v71
	v_mul_i32_i24_e32 v253, v60, v220
	v_mul_i32_i24_e32 v70, v25, v158
	v_mul_i32_i24_e32 v71, v26, v160
	v_mul_i32_i24_e32 v25, v25, v125
	v_add3_u32 v69, v69, v72, v77
	;; [unrolled: 5-line block ×15, first 2 shown]
	v_mul_i32_i24_e32 v66, v66, v152
	v_mul_i32_i24_e32 v113, v67, v174
	;; [unrolled: 1-line block ×4, first 2 shown]
	v_cvt_f32_i32_e32 v69, v69
	v_mul_i32_i24_e32 v60, v60, v153
	s_delay_alu instid0(VALU_DEP_2) | instskip(NEXT) | instid1(VALU_DEP_1)
	v_fma_mix_f32 v69, v4, v69, -v68 op_sel_hi:[1,0,0]
	v_fmac_f32_e32 v15, v187, v69
	v_mul_i32_i24_e32 v69, v3, v157
	v_mul_i32_i24_e32 v3, v3, v124
	s_delay_alu instid0(VALU_DEP_2) | instskip(NEXT) | instid1(VALU_DEP_2)
	v_mad_i32_i24 v69, v39, v155, v69
	v_mad_i32_i24 v3, v39, v122, v3
	s_delay_alu instid0(VALU_DEP_2) | instskip(NEXT) | instid1(VALU_DEP_2)
	v_add3_u32 v69, v69, v70, v71
	v_add3_u32 v3, v3, v25, v26
	s_delay_alu instid0(VALU_DEP_2) | instskip(NEXT) | instid1(VALU_DEP_2)
	v_add3_u32 v69, v69, v72, v77
	v_add3_u32 v3, v3, v30, v44
	;; [unrolled: 3-line block ×15, first 2 shown]
	s_delay_alu instid0(VALU_DEP_2) | instskip(NEXT) | instid1(VALU_DEP_2)
	v_cvt_f32_i32_e32 v69, v69
	v_cvt_f32_i32_e32 v3, v3
	s_delay_alu instid0(VALU_DEP_2) | instskip(NEXT) | instid1(VALU_DEP_2)
	v_fma_mix_f32 v69, v4, v69, -v68 op_sel_hi:[1,0,0]
	v_fma_mix_f32 v3, v4, v3, -v68 op_sel_hi:[1,0,0]
	s_delay_alu instid0(VALU_DEP_1)
	v_dual_fmac_f32 v14, v154, v69 :: v_dual_fmac_f32 v13, v121, v3
	ds_load_b128 v[47:50], v115 offset:6144
	ds_load_b128 v[57:60], v115 offset:6160
	ds_load_2addr_b32 v[3:4], v114 offset0:192 offset1:224
	v_add_nc_u32_e32 v114, 4, v114
	s_waitcnt lgkmcnt(2)
	v_bfe_i32 v25, v47, 0, 8
	v_bfe_i32 v26, v47, 8, 8
	;; [unrolled: 1-line block ×3, first 2 shown]
	s_waitcnt lgkmcnt(1)
	v_bfe_i32 v40, v57, 0, 8
	v_ashrrev_i32_e32 v39, 24, v47
	v_mul_i32_i24_e32 v70, v25, v223
	v_bfe_i32 v45, v48, 0, 8
	v_mul_i32_i24_e32 v71, v26, v224
	v_mul_i32_i24_e32 v72, v30, v226
	v_bfe_i32 v41, v57, 8, 8
	v_mad_i32_i24 v70, v40, v221, v70
	v_bfe_i32 v43, v57, 16, 8
	v_mul_i32_i24_e32 v73, v39, v227
	v_mul_i32_i24_e32 v78, v45, v230
	v_ashrrev_i32_e32 v44, 24, v57
	v_add3_u32 v70, v70, v71, v72
	v_bfe_i32 v51, v58, 0, 8
	v_mul_i32_i24_e32 v75, v41, v228
	v_mul_i32_i24_e32 v76, v43, v222
	v_bfe_i32 v46, v48, 8, 8
	v_add3_u32 v70, v70, v73, v78
	v_bfe_i32 v47, v48, 16, 8
	v_mul_i32_i24_e32 v77, v44, v229
	v_mul_i32_i24_e32 v82, v51, v235
	v_ashrrev_i32_e32 v48, 24, v48
	v_add3_u32 v70, v70, v75, v76
	v_bfe_i32 v55, v49, 0, 8
	v_mul_i32_i24_e32 v79, v46, v231
	v_mul_i32_i24_e32 v80, v47, v232
	v_bfe_i32 v52, v58, 8, 8
	v_add3_u32 v70, v70, v77, v82
	;; [unrolled: 10-line block ×6, first 2 shown]
	v_ashrrev_i32_e32 v60, 24, v60
	v_mul_i32_i24_e32 v111, v50, v249
	v_mul_i32_i24_e32 v113, v67, v251
	s_waitcnt lgkmcnt(0)
	v_lshrrev_b32_e32 v69, 16, v3
	v_add3_u32 v70, v70, v109, v110
	v_mul_i32_i24_e32 v253, v68, v240
	v_mul_i32_i24_e32 v254, v60, v252
	;; [unrolled: 1-line block ×3, first 2 shown]
	v_cvt_f32_f16_e32 v69, v69
	v_add3_u32 v70, v70, v111, v113
	v_mul_i32_i24_e32 v72, v30, v193
	v_mul_i32_i24_e32 v73, v39, v194
	;; [unrolled: 1-line block ×3, first 2 shown]
	v_mul_f32_e32 v69, 0x41000000, v69
	v_add3_u32 v70, v70, v253, v254
	v_mul_i32_i24_e32 v75, v41, v195
	v_mul_i32_i24_e32 v76, v43, v189
	v_mul_i32_i24_e32 v77, v44, v197
	v_mul_i32_i24_e32 v82, v51, v203
	v_cvt_f32_i32_e32 v70, v70
	v_mul_i32_i24_e32 v79, v46, v199
	v_mul_i32_i24_e32 v80, v47, v200
	;; [unrolled: 1-line block ×4, first 2 shown]
	v_fma_mix_f32 v70, v3, v70, -v69 op_sel_hi:[1,0,0]
	v_mul_i32_i24_e32 v84, v52, v204
	v_mul_i32_i24_e32 v85, v53, v192
	;; [unrolled: 1-line block ×4, first 2 shown]
	v_fmac_f32_e32 v12, v196, v70
	v_mul_i32_i24_e32 v70, v25, v190
	v_mul_i32_i24_e32 v99, v56, v207
	;; [unrolled: 1-line block ×5, first 2 shown]
	v_mad_i32_i24 v70, v40, v188, v70
	v_mul_i32_i24_e32 v105, v61, v212
	v_mul_i32_i24_e32 v106, v62, v202
	v_mul_i32_i24_e32 v107, v59, v213
	v_mul_i32_i24_e32 v112, v66, v218
	v_add3_u32 v70, v70, v71, v72
	v_mul_i32_i24_e32 v109, v64, v215
	v_mul_i32_i24_e32 v110, v65, v216
	v_mul_i32_i24_e32 v111, v50, v217
	v_mul_i32_i24_e32 v113, v67, v219
	v_add3_u32 v70, v70, v73, v78
	;; [unrolled: 5-line block ×15, first 2 shown]
	v_mul_i32_i24_e32 v111, v50, v183
	v_mul_i32_i24_e32 v113, v67, v185
	;; [unrolled: 1-line block ×4, first 2 shown]
	v_cvt_f32_i32_e32 v70, v70
	v_mul_i32_i24_e32 v253, v68, v174
	v_mul_i32_i24_e32 v254, v60, v186
	;; [unrolled: 1-line block ×4, first 2 shown]
	v_fma_mix_f32 v70, v3, v70, -v69 op_sel_hi:[1,0,0]
	v_mul_i32_i24_e32 v68, v68, v141
	v_mul_i32_i24_e32 v60, v60, v153
	s_delay_alu instid0(VALU_DEP_3) | instskip(SKIP_2) | instid1(VALU_DEP_2)
	v_fmac_f32_e32 v11, v187, v70
	v_mul_i32_i24_e32 v70, v25, v157
	v_mul_i32_i24_e32 v25, v25, v124
	v_mad_i32_i24 v70, v40, v155, v70
	s_delay_alu instid0(VALU_DEP_2) | instskip(NEXT) | instid1(VALU_DEP_2)
	v_mad_i32_i24 v25, v40, v122, v25
	v_add3_u32 v70, v70, v71, v72
	s_delay_alu instid0(VALU_DEP_2) | instskip(NEXT) | instid1(VALU_DEP_2)
	v_add3_u32 v25, v25, v26, v30
	v_add3_u32 v70, v70, v73, v78
	s_delay_alu instid0(VALU_DEP_2) | instskip(NEXT) | instid1(VALU_DEP_2)
	v_add3_u32 v25, v25, v39, v45
	;; [unrolled: 3-line block ×13, first 2 shown]
	v_add3_u32 v70, v70, v111, v113
	ds_load_b128 v[99:102], v115 offset:7168
	ds_load_b128 v[109:112], v115 offset:7184
	v_add3_u32 v25, v25, v50, v67
	v_add_nc_u32_e32 v115, 32, v115
	v_add3_u32 v70, v70, v253, v254
	s_delay_alu instid0(VALU_DEP_3) | instskip(NEXT) | instid1(VALU_DEP_2)
	v_add3_u32 v25, v25, v68, v60
	v_cvt_f32_i32_e32 v70, v70
	s_delay_alu instid0(VALU_DEP_2) | instskip(NEXT) | instid1(VALU_DEP_2)
	v_cvt_f32_i32_e32 v25, v25
	v_fma_mix_f32 v70, v3, v70, -v69 op_sel_hi:[1,0,0]
	s_delay_alu instid0(VALU_DEP_1) | instskip(NEXT) | instid1(VALU_DEP_3)
	v_fmac_f32_e32 v10, v154, v70
	v_fma_mix_f32 v3, v3, v25, -v69 op_sel_hi:[1,0,0]
	s_waitcnt lgkmcnt(1)
	v_bfe_i32 v25, v99, 0, 8
	v_bfe_i32 v26, v99, 8, 8
	;; [unrolled: 1-line block ×3, first 2 shown]
	s_waitcnt lgkmcnt(0)
	v_bfe_i32 v253, v109, 0, 8
	v_ashrrev_i32_e32 v254, 24, v99
	v_mul_i32_i24_e32 v39, v25, v223
	v_bfe_i32 v30, v100, 0, 8
	v_mul_i32_i24_e32 v40, v26, v224
	v_mul_i32_i24_e32 v41, v98, v226
	v_bfe_i32 v105, v109, 8, 8
	v_mad_i32_i24 v39, v253, v221, v39
	v_bfe_i32 v106, v109, 16, 8
	v_mul_i32_i24_e32 v44, v254, v227
	v_mul_i32_i24_e32 v52, v30, v230
	v_ashrrev_i32_e32 v107, 24, v109
	v_add3_u32 v39, v39, v40, v41
	v_bfe_i32 v49, v110, 0, 8
	v_mul_i32_i24_e32 v45, v105, v228
	v_mul_i32_i24_e32 v46, v106, v222
	v_bfe_i32 v43, v100, 8, 8
	v_add3_u32 v39, v39, v44, v52
	v_bfe_i32 v47, v100, 16, 8
	v_mul_i32_i24_e32 v51, v107, v229
	v_mul_i32_i24_e32 v67, v49, v235
	v_ashrrev_i32_e32 v48, 24, v100
	v_add3_u32 v39, v39, v45, v46
	v_bfe_i32 v53, v101, 0, 8
	v_mul_i32_i24_e32 v56, v43, v231
	v_mul_i32_i24_e32 v61, v47, v232
	v_bfe_i32 v50, v110, 8, 8
	v_add3_u32 v39, v39, v51, v67
	;; [unrolled: 10-line block ×6, first 2 shown]
	v_ashrrev_i32_e32 v112, 24, v112
	v_mul_i32_i24_e32 v97, v84, v249
	v_mul_i32_i24_e32 v100, v110, v251
	v_fmac_f32_e32 v9, v121, v3
	v_add3_u32 v39, v39, v81, v82
	v_lshrrev_b32_e32 v3, 16, v4
	v_mul_i32_i24_e32 v101, v111, v240
	v_mul_i32_i24_e32 v102, v112, v252
	;; [unrolled: 1-line block ×3, first 2 shown]
	v_add3_u32 v39, v39, v97, v100
	v_cvt_f32_f16_e32 v3, v3
	v_mul_i32_i24_e32 v41, v98, v193
	v_mul_i32_i24_e32 v44, v254, v194
	;; [unrolled: 1-line block ×3, first 2 shown]
	v_add3_u32 v39, v39, v101, v102
	v_mul_f32_e32 v3, 0x41000000, v3
	v_mul_i32_i24_e32 v45, v105, v195
	v_mul_i32_i24_e32 v46, v106, v189
	;; [unrolled: 1-line block ×3, first 2 shown]
	v_cvt_f32_i32_e32 v39, v39
	v_mul_i32_i24_e32 v67, v49, v203
	v_mul_i32_i24_e32 v56, v43, v199
	;; [unrolled: 1-line block ×4, first 2 shown]
	v_fma_mix_f32 v39, v4, v39, -v3 op_sel_hi:[1,0,0]
	v_mul_i32_i24_e32 v71, v53, v206
	v_mul_i32_i24_e32 v68, v50, v204
	;; [unrolled: 1-line block ×4, first 2 shown]
	v_fmac_f32_e32 v8, v196, v39
	v_mul_i32_i24_e32 v39, v25, v190
	v_mul_i32_i24_e32 v76, v58, v211
	;; [unrolled: 1-line block ×5, first 2 shown]
	v_mad_i32_i24 v39, v253, v188, v39
	v_mul_i32_i24_e32 v80, v63, v214
	v_mul_i32_i24_e32 v77, v59, v212
	v_mul_i32_i24_e32 v78, v60, v202
	v_mul_i32_i24_e32 v79, v62, v213
	v_add3_u32 v39, v39, v40, v41
	v_mul_i32_i24_e32 v99, v85, v218
	v_mul_i32_i24_e32 v81, v64, v215
	v_mul_i32_i24_e32 v82, v65, v216
	v_mul_i32_i24_e32 v97, v84, v217
	v_add3_u32 v39, v39, v44, v52
	;; [unrolled: 5-line block ×5, first 2 shown]
	v_mul_i32_i24_e32 v56, v43, v165
	v_mul_i32_i24_e32 v61, v47, v166
	;; [unrolled: 1-line block ×3, first 2 shown]
	s_delay_alu instid0(VALU_DEP_4) | instskip(SKIP_2) | instid1(VALU_DEP_3)
	v_add3_u32 v39, v39, v66, v71
	v_mul_i32_i24_e32 v66, v48, v167
	v_mul_i32_i24_e32 v71, v53, v172
	v_add3_u32 v39, v39, v68, v69
	v_mul_i32_i24_e32 v68, v50, v170
	v_mul_i32_i24_e32 v69, v108, v159
	;; [unrolled: 1-line block ×3, first 2 shown]
	s_delay_alu instid0(VALU_DEP_4) | instskip(SKIP_3) | instid1(VALU_DEP_4)
	v_add3_u32 v39, v39, v70, v76
	v_mul_i32_i24_e32 v70, v109, v171
	v_mul_i32_i24_e32 v76, v58, v177
	;; [unrolled: 1-line block ×3, first 2 shown]
	v_add3_u32 v39, v39, v72, v73
	v_mul_i32_i24_e32 v72, v54, v173
	v_mul_i32_i24_e32 v73, v55, v175
	;; [unrolled: 1-line block ×3, first 2 shown]
	s_delay_alu instid0(VALU_DEP_4) | instskip(SKIP_3) | instid1(VALU_DEP_4)
	v_add3_u32 v39, v39, v75, v80
	v_mul_i32_i24_e32 v75, v57, v176
	v_mul_i32_i24_e32 v80, v63, v180
	;; [unrolled: 1-line block ×3, first 2 shown]
	v_add3_u32 v39, v39, v77, v78
	v_mul_i32_i24_e32 v77, v59, v178
	v_mul_i32_i24_e32 v78, v60, v168
	s_delay_alu instid0(VALU_DEP_3) | instskip(SKIP_2) | instid1(VALU_DEP_3)
	v_add3_u32 v39, v39, v79, v99
	v_mul_i32_i24_e32 v79, v62, v179
	v_mul_i32_i24_e32 v99, v85, v184
	v_add3_u32 v39, v39, v81, v82
	v_mul_i32_i24_e32 v81, v64, v181
	v_mul_i32_i24_e32 v82, v65, v182
	s_delay_alu instid0(VALU_DEP_3) | instskip(SKIP_2) | instid1(VALU_DEP_3)
	v_add3_u32 v39, v39, v97, v100
	v_mul_i32_i24_e32 v97, v84, v183
	v_mul_i32_i24_e32 v100, v110, v185
	v_add3_u32 v39, v39, v101, v102
	v_mul_i32_i24_e32 v101, v111, v174
	v_mul_i32_i24_e32 v102, v112, v186
	s_delay_alu instid0(VALU_DEP_3) | instskip(NEXT) | instid1(VALU_DEP_1)
	v_cvt_f32_i32_e32 v39, v39
	v_fma_mix_f32 v39, v4, v39, -v3 op_sel_hi:[1,0,0]
	s_delay_alu instid0(VALU_DEP_1) | instskip(SKIP_1) | instid1(VALU_DEP_1)
	v_fmac_f32_e32 v7, v187, v39
	v_mul_i32_i24_e32 v39, v25, v157
	v_mad_i32_i24 v39, v253, v155, v39
	s_delay_alu instid0(VALU_DEP_1)
	v_add3_u32 v39, v39, v40, v41
	v_mul_i32_i24_e32 v40, v26, v125
	v_mul_i32_i24_e32 v41, v98, v127
	v_mul_i32_i24_e32 v127, v107, v130
	v_mul_i32_i24_e32 v125, v47, v133
	v_add3_u32 v39, v39, v44, v52
	v_mul_i32_i24_e32 v44, v254, v128
	v_mul_i32_i24_e32 v128, v49, v136
	v_mul_i32_i24_e32 v107, v50, v137
	v_mul_i32_i24_e32 v98, v54, v140
	v_add3_u32 v39, v39, v45, v46
	v_mul_i32_i24_e32 v45, v30, v131
	v_mul_i32_i24_e32 v54, v60, v135
	v_mul_i32_i24_e32 v49, v62, v146
	v_mul_i32_i24_e32 v50, v85, v151
	v_add3_u32 v39, v39, v51, v67
	v_mul_i32_i24_e32 v47, v64, v148
	v_mul_i32_i24_e32 v30, v84, v150
	;; [unrolled: 1-line block ×3, first 2 shown]
	s_delay_alu instid0(VALU_DEP_4) | instskip(NEXT) | instid1(VALU_DEP_1)
	v_add3_u32 v39, v39, v56, v61
	v_add3_u32 v39, v39, v66, v71
	s_delay_alu instid0(VALU_DEP_1) | instskip(NEXT) | instid1(VALU_DEP_1)
	v_add3_u32 v39, v39, v68, v69
	v_add3_u32 v39, v39, v70, v76
	s_delay_alu instid0(VALU_DEP_1) | instskip(NEXT) | instid1(VALU_DEP_1)
	;; [unrolled: 3-line block ×5, first 2 shown]
	v_add3_u32 v39, v39, v101, v102
	v_cvt_f32_i32_e32 v39, v39
	s_delay_alu instid0(VALU_DEP_1) | instskip(NEXT) | instid1(VALU_DEP_1)
	v_fma_mix_f32 v39, v4, v39, -v3 op_sel_hi:[1,0,0]
	v_fmac_f32_e32 v6, v154, v39
	v_mul_i32_i24_e32 v39, v25, v124
	v_mul_i32_i24_e32 v154, v106, v123
	;; [unrolled: 1-line block ×5, first 2 shown]
	v_mad_i32_i24 v39, v253, v122, v39
	v_mul_i32_i24_e32 v109, v53, v139
	v_mul_i32_i24_e32 v53, v59, v145
	;; [unrolled: 1-line block ×4, first 2 shown]
	v_add3_u32 v39, v39, v40, v41
	v_mul_i32_i24_e32 v25, v111, v141
	s_delay_alu instid0(VALU_DEP_2) | instskip(NEXT) | instid1(VALU_DEP_1)
	v_add3_u32 v39, v39, v44, v45
	v_add3_u32 v39, v39, v129, v154
	s_delay_alu instid0(VALU_DEP_1) | instskip(NEXT) | instid1(VALU_DEP_1)
	v_add3_u32 v39, v39, v127, v128
	v_add3_u32 v39, v39, v124, v125
	s_delay_alu instid0(VALU_DEP_1) | instskip(NEXT) | instid1(VALU_DEP_1)
	v_add3_u32 v39, v39, v123, v109
	v_add3_u32 v39, v39, v107, v108
	s_delay_alu instid0(VALU_DEP_1) | instskip(NEXT) | instid1(VALU_DEP_1)
	v_add3_u32 v39, v39, v106, v58
	v_add3_u32 v39, v39, v98, v105
	s_delay_alu instid0(VALU_DEP_1) | instskip(NEXT) | instid1(VALU_DEP_1)
	v_add3_u32 v39, v39, v55, v57
	v_add3_u32 v39, v39, v53, v54
	s_delay_alu instid0(VALU_DEP_1) | instskip(NEXT) | instid1(VALU_DEP_1)
	v_add3_u32 v39, v39, v49, v50
	v_add3_u32 v39, v39, v47, v48
	s_delay_alu instid0(VALU_DEP_1) | instskip(NEXT) | instid1(VALU_DEP_1)
	v_add3_u32 v30, v39, v30, v43
	v_add3_u32 v25, v30, v25, v26
	s_delay_alu instid0(VALU_DEP_1) | instskip(NEXT) | instid1(VALU_DEP_1)
	v_cvt_f32_i32_e32 v25, v25
	v_fma_mix_f32 v3, v4, v25, -v3 op_sel_hi:[1,0,0]
	s_delay_alu instid0(VALU_DEP_1)
	v_fmac_f32_e32 v5, v121, v3
	s_cbranch_scc1 .LBB157_10
; %bb.11:                               ;   in Loop: Header=BB157_6 Depth=1
	s_barrier
	buffer_gl0_inv
	s_branch .LBB157_5
.LBB157_12:
	s_clause 0x2
	scratch_load_b32 v1, off, off offset:236
	scratch_load_b32 v0, off, off offset:240
	;; [unrolled: 1-line block ×3, first 2 shown]
.LBB157_13:
	s_mov_b32 s0, exec_lo
	s_waitcnt vmcnt(0)
	v_cmpx_gt_u32_e64 s4, v2
	s_cbranch_execz .LBB157_64
; %bb.14:
	v_add_nc_u32_e32 v0, s10, v0
	v_mul_lo_u32 v25, v2, s6
	s_delay_alu instid0(VALU_DEP_2)
	v_cmp_gt_u32_e32 vcc_lo, s6, v0
	s_and_saveexec_b32 s1, vcc_lo
	s_cbranch_execz .LBB157_16
; %bb.15:
	v_bfe_u32 v3, v35, 16, 1
	s_delay_alu instid0(VALU_DEP_3) | instskip(SKIP_1) | instid1(VALU_DEP_3)
	v_add_nc_u32_e32 v2, v0, v25
	v_cmp_o_f32_e64 s0, v35, v35
	v_add3_u32 v4, v35, v3, 0x7fff
	v_mov_b32_e32 v3, 0
	s_delay_alu instid0(VALU_DEP_2) | instskip(NEXT) | instid1(VALU_DEP_2)
	v_lshrrev_b32_e32 v4, 16, v4
	v_lshlrev_b64 v[2:3], 1, v[2:3]
	s_delay_alu instid0(VALU_DEP_2) | instskip(SKIP_1) | instid1(VALU_DEP_2)
	v_cndmask_b32_e64 v4, 0x7fc0, v4, s0
	s_waitcnt lgkmcnt(0)
	v_add_co_u32 v2, s0, s8, v2
	s_delay_alu instid0(VALU_DEP_1)
	v_add_co_ci_u32_e64 v3, s0, s9, v3, s0
	global_store_b16 v[2:3], v4, off
.LBB157_16:
	s_or_b32 exec_lo, exec_lo, s1
	v_add_nc_u32_e32 v2, 32, v0
	s_delay_alu instid0(VALU_DEP_1) | instskip(NEXT) | instid1(VALU_DEP_1)
	v_cmp_gt_u32_e64 s0, s6, v2
	s_and_saveexec_b32 s2, s0
	s_cbranch_execz .LBB157_18
; %bb.17:
	v_bfe_u32 v4, v42, 16, 1
	v_add_nc_u32_e32 v3, v2, v25
	v_cmp_o_f32_e64 s1, v42, v42
	s_delay_alu instid0(VALU_DEP_3) | instskip(SKIP_1) | instid1(VALU_DEP_2)
	v_add3_u32 v26, v42, v4, 0x7fff
	v_mov_b32_e32 v4, 0
	v_lshrrev_b32_e32 v26, 16, v26
	s_delay_alu instid0(VALU_DEP_2) | instskip(NEXT) | instid1(VALU_DEP_2)
	v_lshlrev_b64 v[3:4], 1, v[3:4]
	v_cndmask_b32_e64 v26, 0x7fc0, v26, s1
	s_waitcnt lgkmcnt(0)
	s_delay_alu instid0(VALU_DEP_2) | instskip(NEXT) | instid1(VALU_DEP_1)
	v_add_co_u32 v3, s1, s8, v3
	v_add_co_ci_u32_e64 v4, s1, s9, v4, s1
	global_store_b16 v[3:4], v26, off
.LBB157_18:
	s_or_b32 exec_lo, exec_lo, s2
	v_add_nc_u32_e32 v3, 64, v0
	s_delay_alu instid0(VALU_DEP_1) | instskip(NEXT) | instid1(VALU_DEP_1)
	v_cmp_gt_u32_e64 s1, s6, v3
	s_and_saveexec_b32 s3, s1
	s_cbranch_execz .LBB157_20
; %bb.19:
	v_bfe_u32 v4, v38, 16, 1
	v_dual_mov_b32 v40, 0 :: v_dual_add_nc_u32 v39, v3, v25
	v_cmp_o_f32_e64 s2, v38, v38
	s_delay_alu instid0(VALU_DEP_3) | instskip(NEXT) | instid1(VALU_DEP_3)
	v_add3_u32 v4, v38, v4, 0x7fff
	v_lshlrev_b64 v[39:40], 1, v[39:40]
	s_delay_alu instid0(VALU_DEP_2) | instskip(NEXT) | instid1(VALU_DEP_1)
	v_lshrrev_b32_e32 v4, 16, v4
	v_cndmask_b32_e64 v4, 0x7fc0, v4, s2
	s_waitcnt lgkmcnt(0)
	s_delay_alu instid0(VALU_DEP_3) | instskip(NEXT) | instid1(VALU_DEP_1)
	v_add_co_u32 v38, s2, s8, v39
	v_add_co_ci_u32_e64 v39, s2, s9, v40, s2
	global_store_b16 v[38:39], v4, off
.LBB157_20:
	s_or_b32 exec_lo, exec_lo, s3
	v_add_nc_u32_e32 v4, 0x60, v0
	s_delay_alu instid0(VALU_DEP_1) | instskip(NEXT) | instid1(VALU_DEP_1)
	v_cmp_gt_u32_e64 s2, s6, v4
	s_and_saveexec_b32 s5, s2
	s_cbranch_execz .LBB157_22
; %bb.21:
	v_bfe_u32 v26, v37, 16, 1
	v_add_nc_u32_e32 v25, v4, v25
	v_cmp_o_f32_e64 s3, v37, v37
	s_delay_alu instid0(VALU_DEP_3) | instskip(SKIP_1) | instid1(VALU_DEP_2)
	v_add3_u32 v30, v37, v26, 0x7fff
	v_mov_b32_e32 v26, 0
	v_lshrrev_b32_e32 v30, 16, v30
	s_delay_alu instid0(VALU_DEP_2) | instskip(NEXT) | instid1(VALU_DEP_2)
	v_lshlrev_b64 v[25:26], 1, v[25:26]
	v_cndmask_b32_e64 v30, 0x7fc0, v30, s3
	s_waitcnt lgkmcnt(0)
	s_delay_alu instid0(VALU_DEP_2) | instskip(NEXT) | instid1(VALU_DEP_1)
	v_add_co_u32 v25, s3, s8, v25
	v_add_co_ci_u32_e64 v26, s3, s9, v26, s3
	global_store_b16 v[25:26], v30, off
.LBB157_22:
	s_or_b32 exec_lo, exec_lo, s5
	v_add3_u32 v25, v1, s7, 8
	s_delay_alu instid0(VALU_DEP_1) | instskip(NEXT) | instid1(VALU_DEP_1)
	v_cmp_gt_u32_e64 s3, s4, v25
	s_and_b32 exec_lo, exec_lo, s3
	s_cbranch_execz .LBB157_64
; %bb.23:
	v_mul_lo_u32 v25, v25, s6
	s_and_saveexec_b32 s5, vcc_lo
	s_cbranch_execnz .LBB157_65
; %bb.24:
	s_or_b32 exec_lo, exec_lo, s5
	s_and_saveexec_b32 s5, s0
	s_cbranch_execnz .LBB157_66
.LBB157_25:
	s_or_b32 exec_lo, exec_lo, s5
	s_and_saveexec_b32 s5, s1
	s_cbranch_execnz .LBB157_67
.LBB157_26:
	s_or_b32 exec_lo, exec_lo, s5
	s_and_saveexec_b32 s5, s2
	s_cbranch_execz .LBB157_28
.LBB157_27:
	v_bfe_u32 v26, v32, 16, 1
	v_add_nc_u32_e32 v25, v25, v4
	v_cmp_o_f32_e64 s3, v32, v32
	s_delay_alu instid0(VALU_DEP_3) | instskip(SKIP_1) | instid1(VALU_DEP_2)
	v_add3_u32 v30, v32, v26, 0x7fff
	v_mov_b32_e32 v26, 0
	v_lshrrev_b32_e32 v30, 16, v30
	s_delay_alu instid0(VALU_DEP_2) | instskip(NEXT) | instid1(VALU_DEP_2)
	v_lshlrev_b64 v[25:26], 1, v[25:26]
	v_cndmask_b32_e64 v30, 0x7fc0, v30, s3
	s_waitcnt lgkmcnt(0)
	s_delay_alu instid0(VALU_DEP_2) | instskip(NEXT) | instid1(VALU_DEP_1)
	v_add_co_u32 v25, s3, s8, v25
	v_add_co_ci_u32_e64 v26, s3, s9, v26, s3
	global_store_b16 v[25:26], v30, off
.LBB157_28:
	s_or_b32 exec_lo, exec_lo, s5
	v_add3_u32 v25, v1, s7, 16
	s_delay_alu instid0(VALU_DEP_1) | instskip(NEXT) | instid1(VALU_DEP_1)
	v_cmp_gt_u32_e64 s3, s4, v25
	s_and_b32 exec_lo, exec_lo, s3
	s_cbranch_execz .LBB157_64
; %bb.29:
	v_mul_lo_u32 v25, v25, s6
	s_and_saveexec_b32 s5, vcc_lo
	s_cbranch_execnz .LBB157_68
; %bb.30:
	s_or_b32 exec_lo, exec_lo, s5
	s_and_saveexec_b32 s5, s0
	s_cbranch_execnz .LBB157_69
.LBB157_31:
	s_or_b32 exec_lo, exec_lo, s5
	s_and_saveexec_b32 s5, s1
	s_cbranch_execnz .LBB157_70
.LBB157_32:
	s_or_b32 exec_lo, exec_lo, s5
	s_and_saveexec_b32 s5, s2
	s_cbranch_execz .LBB157_34
.LBB157_33:
	v_bfe_u32 v26, v27, 16, 1
	v_add_nc_u32_e32 v25, v25, v4
	v_cmp_o_f32_e64 s3, v27, v27
	s_delay_alu instid0(VALU_DEP_3) | instskip(SKIP_1) | instid1(VALU_DEP_2)
	v_add3_u32 v28, v27, v26, 0x7fff
	v_mov_b32_e32 v26, 0
	v_lshrrev_b32_e32 v28, 16, v28
	s_delay_alu instid0(VALU_DEP_2) | instskip(NEXT) | instid1(VALU_DEP_2)
	v_lshlrev_b64 v[25:26], 1, v[25:26]
	v_cndmask_b32_e64 v27, 0x7fc0, v28, s3
	s_waitcnt lgkmcnt(0)
	s_delay_alu instid0(VALU_DEP_2) | instskip(NEXT) | instid1(VALU_DEP_1)
	v_add_co_u32 v25, s3, s8, v25
	v_add_co_ci_u32_e64 v26, s3, s9, v26, s3
	global_store_b16 v[25:26], v27, off
.LBB157_34:
	s_or_b32 exec_lo, exec_lo, s5
	v_add3_u32 v25, v1, s7, 24
	s_delay_alu instid0(VALU_DEP_1) | instskip(NEXT) | instid1(VALU_DEP_1)
	v_cmp_gt_u32_e64 s3, s4, v25
	s_and_b32 exec_lo, exec_lo, s3
	s_cbranch_execz .LBB157_64
; %bb.35:
	v_mul_lo_u32 v25, v25, s6
	s_and_saveexec_b32 s5, vcc_lo
	s_cbranch_execnz .LBB157_71
; %bb.36:
	s_or_b32 exec_lo, exec_lo, s5
	s_and_saveexec_b32 s5, s0
	s_cbranch_execnz .LBB157_72
.LBB157_37:
	s_or_b32 exec_lo, exec_lo, s5
	s_and_saveexec_b32 s5, s1
	s_cbranch_execnz .LBB157_73
.LBB157_38:
	s_or_b32 exec_lo, exec_lo, s5
	s_and_saveexec_b32 s5, s2
	s_cbranch_execz .LBB157_40
.LBB157_39:
	v_bfe_u32 v23, v21, 16, 1
	v_add_nc_u32_e32 v22, v25, v4
	v_cmp_o_f32_e64 s3, v21, v21
	s_delay_alu instid0(VALU_DEP_3) | instskip(SKIP_1) | instid1(VALU_DEP_2)
	v_add3_u32 v24, v21, v23, 0x7fff
	v_mov_b32_e32 v23, 0
	v_lshrrev_b32_e32 v24, 16, v24
	s_delay_alu instid0(VALU_DEP_2) | instskip(NEXT) | instid1(VALU_DEP_2)
	v_lshlrev_b64 v[22:23], 1, v[22:23]
	v_cndmask_b32_e64 v24, 0x7fc0, v24, s3
	s_waitcnt lgkmcnt(0)
	s_delay_alu instid0(VALU_DEP_2) | instskip(NEXT) | instid1(VALU_DEP_1)
	v_add_co_u32 v21, s3, s8, v22
	v_add_co_ci_u32_e64 v22, s3, s9, v23, s3
	global_store_b16 v[21:22], v24, off
.LBB157_40:
	s_or_b32 exec_lo, exec_lo, s5
	v_add3_u32 v21, v1, s7, 32
	s_delay_alu instid0(VALU_DEP_1) | instskip(NEXT) | instid1(VALU_DEP_1)
	v_cmp_gt_u32_e64 s3, s4, v21
	s_and_b32 exec_lo, exec_lo, s3
	s_cbranch_execz .LBB157_64
; %bb.41:
	v_mul_lo_u32 v21, v21, s6
	s_and_saveexec_b32 s5, vcc_lo
	s_cbranch_execnz .LBB157_74
; %bb.42:
	s_or_b32 exec_lo, exec_lo, s5
	s_and_saveexec_b32 s5, s0
	s_cbranch_execnz .LBB157_75
.LBB157_43:
	s_or_b32 exec_lo, exec_lo, s5
	s_and_saveexec_b32 s5, s1
	s_cbranch_execnz .LBB157_76
.LBB157_44:
	s_or_b32 exec_lo, exec_lo, s5
	s_and_saveexec_b32 s5, s2
	s_cbranch_execz .LBB157_46
.LBB157_45:
	v_bfe_u32 v19, v17, 16, 1
	v_add_nc_u32_e32 v18, v21, v4
	v_cmp_o_f32_e64 s3, v17, v17
	s_delay_alu instid0(VALU_DEP_3) | instskip(SKIP_1) | instid1(VALU_DEP_2)
	v_add3_u32 v20, v17, v19, 0x7fff
	v_mov_b32_e32 v19, 0
	v_lshrrev_b32_e32 v20, 16, v20
	s_delay_alu instid0(VALU_DEP_2) | instskip(NEXT) | instid1(VALU_DEP_2)
	v_lshlrev_b64 v[18:19], 1, v[18:19]
	v_cndmask_b32_e64 v20, 0x7fc0, v20, s3
	s_waitcnt lgkmcnt(0)
	s_delay_alu instid0(VALU_DEP_2) | instskip(NEXT) | instid1(VALU_DEP_1)
	v_add_co_u32 v17, s3, s8, v18
	v_add_co_ci_u32_e64 v18, s3, s9, v19, s3
	global_store_b16 v[17:18], v20, off
.LBB157_46:
	s_or_b32 exec_lo, exec_lo, s5
	v_add3_u32 v17, v1, s7, 40
	s_delay_alu instid0(VALU_DEP_1) | instskip(NEXT) | instid1(VALU_DEP_1)
	v_cmp_gt_u32_e64 s3, s4, v17
	s_and_b32 exec_lo, exec_lo, s3
	s_cbranch_execz .LBB157_64
; %bb.47:
	v_mul_lo_u32 v17, v17, s6
	s_and_saveexec_b32 s5, vcc_lo
	s_cbranch_execnz .LBB157_77
; %bb.48:
	s_or_b32 exec_lo, exec_lo, s5
	s_and_saveexec_b32 s5, s0
	s_cbranch_execnz .LBB157_78
.LBB157_49:
	s_or_b32 exec_lo, exec_lo, s5
	s_and_saveexec_b32 s5, s1
	s_cbranch_execnz .LBB157_79
.LBB157_50:
	s_or_b32 exec_lo, exec_lo, s5
	s_and_saveexec_b32 s5, s2
	s_cbranch_execz .LBB157_52
.LBB157_51:
	v_bfe_u32 v15, v13, 16, 1
	v_add_nc_u32_e32 v14, v17, v4
	v_cmp_o_f32_e64 s3, v13, v13
	s_delay_alu instid0(VALU_DEP_3) | instskip(SKIP_1) | instid1(VALU_DEP_2)
	v_add3_u32 v16, v13, v15, 0x7fff
	v_mov_b32_e32 v15, 0
	v_lshrrev_b32_e32 v16, 16, v16
	s_delay_alu instid0(VALU_DEP_2) | instskip(NEXT) | instid1(VALU_DEP_2)
	v_lshlrev_b64 v[14:15], 1, v[14:15]
	v_cndmask_b32_e64 v16, 0x7fc0, v16, s3
	s_waitcnt lgkmcnt(0)
	s_delay_alu instid0(VALU_DEP_2) | instskip(NEXT) | instid1(VALU_DEP_1)
	v_add_co_u32 v13, s3, s8, v14
	v_add_co_ci_u32_e64 v14, s3, s9, v15, s3
	global_store_b16 v[13:14], v16, off
.LBB157_52:
	s_or_b32 exec_lo, exec_lo, s5
	v_add3_u32 v13, v1, s7, 48
	s_delay_alu instid0(VALU_DEP_1) | instskip(NEXT) | instid1(VALU_DEP_1)
	v_cmp_gt_u32_e64 s3, s4, v13
	s_and_b32 exec_lo, exec_lo, s3
	s_cbranch_execz .LBB157_64
; %bb.53:
	v_mul_lo_u32 v13, v13, s6
	s_and_saveexec_b32 s5, vcc_lo
	s_cbranch_execnz .LBB157_80
; %bb.54:
	s_or_b32 exec_lo, exec_lo, s5
	s_and_saveexec_b32 s5, s0
	s_cbranch_execnz .LBB157_81
.LBB157_55:
	s_or_b32 exec_lo, exec_lo, s5
	s_and_saveexec_b32 s5, s1
	s_cbranch_execnz .LBB157_82
.LBB157_56:
	s_or_b32 exec_lo, exec_lo, s5
	s_and_saveexec_b32 s5, s2
	s_cbranch_execz .LBB157_58
.LBB157_57:
	v_bfe_u32 v11, v9, 16, 1
	v_add_nc_u32_e32 v10, v13, v4
	v_cmp_o_f32_e64 s3, v9, v9
	s_delay_alu instid0(VALU_DEP_3) | instskip(SKIP_1) | instid1(VALU_DEP_2)
	v_add3_u32 v12, v9, v11, 0x7fff
	v_mov_b32_e32 v11, 0
	v_lshrrev_b32_e32 v12, 16, v12
	s_delay_alu instid0(VALU_DEP_2) | instskip(NEXT) | instid1(VALU_DEP_2)
	v_lshlrev_b64 v[10:11], 1, v[10:11]
	v_cndmask_b32_e64 v12, 0x7fc0, v12, s3
	s_waitcnt lgkmcnt(0)
	s_delay_alu instid0(VALU_DEP_2) | instskip(NEXT) | instid1(VALU_DEP_1)
	v_add_co_u32 v9, s3, s8, v10
	v_add_co_ci_u32_e64 v10, s3, s9, v11, s3
	global_store_b16 v[9:10], v12, off
.LBB157_58:
	s_or_b32 exec_lo, exec_lo, s5
	v_add3_u32 v1, v1, s7, 56
	s_delay_alu instid0(VALU_DEP_1) | instskip(NEXT) | instid1(VALU_DEP_1)
	v_cmp_gt_u32_e64 s3, s4, v1
	s_and_b32 exec_lo, exec_lo, s3
	s_cbranch_execz .LBB157_64
; %bb.59:
	v_mul_lo_u32 v1, v1, s6
	s_and_saveexec_b32 s3, vcc_lo
	s_cbranch_execnz .LBB157_83
; %bb.60:
	s_or_b32 exec_lo, exec_lo, s3
	s_and_saveexec_b32 s3, s0
	s_cbranch_execnz .LBB157_84
.LBB157_61:
	s_or_b32 exec_lo, exec_lo, s3
	s_and_saveexec_b32 s0, s1
	s_cbranch_execnz .LBB157_85
.LBB157_62:
	s_or_b32 exec_lo, exec_lo, s0
	s_delay_alu instid0(SALU_CYCLE_1)
	s_and_b32 exec_lo, exec_lo, s2
	s_cbranch_execz .LBB157_64
.LBB157_63:
	v_bfe_u32 v2, v5, 16, 1
	v_dual_mov_b32 v1, 0 :: v_dual_add_nc_u32 v0, v1, v4
	v_cmp_o_f32_e32 vcc_lo, v5, v5
	s_delay_alu instid0(VALU_DEP_3) | instskip(NEXT) | instid1(VALU_DEP_3)
	v_add3_u32 v2, v5, v2, 0x7fff
	v_lshlrev_b64 v[0:1], 1, v[0:1]
	s_delay_alu instid0(VALU_DEP_2) | instskip(NEXT) | instid1(VALU_DEP_1)
	v_lshrrev_b32_e32 v2, 16, v2
	v_cndmask_b32_e32 v2, 0x7fc0, v2, vcc_lo
	s_waitcnt lgkmcnt(0)
	s_delay_alu instid0(VALU_DEP_3) | instskip(NEXT) | instid1(VALU_DEP_4)
	v_add_co_u32 v0, vcc_lo, s8, v0
	v_add_co_ci_u32_e32 v1, vcc_lo, s9, v1, vcc_lo
	global_store_b16 v[0:1], v2, off
.LBB157_64:
	s_nop 0
	s_sendmsg sendmsg(MSG_DEALLOC_VGPRS)
	s_endpgm
.LBB157_65:
	v_bfe_u32 v26, v36, 16, 1
	s_delay_alu instid0(VALU_DEP_2) | instskip(SKIP_1) | instid1(VALU_DEP_3)
	v_dual_mov_b32 v38, 0 :: v_dual_add_nc_u32 v37, v25, v0
	v_cmp_o_f32_e64 s3, v36, v36
	v_add3_u32 v26, v36, v26, 0x7fff
	s_delay_alu instid0(VALU_DEP_3) | instskip(NEXT) | instid1(VALU_DEP_2)
	v_lshlrev_b64 v[37:38], 1, v[37:38]
	v_lshrrev_b32_e32 v26, 16, v26
	s_delay_alu instid0(VALU_DEP_1) | instskip(SKIP_1) | instid1(VALU_DEP_3)
	v_cndmask_b32_e64 v26, 0x7fc0, v26, s3
	s_waitcnt lgkmcnt(0)
	v_add_co_u32 v35, s3, s8, v37
	s_delay_alu instid0(VALU_DEP_1)
	v_add_co_ci_u32_e64 v36, s3, s9, v38, s3
	global_store_b16 v[35:36], v26, off
	s_or_b32 exec_lo, exec_lo, s5
	s_and_saveexec_b32 s5, s0
	s_cbranch_execz .LBB157_25
.LBB157_66:
	v_bfe_u32 v26, v34, 16, 1
	s_delay_alu instid0(VALU_DEP_2) | instskip(SKIP_1) | instid1(VALU_DEP_3)
	v_dual_mov_b32 v36, 0 :: v_dual_add_nc_u32 v35, v25, v2
	v_cmp_o_f32_e64 s3, v34, v34
	v_add3_u32 v26, v34, v26, 0x7fff
	s_delay_alu instid0(VALU_DEP_3) | instskip(NEXT) | instid1(VALU_DEP_2)
	v_lshlrev_b64 v[35:36], 1, v[35:36]
	v_lshrrev_b32_e32 v26, 16, v26
	s_delay_alu instid0(VALU_DEP_1) | instskip(SKIP_1) | instid1(VALU_DEP_3)
	v_cndmask_b32_e64 v26, 0x7fc0, v26, s3
	s_waitcnt lgkmcnt(0)
	v_add_co_u32 v34, s3, s8, v35
	s_delay_alu instid0(VALU_DEP_1)
	v_add_co_ci_u32_e64 v35, s3, s9, v36, s3
	global_store_b16 v[34:35], v26, off
	s_or_b32 exec_lo, exec_lo, s5
	s_and_saveexec_b32 s5, s1
	s_cbranch_execz .LBB157_26
.LBB157_67:
	v_bfe_u32 v26, v33, 16, 1
	v_dual_mov_b32 v35, 0 :: v_dual_add_nc_u32 v34, v25, v3
	v_cmp_o_f32_e64 s3, v33, v33
	s_delay_alu instid0(VALU_DEP_3) | instskip(NEXT) | instid1(VALU_DEP_3)
	v_add3_u32 v26, v33, v26, 0x7fff
	v_lshlrev_b64 v[34:35], 1, v[34:35]
	s_delay_alu instid0(VALU_DEP_2) | instskip(NEXT) | instid1(VALU_DEP_1)
	v_lshrrev_b32_e32 v26, 16, v26
	v_cndmask_b32_e64 v26, 0x7fc0, v26, s3
	s_waitcnt lgkmcnt(0)
	s_delay_alu instid0(VALU_DEP_3) | instskip(NEXT) | instid1(VALU_DEP_1)
	v_add_co_u32 v33, s3, s8, v34
	v_add_co_ci_u32_e64 v34, s3, s9, v35, s3
	global_store_b16 v[33:34], v26, off
	s_or_b32 exec_lo, exec_lo, s5
	s_and_saveexec_b32 s5, s2
	s_cbranch_execnz .LBB157_27
	s_branch .LBB157_28
.LBB157_68:
	v_bfe_u32 v26, v31, 16, 1
	s_delay_alu instid0(VALU_DEP_2) | instskip(SKIP_1) | instid1(VALU_DEP_3)
	v_dual_mov_b32 v33, 0 :: v_dual_add_nc_u32 v32, v25, v0
	v_cmp_o_f32_e64 s3, v31, v31
	v_add3_u32 v26, v31, v26, 0x7fff
	s_delay_alu instid0(VALU_DEP_3) | instskip(NEXT) | instid1(VALU_DEP_2)
	v_lshlrev_b64 v[32:33], 1, v[32:33]
	v_lshrrev_b32_e32 v26, 16, v26
	s_delay_alu instid0(VALU_DEP_1) | instskip(SKIP_1) | instid1(VALU_DEP_3)
	v_cndmask_b32_e64 v26, 0x7fc0, v26, s3
	s_waitcnt lgkmcnt(0)
	v_add_co_u32 v30, s3, s8, v32
	s_delay_alu instid0(VALU_DEP_1)
	v_add_co_ci_u32_e64 v31, s3, s9, v33, s3
	global_store_b16 v[30:31], v26, off
	s_or_b32 exec_lo, exec_lo, s5
	s_and_saveexec_b32 s5, s0
	s_cbranch_execz .LBB157_31
.LBB157_69:
	v_bfe_u32 v26, v29, 16, 1
	s_delay_alu instid0(VALU_DEP_2) | instskip(SKIP_1) | instid1(VALU_DEP_3)
	v_dual_mov_b32 v31, 0 :: v_dual_add_nc_u32 v30, v25, v2
	v_cmp_o_f32_e64 s3, v29, v29
	v_add3_u32 v26, v29, v26, 0x7fff
	s_delay_alu instid0(VALU_DEP_3) | instskip(NEXT) | instid1(VALU_DEP_2)
	v_lshlrev_b64 v[30:31], 1, v[30:31]
	v_lshrrev_b32_e32 v26, 16, v26
	s_delay_alu instid0(VALU_DEP_1) | instskip(SKIP_1) | instid1(VALU_DEP_3)
	v_cndmask_b32_e64 v26, 0x7fc0, v26, s3
	s_waitcnt lgkmcnt(0)
	v_add_co_u32 v29, s3, s8, v30
	s_delay_alu instid0(VALU_DEP_1)
	v_add_co_ci_u32_e64 v30, s3, s9, v31, s3
	global_store_b16 v[29:30], v26, off
	s_or_b32 exec_lo, exec_lo, s5
	s_and_saveexec_b32 s5, s1
	s_cbranch_execz .LBB157_32
.LBB157_70:
	v_bfe_u32 v26, v28, 16, 1
	v_dual_mov_b32 v30, 0 :: v_dual_add_nc_u32 v29, v25, v3
	v_cmp_o_f32_e64 s3, v28, v28
	s_delay_alu instid0(VALU_DEP_3) | instskip(NEXT) | instid1(VALU_DEP_3)
	v_add3_u32 v26, v28, v26, 0x7fff
	v_lshlrev_b64 v[29:30], 1, v[29:30]
	s_delay_alu instid0(VALU_DEP_2) | instskip(NEXT) | instid1(VALU_DEP_1)
	v_lshrrev_b32_e32 v26, 16, v26
	v_cndmask_b32_e64 v26, 0x7fc0, v26, s3
	s_waitcnt lgkmcnt(0)
	s_delay_alu instid0(VALU_DEP_3) | instskip(NEXT) | instid1(VALU_DEP_1)
	v_add_co_u32 v28, s3, s8, v29
	v_add_co_ci_u32_e64 v29, s3, s9, v30, s3
	global_store_b16 v[28:29], v26, off
	s_or_b32 exec_lo, exec_lo, s5
	s_and_saveexec_b32 s5, s2
	s_cbranch_execnz .LBB157_33
	s_branch .LBB157_34
.LBB157_71:
	v_bfe_u32 v27, v24, 16, 1
	s_delay_alu instid0(VALU_DEP_2) | instskip(SKIP_1) | instid1(VALU_DEP_3)
	v_add_nc_u32_e32 v26, v25, v0
	v_cmp_o_f32_e64 s3, v24, v24
	v_add3_u32 v28, v24, v27, 0x7fff
	v_mov_b32_e32 v27, 0
	s_delay_alu instid0(VALU_DEP_2) | instskip(NEXT) | instid1(VALU_DEP_2)
	v_lshrrev_b32_e32 v28, 16, v28
	v_lshlrev_b64 v[26:27], 1, v[26:27]
	s_delay_alu instid0(VALU_DEP_2) | instskip(SKIP_1) | instid1(VALU_DEP_2)
	v_cndmask_b32_e64 v24, 0x7fc0, v28, s3
	s_waitcnt lgkmcnt(0)
	v_add_co_u32 v26, s3, s8, v26
	s_delay_alu instid0(VALU_DEP_1)
	v_add_co_ci_u32_e64 v27, s3, s9, v27, s3
	global_store_b16 v[26:27], v24, off
	s_or_b32 exec_lo, exec_lo, s5
	s_and_saveexec_b32 s5, s0
	s_cbranch_execz .LBB157_37
.LBB157_72:
	v_bfe_u32 v24, v23, 16, 1
	s_delay_alu instid0(VALU_DEP_2) | instskip(SKIP_1) | instid1(VALU_DEP_3)
	v_dual_mov_b32 v27, 0 :: v_dual_add_nc_u32 v26, v25, v2
	v_cmp_o_f32_e64 s3, v23, v23
	v_add3_u32 v24, v23, v24, 0x7fff
	s_delay_alu instid0(VALU_DEP_3) | instskip(NEXT) | instid1(VALU_DEP_2)
	v_lshlrev_b64 v[26:27], 1, v[26:27]
	v_lshrrev_b32_e32 v24, 16, v24
	s_delay_alu instid0(VALU_DEP_1) | instskip(SKIP_1) | instid1(VALU_DEP_3)
	v_cndmask_b32_e64 v28, 0x7fc0, v24, s3
	s_waitcnt lgkmcnt(0)
	v_add_co_u32 v23, s3, s8, v26
	s_delay_alu instid0(VALU_DEP_1)
	v_add_co_ci_u32_e64 v24, s3, s9, v27, s3
	global_store_b16 v[23:24], v28, off
	s_or_b32 exec_lo, exec_lo, s5
	s_and_saveexec_b32 s5, s1
	s_cbranch_execz .LBB157_38
.LBB157_73:
	v_bfe_u32 v24, v22, 16, 1
	v_add_nc_u32_e32 v23, v25, v3
	v_cmp_o_f32_e64 s3, v22, v22
	s_delay_alu instid0(VALU_DEP_3) | instskip(SKIP_1) | instid1(VALU_DEP_2)
	v_add3_u32 v26, v22, v24, 0x7fff
	v_mov_b32_e32 v24, 0
	v_lshrrev_b32_e32 v26, 16, v26
	s_delay_alu instid0(VALU_DEP_2) | instskip(NEXT) | instid1(VALU_DEP_2)
	v_lshlrev_b64 v[23:24], 1, v[23:24]
	v_cndmask_b32_e64 v26, 0x7fc0, v26, s3
	s_waitcnt lgkmcnt(0)
	s_delay_alu instid0(VALU_DEP_2) | instskip(NEXT) | instid1(VALU_DEP_1)
	v_add_co_u32 v22, s3, s8, v23
	v_add_co_ci_u32_e64 v23, s3, s9, v24, s3
	global_store_b16 v[22:23], v26, off
	s_or_b32 exec_lo, exec_lo, s5
	s_and_saveexec_b32 s5, s2
	s_cbranch_execnz .LBB157_39
	s_branch .LBB157_40
.LBB157_74:
	v_bfe_u32 v23, v20, 16, 1
	s_delay_alu instid0(VALU_DEP_2) | instskip(SKIP_1) | instid1(VALU_DEP_3)
	v_add_nc_u32_e32 v22, v21, v0
	v_cmp_o_f32_e64 s3, v20, v20
	v_add3_u32 v24, v20, v23, 0x7fff
	v_mov_b32_e32 v23, 0
	s_delay_alu instid0(VALU_DEP_2) | instskip(NEXT) | instid1(VALU_DEP_2)
	v_lshrrev_b32_e32 v24, 16, v24
	v_lshlrev_b64 v[22:23], 1, v[22:23]
	s_delay_alu instid0(VALU_DEP_2) | instskip(SKIP_1) | instid1(VALU_DEP_2)
	v_cndmask_b32_e64 v20, 0x7fc0, v24, s3
	s_waitcnt lgkmcnt(0)
	v_add_co_u32 v22, s3, s8, v22
	s_delay_alu instid0(VALU_DEP_1)
	v_add_co_ci_u32_e64 v23, s3, s9, v23, s3
	global_store_b16 v[22:23], v20, off
	s_or_b32 exec_lo, exec_lo, s5
	s_and_saveexec_b32 s5, s0
	s_cbranch_execz .LBB157_43
.LBB157_75:
	v_bfe_u32 v20, v19, 16, 1
	s_delay_alu instid0(VALU_DEP_2) | instskip(SKIP_1) | instid1(VALU_DEP_3)
	v_dual_mov_b32 v23, 0 :: v_dual_add_nc_u32 v22, v21, v2
	v_cmp_o_f32_e64 s3, v19, v19
	v_add3_u32 v20, v19, v20, 0x7fff
	s_delay_alu instid0(VALU_DEP_3) | instskip(NEXT) | instid1(VALU_DEP_2)
	v_lshlrev_b64 v[22:23], 1, v[22:23]
	v_lshrrev_b32_e32 v20, 16, v20
	s_delay_alu instid0(VALU_DEP_1) | instskip(SKIP_1) | instid1(VALU_DEP_3)
	v_cndmask_b32_e64 v24, 0x7fc0, v20, s3
	s_waitcnt lgkmcnt(0)
	v_add_co_u32 v19, s3, s8, v22
	s_delay_alu instid0(VALU_DEP_1)
	v_add_co_ci_u32_e64 v20, s3, s9, v23, s3
	global_store_b16 v[19:20], v24, off
	s_or_b32 exec_lo, exec_lo, s5
	s_and_saveexec_b32 s5, s1
	s_cbranch_execz .LBB157_44
.LBB157_76:
	v_bfe_u32 v20, v18, 16, 1
	v_add_nc_u32_e32 v19, v21, v3
	v_cmp_o_f32_e64 s3, v18, v18
	s_delay_alu instid0(VALU_DEP_3) | instskip(SKIP_1) | instid1(VALU_DEP_2)
	v_add3_u32 v22, v18, v20, 0x7fff
	v_mov_b32_e32 v20, 0
	v_lshrrev_b32_e32 v22, 16, v22
	s_delay_alu instid0(VALU_DEP_2) | instskip(NEXT) | instid1(VALU_DEP_2)
	v_lshlrev_b64 v[19:20], 1, v[19:20]
	v_cndmask_b32_e64 v22, 0x7fc0, v22, s3
	s_waitcnt lgkmcnt(0)
	s_delay_alu instid0(VALU_DEP_2) | instskip(NEXT) | instid1(VALU_DEP_1)
	v_add_co_u32 v18, s3, s8, v19
	v_add_co_ci_u32_e64 v19, s3, s9, v20, s3
	global_store_b16 v[18:19], v22, off
	s_or_b32 exec_lo, exec_lo, s5
	s_and_saveexec_b32 s5, s2
	s_cbranch_execnz .LBB157_45
	s_branch .LBB157_46
.LBB157_77:
	v_bfe_u32 v19, v16, 16, 1
	s_delay_alu instid0(VALU_DEP_2) | instskip(SKIP_1) | instid1(VALU_DEP_3)
	v_add_nc_u32_e32 v18, v17, v0
	v_cmp_o_f32_e64 s3, v16, v16
	v_add3_u32 v20, v16, v19, 0x7fff
	v_mov_b32_e32 v19, 0
	s_delay_alu instid0(VALU_DEP_2) | instskip(NEXT) | instid1(VALU_DEP_2)
	v_lshrrev_b32_e32 v20, 16, v20
	v_lshlrev_b64 v[18:19], 1, v[18:19]
	s_delay_alu instid0(VALU_DEP_2) | instskip(SKIP_1) | instid1(VALU_DEP_2)
	v_cndmask_b32_e64 v16, 0x7fc0, v20, s3
	s_waitcnt lgkmcnt(0)
	v_add_co_u32 v18, s3, s8, v18
	s_delay_alu instid0(VALU_DEP_1)
	v_add_co_ci_u32_e64 v19, s3, s9, v19, s3
	global_store_b16 v[18:19], v16, off
	s_or_b32 exec_lo, exec_lo, s5
	s_and_saveexec_b32 s5, s0
	s_cbranch_execz .LBB157_49
.LBB157_78:
	v_bfe_u32 v16, v15, 16, 1
	s_delay_alu instid0(VALU_DEP_2) | instskip(SKIP_1) | instid1(VALU_DEP_3)
	v_dual_mov_b32 v19, 0 :: v_dual_add_nc_u32 v18, v17, v2
	v_cmp_o_f32_e64 s3, v15, v15
	v_add3_u32 v16, v15, v16, 0x7fff
	s_delay_alu instid0(VALU_DEP_3) | instskip(NEXT) | instid1(VALU_DEP_2)
	v_lshlrev_b64 v[18:19], 1, v[18:19]
	v_lshrrev_b32_e32 v16, 16, v16
	s_delay_alu instid0(VALU_DEP_1) | instskip(SKIP_1) | instid1(VALU_DEP_3)
	v_cndmask_b32_e64 v20, 0x7fc0, v16, s3
	s_waitcnt lgkmcnt(0)
	v_add_co_u32 v15, s3, s8, v18
	s_delay_alu instid0(VALU_DEP_1)
	v_add_co_ci_u32_e64 v16, s3, s9, v19, s3
	global_store_b16 v[15:16], v20, off
	s_or_b32 exec_lo, exec_lo, s5
	s_and_saveexec_b32 s5, s1
	s_cbranch_execz .LBB157_50
.LBB157_79:
	v_bfe_u32 v16, v14, 16, 1
	v_add_nc_u32_e32 v15, v17, v3
	v_cmp_o_f32_e64 s3, v14, v14
	s_delay_alu instid0(VALU_DEP_3) | instskip(SKIP_1) | instid1(VALU_DEP_2)
	v_add3_u32 v18, v14, v16, 0x7fff
	v_mov_b32_e32 v16, 0
	v_lshrrev_b32_e32 v18, 16, v18
	s_delay_alu instid0(VALU_DEP_2) | instskip(NEXT) | instid1(VALU_DEP_2)
	v_lshlrev_b64 v[15:16], 1, v[15:16]
	v_cndmask_b32_e64 v18, 0x7fc0, v18, s3
	s_waitcnt lgkmcnt(0)
	s_delay_alu instid0(VALU_DEP_2) | instskip(NEXT) | instid1(VALU_DEP_1)
	v_add_co_u32 v14, s3, s8, v15
	v_add_co_ci_u32_e64 v15, s3, s9, v16, s3
	global_store_b16 v[14:15], v18, off
	s_or_b32 exec_lo, exec_lo, s5
	s_and_saveexec_b32 s5, s2
	s_cbranch_execnz .LBB157_51
	s_branch .LBB157_52
.LBB157_80:
	v_bfe_u32 v15, v12, 16, 1
	s_delay_alu instid0(VALU_DEP_2) | instskip(SKIP_1) | instid1(VALU_DEP_3)
	v_add_nc_u32_e32 v14, v13, v0
	v_cmp_o_f32_e64 s3, v12, v12
	v_add3_u32 v16, v12, v15, 0x7fff
	v_mov_b32_e32 v15, 0
	s_delay_alu instid0(VALU_DEP_2) | instskip(NEXT) | instid1(VALU_DEP_2)
	v_lshrrev_b32_e32 v16, 16, v16
	v_lshlrev_b64 v[14:15], 1, v[14:15]
	s_delay_alu instid0(VALU_DEP_2) | instskip(SKIP_1) | instid1(VALU_DEP_2)
	v_cndmask_b32_e64 v12, 0x7fc0, v16, s3
	s_waitcnt lgkmcnt(0)
	v_add_co_u32 v14, s3, s8, v14
	s_delay_alu instid0(VALU_DEP_1)
	v_add_co_ci_u32_e64 v15, s3, s9, v15, s3
	global_store_b16 v[14:15], v12, off
	s_or_b32 exec_lo, exec_lo, s5
	s_and_saveexec_b32 s5, s0
	s_cbranch_execz .LBB157_55
.LBB157_81:
	v_bfe_u32 v12, v11, 16, 1
	s_delay_alu instid0(VALU_DEP_2) | instskip(SKIP_1) | instid1(VALU_DEP_3)
	v_dual_mov_b32 v15, 0 :: v_dual_add_nc_u32 v14, v13, v2
	v_cmp_o_f32_e64 s3, v11, v11
	v_add3_u32 v12, v11, v12, 0x7fff
	s_delay_alu instid0(VALU_DEP_3) | instskip(NEXT) | instid1(VALU_DEP_2)
	v_lshlrev_b64 v[14:15], 1, v[14:15]
	v_lshrrev_b32_e32 v12, 16, v12
	s_delay_alu instid0(VALU_DEP_1) | instskip(SKIP_1) | instid1(VALU_DEP_3)
	v_cndmask_b32_e64 v16, 0x7fc0, v12, s3
	s_waitcnt lgkmcnt(0)
	v_add_co_u32 v11, s3, s8, v14
	s_delay_alu instid0(VALU_DEP_1)
	v_add_co_ci_u32_e64 v12, s3, s9, v15, s3
	global_store_b16 v[11:12], v16, off
	s_or_b32 exec_lo, exec_lo, s5
	s_and_saveexec_b32 s5, s1
	s_cbranch_execz .LBB157_56
.LBB157_82:
	v_bfe_u32 v12, v10, 16, 1
	v_add_nc_u32_e32 v11, v13, v3
	v_cmp_o_f32_e64 s3, v10, v10
	s_delay_alu instid0(VALU_DEP_3) | instskip(SKIP_1) | instid1(VALU_DEP_2)
	v_add3_u32 v14, v10, v12, 0x7fff
	v_mov_b32_e32 v12, 0
	v_lshrrev_b32_e32 v14, 16, v14
	s_delay_alu instid0(VALU_DEP_2) | instskip(NEXT) | instid1(VALU_DEP_2)
	v_lshlrev_b64 v[11:12], 1, v[11:12]
	v_cndmask_b32_e64 v14, 0x7fc0, v14, s3
	s_waitcnt lgkmcnt(0)
	s_delay_alu instid0(VALU_DEP_2) | instskip(NEXT) | instid1(VALU_DEP_1)
	v_add_co_u32 v10, s3, s8, v11
	v_add_co_ci_u32_e64 v11, s3, s9, v12, s3
	global_store_b16 v[10:11], v14, off
	s_or_b32 exec_lo, exec_lo, s5
	s_and_saveexec_b32 s5, s2
	s_cbranch_execnz .LBB157_57
	s_branch .LBB157_58
.LBB157_83:
	v_bfe_u32 v10, v8, 16, 1
	s_delay_alu instid0(VALU_DEP_2) | instskip(SKIP_1) | instid1(VALU_DEP_3)
	v_add_nc_u32_e32 v9, v1, v0
	v_cmp_o_f32_e32 vcc_lo, v8, v8
	v_add3_u32 v0, v8, v10, 0x7fff
	v_mov_b32_e32 v10, 0
	s_delay_alu instid0(VALU_DEP_2) | instskip(NEXT) | instid1(VALU_DEP_2)
	v_lshrrev_b32_e32 v0, 16, v0
	v_lshlrev_b64 v[9:10], 1, v[9:10]
	s_delay_alu instid0(VALU_DEP_2) | instskip(SKIP_1) | instid1(VALU_DEP_2)
	v_cndmask_b32_e32 v0, 0x7fc0, v0, vcc_lo
	s_waitcnt lgkmcnt(0)
	v_add_co_u32 v8, vcc_lo, s8, v9
	s_delay_alu instid0(VALU_DEP_3)
	v_add_co_ci_u32_e32 v9, vcc_lo, s9, v10, vcc_lo
	global_store_b16 v[8:9], v0, off
	s_or_b32 exec_lo, exec_lo, s3
	s_and_saveexec_b32 s3, s0
	s_cbranch_execz .LBB157_61
.LBB157_84:
	v_bfe_u32 v0, v7, 16, 1
	s_delay_alu instid0(VALU_DEP_2) | instskip(SKIP_1) | instid1(VALU_DEP_3)
	v_dual_mov_b32 v9, 0 :: v_dual_add_nc_u32 v8, v1, v2
	v_cmp_o_f32_e32 vcc_lo, v7, v7
	v_add3_u32 v0, v7, v0, 0x7fff
	s_delay_alu instid0(VALU_DEP_3) | instskip(NEXT) | instid1(VALU_DEP_2)
	v_lshlrev_b64 v[8:9], 1, v[8:9]
	v_lshrrev_b32_e32 v0, 16, v0
	s_delay_alu instid0(VALU_DEP_1) | instskip(SKIP_1) | instid1(VALU_DEP_3)
	v_cndmask_b32_e32 v0, 0x7fc0, v0, vcc_lo
	s_waitcnt lgkmcnt(0)
	v_add_co_u32 v7, vcc_lo, s8, v8
	s_delay_alu instid0(VALU_DEP_4)
	v_add_co_ci_u32_e32 v8, vcc_lo, s9, v9, vcc_lo
	global_store_b16 v[7:8], v0, off
	s_or_b32 exec_lo, exec_lo, s3
	s_and_saveexec_b32 s0, s1
	s_cbranch_execz .LBB157_62
.LBB157_85:
	v_bfe_u32 v0, v6, 16, 1
	v_dual_mov_b32 v3, 0 :: v_dual_add_nc_u32 v2, v1, v3
	v_cmp_o_f32_e32 vcc_lo, v6, v6
	s_delay_alu instid0(VALU_DEP_3) | instskip(NEXT) | instid1(VALU_DEP_3)
	v_add3_u32 v0, v6, v0, 0x7fff
	v_lshlrev_b64 v[2:3], 1, v[2:3]
	s_delay_alu instid0(VALU_DEP_2) | instskip(NEXT) | instid1(VALU_DEP_1)
	v_lshrrev_b32_e32 v0, 16, v0
	v_cndmask_b32_e32 v0, 0x7fc0, v0, vcc_lo
	s_waitcnt lgkmcnt(0)
	s_delay_alu instid0(VALU_DEP_3) | instskip(NEXT) | instid1(VALU_DEP_4)
	v_add_co_u32 v2, vcc_lo, s8, v2
	v_add_co_ci_u32_e32 v3, vcc_lo, s9, v3, vcc_lo
	global_store_b16 v[2:3], v0, off
	s_or_b32 exec_lo, exec_lo, s0
	s_delay_alu instid0(SALU_CYCLE_1)
	s_and_b32 exec_lo, exec_lo, s2
	s_cbranch_execnz .LBB157_63
	s_branch .LBB157_64
	.section	.rodata,"a",@progbits
	.p2align	6, 0x0
	.amdhsa_kernel _ZL12mul_mat_q4_0IN3c108BFloat16ELb0EEvPKvS3_PT_iiiii
		.amdhsa_group_segment_fixed_size 30336
		.amdhsa_private_segment_fixed_size 252
		.amdhsa_kernarg_size 44
		.amdhsa_user_sgpr_count 14
		.amdhsa_user_sgpr_dispatch_ptr 0
		.amdhsa_user_sgpr_queue_ptr 0
		.amdhsa_user_sgpr_kernarg_segment_ptr 1
		.amdhsa_user_sgpr_dispatch_id 0
		.amdhsa_user_sgpr_private_segment_size 0
		.amdhsa_wavefront_size32 1
		.amdhsa_uses_dynamic_stack 0
		.amdhsa_enable_private_segment 1
		.amdhsa_system_sgpr_workgroup_id_x 1
		.amdhsa_system_sgpr_workgroup_id_y 1
		.amdhsa_system_sgpr_workgroup_id_z 0
		.amdhsa_system_sgpr_workgroup_info 0
		.amdhsa_system_vgpr_workitem_id 1
		.amdhsa_next_free_vgpr 256
		.amdhsa_next_free_sgpr 16
		.amdhsa_reserve_vcc 1
		.amdhsa_float_round_mode_32 0
		.amdhsa_float_round_mode_16_64 0
		.amdhsa_float_denorm_mode_32 3
		.amdhsa_float_denorm_mode_16_64 3
		.amdhsa_dx10_clamp 1
		.amdhsa_ieee_mode 1
		.amdhsa_fp16_overflow 0
		.amdhsa_workgroup_processor_mode 1
		.amdhsa_memory_ordered 1
		.amdhsa_forward_progress 0
		.amdhsa_shared_vgpr_count 0
		.amdhsa_exception_fp_ieee_invalid_op 0
		.amdhsa_exception_fp_denorm_src 0
		.amdhsa_exception_fp_ieee_div_zero 0
		.amdhsa_exception_fp_ieee_overflow 0
		.amdhsa_exception_fp_ieee_underflow 0
		.amdhsa_exception_fp_ieee_inexact 0
		.amdhsa_exception_int_div_zero 0
	.end_amdhsa_kernel
	.section	.text._ZL12mul_mat_q4_0IN3c108BFloat16ELb0EEvPKvS3_PT_iiiii,"axG",@progbits,_ZL12mul_mat_q4_0IN3c108BFloat16ELb0EEvPKvS3_PT_iiiii,comdat
.Lfunc_end157:
	.size	_ZL12mul_mat_q4_0IN3c108BFloat16ELb0EEvPKvS3_PT_iiiii, .Lfunc_end157-_ZL12mul_mat_q4_0IN3c108BFloat16ELb0EEvPKvS3_PT_iiiii
                                        ; -- End function
	.section	.AMDGPU.csdata,"",@progbits
; Kernel info:
; codeLenInByte = 33260
; NumSgprs: 18
; NumVgprs: 256
; ScratchSize: 252
; MemoryBound: 0
; FloatMode: 240
; IeeeMode: 1
; LDSByteSize: 30336 bytes/workgroup (compile time only)
; SGPRBlocks: 2
; VGPRBlocks: 31
; NumSGPRsForWavesPerEU: 18
; NumVGPRsForWavesPerEU: 256
; Occupancy: 5
; WaveLimiterHint : 0
; COMPUTE_PGM_RSRC2:SCRATCH_EN: 1
; COMPUTE_PGM_RSRC2:USER_SGPR: 14
; COMPUTE_PGM_RSRC2:TRAP_HANDLER: 0
; COMPUTE_PGM_RSRC2:TGID_X_EN: 1
; COMPUTE_PGM_RSRC2:TGID_Y_EN: 1
; COMPUTE_PGM_RSRC2:TGID_Z_EN: 0
; COMPUTE_PGM_RSRC2:TIDIG_COMP_CNT: 1
	.section	.text._ZL12mul_mat_q4_0IN3c108BFloat16ELb1EEvPKvS3_PT_iiiii,"axG",@progbits,_ZL12mul_mat_q4_0IN3c108BFloat16ELb1EEvPKvS3_PT_iiiii,comdat
	.globl	_ZL12mul_mat_q4_0IN3c108BFloat16ELb1EEvPKvS3_PT_iiiii ; -- Begin function _ZL12mul_mat_q4_0IN3c108BFloat16ELb1EEvPKvS3_PT_iiiii
	.p2align	8
	.type	_ZL12mul_mat_q4_0IN3c108BFloat16ELb1EEvPKvS3_PT_iiiii,@function
_ZL12mul_mat_q4_0IN3c108BFloat16ELb1EEvPKvS3_PT_iiiii: ; @_ZL12mul_mat_q4_0IN3c108BFloat16ELb1EEvPKvS3_PT_iiiii
; %bb.0:
	s_clause 0x1
	s_load_b128 s[4:7], s[0:1], 0x18
	s_load_b32 s10, s[0:1], 0x28
	v_bfe_u32 v2, v0, 10, 10
	v_and_b32_e32 v3, 0x3ff, v0
	s_lshl_b32 s11, s15, 6
	s_waitcnt lgkmcnt(0)
	s_cmp_gt_i32 s4, 31
	s_cbranch_scc1 .LBB158_2
; %bb.1:
	v_bfe_u32 v1, v0, 10, 10
	v_and_b32_e32 v0, 0x3ff, v0
	s_mov_b32 s2, 0
	s_mov_b32 s3, 0
	s_delay_alu instid0(VALU_DEP_2)
	v_add_nc_u32_e32 v4, s11, v1
	s_branch .LBB158_3
.LBB158_2:
	s_mov_b32 s2, -1
                                        ; implicit-def: $sgpr3
                                        ; implicit-def: $vgpr1
                                        ; implicit-def: $vgpr0
                                        ; implicit-def: $vgpr4
.LBB158_3:
	s_load_b64 s[8:9], s[0:1], 0x10
	v_dual_mov_b32 v21, s3 :: v_dual_mov_b32 v44, s3
	v_dual_mov_b32 v25, s3 :: v_dual_mov_b32 v66, s3
	;; [unrolled: 1-line block ×14, first 2 shown]
	v_mov_b32_e32 v32, s3
	v_mov_b32_e32 v36, s3
	;; [unrolled: 1-line block ×4, first 2 shown]
	s_and_not1_b32 vcc_lo, exec_lo, s2
	s_lshl_b32 s12, s14, 7
	s_cbranch_vccnz .LBB158_13
; %bb.4:
	s_load_b128 s[0:3], s[0:1], 0x0
	s_ashr_i32 s13, s4, 31
	s_ashr_i32 s14, s7, 31
	s_lshr_b32 s13, s13, 27
	v_dual_mov_b32 v0, v2 :: v_dual_lshlrev_b32 v17, 2, v3
	s_add_i32 s4, s4, s13
	s_lshr_b32 s13, s14, 27
	s_ashr_i32 s4, s4, 5
	s_add_i32 s7, s7, s13
	s_mul_i32 s13, s4, s12
	s_ashr_i32 s7, s7, 5
	s_mul_i32 s14, s13, 18
	s_mul_hi_i32 s13, s13, 18
	v_dual_mov_b32 v41, 0 :: v_dual_add_nc_u32 v36, 8, v2
	v_dual_mov_b32 v64, 0 :: v_dual_add_nc_u32 v37, 16, v2
	v_dual_mov_b32 v54, 0 :: v_dual_and_b32 v1, 12, v17
	s_waitcnt lgkmcnt(0)
	s_add_u32 s0, s0, s14
	s_addc_u32 s1, s1, s13
	s_not_b32 s13, s12
	v_lshrrev_b32_e32 v51, 2, v3
	s_add_i32 s5, s13, s5
	v_dual_mov_b32 v45, v3 :: v_dual_add_nc_u32 v38, 24, v0
	v_min_i32_e32 v2, s5, v0
	v_min_i32_e32 v3, s5, v36
	;; [unrolled: 1-line block ×3, first 2 shown]
	v_add_nc_u32_e32 v39, 32, v0
	v_add_nc_u32_e32 v40, 40, v0
	v_mad_u64_u32 v[5:6], null, 0x84, v2, v[17:18]
	scratch_store_b32 off, v1, off offset:80 ; 4-byte Folded Spill
	v_mul_lo_u32 v1, v2, s4
	v_min_i32_e32 v7, s5, v40
	v_dual_mov_b32 v63, 0 :: v_dual_add_nc_u32 v42, 48, v0
	v_add_nc_u32_e32 v43, 56, v0
	v_add_nc_u32_e32 v10, 64, v0
	;; [unrolled: 1-line block ×3, first 2 shown]
	s_delay_alu instid0(VALU_DEP_4)
	v_min_i32_e32 v8, s5, v42
	scratch_store_b32 off, v1, off offset:84 ; 4-byte Folded Spill
	v_mul_lo_u32 v1, v3, s4
	scratch_store_b64 off, v[5:6], off offset:88 ; 8-byte Folded Spill
	v_min_i32_e32 v5, s5, v38
	v_min_i32_e32 v6, s5, v39
	;; [unrolled: 1-line block ×5, first 2 shown]
	v_add_nc_u32_e32 v12, 0x50, v0
	scratch_store_b32 off, v1, off offset:96 ; 4-byte Folded Spill
	v_mad_u64_u32 v[1:2], null, 0x84, v3, v[17:18]
	v_mul_lo_u32 v2, v4, s4
	s_add_i32 s13, s6, -1
	v_min_i32_e32 v12, s5, v12
	v_add_nc_u32_e32 v28, s11, v0
	v_add_nc_u32_e32 v13, 0x58, v0
	v_mov_b32_e32 v67, 0
	v_dual_mov_b32 v59, 0 :: v_dual_add_nc_u32 v34, 0x68, v0
	scratch_store_b32 off, v2, off offset:100 ; 4-byte Folded Spill
	v_mad_u64_u32 v[2:3], null, 0x84, v4, v[17:18]
	v_mul_lo_u32 v3, v5, s4
	v_add_nc_u32_e32 v14, 16, v28
	v_add_nc_u32_e32 v24, 24, v28
	v_cvt_f64_u32_e32 v[15:16], v28
	v_min_i32_e32 v13, s5, v13
	v_add_nc_u32_e32 v32, 56, v28
	v_cvt_f64_u32_e32 v[22:23], v14
	v_cvt_f64_u32_e32 v[24:25], v24
	scratch_store_b32 off, v3, off offset:104 ; 4-byte Folded Spill
	v_mad_u64_u32 v[3:4], null, 0x84, v5, v[17:18]
	v_mul_lo_u32 v4, v6, s4
	v_mul_lo_u32 v29, v13, s4
	v_add_nc_u32_e32 v14, 40, v28
	v_min_i32_e32 v34, s5, v34
	v_cvt_f64_u32_e32 v[32:33], v32
	v_add_nc_u32_e32 v35, 0x70, v0
	v_lshrrev_b32_e32 v46, 3, v45
	v_and_b32_e32 v50, 7, v45
	scratch_store_b32 off, v4, off offset:108 ; 4-byte Folded Spill
	v_mad_u64_u32 v[4:5], null, 0x84, v6, v[17:18]
	v_mul_lo_u32 v5, v7, s4
	v_min_i32_e32 v44, s5, v35
	v_dual_mov_b32 v62, 0 :: v_dual_add_nc_u32 v35, 0x78, v0
	v_mov_b32_e32 v72, 0
	v_mov_b32_e32 v66, 0
	s_delay_alu instid0(VALU_DEP_3)
	v_min_i32_e32 v47, s5, v35
	scratch_store_b32 off, v5, off offset:112 ; 4-byte Folded Spill
	v_mad_u64_u32 v[5:6], null, 0x84, v7, v[17:18]
	v_mul_lo_u32 v6, v8, s4
	scratch_store_b32 off, v6, off offset:116 ; 4-byte Folded Spill
	v_mad_u64_u32 v[6:7], null, 0x84, v8, v[17:18]
	v_mul_lo_u32 v7, v9, s4
	;; [unrolled: 3-line block ×4, first 2 shown]
	scratch_store_b32 off, v9, off offset:128 ; 4-byte Folded Spill
	v_mad_u64_u32 v[9:10], null, 0x84, v11, v[17:18]
	v_cvt_f64_i32_e32 v[18:19], s13
	v_mul_lo_u32 v10, v12, s4
	scratch_store_b32 off, v10, off offset:132 ; 4-byte Folded Spill
	v_add_nc_u32_e32 v10, 8, v28
	s_clause 0x2
	scratch_store_b32 off, v29, off offset:136
	scratch_store_b32 off, v28, off offset:248
	;; [unrolled: 1-line block ×3, first 2 shown]
	v_lshl_add_u32 v46, v0, 2, v46
	v_cvt_f64_u32_e32 v[20:21], v10
	s_delay_alu instid0(VALU_DEP_2)
	v_min_i32_e32 v48, s5, v46
	v_mad_u64_u32 v[10:11], null, 0x84, v12, v[17:18]
	v_add_nc_u32_e32 v11, 32, v28
	v_add_nc_u32_e32 v12, 0x60, v0
	v_min_f64 v[22:23], v[22:23], v[18:19]
	v_min_f64 v[24:25], v[24:25], v[18:19]
	s_delay_alu instid0(VALU_DEP_4) | instskip(SKIP_3) | instid1(VALU_DEP_3)
	v_cvt_f64_u32_e32 v[26:27], v11
	v_add_nc_u32_e32 v11, 48, v28
	v_cvt_f64_u32_e32 v[28:29], v14
	v_min_i32_e32 v14, s5, v12
	v_cvt_f64_u32_e32 v[30:31], v11
	v_mad_u64_u32 v[11:12], null, 0x84, v13, v[17:18]
	s_delay_alu instid0(VALU_DEP_3)
	v_mul_lo_u32 v12, v14, s4
	v_min_f64 v[20:21], v[20:21], v[18:19]
	scratch_store_b32 off, v12, off offset:140 ; 4-byte Folded Spill
	v_mad_u64_u32 v[12:13], null, 0x84, v14, v[17:18]
	v_mul_lo_u32 v13, v34, s4
	scratch_store_b32 off, v13, off offset:148 ; 4-byte Folded Spill
	v_mad_u64_u32 v[13:14], null, 0x84, v34, v[17:18]
	v_min_f64 v[34:35], v[15:16], v[18:19]
	v_mul_lo_u32 v14, v44, s4
	v_mul_lo_u32 v16, v47, s4
	v_cvt_i32_f64_e32 v22, v[22:23]
	v_cvt_i32_f64_e32 v23, v[24:25]
	v_lshl_add_u32 v24, v0, 3, v51
	v_min_f64 v[26:27], v[26:27], v[18:19]
	s_clause 0x1
	scratch_store_b32 off, v14, off offset:152
	scratch_store_b32 off, v16, off offset:156
	v_mad_u64_u32 v[14:15], null, 0x84, v44, v[17:18]
	v_add_nc_u32_e32 v15, 32, v46
	v_min_f64 v[28:29], v[28:29], v[18:19]
	v_min_f64 v[30:31], v[30:31], v[18:19]
	v_ashrrev_i32_e32 v44, 31, v48
	v_cvt_i32_f64_e32 v21, v[20:21]
	v_min_i32_e32 v49, s5, v15
	v_mad_u64_u32 v[15:16], null, 0x84, v47, v[17:18]
	v_add_nc_u32_e32 v16, 64, v46
	v_min_f64 v[18:19], v[32:33], v[18:19]
	s_delay_alu instid0(VALU_DEP_4)
	v_ashrrev_i32_e32 v47, 31, v49
	v_add_nc_u32_e32 v46, 0x60, v46
	v_lshrrev_b32_e32 v44, 30, v44
	v_min_i32_e32 v16, s5, v16
	v_and_b32_e32 v24, 63, v24
	v_lshrrev_b32_e32 v32, 30, v47
	v_lshlrev_b32_e32 v47, 2, v50
	v_min_i32_e32 v46, s5, v46
	v_ashrrev_i32_e32 v33, 31, v16
	v_mul_lo_u32 v20, v16, s4
	scratch_store_b32 off, v50, off offset:160 ; 4-byte Folded Spill
	v_mul_lo_u32 v50, v48, s4
	v_lshlrev_b32_e32 v25, 5, v16
	v_lshrrev_b32_e32 v33, 30, v33
	v_add_nc_u32_e32 v32, v49, v32
	v_cvt_i32_f64_e32 v34, v[34:35]
	v_lshlrev_b32_e32 v35, 5, v49
	scratch_store_b32 off, v20, off offset:172 ; 4-byte Folded Spill
	v_add_nc_u32_e32 v33, v16, v33
	v_mul_lo_u32 v16, v46, s4
	scratch_store_b32 off, v50, off offset:164 ; 4-byte Folded Spill
	v_mul_lo_u32 v50, v49, s4
	v_add_nc_u32_e32 v44, v48, v44
	v_cvt_i32_f64_e32 v26, v[26:27]
	v_and_b32_e32 v32, -4, v32
	v_and_b32_e32 v33, -4, v33
	v_lshlrev_b32_e32 v48, 5, v48
	scratch_store_b32 off, v16, off offset:176 ; 4-byte Folded Spill
	v_and_b32_e32 v44, -4, v44
	scratch_store_b32 off, v50, off offset:168 ; 4-byte Folded Spill
	v_ashrrev_i32_e32 v50, 31, v46
	v_cvt_i32_f64_e32 v27, v[28:29]
	v_cvt_i32_f64_e32 v28, v[30:31]
	v_lshlrev_b32_e32 v31, 5, v46
	v_add3_u32 v44, v44, v47, 0x6200
	v_lshrrev_b32_e32 v49, 30, v50
	v_add3_u32 v32, v32, v47, 0x6200
	v_cvt_i32_f64_e32 v30, v[18:19]
	v_and_b32_e32 v19, 31, v45
	v_add3_u32 v33, v33, v47, 0x6200
	v_add_nc_u32_e32 v20, v46, v49
	v_lshlrev_b32_e32 v49, 7, v0
	v_and_b32_e32 v17, 28, v17
	s_delay_alu instid0(VALU_DEP_3) | instskip(SKIP_1) | instid1(VALU_DEP_2)
	v_and_b32_e32 v16, -4, v20
	v_and_b32_e32 v20, 3, v45
	v_add3_u32 v29, v16, v47, 0x6200
	v_or_b32_e32 v16, s11, v24
	s_delay_alu instid0(VALU_DEP_3) | instskip(SKIP_1) | instid1(VALU_DEP_3)
	v_lshlrev_b32_e32 v18, 2, v20
	v_lshlrev_b32_e32 v47, 2, v19
	v_min_i32_e32 v46, s13, v16
	s_delay_alu instid0(VALU_DEP_3) | instskip(NEXT) | instid1(VALU_DEP_3)
	v_lshl_or_b32 v24, v24, 4, v18
	v_or_b32_e32 v50, v49, v47
	v_add_co_u32 v16, s5, s2, v17
	s_delay_alu instid0(VALU_DEP_4)
	v_mad_u64_u32 v[18:19], null, v46, s7, v[20:21]
	v_mul_lo_u32 v20, s7, v34
	v_add_nc_u32_e32 v19, 0x7280, v24
	v_mul_lo_u32 v21, s7, v21
	v_and_b32_e32 v24, 0xfc, v45
	v_add_co_ci_u32_e64 v17, null, s3, 0, s5
	scratch_store_b32 off, v19, off         ; 4-byte Folded Spill
	v_lshl_or_b32 v19, v36, 7, v47
	scratch_store_b32 off, v20, off offset:4 ; 4-byte Folded Spill
	v_add_nc_u32_e32 v20, 0x4200, v50
	v_mov_b32_e32 v36, 0
	v_dual_mov_b32 v46, 0 :: v_dual_add_nc_u32 v19, 0x4200, v19
	v_mov_b32_e32 v34, 0
	scratch_store_b32 off, v20, off offset:8 ; 4-byte Folded Spill
	v_lshl_or_b32 v20, v37, 7, v47
	v_mov_b32_e32 v37, 0
	s_mov_b32 s5, 0
	s_delay_alu instid0(VALU_DEP_2)
	v_add_nc_u32_e32 v20, 0x4200, v20
	scratch_store_b32 off, v21, off offset:12 ; 4-byte Folded Spill
	v_mul_lo_u32 v21, s7, v22
	scratch_store_b32 off, v19, off offset:16 ; 4-byte Folded Spill
	v_lshl_or_b32 v19, v38, 7, v47
	v_add_nc_u32_e32 v22, 32, v45
	s_delay_alu instid0(VALU_DEP_2)
	v_add_nc_u32_e32 v19, 0x4200, v19
	scratch_store_b32 off, v20, off offset:24 ; 4-byte Folded Spill
	v_mul_lo_u32 v20, s7, v23
	scratch_store_b32 off, v21, off offset:20 ; 4-byte Folded Spill
	v_mul_lo_u32 v21, s7, v26
	v_mul_u32_u24_e32 v26, 0x84, v45
	v_and_b32_e32 v23, 0x1fc, v22
	v_lshrrev_b32_e32 v22, 3, v22
	scratch_store_b32 off, v20, off offset:28 ; 4-byte Folded Spill
	v_lshl_or_b32 v20, v39, 7, v47
	scratch_store_b32 off, v22, off offset:216 ; 4-byte Folded Spill
	v_add_nc_u32_e32 v20, 0x4200, v20
	scratch_store_b32 off, v19, off offset:32 ; 4-byte Folded Spill
	v_lshl_or_b32 v19, v40, 7, v47
	s_delay_alu instid0(VALU_DEP_1)
	v_dual_mov_b32 v40, 0 :: v_dual_add_nc_u32 v19, 0x4200, v19
	s_clause 0x1
	scratch_store_b32 off, v20, off offset:40
	scratch_store_b32 off, v51, off offset:76
	v_mul_lo_u32 v20, s7, v27
	s_clause 0x1
	scratch_store_b32 off, v21, off offset:36
	scratch_store_b32 off, v19, off offset:48
	v_mul_lo_u32 v19, s7, v28
	v_lshl_or_b32 v21, v42, 7, v47
	v_mov_b32_e32 v28, 0
	v_dual_mov_b32 v42, 0 :: v_dual_mov_b32 v27, 0
	scratch_store_b32 off, v20, off offset:44 ; 4-byte Folded Spill
	v_mul_lo_u32 v20, s7, v30
	v_mov_b32_e32 v30, 0
	scratch_store_b32 off, v19, off offset:52 ; 4-byte Folded Spill
	v_add_nc_u32_e32 v19, 0x4200, v21
	v_add_nc_u32_e32 v21, 64, v45
	s_clause 0x1
	scratch_store_b32 off, v20, off offset:60
	scratch_store_b32 off, v19, off offset:56
	v_lshl_or_b32 v19, v43, 7, v47
	v_add_nc_u32_e32 v20, 0x60, v45
	v_and_b32_e32 v21, 0x1fc, v21
	v_mov_b32_e32 v43, 0
	s_delay_alu instid0(VALU_DEP_4) | instskip(NEXT) | instid1(VALU_DEP_4)
	v_add_nc_u32_e32 v19, 0x4200, v19
	v_and_b32_e32 v20, 0x1fc, v20
	scratch_store_b32 off, v19, off offset:64 ; 4-byte Folded Spill
	v_lshlrev_b32_e32 v19, 5, v45
	s_delay_alu instid0(VALU_DEP_1) | instskip(SKIP_3) | instid1(VALU_DEP_4)
	v_add_nc_u32_e32 v20, v19, v20
	v_add_nc_u32_e32 v21, v19, v21
	;; [unrolled: 1-line block ×3, first 2 shown]
	v_dual_mov_b32 v24, 0 :: v_dual_add_nc_u32 v19, v19, v24
	v_add_nc_u32_e32 v22, 0x6e00, v20
	scratch_store_b32 off, v26, off offset:180 ; 4-byte Folded Spill
	v_mov_b32_e32 v26, 0
	scratch_store_b32 off, v22, off offset:184 ; 4-byte Folded Spill
	v_add_nc_u32_e32 v22, 0x6a00, v21
	scratch_store_b32 off, v22, off offset:188 ; 4-byte Folded Spill
	v_add_nc_u32_e32 v22, 0x6600, v23
	scratch_store_b32 off, v22, off offset:192 ; 4-byte Folded Spill
	v_add_nc_u32_e32 v22, 0x6200, v19
	scratch_store_b32 off, v22, off offset:196 ; 4-byte Folded Spill
	v_add_nc_u32_e32 v22, 0x4200, v49
	s_clause 0x1
	scratch_store_b32 off, v22, off offset:68
	scratch_store_b32 off, v0, off offset:240
	v_lshl_add_u32 v0, v0, 4, 0x7280
	v_mov_b32_e32 v22, 0
	scratch_store_b32 off, v0, off offset:72 ; 4-byte Folded Spill
	v_add_nc_u32_e32 v0, 0x6e10, v20
	scratch_store_b32 off, v0, off offset:220 ; 4-byte Folded Spill
	v_dual_mov_b32 v21, 0 :: v_dual_add_nc_u32 v0, 0x6a10, v21
	scratch_store_b32 off, v0, off offset:224 ; 4-byte Folded Spill
	v_dual_mov_b32 v23, 0 :: v_dual_add_nc_u32 v0, 0x6610, v23
	scratch_store_b32 off, v0, off offset:228 ; 4-byte Folded Spill
	v_add_nc_u32_e32 v0, 0x6210, v19
	s_clause 0x1
	scratch_store_b32 off, v0, off offset:232
	scratch_store_b32 off, v45, off offset:244
	v_mad_u32_u24 v0, 0x84, v45, 64
	scratch_store_b32 off, v0, off offset:236 ; 4-byte Folded Spill
	v_add_nc_u32_e32 v0, v44, v48
	v_mov_b32_e32 v48, 0
	v_mov_b32_e32 v44, 0
	scratch_store_b32 off, v0, off offset:200 ; 4-byte Folded Spill
	v_add_nc_u32_e32 v0, v32, v35
	v_dual_mov_b32 v32, 0 :: v_dual_mov_b32 v35, 0
	scratch_store_b32 off, v0, off offset:204 ; 4-byte Folded Spill
	v_dual_mov_b32 v33, 0 :: v_dual_add_nc_u32 v0, v33, v25
	v_mov_b32_e32 v25, 0
	scratch_store_b32 off, v0, off offset:208 ; 4-byte Folded Spill
	v_dual_mov_b32 v31, 0 :: v_dual_add_nc_u32 v0, v29, v31
	v_mov_b32_e32 v29, 0
	scratch_store_b32 off, v0, off offset:212 ; 4-byte Folded Spill
	s_branch .LBB158_6
.LBB158_5:                              ;   in Loop: Header=BB158_6 Depth=1
	s_add_i32 s5, s5, 8
	s_delay_alu instid0(SALU_CYCLE_1)
	s_cmp_ge_i32 s5, s4
	s_cbranch_scc1 .LBB158_12
.LBB158_6:                              ; =>This Loop Header: Depth=1
                                        ;     Child Loop BB158_7 Depth 2
                                        ;     Child Loop BB158_10 Depth 2
	scratch_load_b32 v0, off, off offset:76 ; 4-byte Folded Reload
	s_mul_i32 s7, s5, 18
	s_mul_hi_u32 s13, s5, 18
	s_add_u32 s14, s0, s7
	s_addc_u32 s15, s1, s13
	v_add_nc_u32_e32 v114, s5, v18
	s_mov_b32 s7, -4
	s_waitcnt vmcnt(0)
	v_mad_u64_u32 v[19:20], null, v0, 18, s[14:15]
	scratch_load_b32 v0, off, off offset:80 ; 4-byte Folded Reload
	s_waitcnt vmcnt(0)
	v_add_co_u32 v19, vcc_lo, v19, v0
	scratch_load_b32 v0, off, off offset:84 ; 4-byte Folded Reload
	v_add_co_ci_u32_e32 v20, vcc_lo, 0, v20, vcc_lo
	v_add_co_u32 v19, vcc_lo, v19, 2
	s_delay_alu instid0(VALU_DEP_2) | instskip(SKIP_1) | instid1(VALU_DEP_1)
	v_add_co_ci_u32_e32 v20, vcc_lo, 0, v20, vcc_lo
	s_waitcnt vmcnt(0)
	v_mad_i64_i32 v[38:39], null, v0, 18, v[19:20]
	scratch_load_b32 v0, off, off offset:96 ; 4-byte Folded Reload
	s_waitcnt vmcnt(0)
	v_mad_i64_i32 v[49:50], null, v0, 18, v[19:20]
	scratch_load_b32 v0, off, off offset:100 ; 4-byte Folded Reload
	;; [unrolled: 3-line block ×7, first 2 shown]
	s_waitcnt vmcnt(0)
	v_mad_i64_i32 v[73:74], null, v0, 18, v[19:20]
	s_clause 0x7
	global_load_b32 v47, v[38:39], off
	global_load_b32 v53, v[49:50], off
	;; [unrolled: 1-line block ×8, first 2 shown]
	scratch_load_b32 v0, off, off offset:124 ; 4-byte Folded Reload
	s_waitcnt vmcnt(0)
	v_mad_i64_i32 v[38:39], null, v0, 18, v[19:20]
	scratch_load_b32 v0, off, off offset:128 ; 4-byte Folded Reload
	s_waitcnt vmcnt(0)
	v_mad_i64_i32 v[49:50], null, v0, 18, v[19:20]
	;; [unrolled: 3-line block ×5, first 2 shown]
	scratch_load_b32 v0, off, off offset:160 ; 4-byte Folded Reload
	s_waitcnt vmcnt(0)
	v_mad_u64_u32 v[60:61], null, v0, 18, s[14:15]
	scratch_load_b32 v0, off, off offset:148 ; 4-byte Folded Reload
	s_waitcnt vmcnt(0)
	v_mad_i64_i32 v[68:69], null, v0, 18, v[19:20]
	scratch_load_b32 v0, off, off offset:152 ; 4-byte Folded Reload
	s_waitcnt vmcnt(0)
	v_mad_i64_i32 v[73:74], null, v0, 18, v[19:20]
	;; [unrolled: 3-line block ×7, first 2 shown]
	scratch_load_b32 v0, off, off offset:144 ; 4-byte Folded Reload
	s_waitcnt vmcnt(0)
	v_add_nc_u32_e32 v60, s5, v0
	s_clause 0x7
	global_load_b32 v112, v[38:39], off
	global_load_b32 v113, v[49:50], off
	;; [unrolled: 1-line block ×8, first 2 shown]
	scratch_load_b32 v0, off, off offset:4  ; 4-byte Folded Reload
	s_clause 0x3
	global_load_u16 v77, v[19:20], off
	global_load_u16 v78, v[78:79], off
	;; [unrolled: 1-line block ×4, first 2 shown]
	s_waitcnt vmcnt(4)
	v_add_nc_u32_e32 v38, v60, v0
	scratch_load_b32 v0, off, off offset:12 ; 4-byte Folded Reload
	v_mad_i64_i32 v[19:20], null, v38, 36, v[16:17]
	s_waitcnt vmcnt(0)
	v_add_nc_u32_e32 v49, v60, v0
	scratch_load_b32 v0, off, off offset:20 ; 4-byte Folded Reload
	v_mad_i64_i32 v[38:39], null, v49, 36, v[16:17]
	;; [unrolled: 4-line block ×6, first 2 shown]
	s_waitcnt vmcnt(0)
	v_add_nc_u32_e32 v68, v60, v0
	scratch_load_b32 v0, off, off offset:60 ; 4-byte Folded Reload
	s_waitcnt vmcnt(0)
	v_add_nc_u32_e32 v73, v60, v0
	v_mad_i64_i32 v[60:61], null, v68, 36, v[16:17]
	s_delay_alu instid0(VALU_DEP_2)
	v_mad_i64_i32 v[68:69], null, v73, 36, v[16:17]
	v_mad_u64_u32 v[73:74], null, v114, 36, s[2:3]
	s_clause 0x8
	global_load_b32 v19, v[19:20], off offset:4
	global_load_b32 v20, v[38:39], off offset:4
	;; [unrolled: 1-line block ×8, first 2 shown]
	global_load_b32 v55, v[73:74], off
	s_clause 0x8
	scratch_load_b32 v115, off, off offset:72
	scratch_load_b32 v116, off, off offset:68
	;; [unrolled: 1-line block ×7, first 2 shown]
	scratch_load_b64 v[68:69], off, off offset:88
	scratch_load_b32 v0, off, off offset:200
	v_cvt_f32_f16_e32 v56, v77
	v_cvt_f32_f16_e32 v57, v78
	;; [unrolled: 1-line block ×4, first 2 shown]
	s_waitcnt vmcnt(1)
	ds_store_b32 v68, v47
	s_waitcnt vmcnt(0)
	ds_store_b32 v0, v56
	ds_store_b32 v1, v53
	scratch_load_b32 v0, off, off offset:204 ; 4-byte Folded Reload
	s_waitcnt vmcnt(0)
	ds_store_b32 v0, v57
	ds_store_b32 v2, v65
	scratch_load_b32 v0, off, off offset:208 ; 4-byte Folded Reload
	s_waitcnt vmcnt(0)
	ds_store_b32 v0, v58
	ds_store_b32 v3, v71
	;; [unrolled: 1-line block ×14, first 2 shown]
	scratch_load_b32 v0, off, off offset:212 ; 4-byte Folded Reload
	s_waitcnt vmcnt(0)
	ds_store_b32 v0, v60
	scratch_load_b32 v0, off, off offset:8  ; 4-byte Folded Reload
	s_waitcnt vmcnt(0)
	ds_store_b32 v0, v19
	scratch_load_b32 v0, off, off offset:16 ; 4-byte Folded Reload
	s_waitcnt vmcnt(0)
	ds_store_b32 v0, v20
	scratch_load_b32 v0, off, off offset:24 ; 4-byte Folded Reload
	;; [unrolled: 3-line block ×7, first 2 shown]
	s_waitcnt vmcnt(0)
	ds_store_b32 v0, v52
	scratch_load_b32 v0, off, off           ; 4-byte Folded Reload
	s_waitcnt vmcnt(0)
	ds_store_b32 v0, v55
	s_waitcnt lgkmcnt(0)
	s_waitcnt_vscnt null, 0x0
	s_barrier
	buffer_gl0_inv
.LBB158_7:                              ;   Parent Loop BB158_6 Depth=1
                                        ; =>  This Inner Loop Header: Depth=2
	ds_load_b128 v[49:52], v116
	ds_load_b128 v[55:58], v116 offset:16
	ds_load_2addr_b32 v[19:20], v115 offset1:32
	s_add_i32 s7, s7, 4
	s_delay_alu instid0(SALU_CYCLE_1)
	s_cmp_lt_u32 s7, 12
	s_waitcnt lgkmcnt(2)
	v_bfe_i32 v47, v49, 0, 8
	s_waitcnt lgkmcnt(1)
	v_bfe_i32 v61, v55, 0, 8
	s_waitcnt lgkmcnt(0)
	v_lshrrev_b32_e32 v38, 16, v19
	v_bfe_i32 v69, v50, 0, 8
	v_bfe_i32 v74, v56, 0, 8
	;; [unrolled: 1-line block ×4, first 2 shown]
	v_cvt_f32_f16_e32 v38, v38
	v_bfe_i32 v60, v49, 16, 8
	v_ashrrev_i32_e32 v49, 24, v49
	v_bfe_i32 v105, v57, 0, 8
	v_bfe_i32 v108, v52, 0, 8
	v_mul_f32_e32 v254, 0x41000000, v38
	ds_load_b32 v197, v118
	ds_load_2addr_b32 v[38:39], v117 offset1:1
	v_bfe_i32 v65, v55, 8, 8
	v_bfe_i32 v68, v55, 16, 8
	v_ashrrev_i32_e32 v55, 24, v55
	v_bfe_i32 v71, v50, 8, 8
	v_bfe_i32 v73, v50, 16, 8
	v_ashrrev_i32_e32 v50, 24, v50
	v_bfe_i32 v76, v56, 8, 8
	v_bfe_i32 v111, v58, 0, 8
	;; [unrolled: 1-line block ×3, first 2 shown]
	v_ashrrev_i32_e32 v56, 24, v56
	v_bfe_i32 v79, v51, 8, 8
	v_bfe_i32 v98, v51, 16, 8
	v_ashrrev_i32_e32 v51, 24, v51
	v_bfe_i32 v106, v57, 8, 8
	v_bfe_i32 v107, v57, 16, 8
	;; [unrolled: 3-line block ×3, first 2 shown]
	v_ashrrev_i32_e32 v52, 24, v52
	s_waitcnt lgkmcnt(0)
	v_and_b32_e32 v231, 15, v39
	v_bfe_u32 v223, v38, 20, 4
	v_and_b32_e32 v224, 15, v38
	v_bfe_u32 v225, v38, 8, 4
	v_bfe_u32 v227, v38, 16, 4
	;; [unrolled: 1-line block ×5, first 2 shown]
	v_lshrrev_b32_e32 v230, 28, v38
	v_bfe_u32 v226, v39, 20, 4
	v_bfe_u32 v232, v39, 8, 4
	;; [unrolled: 1-line block ×6, first 2 shown]
	v_lshrrev_b32_e32 v238, 28, v39
	ds_load_2addr_b32 v[38:39], v117 offset0:2 offset1:3
	v_mul_i32_i24_e32 v122, v224, v47
	v_mul_i32_i24_e32 v129, v231, v69
	;; [unrolled: 1-line block ×5, first 2 shown]
	v_mad_i32_i24 v122, v222, v61, v122
	v_mul_i32_i24_e32 v125, v228, v49
	v_mul_i32_i24_e32 v126, v229, v65
	;; [unrolled: 1-line block ×4, first 2 shown]
	v_add3_u32 v122, v122, v129, v133
	v_mul_i32_i24_e32 v130, v232, v71
	v_mul_i32_i24_e32 v131, v233, v73
	;; [unrolled: 1-line block ×6, first 2 shown]
	v_bfe_i32 v112, v58, 8, 8
	v_bfe_i32 v113, v58, 16, 8
	s_waitcnt lgkmcnt(0)
	v_and_b32_e32 v239, 15, v38
	v_bfe_u32 v244, v38, 4, 4
	v_and_b32_e32 v247, 15, v39
	v_bfe_u32 v251, v39, 4, 4
	v_bfe_u32 v240, v38, 8, 4
	v_mul_i32_i24_e32 v137, v239, v78
	v_mul_i32_i24_e32 v141, v244, v105
	;; [unrolled: 1-line block ×4, first 2 shown]
	v_bfe_u32 v242, v38, 16, 4
	v_add3_u32 v122, v122, v137, v123
	v_mul_i32_i24_e32 v138, v240, v79
	v_bfe_u32 v243, v38, 24, 4
	v_bfe_u32 v245, v38, 12, 4
	v_mul_i32_i24_e32 v139, v242, v98
	v_add3_u32 v122, v122, v124, v125
	v_bfe_u32 v234, v38, 20, 4
	v_mul_i32_i24_e32 v140, v243, v51
	v_mul_i32_i24_e32 v142, v245, v106
	v_lshrrev_b32_e32 v246, 28, v38
	v_add3_u32 v122, v122, v141, v144
	v_mul_i32_i24_e32 v143, v234, v107
	v_bfe_u32 v248, v39, 8, 4
	v_bfe_u32 v249, v39, 16, 4
	v_mul_i32_i24_e32 v38, v246, v57
	v_add3_u32 v122, v122, v126, v127
	v_bfe_u32 v250, v39, 24, 4
	v_mul_i32_i24_e32 v145, v248, v109
	v_mul_i32_i24_e32 v146, v249, v110
	v_bfe_u32 v252, v39, 12, 4
	v_add3_u32 v122, v122, v128, v130
	v_ashrrev_i32_e32 v58, 24, v58
	v_bfe_u32 v241, v39, 20, 4
	v_mul_i32_i24_e32 v147, v250, v52
	v_mul_i32_i24_e32 v149, v252, v112
	v_add3_u32 v122, v122, v131, v132
	v_lshrrev_b32_e32 v253, 28, v39
	v_mul_i32_i24_e32 v150, v241, v113
	v_add_nc_u32_e32 v118, 4, v118
	s_delay_alu instid0(VALU_DEP_4) | instskip(NEXT) | instid1(VALU_DEP_4)
	v_add3_u32 v122, v122, v148, v134
	v_mul_i32_i24_e32 v39, v253, v58
	s_delay_alu instid0(VALU_DEP_2) | instskip(NEXT) | instid1(VALU_DEP_1)
	v_add3_u32 v122, v122, v135, v136
	v_add3_u32 v122, v122, v138, v139
	s_delay_alu instid0(VALU_DEP_1) | instskip(NEXT) | instid1(VALU_DEP_1)
	v_add3_u32 v122, v122, v140, v142
	v_add3_u32 v38, v122, v143, v38
	s_delay_alu instid0(VALU_DEP_1) | instskip(NEXT) | instid1(VALU_DEP_1)
	;; [unrolled: 3-line block ×3, first 2 shown]
	v_add3_u32 v38, v38, v150, v39
	v_cvt_f32_i32_e32 v38, v38
	s_delay_alu instid0(VALU_DEP_1) | instskip(NEXT) | instid1(VALU_DEP_1)
	v_fma_mix_f32 v38, v19, v38, -v254 op_sel_hi:[1,0,0]
	v_dual_fmac_f32 v41, v197, v38 :: v_dual_add_nc_u32 v38, 0x1080, v117
	ds_load_b32 v188, v119
	ds_load_2addr_b32 v[38:39], v38 offset1:1
	v_add_nc_u32_e32 v119, 4, v119
	s_waitcnt lgkmcnt(0)
	v_bfe_u32 v190, v38, 20, 4
	v_and_b32_e32 v191, 15, v38
	v_bfe_u32 v192, v38, 8, 4
	v_bfe_u32 v194, v38, 16, 4
	;; [unrolled: 1-line block ×5, first 2 shown]
	v_lshrrev_b32_e32 v198, 28, v38
	v_add_nc_u32_e32 v38, 0x1088, v117
	v_bfe_u32 v193, v39, 20, 4
	v_and_b32_e32 v199, 15, v39
	v_bfe_u32 v200, v39, 8, 4
	v_bfe_u32 v201, v39, 16, 4
	;; [unrolled: 1-line block ×5, first 2 shown]
	v_lshrrev_b32_e32 v206, 28, v39
	ds_load_2addr_b32 v[38:39], v38 offset1:1
	v_mul_i32_i24_e32 v122, v191, v47
	v_mul_i32_i24_e32 v129, v199, v69
	;; [unrolled: 1-line block ×5, first 2 shown]
	v_mad_i32_i24 v122, v189, v61, v122
	v_mul_i32_i24_e32 v125, v195, v49
	v_mul_i32_i24_e32 v126, v196, v65
	v_mul_i32_i24_e32 v127, v190, v68
	v_mul_i32_i24_e32 v128, v198, v55
	v_add3_u32 v122, v122, v129, v133
	v_mul_i32_i24_e32 v130, v200, v71
	v_mul_i32_i24_e32 v131, v201, v73
	;; [unrolled: 1-line block ×6, first 2 shown]
	s_waitcnt lgkmcnt(0)
	v_and_b32_e32 v207, 15, v38
	v_bfe_u32 v212, v38, 4, 4
	v_and_b32_e32 v215, 15, v39
	v_bfe_u32 v219, v39, 4, 4
	v_bfe_u32 v208, v38, 8, 4
	v_mul_i32_i24_e32 v137, v207, v78
	v_mul_i32_i24_e32 v141, v212, v105
	v_mul_i32_i24_e32 v144, v215, v108
	v_mul_i32_i24_e32 v148, v219, v111
	v_bfe_u32 v210, v38, 16, 4
	v_add3_u32 v122, v122, v137, v123
	v_mul_i32_i24_e32 v138, v208, v79
	v_bfe_u32 v211, v38, 24, 4
	v_bfe_u32 v213, v38, 12, 4
	v_mul_i32_i24_e32 v139, v210, v98
	v_add3_u32 v122, v122, v124, v125
	v_bfe_u32 v203, v38, 20, 4
	v_mul_i32_i24_e32 v140, v211, v51
	v_mul_i32_i24_e32 v142, v213, v106
	v_lshrrev_b32_e32 v214, 28, v38
	v_add3_u32 v122, v122, v141, v144
	v_mul_i32_i24_e32 v143, v203, v107
	v_bfe_u32 v216, v39, 8, 4
	v_bfe_u32 v217, v39, 16, 4
	v_mul_i32_i24_e32 v38, v214, v57
	v_add3_u32 v122, v122, v126, v127
	v_bfe_u32 v218, v39, 24, 4
	v_mul_i32_i24_e32 v145, v216, v109
	v_mul_i32_i24_e32 v146, v217, v110
	v_bfe_u32 v220, v39, 12, 4
	v_add3_u32 v122, v122, v128, v130
	v_bfe_u32 v209, v39, 20, 4
	v_mul_i32_i24_e32 v147, v218, v52
	v_lshrrev_b32_e32 v221, 28, v39
	v_mul_i32_i24_e32 v149, v220, v112
	v_add3_u32 v122, v122, v131, v132
	v_mul_i32_i24_e32 v150, v209, v113
	s_delay_alu instid0(VALU_DEP_4) | instskip(NEXT) | instid1(VALU_DEP_3)
	v_mul_i32_i24_e32 v39, v221, v58
	v_add3_u32 v122, v122, v148, v134
	s_delay_alu instid0(VALU_DEP_1) | instskip(NEXT) | instid1(VALU_DEP_1)
	v_add3_u32 v122, v122, v135, v136
	v_add3_u32 v122, v122, v138, v139
	s_delay_alu instid0(VALU_DEP_1) | instskip(NEXT) | instid1(VALU_DEP_1)
	v_add3_u32 v122, v122, v140, v142
	v_add3_u32 v38, v122, v143, v38
	s_delay_alu instid0(VALU_DEP_1) | instskip(NEXT) | instid1(VALU_DEP_1)
	v_add3_u32 v38, v38, v145, v146
	v_add3_u32 v38, v38, v147, v149
	s_delay_alu instid0(VALU_DEP_1) | instskip(NEXT) | instid1(VALU_DEP_1)
	v_add3_u32 v38, v38, v150, v39
	v_cvt_f32_i32_e32 v38, v38
	s_delay_alu instid0(VALU_DEP_1) | instskip(NEXT) | instid1(VALU_DEP_1)
	v_fma_mix_f32 v38, v19, v38, -v254 op_sel_hi:[1,0,0]
	v_fmac_f32_e32 v72, v188, v38
	v_add_nc_u32_e32 v38, 0x2100, v117
	ds_load_b32 v155, v120
	ds_load_2addr_b32 v[38:39], v38 offset1:1
	v_add_nc_u32_e32 v120, 4, v120
	s_waitcnt lgkmcnt(0)
	v_bfe_u32 v157, v38, 20, 4
	v_and_b32_e32 v158, 15, v38
	v_bfe_u32 v159, v38, 8, 4
	v_bfe_u32 v161, v38, 16, 4
	;; [unrolled: 1-line block ×5, first 2 shown]
	v_lshrrev_b32_e32 v164, 28, v38
	v_add_nc_u32_e32 v38, 0x2108, v117
	v_bfe_u32 v160, v39, 20, 4
	v_and_b32_e32 v165, 15, v39
	v_bfe_u32 v166, v39, 8, 4
	v_bfe_u32 v167, v39, 16, 4
	;; [unrolled: 1-line block ×5, first 2 shown]
	v_lshrrev_b32_e32 v172, 28, v39
	ds_load_2addr_b32 v[38:39], v38 offset1:1
	v_mul_i32_i24_e32 v122, v158, v47
	v_mul_i32_i24_e32 v129, v165, v69
	;; [unrolled: 1-line block ×5, first 2 shown]
	v_mad_i32_i24 v122, v156, v61, v122
	v_mul_i32_i24_e32 v125, v162, v49
	v_mul_i32_i24_e32 v126, v163, v65
	;; [unrolled: 1-line block ×4, first 2 shown]
	v_add3_u32 v122, v122, v129, v133
	v_mul_i32_i24_e32 v130, v166, v71
	v_mul_i32_i24_e32 v131, v167, v73
	;; [unrolled: 1-line block ×6, first 2 shown]
	s_waitcnt lgkmcnt(0)
	v_and_b32_e32 v173, 15, v38
	v_bfe_u32 v178, v38, 4, 4
	v_and_b32_e32 v181, 15, v39
	v_bfe_u32 v185, v39, 4, 4
	v_bfe_u32 v174, v38, 8, 4
	v_mul_i32_i24_e32 v137, v173, v78
	v_mul_i32_i24_e32 v141, v178, v105
	;; [unrolled: 1-line block ×4, first 2 shown]
	v_bfe_u32 v176, v38, 16, 4
	v_add3_u32 v122, v122, v137, v123
	v_mul_i32_i24_e32 v138, v174, v79
	v_bfe_u32 v177, v38, 24, 4
	v_bfe_u32 v179, v38, 12, 4
	v_mul_i32_i24_e32 v139, v176, v98
	v_add3_u32 v122, v122, v124, v125
	v_bfe_u32 v169, v38, 20, 4
	v_mul_i32_i24_e32 v140, v177, v51
	v_mul_i32_i24_e32 v142, v179, v106
	v_lshrrev_b32_e32 v180, 28, v38
	v_add3_u32 v122, v122, v141, v144
	v_mul_i32_i24_e32 v143, v169, v107
	v_bfe_u32 v182, v39, 8, 4
	v_bfe_u32 v183, v39, 16, 4
	v_mul_i32_i24_e32 v38, v180, v57
	v_add3_u32 v122, v122, v126, v127
	v_bfe_u32 v184, v39, 24, 4
	v_mul_i32_i24_e32 v145, v182, v109
	v_mul_i32_i24_e32 v146, v183, v110
	v_bfe_u32 v186, v39, 12, 4
	v_add3_u32 v122, v122, v128, v130
	v_bfe_u32 v175, v39, 20, 4
	v_mul_i32_i24_e32 v147, v184, v52
	v_lshrrev_b32_e32 v187, 28, v39
	v_mul_i32_i24_e32 v149, v186, v112
	v_add3_u32 v122, v122, v131, v132
	v_mul_i32_i24_e32 v150, v175, v113
	s_delay_alu instid0(VALU_DEP_4) | instskip(NEXT) | instid1(VALU_DEP_3)
	v_mul_i32_i24_e32 v39, v187, v58
	v_add3_u32 v122, v122, v148, v134
	s_delay_alu instid0(VALU_DEP_1) | instskip(NEXT) | instid1(VALU_DEP_1)
	v_add3_u32 v122, v122, v135, v136
	v_add3_u32 v122, v122, v138, v139
	s_delay_alu instid0(VALU_DEP_1) | instskip(NEXT) | instid1(VALU_DEP_1)
	v_add3_u32 v122, v122, v140, v142
	;; [unrolled: 3-line block ×4, first 2 shown]
	v_cvt_f32_i32_e32 v38, v38
	s_delay_alu instid0(VALU_DEP_1) | instskip(NEXT) | instid1(VALU_DEP_1)
	v_fma_mix_f32 v38, v19, v38, -v254 op_sel_hi:[1,0,0]
	v_dual_fmac_f32 v67, v155, v38 :: v_dual_add_nc_u32 v38, 0x3180, v117
	ds_load_b32 v122, v121
	ds_load_2addr_b32 v[38:39], v38 offset1:1
	v_add_nc_u32_e32 v121, 4, v121
	s_waitcnt lgkmcnt(0)
	v_bfe_u32 v124, v38, 20, 4
	v_and_b32_e32 v125, 15, v38
	v_bfe_u32 v126, v38, 8, 4
	v_bfe_u32 v128, v38, 16, 4
	;; [unrolled: 1-line block ×5, first 2 shown]
	v_lshrrev_b32_e32 v131, 28, v38
	v_add_nc_u32_e32 v38, 0x3188, v117
	v_bfe_u32 v127, v39, 20, 4
	v_and_b32_e32 v132, 15, v39
	v_bfe_u32 v133, v39, 8, 4
	v_bfe_u32 v134, v39, 16, 4
	;; [unrolled: 1-line block ×5, first 2 shown]
	v_lshrrev_b32_e32 v139, 28, v39
	ds_load_2addr_b32 v[38:39], v38 offset1:1
	v_mul_i32_i24_e32 v47, v125, v47
	v_mul_i32_i24_e32 v69, v132, v69
	v_mul_i32_i24_e32 v74, v137, v74
	v_mul_i32_i24_e32 v53, v126, v53
	v_mul_i32_i24_e32 v60, v128, v60
	v_mad_i32_i24 v47, v123, v61, v47
	v_mul_i32_i24_e32 v49, v129, v49
	v_mul_i32_i24_e32 v65, v130, v65
	v_mul_i32_i24_e32 v68, v124, v68
	v_mul_i32_i24_e32 v55, v131, v55
	v_add3_u32 v47, v47, v69, v74
	v_mul_i32_i24_e32 v71, v133, v71
	v_mul_i32_i24_e32 v73, v134, v73
	;; [unrolled: 1-line block ×6, first 2 shown]
	v_add_nc_u32_e32 v117, 16, v117
	s_waitcnt lgkmcnt(0)
	v_and_b32_e32 v140, 15, v38
	v_bfe_u32 v145, v38, 4, 4
	v_lshrrev_b32_e32 v147, 28, v38
	v_and_b32_e32 v148, 15, v39
	v_bfe_u32 v136, v38, 20, 4
	v_mul_i32_i24_e32 v78, v140, v78
	v_bfe_u32 v141, v38, 8, 4
	v_bfe_u32 v143, v38, 16, 4
	v_bfe_u32 v144, v38, 24, 4
	v_mul_i32_i24_e32 v105, v145, v105
	v_add3_u32 v47, v47, v78, v53
	v_bfe_u32 v146, v38, 12, 4
	v_mul_i32_i24_e32 v38, v147, v57
	v_mul_i32_i24_e32 v57, v148, v108
	v_bfe_u32 v149, v39, 8, 4
	v_add3_u32 v47, v47, v60, v49
	v_bfe_u32 v150, v39, 16, 4
	v_bfe_u32 v152, v39, 4, 4
	v_mul_i32_i24_e32 v79, v141, v79
	v_mul_i32_i24_e32 v108, v149, v109
	v_add3_u32 v47, v47, v105, v57
	v_mul_i32_i24_e32 v109, v150, v110
	v_mul_i32_i24_e32 v110, v152, v111
	;; [unrolled: 1-line block ×4, first 2 shown]
	v_add3_u32 v47, v47, v65, v68
	v_mul_i32_i24_e32 v106, v146, v106
	v_mul_i32_i24_e32 v107, v136, v107
	v_bfe_u32 v151, v39, 24, 4
	v_bfe_u32 v153, v39, 12, 4
	v_add3_u32 v47, v47, v55, v71
	v_bfe_u32 v142, v39, 20, 4
	v_lshrrev_b32_e32 v154, 28, v39
	v_mul_i32_i24_e32 v52, v151, v52
	v_mul_i32_i24_e32 v111, v153, v112
	v_add3_u32 v47, v47, v73, v50
	v_mul_i32_i24_e32 v112, v142, v113
	v_mul_i32_i24_e32 v39, v154, v58
	s_delay_alu instid0(VALU_DEP_3) | instskip(NEXT) | instid1(VALU_DEP_1)
	v_add3_u32 v47, v47, v110, v76
	v_add3_u32 v47, v47, v77, v56
	s_delay_alu instid0(VALU_DEP_1) | instskip(NEXT) | instid1(VALU_DEP_1)
	v_add3_u32 v47, v47, v79, v98
	v_add3_u32 v47, v47, v51, v106
	s_delay_alu instid0(VALU_DEP_1) | instskip(NEXT) | instid1(VALU_DEP_1)
	v_add3_u32 v38, v47, v107, v38
	v_add3_u32 v38, v38, v108, v109
	s_delay_alu instid0(VALU_DEP_1) | instskip(SKIP_4) | instid1(VALU_DEP_2)
	v_add3_u32 v38, v38, v52, v111
	ds_load_b128 v[49:52], v116 offset:1024
	ds_load_b128 v[55:58], v116 offset:1040
	v_lshrrev_b32_e32 v111, 16, v20
	v_add3_u32 v38, v38, v112, v39
	v_cvt_f32_f16_e32 v111, v111
	s_delay_alu instid0(VALU_DEP_2) | instskip(NEXT) | instid1(VALU_DEP_2)
	v_cvt_f32_i32_e32 v38, v38
	v_mul_f32_e32 v111, 0x41000000, v111
	s_delay_alu instid0(VALU_DEP_2) | instskip(NEXT) | instid1(VALU_DEP_1)
	v_fma_mix_f32 v19, v19, v38, -v254 op_sel_hi:[1,0,0]
	v_fmac_f32_e32 v66, v122, v19
	s_waitcnt lgkmcnt(1)
	v_bfe_i32 v19, v49, 0, 8
	v_bfe_i32 v38, v49, 8, 8
	v_bfe_i32 v39, v49, 16, 8
	v_ashrrev_i32_e32 v47, 24, v49
	s_waitcnt lgkmcnt(0)
	v_bfe_i32 v49, v55, 0, 8
	v_mul_i32_i24_e32 v112, v19, v224
	v_bfe_i32 v61, v50, 0, 8
	v_mul_i32_i24_e32 v113, v38, v225
	v_mul_i32_i24_e32 v254, v39, v227
	v_bfe_i32 v53, v55, 8, 8
	v_mad_i32_i24 v112, v49, v222, v112
	v_bfe_i32 v60, v55, 16, 8
	v_mul_i32_i24_e32 v255, v47, v228
	v_mul_i32_i24_e32 v101, v61, v231
	v_ashrrev_i32_e32 v55, 24, v55
	v_add3_u32 v112, v112, v113, v254
	v_bfe_i32 v69, v56, 0, 8
	v_mul_i32_i24_e32 v97, v53, v229
	v_mul_i32_i24_e32 v99, v60, v223
	v_bfe_i32 v65, v50, 8, 8
	v_add3_u32 v101, v112, v255, v101
	v_bfe_i32 v68, v50, 16, 8
	v_mul_i32_i24_e32 v100, v55, v230
	v_mul_i32_i24_e32 v75, v69, v236
	v_ashrrev_i32_e32 v50, 24, v50
	v_add3_u32 v97, v101, v97, v99
	v_bfe_i32 v74, v51, 0, 8
	v_mul_i32_i24_e32 v102, v65, v232
	v_mul_i32_i24_e32 v45, v68, v233
	v_bfe_i32 v71, v56, 8, 8
	v_add3_u32 v75, v97, v100, v75
	;; [unrolled: 10-line block ×6, first 2 shown]
	v_ashrrev_i32_e32 v58, 24, v58
	v_mul_i32_i24_e32 v94, v52, v250
	v_mul_i32_i24_e32 v96, v109, v252
	v_mul_i32_i24_e32 v103, v110, v241
	v_add3_u32 v45, v45, v92, v93
	v_mul_i32_i24_e32 v104, v58, v253
	v_mul_i32_i24_e32 v70, v38, v192
	v_mul_i32_i24_e32 v75, v39, v194
	v_mul_i32_i24_e32 v80, v47, v195
	v_add3_u32 v45, v45, v94, v96
	v_mul_i32_i24_e32 v84, v61, v199
	;; [unrolled: 5-line block ×3, first 2 shown]
	v_mul_i32_i24_e32 v85, v65, v200
	v_mul_i32_i24_e32 v86, v68, v201
	;; [unrolled: 1-line block ×3, first 2 shown]
	v_cvt_f32_i32_e32 v45, v45
	v_mul_i32_i24_e32 v92, v74, v207
	v_mul_i32_i24_e32 v89, v71, v205
	;; [unrolled: 1-line block ×4, first 2 shown]
	v_fma_mix_f32 v45, v20, v45, -v111 op_sel_hi:[1,0,0]
	v_mul_i32_i24_e32 v96, v78, v212
	v_mul_i32_i24_e32 v93, v76, v208
	;; [unrolled: 1-line block ×4, first 2 shown]
	v_fmac_f32_e32 v64, v197, v45
	v_mul_i32_i24_e32 v45, v19, v191
	v_mul_i32_i24_e32 v101, v105, v215
	;; [unrolled: 1-line block ×5, first 2 shown]
	v_mad_i32_i24 v45, v49, v189, v45
	v_mul_i32_i24_e32 v112, v108, v219
	v_mul_i32_i24_e32 v102, v106, v216
	v_mul_i32_i24_e32 v103, v107, v217
	v_mul_i32_i24_e32 v104, v52, v218
	v_add3_u32 v45, v45, v70, v75
	v_mul_i32_i24_e32 v113, v109, v220
	v_mul_i32_i24_e32 v254, v110, v209
	v_mul_i32_i24_e32 v255, v58, v221
	v_mul_i32_i24_e32 v70, v38, v159
	v_add3_u32 v45, v45, v80, v84
	;; [unrolled: 5-line block ×3, first 2 shown]
	v_mul_i32_i24_e32 v81, v53, v163
	v_mul_i32_i24_e32 v82, v60, v157
	;; [unrolled: 1-line block ×3, first 2 shown]
	s_delay_alu instid0(VALU_DEP_4) | instskip(SKIP_3) | instid1(VALU_DEP_4)
	v_add3_u32 v45, v45, v83, v88
	v_mul_i32_i24_e32 v83, v55, v164
	v_mul_i32_i24_e32 v88, v69, v170
	v_mul_i32_i24_e32 v55, v55, v131
	v_add3_u32 v45, v45, v85, v86
	v_mul_i32_i24_e32 v85, v65, v166
	v_mul_i32_i24_e32 v86, v68, v167
	s_delay_alu instid0(VALU_DEP_3) | instskip(SKIP_3) | instid1(VALU_DEP_4)
	v_add3_u32 v45, v45, v87, v92
	v_mul_i32_i24_e32 v87, v50, v168
	v_mul_i32_i24_e32 v92, v74, v173
	v_mul_i32_i24_e32 v50, v50, v135
	v_add3_u32 v45, v45, v89, v90
	v_mul_i32_i24_e32 v89, v71, v171
	v_mul_i32_i24_e32 v90, v73, v160
	s_delay_alu instid0(VALU_DEP_3) | instskip(SKIP_3) | instid1(VALU_DEP_4)
	;; [unrolled: 8-line block ×5, first 2 shown]
	v_add3_u32 v45, v45, v104, v113
	v_mul_i32_i24_e32 v104, v52, v184
	v_mul_i32_i24_e32 v113, v109, v186
	;; [unrolled: 1-line block ×3, first 2 shown]
	v_add3_u32 v45, v45, v254, v255
	v_mul_i32_i24_e32 v254, v110, v175
	v_mul_i32_i24_e32 v255, v58, v187
	;; [unrolled: 1-line block ×3, first 2 shown]
	s_delay_alu instid0(VALU_DEP_4) | instskip(NEXT) | instid1(VALU_DEP_1)
	v_cvt_f32_i32_e32 v45, v45
	v_fma_mix_f32 v45, v20, v45, -v111 op_sel_hi:[1,0,0]
	s_delay_alu instid0(VALU_DEP_1) | instskip(SKIP_2) | instid1(VALU_DEP_2)
	v_fmac_f32_e32 v63, v188, v45
	v_mul_i32_i24_e32 v45, v19, v158
	v_mul_i32_i24_e32 v19, v19, v125
	v_mad_i32_i24 v45, v49, v156, v45
	s_delay_alu instid0(VALU_DEP_2) | instskip(NEXT) | instid1(VALU_DEP_2)
	v_mad_i32_i24 v19, v49, v123, v19
	v_add3_u32 v45, v45, v70, v75
	s_delay_alu instid0(VALU_DEP_2)
	v_add3_u32 v19, v19, v38, v39
	v_mul_i32_i24_e32 v70, v73, v127
	v_mul_i32_i24_e32 v75, v78, v145
	;; [unrolled: 1-line block ×3, first 2 shown]
	v_add3_u32 v45, v45, v80, v84
	v_mul_i32_i24_e32 v78, v105, v148
	v_mul_i32_i24_e32 v76, v79, v146
	;; [unrolled: 1-line block ×4, first 2 shown]
	v_add3_u32 v45, v45, v81, v82
	v_mul_i32_i24_e32 v81, v108, v152
	v_mul_i32_i24_e32 v82, v109, v153
	s_delay_alu instid0(VALU_DEP_3) | instskip(SKIP_1) | instid1(VALU_DEP_2)
	v_add3_u32 v45, v45, v83, v88
	v_mul_i32_i24_e32 v83, v110, v142
	v_add3_u32 v45, v45, v85, v86
	s_delay_alu instid0(VALU_DEP_1) | instskip(NEXT) | instid1(VALU_DEP_1)
	v_add3_u32 v45, v45, v87, v92
	v_add3_u32 v45, v45, v89, v90
	s_delay_alu instid0(VALU_DEP_1) | instskip(NEXT) | instid1(VALU_DEP_1)
	v_add3_u32 v45, v45, v91, v96
	;; [unrolled: 3-line block ×5, first 2 shown]
	v_add3_u32 v45, v45, v254, v255
	s_delay_alu instid0(VALU_DEP_1) | instskip(NEXT) | instid1(VALU_DEP_1)
	v_cvt_f32_i32_e32 v45, v45
	v_fma_mix_f32 v45, v20, v45, -v111 op_sel_hi:[1,0,0]
	s_delay_alu instid0(VALU_DEP_1)
	v_fmac_f32_e32 v62, v155, v45
	v_mul_i32_i24_e32 v45, v47, v129
	v_mul_i32_i24_e32 v47, v53, v130
	;; [unrolled: 1-line block ×8, first 2 shown]
	v_add3_u32 v19, v19, v45, v60
	v_mul_i32_i24_e32 v71, v74, v140
	v_mul_i32_i24_e32 v74, v77, v143
	;; [unrolled: 1-line block ×3, first 2 shown]
	s_delay_alu instid0(VALU_DEP_4) | instskip(NEXT) | instid1(VALU_DEP_1)
	v_add3_u32 v19, v19, v47, v53
	v_add3_u32 v19, v19, v55, v68
	s_delay_alu instid0(VALU_DEP_1) | instskip(NEXT) | instid1(VALU_DEP_1)
	v_add3_u32 v19, v19, v61, v65
	v_add3_u32 v19, v19, v50, v71
	s_delay_alu instid0(VALU_DEP_1) | instskip(NEXT) | instid1(VALU_DEP_1)
	;; [unrolled: 3-line block ×6, first 2 shown]
	v_add3_u32 v19, v19, v83, v58
	v_cvt_f32_i32_e32 v19, v19
	s_delay_alu instid0(VALU_DEP_1) | instskip(NEXT) | instid1(VALU_DEP_1)
	v_fma_mix_f32 v19, v20, v19, -v111 op_sel_hi:[1,0,0]
	v_fmac_f32_e32 v59, v122, v19
	ds_load_b128 v[49:52], v116 offset:2048
	ds_load_b128 v[55:58], v116 offset:2064
	ds_load_2addr_b32 v[19:20], v115 offset0:64 offset1:96
	s_waitcnt lgkmcnt(2)
	v_bfe_i32 v38, v49, 0, 8
	v_bfe_i32 v39, v49, 8, 8
	;; [unrolled: 1-line block ×3, first 2 shown]
	v_ashrrev_i32_e32 v47, 24, v49
	s_waitcnt lgkmcnt(1)
	v_bfe_i32 v49, v55, 0, 8
	v_mul_i32_i24_e32 v86, v38, v224
	v_bfe_i32 v61, v50, 0, 8
	v_mul_i32_i24_e32 v87, v39, v225
	v_mul_i32_i24_e32 v88, v45, v227
	v_bfe_i32 v53, v55, 8, 8
	v_mad_i32_i24 v86, v49, v222, v86
	v_bfe_i32 v60, v55, 16, 8
	v_mul_i32_i24_e32 v89, v47, v228
	v_mul_i32_i24_e32 v93, v61, v231
	v_ashrrev_i32_e32 v55, 24, v55
	v_add3_u32 v86, v86, v87, v88
	v_bfe_i32 v69, v56, 0, 8
	v_mul_i32_i24_e32 v90, v53, v229
	v_mul_i32_i24_e32 v91, v60, v223
	v_bfe_i32 v65, v50, 8, 8
	v_add3_u32 v86, v86, v89, v93
	v_bfe_i32 v68, v50, 16, 8
	v_mul_i32_i24_e32 v92, v55, v230
	v_mul_i32_i24_e32 v97, v69, v236
	v_ashrrev_i32_e32 v50, 24, v50
	v_add3_u32 v86, v86, v90, v91
	v_bfe_i32 v73, v51, 0, 8
	v_mul_i32_i24_e32 v94, v65, v232
	v_mul_i32_i24_e32 v95, v68, v233
	v_bfe_i32 v70, v56, 8, 8
	v_add3_u32 v86, v86, v92, v97
	;; [unrolled: 10-line block ×6, first 2 shown]
	v_ashrrev_i32_e32 v58, 24, v58
	v_mul_i32_i24_e32 v112, v52, v250
	v_mul_i32_i24_e32 v254, v83, v252
	s_waitcnt lgkmcnt(0)
	v_lshrrev_b32_e32 v85, 16, v19
	v_add3_u32 v86, v86, v110, v111
	v_mul_i32_i24_e32 v255, v84, v241
	v_mul_i32_i24_e32 v0, v58, v253
	;; [unrolled: 1-line block ×3, first 2 shown]
	v_cvt_f32_f16_e32 v85, v85
	v_add3_u32 v86, v86, v112, v254
	v_mul_i32_i24_e32 v88, v47, v195
	v_mul_i32_i24_e32 v92, v61, v199
	v_mul_i32_i24_e32 v89, v53, v196
	v_mul_f32_e32 v85, 0x41000000, v85
	v_add3_u32 v0, v86, v255, v0
	v_mul_i32_i24_e32 v86, v39, v192
	v_mul_i32_i24_e32 v90, v60, v190
	;; [unrolled: 1-line block ×4, first 2 shown]
	v_cvt_f32_i32_e32 v0, v0
	v_mul_i32_i24_e32 v93, v65, v200
	v_mul_i32_i24_e32 v94, v68, v201
	;; [unrolled: 1-line block ×4, first 2 shown]
	v_fma_mix_f32 v0, v19, v0, -v85 op_sel_hi:[1,0,0]
	v_mul_i32_i24_e32 v98, v71, v193
	v_mul_i32_i24_e32 v99, v56, v206
	;; [unrolled: 1-line block ×4, first 2 shown]
	v_fmac_f32_e32 v54, v197, v0
	v_mul_i32_i24_e32 v0, v38, v191
	v_mul_i32_i24_e32 v100, v73, v207
	;; [unrolled: 1-line block ×5, first 2 shown]
	v_mad_i32_i24 v0, v49, v189, v0
	v_mul_i32_i24_e32 v105, v77, v213
	v_mul_i32_i24_e32 v106, v78, v203
	v_mul_i32_i24_e32 v107, v57, v214
	v_mul_i32_i24_e32 v112, v82, v219
	v_add3_u32 v0, v0, v86, v87
	v_mul_i32_i24_e32 v109, v80, v216
	v_mul_i32_i24_e32 v110, v81, v217
	v_mul_i32_i24_e32 v111, v52, v218
	v_mul_i32_i24_e32 v113, v83, v220
	v_add3_u32 v0, v0, v88, v92
	;; [unrolled: 5-line block ×4, first 2 shown]
	v_mul_i32_i24_e32 v91, v55, v164
	v_mul_i32_i24_e32 v96, v69, v170
	v_mul_i32_i24_e32 v55, v55, v131
	s_delay_alu instid0(VALU_DEP_4) | instskip(SKIP_2) | instid1(VALU_DEP_3)
	v_add3_u32 v0, v0, v93, v94
	v_mul_i32_i24_e32 v93, v65, v166
	v_mul_i32_i24_e32 v94, v68, v167
	v_add3_u32 v0, v0, v95, v100
	v_mul_i32_i24_e32 v95, v50, v168
	v_mul_i32_i24_e32 v100, v73, v173
	v_mul_i32_i24_e32 v50, v50, v135
	s_delay_alu instid0(VALU_DEP_4) | instskip(SKIP_2) | instid1(VALU_DEP_3)
	v_add3_u32 v0, v0, v97, v98
	v_mul_i32_i24_e32 v97, v70, v171
	v_mul_i32_i24_e32 v98, v71, v160
	v_add3_u32 v0, v0, v99, v104
	;; [unrolled: 8-line block ×5, first 2 shown]
	v_mul_i32_i24_e32 v111, v52, v184
	v_mul_i32_i24_e32 v113, v83, v186
	;; [unrolled: 1-line block ×3, first 2 shown]
	s_delay_alu instid0(VALU_DEP_4) | instskip(SKIP_3) | instid1(VALU_DEP_4)
	v_add3_u32 v0, v0, v254, v255
	v_mul_i32_i24_e32 v254, v84, v175
	v_mul_i32_i24_e32 v255, v58, v187
	;; [unrolled: 1-line block ×3, first 2 shown]
	v_cvt_f32_i32_e32 v0, v0
	s_delay_alu instid0(VALU_DEP_1) | instskip(NEXT) | instid1(VALU_DEP_1)
	v_fma_mix_f32 v0, v19, v0, -v85 op_sel_hi:[1,0,0]
	v_fmac_f32_e32 v48, v188, v0
	v_mul_i32_i24_e32 v0, v38, v158
	s_delay_alu instid0(VALU_DEP_1) | instskip(NEXT) | instid1(VALU_DEP_1)
	v_mad_i32_i24 v0, v49, v156, v0
	v_add3_u32 v0, v0, v86, v87
	s_delay_alu instid0(VALU_DEP_1) | instskip(NEXT) | instid1(VALU_DEP_1)
	v_add3_u32 v0, v0, v88, v92
	v_add3_u32 v0, v0, v89, v90
	s_delay_alu instid0(VALU_DEP_1) | instskip(NEXT) | instid1(VALU_DEP_1)
	v_add3_u32 v0, v0, v91, v96
	;; [unrolled: 3-line block ×7, first 2 shown]
	v_add3_u32 v0, v0, v254, v255
	s_delay_alu instid0(VALU_DEP_1) | instskip(NEXT) | instid1(VALU_DEP_1)
	v_cvt_f32_i32_e32 v0, v0
	v_fma_mix_f32 v0, v19, v0, -v85 op_sel_hi:[1,0,0]
	s_delay_alu instid0(VALU_DEP_1)
	v_fmac_f32_e32 v46, v155, v0
	v_mul_i32_i24_e32 v0, v38, v125
	v_mul_i32_i24_e32 v38, v39, v126
	;; [unrolled: 1-line block ×5, first 2 shown]
	v_mad_i32_i24 v0, v49, v123, v0
	v_mul_i32_i24_e32 v53, v60, v124
	v_mul_i32_i24_e32 v60, v61, v132
	v_mul_i32_i24_e32 v61, v65, v133
	v_mul_i32_i24_e32 v65, v68, v134
	v_add3_u32 v0, v0, v38, v39
	v_mul_i32_i24_e32 v68, v69, v137
	v_mul_i32_i24_e32 v69, v70, v138
	v_mul_i32_i24_e32 v70, v71, v127
	v_mul_i32_i24_e32 v71, v73, v140
	v_add3_u32 v0, v0, v45, v60
	;; [unrolled: 5-line block ×4, first 2 shown]
	v_mul_i32_i24_e32 v81, v82, v152
	v_mul_i32_i24_e32 v82, v83, v153
	;; [unrolled: 1-line block ×3, first 2 shown]
	s_delay_alu instid0(VALU_DEP_4) | instskip(NEXT) | instid1(VALU_DEP_1)
	v_add3_u32 v0, v0, v61, v65
	v_add3_u32 v0, v0, v50, v71
	s_delay_alu instid0(VALU_DEP_1) | instskip(NEXT) | instid1(VALU_DEP_1)
	v_add3_u32 v0, v0, v69, v70
	v_add3_u32 v0, v0, v56, v75
	s_delay_alu instid0(VALU_DEP_1) | instskip(NEXT) | instid1(VALU_DEP_1)
	;; [unrolled: 3-line block ×4, first 2 shown]
	v_add3_u32 v0, v0, v79, v80
	v_add3_u32 v0, v0, v52, v82
	s_delay_alu instid0(VALU_DEP_1) | instskip(SKIP_4) | instid1(VALU_DEP_2)
	v_add3_u32 v0, v0, v83, v58
	ds_load_b128 v[49:52], v116 offset:3072
	ds_load_b128 v[55:58], v116 offset:3088
	v_lshrrev_b32_e32 v83, 16, v20
	v_cvt_f32_i32_e32 v0, v0
	v_cvt_f32_f16_e32 v83, v83
	s_delay_alu instid0(VALU_DEP_2) | instskip(NEXT) | instid1(VALU_DEP_1)
	v_fma_mix_f32 v0, v19, v0, -v85 op_sel_hi:[1,0,0]
	v_dual_mul_f32 v83, 0x41000000, v83 :: v_dual_fmac_f32 v44, v122, v0
	s_waitcnt lgkmcnt(1)
	v_bfe_i32 v0, v49, 0, 8
	v_bfe_i32 v19, v49, 8, 8
	;; [unrolled: 1-line block ×3, first 2 shown]
	s_waitcnt lgkmcnt(0)
	v_bfe_i32 v45, v55, 0, 8
	v_ashrrev_i32_e32 v39, 24, v49
	v_mul_i32_i24_e32 v84, v0, v224
	v_bfe_i32 v47, v55, 8, 8
	v_bfe_i32 v49, v55, 16, 8
	v_ashrrev_i32_e32 v53, 24, v55
	v_bfe_i32 v55, v50, 0, 8
	v_mul_i32_i24_e32 v85, v19, v225
	v_mul_i32_i24_e32 v86, v38, v227
	v_mad_i32_i24 v84, v45, v222, v84
	v_mul_i32_i24_e32 v87, v39, v228
	v_mul_i32_i24_e32 v91, v55, v231
	v_bfe_i32 v65, v56, 0, 8
	v_mul_i32_i24_e32 v88, v47, v229
	v_add3_u32 v84, v84, v85, v86
	v_mul_i32_i24_e32 v89, v49, v223
	v_bfe_i32 v60, v50, 8, 8
	v_bfe_i32 v61, v50, 16, 8
	v_mul_i32_i24_e32 v90, v53, v230
	v_add3_u32 v84, v84, v87, v91
	v_mul_i32_i24_e32 v95, v65, v236
	v_ashrrev_i32_e32 v50, 24, v50
	v_bfe_i32 v70, v51, 0, 8
	v_mul_i32_i24_e32 v92, v60, v232
	v_add3_u32 v84, v84, v88, v89
	v_mul_i32_i24_e32 v93, v61, v233
	v_bfe_i32 v68, v56, 8, 8
	v_bfe_i32 v69, v56, 16, 8
	v_mul_i32_i24_e32 v94, v50, v235
	v_add3_u32 v84, v84, v90, v95
	v_mul_i32_i24_e32 v99, v70, v239
	v_ashrrev_i32_e32 v56, 24, v56
	;; [unrolled: 10-line block ×5, first 2 shown]
	v_bfe_i32 v81, v58, 8, 8
	v_mul_i32_i24_e32 v108, v78, v248
	v_add3_u32 v84, v84, v104, v105
	v_mul_i32_i24_e32 v109, v79, v249
	v_bfe_i32 v82, v58, 16, 8
	v_ashrrev_i32_e32 v58, 24, v58
	v_mul_i32_i24_e32 v110, v52, v250
	v_add3_u32 v84, v84, v106, v111
	v_mul_i32_i24_e32 v112, v81, v252
	v_mul_i32_i24_e32 v113, v82, v241
	v_mul_i32_i24_e32 v254, v58, v253
	v_mul_i32_i24_e32 v85, v19, v192
	v_add3_u32 v84, v84, v108, v109
	v_mul_i32_i24_e32 v86, v38, v194
	v_mul_i32_i24_e32 v87, v39, v195
	v_mul_i32_i24_e32 v91, v55, v199
	;; [unrolled: 5-line block ×4, first 2 shown]
	v_mul_i32_i24_e32 v96, v68, v205
	v_cvt_f32_i32_e32 v84, v84
	v_mul_i32_i24_e32 v97, v69, v193
	v_mul_i32_i24_e32 v98, v56, v206
	;; [unrolled: 1-line block ×4, first 2 shown]
	v_fma_mix_f32 v84, v20, v84, -v83 op_sel_hi:[1,0,0]
	v_mul_i32_i24_e32 v101, v73, v210
	v_mul_i32_i24_e32 v102, v51, v211
	v_mul_i32_i24_e32 v107, v77, v215
	v_mul_i32_i24_e32 v104, v75, v213
	v_fmac_f32_e32 v43, v197, v84
	v_mul_i32_i24_e32 v84, v0, v191
	v_mul_i32_i24_e32 v105, v76, v203
	;; [unrolled: 1-line block ×5, first 2 shown]
	v_mad_i32_i24 v84, v45, v189, v84
	v_mul_i32_i24_e32 v109, v79, v217
	v_mul_i32_i24_e32 v110, v52, v218
	v_mul_i32_i24_e32 v112, v81, v220
	v_mul_i32_i24_e32 v113, v82, v209
	v_add3_u32 v84, v84, v85, v86
	v_mul_i32_i24_e32 v254, v58, v221
	v_mul_i32_i24_e32 v85, v19, v159
	v_mul_i32_i24_e32 v86, v38, v161
	v_mul_i32_i24_e32 v19, v19, v126
	v_add3_u32 v84, v84, v87, v91
	;; [unrolled: 5-line block ×10, first 2 shown]
	v_mul_i32_i24_e32 v102, v51, v177
	v_mul_i32_i24_e32 v73, v73, v143
	;; [unrolled: 1-line block ×3, first 2 shown]
	s_delay_alu instid0(VALU_DEP_4)
	v_add3_u32 v84, v84, v104, v105
	v_mul_i32_i24_e32 v104, v75, v179
	v_mul_i32_i24_e32 v105, v76, v169
	v_mul_i32_i24_e32 v75, v75, v146
	v_mul_i32_i24_e32 v76, v76, v136
	v_add3_u32 v84, v84, v106, v111
	v_mul_i32_i24_e32 v106, v57, v180
	v_mul_i32_i24_e32 v111, v80, v185
	v_mul_i32_i24_e32 v57, v57, v147
	v_mul_i32_i24_e32 v80, v80, v152
	;; [unrolled: 5-line block ×5, first 2 shown]
	v_cvt_f32_i32_e32 v84, v84
	s_delay_alu instid0(VALU_DEP_1) | instskip(NEXT) | instid1(VALU_DEP_1)
	v_fma_mix_f32 v84, v20, v84, -v83 op_sel_hi:[1,0,0]
	v_fmac_f32_e32 v42, v188, v84
	v_mul_i32_i24_e32 v84, v0, v158
	v_mul_i32_i24_e32 v107, v77, v181
	;; [unrolled: 1-line block ×3, first 2 shown]
	s_delay_alu instid0(VALU_DEP_3) | instskip(NEXT) | instid1(VALU_DEP_1)
	v_mad_i32_i24 v84, v45, v156, v84
	v_add3_u32 v84, v84, v85, v86
	s_delay_alu instid0(VALU_DEP_1) | instskip(NEXT) | instid1(VALU_DEP_1)
	v_add3_u32 v84, v84, v87, v91
	v_add3_u32 v84, v84, v88, v89
	s_delay_alu instid0(VALU_DEP_1) | instskip(NEXT) | instid1(VALU_DEP_1)
	v_add3_u32 v84, v84, v90, v95
	v_add3_u32 v84, v84, v92, v93
	s_delay_alu instid0(VALU_DEP_1) | instskip(NEXT) | instid1(VALU_DEP_1)
	v_add3_u32 v84, v84, v94, v99
	v_add3_u32 v84, v84, v96, v97
	s_delay_alu instid0(VALU_DEP_1) | instskip(NEXT) | instid1(VALU_DEP_1)
	v_add3_u32 v84, v84, v98, v103
	v_add3_u32 v84, v84, v100, v101
	s_delay_alu instid0(VALU_DEP_1) | instskip(NEXT) | instid1(VALU_DEP_1)
	v_add3_u32 v84, v84, v102, v107
	v_add3_u32 v84, v84, v104, v105
	s_delay_alu instid0(VALU_DEP_1) | instskip(NEXT) | instid1(VALU_DEP_1)
	v_add3_u32 v84, v84, v106, v111
	v_add3_u32 v84, v84, v108, v109
	s_delay_alu instid0(VALU_DEP_1) | instskip(NEXT) | instid1(VALU_DEP_1)
	v_add3_u32 v84, v84, v110, v112
	v_add3_u32 v84, v84, v113, v254
	s_delay_alu instid0(VALU_DEP_1) | instskip(NEXT) | instid1(VALU_DEP_1)
	v_cvt_f32_i32_e32 v84, v84
	v_fma_mix_f32 v84, v20, v84, -v83 op_sel_hi:[1,0,0]
	s_delay_alu instid0(VALU_DEP_1) | instskip(SKIP_1) | instid1(VALU_DEP_1)
	v_fmac_f32_e32 v40, v155, v84
	v_mul_i32_i24_e32 v0, v0, v125
	v_mad_i32_i24 v0, v45, v123, v0
	s_delay_alu instid0(VALU_DEP_1) | instskip(NEXT) | instid1(VALU_DEP_1)
	v_add3_u32 v0, v0, v19, v38
	v_add3_u32 v0, v0, v39, v55
	s_delay_alu instid0(VALU_DEP_1) | instskip(NEXT) | instid1(VALU_DEP_1)
	v_add3_u32 v0, v0, v47, v49
	v_add3_u32 v0, v0, v53, v65
	;; [unrolled: 3-line block ×7, first 2 shown]
	s_delay_alu instid0(VALU_DEP_1) | instskip(NEXT) | instid1(VALU_DEP_1)
	v_add3_u32 v0, v0, v82, v58
	v_cvt_f32_i32_e32 v0, v0
	s_delay_alu instid0(VALU_DEP_1)
	v_fma_mix_f32 v0, v20, v0, -v83 op_sel_hi:[1,0,0]
	ds_load_b128 v[49:52], v116 offset:4096
	ds_load_b128 v[55:58], v116 offset:4112
	ds_load_2addr_b32 v[19:20], v115 offset0:128 offset1:160
	v_fmac_f32_e32 v37, v122, v0
	s_waitcnt lgkmcnt(2)
	v_bfe_i32 v0, v49, 0, 8
	v_bfe_i32 v38, v49, 8, 8
	;; [unrolled: 1-line block ×3, first 2 shown]
	s_waitcnt lgkmcnt(1)
	v_bfe_i32 v47, v55, 0, 8
	v_ashrrev_i32_e32 v45, 24, v49
	v_mul_i32_i24_e32 v85, v0, v224
	v_bfe_i32 v60, v50, 0, 8
	v_mul_i32_i24_e32 v86, v38, v225
	v_mul_i32_i24_e32 v87, v39, v227
	v_bfe_i32 v49, v55, 8, 8
	v_mad_i32_i24 v85, v47, v222, v85
	v_bfe_i32 v53, v55, 16, 8
	v_mul_i32_i24_e32 v88, v45, v228
	v_mul_i32_i24_e32 v92, v60, v231
	v_ashrrev_i32_e32 v55, 24, v55
	v_add3_u32 v85, v85, v86, v87
	v_bfe_i32 v68, v56, 0, 8
	v_mul_i32_i24_e32 v89, v49, v229
	v_mul_i32_i24_e32 v90, v53, v223
	v_bfe_i32 v61, v50, 8, 8
	v_add3_u32 v85, v85, v88, v92
	v_bfe_i32 v65, v50, 16, 8
	v_mul_i32_i24_e32 v91, v55, v230
	v_mul_i32_i24_e32 v96, v68, v236
	v_ashrrev_i32_e32 v50, 24, v50
	v_add3_u32 v85, v85, v89, v90
	v_bfe_i32 v71, v51, 0, 8
	v_mul_i32_i24_e32 v93, v61, v232
	v_mul_i32_i24_e32 v94, v65, v233
	v_bfe_i32 v69, v56, 8, 8
	v_add3_u32 v85, v85, v91, v96
	;; [unrolled: 10-line block ×6, first 2 shown]
	v_ashrrev_i32_e32 v58, 24, v58
	v_mul_i32_i24_e32 v111, v52, v250
	v_mul_i32_i24_e32 v113, v82, v252
	s_waitcnt lgkmcnt(0)
	v_lshrrev_b32_e32 v84, 16, v19
	v_add3_u32 v85, v85, v109, v110
	v_mul_i32_i24_e32 v254, v83, v241
	v_mul_i32_i24_e32 v255, v58, v253
	;; [unrolled: 1-line block ×3, first 2 shown]
	v_cvt_f32_f16_e32 v84, v84
	v_add3_u32 v85, v85, v111, v113
	v_mul_i32_i24_e32 v87, v39, v194
	v_mul_i32_i24_e32 v88, v45, v195
	;; [unrolled: 1-line block ×3, first 2 shown]
	v_mul_f32_e32 v84, 0x41000000, v84
	v_add3_u32 v85, v85, v254, v255
	v_mul_i32_i24_e32 v89, v49, v196
	v_mul_i32_i24_e32 v90, v53, v190
	;; [unrolled: 1-line block ×4, first 2 shown]
	v_cvt_f32_i32_e32 v85, v85
	v_mul_i32_i24_e32 v93, v61, v200
	v_mul_i32_i24_e32 v94, v65, v201
	;; [unrolled: 1-line block ×4, first 2 shown]
	v_fma_mix_f32 v85, v19, v85, -v84 op_sel_hi:[1,0,0]
	v_mul_i32_i24_e32 v97, v69, v205
	v_mul_i32_i24_e32 v98, v70, v193
	;; [unrolled: 1-line block ×4, first 2 shown]
	v_fmac_f32_e32 v36, v197, v85
	v_mul_i32_i24_e32 v85, v0, v191
	v_mul_i32_i24_e32 v101, v73, v208
	;; [unrolled: 1-line block ×5, first 2 shown]
	v_mad_i32_i24 v85, v47, v189, v85
	v_mul_i32_i24_e32 v105, v76, v213
	v_mul_i32_i24_e32 v106, v77, v203
	v_mul_i32_i24_e32 v107, v57, v214
	v_mul_i32_i24_e32 v112, v81, v219
	v_add3_u32 v85, v85, v86, v87
	v_mul_i32_i24_e32 v109, v79, v216
	v_mul_i32_i24_e32 v110, v80, v217
	v_mul_i32_i24_e32 v111, v52, v218
	v_mul_i32_i24_e32 v113, v82, v220
	v_add3_u32 v85, v85, v88, v92
	v_mul_i32_i24_e32 v254, v83, v209
	v_mul_i32_i24_e32 v255, v58, v221
	v_mul_i32_i24_e32 v86, v38, v159
	v_mul_i32_i24_e32 v87, v39, v161
	v_add3_u32 v85, v85, v89, v90
	v_mul_i32_i24_e32 v38, v38, v126
	v_mul_i32_i24_e32 v39, v39, v128
	v_mul_i32_i24_e32 v88, v45, v162
	v_mul_i32_i24_e32 v92, v60, v165
	v_add3_u32 v85, v85, v91, v96
	v_mul_i32_i24_e32 v45, v45, v129
	v_mul_i32_i24_e32 v60, v60, v132
	v_mul_i32_i24_e32 v89, v49, v163
	v_mul_i32_i24_e32 v90, v53, v157
	v_add3_u32 v85, v85, v93, v94
	v_mul_i32_i24_e32 v49, v49, v130
	v_mul_i32_i24_e32 v53, v53, v124
	v_mul_i32_i24_e32 v91, v55, v164
	v_mul_i32_i24_e32 v96, v68, v170
	v_add3_u32 v85, v85, v95, v100
	v_mul_i32_i24_e32 v55, v55, v131
	v_mul_i32_i24_e32 v68, v68, v137
	v_mul_i32_i24_e32 v93, v61, v166
	v_mul_i32_i24_e32 v94, v65, v167
	v_add3_u32 v85, v85, v97, v98
	v_mul_i32_i24_e32 v61, v61, v133
	v_mul_i32_i24_e32 v65, v65, v134
	v_mul_i32_i24_e32 v95, v50, v168
	v_mul_i32_i24_e32 v100, v71, v173
	v_add3_u32 v85, v85, v99, v104
	v_mul_i32_i24_e32 v50, v50, v135
	v_mul_i32_i24_e32 v71, v71, v140
	v_mul_i32_i24_e32 v97, v69, v171
	v_mul_i32_i24_e32 v98, v70, v160
	v_add3_u32 v85, v85, v101, v102
	v_mul_i32_i24_e32 v69, v69, v138
	v_mul_i32_i24_e32 v70, v70, v127
	v_mul_i32_i24_e32 v99, v56, v172
	v_mul_i32_i24_e32 v104, v75, v178
	v_add3_u32 v85, v85, v103, v108
	v_mul_i32_i24_e32 v56, v56, v139
	v_mul_i32_i24_e32 v75, v75, v145
	v_mul_i32_i24_e32 v101, v73, v174
	v_mul_i32_i24_e32 v102, v74, v176
	v_add3_u32 v85, v85, v105, v106
	v_mul_i32_i24_e32 v73, v73, v141
	v_mul_i32_i24_e32 v74, v74, v143
	v_mul_i32_i24_e32 v103, v51, v177
	v_mul_i32_i24_e32 v108, v78, v181
	v_add3_u32 v85, v85, v107, v112
	v_mul_i32_i24_e32 v51, v51, v144
	v_mul_i32_i24_e32 v105, v76, v179
	v_mul_i32_i24_e32 v106, v77, v169
	v_mul_i32_i24_e32 v76, v76, v146
	v_add3_u32 v85, v85, v109, v110
	v_mul_i32_i24_e32 v77, v77, v136
	v_mul_i32_i24_e32 v107, v57, v180
	v_mul_i32_i24_e32 v112, v81, v185
	v_mul_i32_i24_e32 v57, v57, v147
	v_add3_u32 v85, v85, v111, v113
	v_mul_i32_i24_e32 v81, v81, v152
	v_mul_i32_i24_e32 v109, v79, v182
	v_mul_i32_i24_e32 v110, v80, v183
	v_mul_i32_i24_e32 v79, v79, v149
	v_add3_u32 v85, v85, v254, v255
	v_mul_i32_i24_e32 v80, v80, v150
	v_mul_i32_i24_e32 v111, v52, v184
	;; [unrolled: 1-line block ×4, first 2 shown]
	v_cvt_f32_i32_e32 v85, v85
	v_mul_i32_i24_e32 v82, v82, v153
	v_mul_i32_i24_e32 v254, v83, v175
	;; [unrolled: 1-line block ×4, first 2 shown]
	v_fma_mix_f32 v85, v19, v85, -v84 op_sel_hi:[1,0,0]
	v_mul_i32_i24_e32 v58, v58, v154
	s_delay_alu instid0(VALU_DEP_2) | instskip(SKIP_3) | instid1(VALU_DEP_3)
	v_fmac_f32_e32 v35, v188, v85
	v_mul_i32_i24_e32 v85, v0, v158
	v_mul_i32_i24_e32 v0, v0, v125
	;; [unrolled: 1-line block ×3, first 2 shown]
	v_mad_i32_i24 v85, v47, v156, v85
	s_delay_alu instid0(VALU_DEP_3) | instskip(NEXT) | instid1(VALU_DEP_2)
	v_mad_i32_i24 v0, v47, v123, v0
	v_add3_u32 v85, v85, v86, v87
	s_delay_alu instid0(VALU_DEP_2) | instskip(NEXT) | instid1(VALU_DEP_2)
	v_add3_u32 v0, v0, v38, v39
	v_add3_u32 v85, v85, v88, v92
	s_delay_alu instid0(VALU_DEP_2) | instskip(NEXT) | instid1(VALU_DEP_2)
	v_add3_u32 v0, v0, v45, v60
	;; [unrolled: 3-line block ×14, first 2 shown]
	v_add3_u32 v85, v85, v254, v255
	s_delay_alu instid0(VALU_DEP_2)
	v_add3_u32 v0, v0, v83, v58
	ds_load_b128 v[49:52], v116 offset:5120
	ds_load_b128 v[55:58], v116 offset:5136
	v_lshrrev_b32_e32 v83, 16, v20
	v_cvt_f32_i32_e32 v85, v85
	v_cvt_f32_i32_e32 v0, v0
	s_delay_alu instid0(VALU_DEP_3) | instskip(NEXT) | instid1(VALU_DEP_1)
	v_cvt_f32_f16_e32 v83, v83
	v_mul_f32_e32 v83, 0x41000000, v83
	s_delay_alu instid0(VALU_DEP_3) | instskip(SKIP_1) | instid1(VALU_DEP_1)
	v_fma_mix_f32 v0, v19, v0, -v84 op_sel_hi:[1,0,0]
	v_fma_mix_f32 v85, v19, v85, -v84 op_sel_hi:[1,0,0]
	v_dual_fmac_f32 v33, v122, v0 :: v_dual_fmac_f32 v34, v155, v85
	s_waitcnt lgkmcnt(1)
	v_bfe_i32 v0, v49, 0, 8
	v_bfe_i32 v19, v49, 8, 8
	;; [unrolled: 1-line block ×3, first 2 shown]
	s_waitcnt lgkmcnt(0)
	v_bfe_i32 v45, v55, 0, 8
	v_ashrrev_i32_e32 v39, 24, v49
	v_mul_i32_i24_e32 v84, v0, v224
	v_bfe_i32 v47, v55, 8, 8
	v_bfe_i32 v49, v55, 16, 8
	v_ashrrev_i32_e32 v53, 24, v55
	v_bfe_i32 v55, v50, 0, 8
	v_mul_i32_i24_e32 v85, v19, v225
	v_mul_i32_i24_e32 v86, v38, v227
	v_mad_i32_i24 v84, v45, v222, v84
	v_mul_i32_i24_e32 v87, v39, v228
	v_mul_i32_i24_e32 v91, v55, v231
	v_bfe_i32 v65, v56, 0, 8
	v_mul_i32_i24_e32 v88, v47, v229
	v_add3_u32 v84, v84, v85, v86
	v_mul_i32_i24_e32 v89, v49, v223
	v_bfe_i32 v60, v50, 8, 8
	v_bfe_i32 v61, v50, 16, 8
	v_mul_i32_i24_e32 v90, v53, v230
	v_add3_u32 v84, v84, v87, v91
	v_mul_i32_i24_e32 v95, v65, v236
	v_ashrrev_i32_e32 v50, 24, v50
	v_bfe_i32 v70, v51, 0, 8
	v_mul_i32_i24_e32 v92, v60, v232
	v_add3_u32 v84, v84, v88, v89
	v_mul_i32_i24_e32 v93, v61, v233
	v_bfe_i32 v68, v56, 8, 8
	v_bfe_i32 v69, v56, 16, 8
	v_mul_i32_i24_e32 v94, v50, v235
	v_add3_u32 v84, v84, v90, v95
	v_mul_i32_i24_e32 v99, v70, v239
	v_ashrrev_i32_e32 v56, 24, v56
	;; [unrolled: 10-line block ×5, first 2 shown]
	v_bfe_i32 v81, v58, 8, 8
	v_mul_i32_i24_e32 v108, v78, v248
	v_add3_u32 v84, v84, v104, v105
	v_mul_i32_i24_e32 v109, v79, v249
	v_bfe_i32 v82, v58, 16, 8
	v_ashrrev_i32_e32 v58, 24, v58
	v_mul_i32_i24_e32 v110, v52, v250
	v_add3_u32 v84, v84, v106, v111
	v_mul_i32_i24_e32 v112, v81, v252
	v_mul_i32_i24_e32 v113, v82, v241
	v_mul_i32_i24_e32 v254, v58, v253
	v_mul_i32_i24_e32 v85, v19, v192
	v_add3_u32 v84, v84, v108, v109
	v_mul_i32_i24_e32 v86, v38, v194
	v_mul_i32_i24_e32 v87, v39, v195
	v_mul_i32_i24_e32 v91, v55, v199
	;; [unrolled: 5-line block ×4, first 2 shown]
	v_mul_i32_i24_e32 v96, v68, v205
	v_cvt_f32_i32_e32 v84, v84
	v_mul_i32_i24_e32 v97, v69, v193
	v_mul_i32_i24_e32 v98, v56, v206
	;; [unrolled: 1-line block ×4, first 2 shown]
	v_fma_mix_f32 v84, v20, v84, -v83 op_sel_hi:[1,0,0]
	v_mul_i32_i24_e32 v101, v73, v210
	v_mul_i32_i24_e32 v102, v51, v211
	;; [unrolled: 1-line block ×4, first 2 shown]
	v_fmac_f32_e32 v32, v197, v84
	v_mul_i32_i24_e32 v84, v0, v191
	v_mul_i32_i24_e32 v105, v76, v203
	;; [unrolled: 1-line block ×5, first 2 shown]
	v_mad_i32_i24 v84, v45, v189, v84
	v_mul_i32_i24_e32 v109, v79, v217
	v_mul_i32_i24_e32 v110, v52, v218
	v_mul_i32_i24_e32 v112, v81, v220
	v_mul_i32_i24_e32 v113, v82, v209
	v_add3_u32 v84, v84, v85, v86
	v_mul_i32_i24_e32 v254, v58, v221
	v_mul_i32_i24_e32 v85, v19, v159
	v_mul_i32_i24_e32 v86, v38, v161
	v_mul_i32_i24_e32 v19, v19, v126
	v_add3_u32 v84, v84, v87, v91
	;; [unrolled: 5-line block ×15, first 2 shown]
	v_mul_i32_i24_e32 v81, v81, v153
	v_mul_i32_i24_e32 v113, v82, v175
	;; [unrolled: 1-line block ×4, first 2 shown]
	v_cvt_f32_i32_e32 v84, v84
	v_mul_i32_i24_e32 v58, v58, v154
	s_delay_alu instid0(VALU_DEP_2) | instskip(NEXT) | instid1(VALU_DEP_1)
	v_fma_mix_f32 v84, v20, v84, -v83 op_sel_hi:[1,0,0]
	v_fmac_f32_e32 v31, v188, v84
	v_mul_i32_i24_e32 v84, v0, v158
	v_mul_i32_i24_e32 v0, v0, v125
	s_delay_alu instid0(VALU_DEP_2) | instskip(NEXT) | instid1(VALU_DEP_2)
	v_mad_i32_i24 v84, v45, v156, v84
	v_mad_i32_i24 v0, v45, v123, v0
	s_delay_alu instid0(VALU_DEP_2) | instskip(NEXT) | instid1(VALU_DEP_2)
	v_add3_u32 v84, v84, v85, v86
	v_add3_u32 v0, v0, v19, v38
	s_delay_alu instid0(VALU_DEP_2) | instskip(NEXT) | instid1(VALU_DEP_2)
	v_add3_u32 v84, v84, v87, v91
	v_add3_u32 v0, v0, v39, v55
	;; [unrolled: 3-line block ×15, first 2 shown]
	s_delay_alu instid0(VALU_DEP_2) | instskip(NEXT) | instid1(VALU_DEP_2)
	v_cvt_f32_i32_e32 v84, v84
	v_cvt_f32_i32_e32 v0, v0
	s_delay_alu instid0(VALU_DEP_2) | instskip(NEXT) | instid1(VALU_DEP_2)
	v_fma_mix_f32 v84, v20, v84, -v83 op_sel_hi:[1,0,0]
	v_fma_mix_f32 v0, v20, v0, -v83 op_sel_hi:[1,0,0]
	ds_load_b128 v[49:52], v116 offset:6144
	ds_load_b128 v[55:58], v116 offset:6160
	ds_load_2addr_b32 v[19:20], v115 offset0:192 offset1:224
	v_dual_fmac_f32 v30, v155, v84 :: v_dual_add_nc_u32 v115, 4, v115
	v_fmac_f32_e32 v29, v122, v0
	s_waitcnt lgkmcnt(2)
	v_bfe_i32 v0, v49, 0, 8
	v_bfe_i32 v38, v49, 8, 8
	;; [unrolled: 1-line block ×3, first 2 shown]
	s_waitcnt lgkmcnt(1)
	v_bfe_i32 v47, v55, 0, 8
	v_ashrrev_i32_e32 v45, 24, v49
	v_mul_i32_i24_e32 v85, v0, v224
	v_bfe_i32 v60, v50, 0, 8
	v_mul_i32_i24_e32 v86, v38, v225
	v_mul_i32_i24_e32 v87, v39, v227
	v_bfe_i32 v49, v55, 8, 8
	v_mad_i32_i24 v85, v47, v222, v85
	v_bfe_i32 v53, v55, 16, 8
	v_mul_i32_i24_e32 v88, v45, v228
	v_mul_i32_i24_e32 v92, v60, v231
	v_ashrrev_i32_e32 v55, 24, v55
	v_add3_u32 v85, v85, v86, v87
	v_bfe_i32 v68, v56, 0, 8
	v_mul_i32_i24_e32 v89, v49, v229
	v_mul_i32_i24_e32 v90, v53, v223
	v_bfe_i32 v61, v50, 8, 8
	v_add3_u32 v85, v85, v88, v92
	v_bfe_i32 v65, v50, 16, 8
	v_mul_i32_i24_e32 v91, v55, v230
	v_mul_i32_i24_e32 v96, v68, v236
	v_ashrrev_i32_e32 v50, 24, v50
	v_add3_u32 v85, v85, v89, v90
	v_bfe_i32 v71, v51, 0, 8
	v_mul_i32_i24_e32 v93, v61, v232
	v_mul_i32_i24_e32 v94, v65, v233
	v_bfe_i32 v69, v56, 8, 8
	v_add3_u32 v85, v85, v91, v96
	;; [unrolled: 10-line block ×6, first 2 shown]
	v_ashrrev_i32_e32 v58, 24, v58
	v_mul_i32_i24_e32 v111, v52, v250
	v_mul_i32_i24_e32 v113, v82, v252
	s_waitcnt lgkmcnt(0)
	v_lshrrev_b32_e32 v84, 16, v19
	v_add3_u32 v85, v85, v109, v110
	v_mul_i32_i24_e32 v254, v83, v241
	v_mul_i32_i24_e32 v255, v58, v253
	;; [unrolled: 1-line block ×3, first 2 shown]
	v_cvt_f32_f16_e32 v84, v84
	v_add3_u32 v85, v85, v111, v113
	v_mul_i32_i24_e32 v87, v39, v194
	v_mul_i32_i24_e32 v88, v45, v195
	;; [unrolled: 1-line block ×3, first 2 shown]
	v_mul_f32_e32 v84, 0x41000000, v84
	v_add3_u32 v85, v85, v254, v255
	v_mul_i32_i24_e32 v89, v49, v196
	v_mul_i32_i24_e32 v90, v53, v190
	v_mul_i32_i24_e32 v91, v55, v198
	v_mul_i32_i24_e32 v96, v68, v204
	v_cvt_f32_i32_e32 v85, v85
	v_mul_i32_i24_e32 v93, v61, v200
	v_mul_i32_i24_e32 v94, v65, v201
	v_mul_i32_i24_e32 v95, v50, v202
	v_mul_i32_i24_e32 v100, v71, v207
	v_fma_mix_f32 v85, v19, v85, -v84 op_sel_hi:[1,0,0]
	v_mul_i32_i24_e32 v97, v69, v205
	v_mul_i32_i24_e32 v98, v70, v193
	;; [unrolled: 1-line block ×4, first 2 shown]
	v_fmac_f32_e32 v28, v197, v85
	v_mul_i32_i24_e32 v85, v0, v191
	v_mul_i32_i24_e32 v101, v73, v208
	;; [unrolled: 1-line block ×5, first 2 shown]
	v_mad_i32_i24 v85, v47, v189, v85
	v_mul_i32_i24_e32 v105, v76, v213
	v_mul_i32_i24_e32 v106, v77, v203
	v_mul_i32_i24_e32 v107, v57, v214
	v_mul_i32_i24_e32 v112, v81, v219
	v_add3_u32 v85, v85, v86, v87
	v_mul_i32_i24_e32 v109, v79, v216
	v_mul_i32_i24_e32 v110, v80, v217
	v_mul_i32_i24_e32 v111, v52, v218
	v_mul_i32_i24_e32 v113, v82, v220
	v_add3_u32 v85, v85, v88, v92
	;; [unrolled: 5-line block ×15, first 2 shown]
	v_mul_i32_i24_e32 v79, v79, v149
	v_mul_i32_i24_e32 v80, v80, v150
	;; [unrolled: 1-line block ×4, first 2 shown]
	v_cvt_f32_i32_e32 v85, v85
	v_mul_i32_i24_e32 v52, v52, v151
	v_mul_i32_i24_e32 v82, v82, v153
	;; [unrolled: 1-line block ×4, first 2 shown]
	v_fma_mix_f32 v85, v19, v85, -v84 op_sel_hi:[1,0,0]
	v_mul_i32_i24_e32 v83, v83, v142
	v_mul_i32_i24_e32 v58, v58, v154
	s_delay_alu instid0(VALU_DEP_3) | instskip(SKIP_2) | instid1(VALU_DEP_2)
	v_fmac_f32_e32 v27, v188, v85
	v_mul_i32_i24_e32 v85, v0, v158
	v_mul_i32_i24_e32 v0, v0, v125
	v_mad_i32_i24 v85, v47, v156, v85
	s_delay_alu instid0(VALU_DEP_2) | instskip(NEXT) | instid1(VALU_DEP_2)
	v_mad_i32_i24 v0, v47, v123, v0
	v_add3_u32 v85, v85, v86, v87
	s_delay_alu instid0(VALU_DEP_2) | instskip(NEXT) | instid1(VALU_DEP_2)
	v_add3_u32 v0, v0, v38, v39
	v_add3_u32 v85, v85, v88, v92
	s_delay_alu instid0(VALU_DEP_2) | instskip(NEXT) | instid1(VALU_DEP_2)
	v_add3_u32 v0, v0, v45, v60
	;; [unrolled: 3-line block ×13, first 2 shown]
	v_add3_u32 v85, v85, v111, v113
	s_delay_alu instid0(VALU_DEP_2)
	v_add3_u32 v0, v0, v52, v82
	ds_load_b128 v[76:79], v116 offset:7168
	ds_load_b128 v[110:113], v116 offset:7184
	v_add_nc_u32_e32 v116, 32, v116
	v_add3_u32 v85, v85, v254, v255
	v_add3_u32 v0, v0, v83, v58
	s_delay_alu instid0(VALU_DEP_2) | instskip(NEXT) | instid1(VALU_DEP_2)
	v_cvt_f32_i32_e32 v85, v85
	v_cvt_f32_i32_e32 v0, v0
	s_delay_alu instid0(VALU_DEP_2) | instskip(NEXT) | instid1(VALU_DEP_2)
	v_fma_mix_f32 v85, v19, v85, -v84 op_sel_hi:[1,0,0]
	v_fma_mix_f32 v0, v19, v0, -v84 op_sel_hi:[1,0,0]
	s_delay_alu instid0(VALU_DEP_1)
	v_fmac_f32_e32 v25, v122, v0
	v_lshrrev_b32_e32 v0, 16, v20
	s_waitcnt lgkmcnt(1)
	v_bfe_i32 v255, v76, 0, 8
	v_bfe_i32 v39, v76, 8, 8
	v_bfe_i32 v98, v76, 16, 8
	s_waitcnt lgkmcnt(0)
	v_bfe_i32 v254, v110, 0, 8
	v_cvt_f32_f16_e32 v0, v0
	v_fmac_f32_e32 v26, v155, v85
	v_ashrrev_i32_e32 v105, 24, v76
	v_bfe_i32 v109, v77, 0, 8
	v_mul_i32_i24_e32 v45, v39, v225
	v_mul_f32_e32 v19, 0x41000000, v0
	v_mul_i32_i24_e32 v0, v255, v224
	v_mul_i32_i24_e32 v70, v98, v227
	v_bfe_i32 v106, v110, 8, 8
	v_bfe_i32 v107, v110, 16, 8
	v_mul_i32_i24_e32 v75, v105, v228
	v_mad_i32_i24 v0, v254, v222, v0
	v_mul_i32_i24_e32 v83, v109, v231
	v_ashrrev_i32_e32 v108, 24, v110
	v_bfe_i32 v50, v111, 0, 8
	v_mul_i32_i24_e32 v80, v106, v229
	v_add3_u32 v0, v0, v45, v70
	v_mul_i32_i24_e32 v81, v107, v223
	v_bfe_i32 v38, v77, 8, 8
	v_bfe_i32 v47, v77, 16, 8
	v_mul_i32_i24_e32 v82, v108, v230
	v_add3_u32 v0, v0, v75, v83
	v_mul_i32_i24_e32 v87, v50, v236
	v_ashrrev_i32_e32 v49, 24, v77
	v_bfe_i32 v55, v78, 0, 8
	v_mul_i32_i24_e32 v84, v38, v232
	v_add3_u32 v0, v0, v80, v81
	v_mul_i32_i24_e32 v85, v47, v233
	v_bfe_i32 v51, v111, 8, 8
	v_bfe_i32 v52, v111, 16, 8
	v_mul_i32_i24_e32 v86, v49, v235
	v_add3_u32 v0, v0, v82, v87
	v_mul_i32_i24_e32 v91, v55, v239
	v_ashrrev_i32_e32 v53, 24, v111
	v_bfe_i32 v60, v112, 0, 8
	v_mul_i32_i24_e32 v88, v51, v237
	v_add3_u32 v0, v0, v84, v85
	v_mul_i32_i24_e32 v89, v52, v226
	v_bfe_i32 v56, v78, 8, 8
	v_bfe_i32 v57, v78, 16, 8
	v_mul_i32_i24_e32 v90, v53, v238
	v_add3_u32 v0, v0, v86, v91
	v_mul_i32_i24_e32 v95, v60, v244
	v_ashrrev_i32_e32 v58, 24, v78
	v_bfe_i32 v69, v79, 0, 8
	v_mul_i32_i24_e32 v92, v56, v240
	v_add3_u32 v0, v0, v88, v89
	v_mul_i32_i24_e32 v93, v57, v242
	v_bfe_i32 v61, v112, 8, 8
	v_bfe_i32 v65, v112, 16, 8
	v_mul_i32_i24_e32 v94, v58, v243
	v_add3_u32 v0, v0, v90, v95
	v_mul_i32_i24_e32 v100, v69, v247
	v_ashrrev_i32_e32 v68, 24, v112
	v_bfe_i32 v76, v113, 0, 8
	v_mul_i32_i24_e32 v96, v61, v245
	v_add3_u32 v0, v0, v92, v93
	v_mul_i32_i24_e32 v97, v65, v234
	v_bfe_i32 v71, v79, 8, 8
	v_bfe_i32 v73, v79, 16, 8
	v_mul_i32_i24_e32 v99, v68, v246
	v_add3_u32 v0, v0, v94, v100
	v_mul_i32_i24_e32 v104, v76, v251
	v_ashrrev_i32_e32 v74, 24, v79
	v_bfe_i32 v77, v113, 8, 8
	v_mul_i32_i24_e32 v101, v71, v248
	v_add3_u32 v0, v0, v96, v97
	v_mul_i32_i24_e32 v102, v73, v249
	v_bfe_i32 v78, v113, 16, 8
	v_ashrrev_i32_e32 v79, 24, v113
	v_mul_i32_i24_e32 v103, v74, v250
	v_add3_u32 v0, v0, v99, v104
	v_mul_i32_i24_e32 v110, v77, v252
	v_mul_i32_i24_e32 v111, v78, v241
	v_mul_i32_i24_e32 v112, v79, v253
	v_mul_i32_i24_e32 v45, v39, v192
	v_add3_u32 v0, v0, v101, v102
	v_mul_i32_i24_e32 v70, v98, v194
	v_mul_i32_i24_e32 v75, v105, v195
	v_mul_i32_i24_e32 v83, v109, v199
	;; [unrolled: 5-line block ×4, first 2 shown]
	v_mul_i32_i24_e32 v88, v51, v205
	v_cvt_f32_i32_e32 v0, v0
	v_mul_i32_i24_e32 v89, v52, v193
	v_mul_i32_i24_e32 v90, v53, v206
	;; [unrolled: 1-line block ×4, first 2 shown]
	v_fma_mix_f32 v0, v20, v0, -v19 op_sel_hi:[1,0,0]
	v_mul_i32_i24_e32 v93, v57, v210
	v_mul_i32_i24_e32 v94, v58, v211
	;; [unrolled: 1-line block ×4, first 2 shown]
	v_fmac_f32_e32 v24, v197, v0
	v_mul_i32_i24_e32 v0, v255, v191
	v_mul_i32_i24_e32 v97, v65, v203
	;; [unrolled: 1-line block ×5, first 2 shown]
	v_mad_i32_i24 v0, v254, v189, v0
	v_mul_i32_i24_e32 v102, v73, v217
	v_mul_i32_i24_e32 v103, v74, v218
	;; [unrolled: 1-line block ×4, first 2 shown]
	v_add3_u32 v0, v0, v45, v70
	v_mul_i32_i24_e32 v112, v79, v221
	v_mul_i32_i24_e32 v45, v39, v159
	;; [unrolled: 1-line block ×4, first 2 shown]
	v_add3_u32 v0, v0, v75, v83
	v_mul_i32_i24_e32 v75, v105, v162
	v_mul_i32_i24_e32 v83, v109, v165
	s_delay_alu instid0(VALU_DEP_3) | instskip(SKIP_3) | instid1(VALU_DEP_4)
	v_add3_u32 v0, v0, v80, v81
	v_mul_i32_i24_e32 v80, v106, v163
	v_mul_i32_i24_e32 v81, v107, v157
	;; [unrolled: 1-line block ×3, first 2 shown]
	v_add3_u32 v0, v0, v82, v87
	v_mul_i32_i24_e32 v82, v108, v164
	v_mul_i32_i24_e32 v87, v50, v170
	s_delay_alu instid0(VALU_DEP_3) | instskip(SKIP_2) | instid1(VALU_DEP_3)
	v_add3_u32 v0, v0, v84, v85
	v_mul_i32_i24_e32 v84, v38, v166
	v_mul_i32_i24_e32 v85, v47, v167
	v_add3_u32 v0, v0, v86, v91
	v_mul_i32_i24_e32 v86, v49, v168
	v_mul_i32_i24_e32 v91, v55, v173
	s_delay_alu instid0(VALU_DEP_3) | instskip(SKIP_2) | instid1(VALU_DEP_3)
	v_add3_u32 v0, v0, v88, v89
	v_mul_i32_i24_e32 v88, v51, v171
	v_mul_i32_i24_e32 v89, v52, v160
	v_add3_u32 v0, v0, v90, v95
	v_mul_i32_i24_e32 v90, v53, v172
	v_mul_i32_i24_e32 v95, v60, v178
	;; [unrolled: 1-line block ×4, first 2 shown]
	v_add3_u32 v0, v0, v92, v93
	v_mul_i32_i24_e32 v92, v56, v174
	v_mul_i32_i24_e32 v93, v57, v176
	s_delay_alu instid0(VALU_DEP_3) | instskip(SKIP_2) | instid1(VALU_DEP_3)
	v_add3_u32 v0, v0, v94, v100
	v_mul_i32_i24_e32 v94, v58, v177
	v_mul_i32_i24_e32 v100, v69, v181
	v_add3_u32 v0, v0, v96, v97
	v_mul_i32_i24_e32 v96, v61, v179
	v_mul_i32_i24_e32 v97, v65, v169
	s_delay_alu instid0(VALU_DEP_3) | instskip(SKIP_2) | instid1(VALU_DEP_3)
	v_add3_u32 v0, v0, v99, v104
	v_mul_i32_i24_e32 v99, v68, v180
	v_mul_i32_i24_e32 v104, v76, v185
	v_add3_u32 v0, v0, v101, v102
	v_mul_i32_i24_e32 v101, v71, v182
	v_mul_i32_i24_e32 v102, v73, v183
	s_delay_alu instid0(VALU_DEP_3) | instskip(SKIP_2) | instid1(VALU_DEP_3)
	v_add3_u32 v0, v0, v103, v110
	v_mul_i32_i24_e32 v103, v74, v184
	v_mul_i32_i24_e32 v110, v77, v186
	v_add3_u32 v0, v0, v111, v112
	v_mul_i32_i24_e32 v111, v78, v175
	v_mul_i32_i24_e32 v112, v79, v187
	s_delay_alu instid0(VALU_DEP_3) | instskip(NEXT) | instid1(VALU_DEP_1)
	v_cvt_f32_i32_e32 v0, v0
	v_fma_mix_f32 v0, v20, v0, -v19 op_sel_hi:[1,0,0]
	s_delay_alu instid0(VALU_DEP_1) | instskip(SKIP_1) | instid1(VALU_DEP_1)
	v_fmac_f32_e32 v23, v188, v0
	v_mul_i32_i24_e32 v0, v255, v158
	v_mad_i32_i24 v0, v254, v156, v0
	s_delay_alu instid0(VALU_DEP_1)
	v_add3_u32 v0, v0, v45, v70
	v_mul_i32_i24_e32 v45, v39, v126
	v_mul_i32_i24_e32 v70, v98, v128
	v_mul_i32_i24_e32 v128, v108, v131
	v_mul_i32_i24_e32 v126, v47, v134
	v_add3_u32 v0, v0, v75, v83
	v_mul_i32_i24_e32 v75, v105, v129
	v_mul_i32_i24_e32 v129, v50, v137
	v_mul_i32_i24_e32 v108, v52, v127
	v_mul_i32_i24_e32 v98, v56, v141
	;; [unrolled: 5-line block ×4, first 2 shown]
	v_add3_u32 v0, v0, v84, v85
	v_mul_i32_i24_e32 v47, v74, v151
	v_mul_i32_i24_e32 v49, v77, v153
	;; [unrolled: 1-line block ×3, first 2 shown]
	s_delay_alu instid0(VALU_DEP_4) | instskip(NEXT) | instid1(VALU_DEP_1)
	v_add3_u32 v0, v0, v86, v91
	v_add3_u32 v0, v0, v88, v89
	s_delay_alu instid0(VALU_DEP_1) | instskip(NEXT) | instid1(VALU_DEP_1)
	v_add3_u32 v0, v0, v90, v95
	v_add3_u32 v0, v0, v92, v93
	s_delay_alu instid0(VALU_DEP_1) | instskip(NEXT) | instid1(VALU_DEP_1)
	;; [unrolled: 3-line block ×5, first 2 shown]
	v_cvt_f32_i32_e32 v0, v0
	v_fma_mix_f32 v0, v20, v0, -v19 op_sel_hi:[1,0,0]
	s_delay_alu instid0(VALU_DEP_1)
	v_fmac_f32_e32 v22, v155, v0
	v_mul_i32_i24_e32 v0, v255, v125
	v_mul_i32_i24_e32 v155, v107, v124
	;; [unrolled: 1-line block ×5, first 2 shown]
	v_mad_i32_i24 v0, v254, v123, v0
	v_mul_i32_i24_e32 v55, v61, v146
	v_mul_i32_i24_e32 v51, v73, v150
	v_mul_i32_i24_e32 v38, v78, v142
	s_delay_alu instid0(VALU_DEP_4) | instskip(NEXT) | instid1(VALU_DEP_1)
	v_add3_u32 v0, v0, v45, v70
	v_add3_u32 v0, v0, v75, v80
	s_delay_alu instid0(VALU_DEP_1) | instskip(NEXT) | instid1(VALU_DEP_1)
	v_add3_u32 v0, v0, v130, v155
	v_add3_u32 v0, v0, v128, v129
	s_delay_alu instid0(VALU_DEP_1) | instskip(NEXT) | instid1(VALU_DEP_1)
	;; [unrolled: 3-line block ×7, first 2 shown]
	v_add3_u32 v0, v0, v38, v39
	v_cvt_f32_i32_e32 v0, v0
	s_delay_alu instid0(VALU_DEP_1) | instskip(NEXT) | instid1(VALU_DEP_1)
	v_fma_mix_f32 v0, v20, v0, -v19 op_sel_hi:[1,0,0]
	v_fmac_f32_e32 v21, v122, v0
	s_cbranch_scc1 .LBB158_7
; %bb.8:                                ;   in Loop: Header=BB158_6 Depth=1
	s_or_b32 s7, s5, 4
	s_delay_alu instid0(SALU_CYCLE_1)
	s_cmp_ge_i32 s7, s4
	s_barrier
	buffer_gl0_inv
	s_cbranch_scc1 .LBB158_5
; %bb.9:                                ;   in Loop: Header=BB158_6 Depth=1
	s_clause 0x1
	scratch_load_b32 v0, off, off offset:216
	scratch_load_b32 v19, off, off offset:4
	s_mov_b32 s7, 12
	s_waitcnt vmcnt(1)
	v_add_nc_u32_e32 v0, s5, v0
	s_waitcnt vmcnt(0)
	s_delay_alu instid0(VALU_DEP_1)
	v_add_nc_u32_e32 v38, v0, v19
	scratch_load_b32 v19, off, off offset:12 ; 4-byte Folded Reload
	s_waitcnt vmcnt(0)
	v_add_nc_u32_e32 v45, v0, v19
	scratch_load_b32 v19, off, off offset:20 ; 4-byte Folded Reload
	s_waitcnt vmcnt(0)
	v_add_nc_u32_e32 v47, v0, v19
	scratch_load_b32 v19, off, off offset:28 ; 4-byte Folded Reload
	v_mad_i64_i32 v[49:50], null, v47, 36, v[16:17]
	scratch_load_b32 v47, off, off offset:44 ; 4-byte Folded Reload
	s_waitcnt vmcnt(1)
	v_add_nc_u32_e32 v53, v0, v19
	v_mad_i64_i32 v[19:20], null, v38, 36, v[16:17]
	v_mad_i64_i32 v[38:39], null, v45, 36, v[16:17]
	scratch_load_b32 v45, off, off offset:36 ; 4-byte Folded Reload
	s_waitcnt vmcnt(1)
	v_add_nc_u32_e32 v47, v0, v47
	v_mad_i64_i32 v[51:52], null, v53, 36, v[16:17]
	s_delay_alu instid0(VALU_DEP_2) | instskip(SKIP_3) | instid1(VALU_DEP_1)
	v_mad_i64_i32 v[57:58], null, v47, 36, v[16:17]
	scratch_load_b32 v47, off, off offset:60 ; 4-byte Folded Reload
	s_waitcnt vmcnt(1)
	v_add_nc_u32_e32 v45, v0, v45
	v_mad_i64_i32 v[55:56], null, v45, 36, v[16:17]
	scratch_load_b32 v45, off, off offset:52 ; 4-byte Folded Reload
	s_waitcnt vmcnt(0)
	v_add_nc_u32_e32 v45, v0, v45
	v_add_nc_u32_e32 v0, v0, v47
	;; [unrolled: 1-line block ×3, first 2 shown]
	s_delay_alu instid0(VALU_DEP_3) | instskip(NEXT) | instid1(VALU_DEP_3)
	v_mad_i64_i32 v[60:61], null, v45, 36, v[16:17]
	v_mad_i64_i32 v[68:69], null, v0, 36, v[16:17]
	s_delay_alu instid0(VALU_DEP_3)
	v_mad_u64_u32 v[73:74], null, v47, 36, s[2:3]
	s_clause 0x8
	global_load_b32 v0, v[19:20], off offset:4
	global_load_b32 v19, v[38:39], off offset:4
	global_load_b32 v20, v[49:50], off offset:4
	global_load_b32 v38, v[51:52], off offset:4
	global_load_b32 v39, v[55:56], off offset:4
	global_load_b32 v45, v[57:58], off offset:4
	global_load_b32 v47, v[60:61], off offset:4
	global_load_b32 v49, v[68:69], off offset:4
	global_load_b32 v50, v[73:74], off
	s_clause 0x7
	scratch_load_b32 v114, off, off offset:72
	scratch_load_b32 v115, off, off offset:68
	;; [unrolled: 1-line block ×8, first 2 shown]
	s_waitcnt vmcnt(0)
	ds_store_b32 v51, v0
	scratch_load_b32 v0, off, off offset:16 ; 4-byte Folded Reload
	s_waitcnt vmcnt(0)
	ds_store_b32 v0, v19
	scratch_load_b32 v0, off, off offset:24 ; 4-byte Folded Reload
	;; [unrolled: 3-line block ×7, first 2 shown]
	s_waitcnt vmcnt(0)
	ds_store_b32 v0, v49
	scratch_load_b32 v0, off, off           ; 4-byte Folded Reload
	s_waitcnt vmcnt(0)
	ds_store_b32 v0, v50
	s_waitcnt lgkmcnt(0)
	s_barrier
	buffer_gl0_inv
.LBB158_10:                             ;   Parent Loop BB158_6 Depth=1
                                        ; =>  This Inner Loop Header: Depth=2
	ds_load_b128 v[49:52], v115
	ds_load_b128 v[55:58], v115 offset:16
	ds_load_2addr_b32 v[19:20], v114 offset1:32
	s_add_i32 s7, s7, 4
	s_delay_alu instid0(SALU_CYCLE_1)
	s_cmp_lt_u32 s7, 28
	s_waitcnt lgkmcnt(2)
	v_bfe_i32 v0, v49, 0, 8
	s_waitcnt lgkmcnt(1)
	v_bfe_i32 v53, v55, 0, 8
	s_waitcnt lgkmcnt(0)
	v_lshrrev_b32_e32 v38, 16, v19
	v_bfe_i32 v65, v50, 0, 8
	v_bfe_i32 v70, v56, 0, 8
	v_bfe_i32 v45, v49, 8, 8
	v_bfe_i32 v74, v51, 0, 8
	v_cvt_f32_f16_e32 v38, v38
	v_bfe_i32 v47, v49, 16, 8
	v_ashrrev_i32_e32 v49, 24, v49
	v_bfe_i32 v77, v57, 0, 8
	v_bfe_i32 v80, v52, 0, 8
	v_mul_f32_e32 v86, 0x41000000, v38
	ds_load_b32 v196, v117
	ds_load_2addr_b32 v[38:39], v116 offset1:1
	v_bfe_i32 v60, v55, 8, 8
	v_bfe_i32 v61, v55, 16, 8
	v_ashrrev_i32_e32 v55, 24, v55
	v_bfe_i32 v68, v50, 8, 8
	v_bfe_i32 v69, v50, 16, 8
	v_ashrrev_i32_e32 v50, 24, v50
	v_bfe_i32 v71, v56, 8, 8
	v_bfe_i32 v83, v58, 0, 8
	;; [unrolled: 1-line block ×3, first 2 shown]
	v_ashrrev_i32_e32 v56, 24, v56
	v_bfe_i32 v75, v51, 8, 8
	v_bfe_i32 v76, v51, 16, 8
	v_ashrrev_i32_e32 v51, 24, v51
	v_bfe_i32 v78, v57, 8, 8
	v_bfe_i32 v79, v57, 16, 8
	;; [unrolled: 3-line block ×3, first 2 shown]
	v_ashrrev_i32_e32 v52, 24, v52
	s_waitcnt lgkmcnt(0)
	v_bfe_u32 v222, v38, 20, 4
	v_and_b32_e32 v223, 15, v38
	v_bfe_u32 v224, v38, 8, 4
	v_bfe_u32 v226, v38, 16, 4
	;; [unrolled: 1-line block ×5, first 2 shown]
	v_lshrrev_b32_e32 v229, 28, v38
	v_bfe_u32 v225, v39, 20, 4
	v_and_b32_e32 v230, 15, v39
	v_bfe_u32 v231, v39, 8, 4
	v_bfe_u32 v232, v39, 16, 4
	;; [unrolled: 1-line block ×5, first 2 shown]
	v_lshrrev_b32_e32 v237, 28, v39
	ds_load_2addr_b32 v[38:39], v116 offset0:2 offset1:3
	v_mul_i32_i24_e32 v87, v223, v0
	v_mul_i32_i24_e32 v94, v230, v65
	v_mul_i32_i24_e32 v98, v235, v70
	v_mul_i32_i24_e32 v88, v224, v45
	v_mul_i32_i24_e32 v89, v226, v47
	v_mad_i32_i24 v87, v221, v53, v87
	v_mul_i32_i24_e32 v90, v227, v49
	v_mul_i32_i24_e32 v91, v228, v60
	;; [unrolled: 1-line block ×4, first 2 shown]
	v_add3_u32 v87, v87, v94, v98
	v_mul_i32_i24_e32 v95, v231, v68
	v_mul_i32_i24_e32 v96, v232, v69
	;; [unrolled: 1-line block ×6, first 2 shown]
	v_bfe_i32 v84, v58, 8, 8
	v_bfe_i32 v85, v58, 16, 8
	s_waitcnt lgkmcnt(0)
	v_and_b32_e32 v238, 15, v38
	v_bfe_u32 v243, v38, 4, 4
	v_and_b32_e32 v246, 15, v39
	v_bfe_u32 v250, v39, 4, 4
	v_bfe_u32 v239, v38, 8, 4
	v_mul_i32_i24_e32 v102, v238, v74
	v_mul_i32_i24_e32 v106, v243, v77
	;; [unrolled: 1-line block ×4, first 2 shown]
	v_bfe_u32 v241, v38, 16, 4
	v_add3_u32 v87, v87, v102, v88
	v_mul_i32_i24_e32 v103, v239, v75
	v_bfe_u32 v242, v38, 24, 4
	v_bfe_u32 v244, v38, 12, 4
	v_mul_i32_i24_e32 v104, v241, v76
	v_add3_u32 v87, v87, v89, v90
	v_bfe_u32 v233, v38, 20, 4
	v_mul_i32_i24_e32 v105, v242, v51
	v_mul_i32_i24_e32 v107, v244, v78
	v_lshrrev_b32_e32 v245, 28, v38
	v_add3_u32 v87, v87, v106, v109
	v_mul_i32_i24_e32 v108, v233, v79
	v_bfe_u32 v247, v39, 8, 4
	v_bfe_u32 v248, v39, 16, 4
	v_mul_i32_i24_e32 v38, v245, v57
	v_add3_u32 v87, v87, v91, v92
	v_bfe_u32 v249, v39, 24, 4
	v_mul_i32_i24_e32 v110, v247, v81
	v_mul_i32_i24_e32 v111, v248, v82
	v_bfe_u32 v251, v39, 12, 4
	v_add3_u32 v87, v87, v93, v95
	v_ashrrev_i32_e32 v58, 24, v58
	v_bfe_u32 v240, v39, 20, 4
	v_mul_i32_i24_e32 v112, v249, v52
	v_mul_i32_i24_e32 v121, v251, v84
	v_add3_u32 v87, v87, v96, v97
	v_lshrrev_b32_e32 v252, 28, v39
	v_mul_i32_i24_e32 v122, v240, v85
	v_add_nc_u32_e32 v117, 4, v117
	s_delay_alu instid0(VALU_DEP_4) | instskip(NEXT) | instid1(VALU_DEP_4)
	v_add3_u32 v87, v87, v113, v99
	v_mul_i32_i24_e32 v39, v252, v58
	s_delay_alu instid0(VALU_DEP_2) | instskip(NEXT) | instid1(VALU_DEP_1)
	v_add3_u32 v87, v87, v100, v101
	v_add3_u32 v87, v87, v103, v104
	s_delay_alu instid0(VALU_DEP_1) | instskip(NEXT) | instid1(VALU_DEP_1)
	v_add3_u32 v87, v87, v105, v107
	v_add3_u32 v38, v87, v108, v38
	s_delay_alu instid0(VALU_DEP_1) | instskip(NEXT) | instid1(VALU_DEP_1)
	;; [unrolled: 3-line block ×3, first 2 shown]
	v_add3_u32 v38, v38, v122, v39
	v_cvt_f32_i32_e32 v38, v38
	s_delay_alu instid0(VALU_DEP_1) | instskip(NEXT) | instid1(VALU_DEP_1)
	v_fma_mix_f32 v38, v19, v38, -v86 op_sel_hi:[1,0,0]
	v_dual_fmac_f32 v41, v196, v38 :: v_dual_add_nc_u32 v38, 0x1080, v116
	ds_load_b32 v187, v118
	ds_load_2addr_b32 v[38:39], v38 offset1:1
	v_add_nc_u32_e32 v118, 4, v118
	s_waitcnt lgkmcnt(0)
	v_bfe_u32 v189, v38, 20, 4
	v_and_b32_e32 v190, 15, v38
	v_bfe_u32 v191, v38, 8, 4
	v_bfe_u32 v193, v38, 16, 4
	;; [unrolled: 1-line block ×5, first 2 shown]
	v_lshrrev_b32_e32 v197, 28, v38
	v_add_nc_u32_e32 v38, 0x1088, v116
	v_bfe_u32 v192, v39, 20, 4
	v_and_b32_e32 v198, 15, v39
	v_bfe_u32 v199, v39, 8, 4
	v_bfe_u32 v200, v39, 16, 4
	;; [unrolled: 1-line block ×5, first 2 shown]
	v_lshrrev_b32_e32 v205, 28, v39
	ds_load_2addr_b32 v[38:39], v38 offset1:1
	v_mul_i32_i24_e32 v87, v190, v0
	v_mul_i32_i24_e32 v94, v198, v65
	;; [unrolled: 1-line block ×5, first 2 shown]
	v_mad_i32_i24 v87, v188, v53, v87
	v_mul_i32_i24_e32 v90, v194, v49
	v_mul_i32_i24_e32 v91, v195, v60
	v_mul_i32_i24_e32 v92, v189, v61
	v_mul_i32_i24_e32 v93, v197, v55
	v_add3_u32 v87, v87, v94, v98
	v_mul_i32_i24_e32 v95, v199, v68
	v_mul_i32_i24_e32 v96, v200, v69
	;; [unrolled: 1-line block ×6, first 2 shown]
	s_waitcnt lgkmcnt(0)
	v_and_b32_e32 v206, 15, v38
	v_bfe_u32 v211, v38, 4, 4
	v_and_b32_e32 v214, 15, v39
	v_bfe_u32 v218, v39, 4, 4
	v_bfe_u32 v207, v38, 8, 4
	v_mul_i32_i24_e32 v102, v206, v74
	v_mul_i32_i24_e32 v106, v211, v77
	;; [unrolled: 1-line block ×4, first 2 shown]
	v_bfe_u32 v209, v38, 16, 4
	v_add3_u32 v87, v87, v102, v88
	v_mul_i32_i24_e32 v103, v207, v75
	v_bfe_u32 v210, v38, 24, 4
	v_bfe_u32 v212, v38, 12, 4
	v_mul_i32_i24_e32 v104, v209, v76
	v_add3_u32 v87, v87, v89, v90
	v_bfe_u32 v202, v38, 20, 4
	v_mul_i32_i24_e32 v105, v210, v51
	v_mul_i32_i24_e32 v107, v212, v78
	v_lshrrev_b32_e32 v213, 28, v38
	v_add3_u32 v87, v87, v106, v109
	v_mul_i32_i24_e32 v108, v202, v79
	v_bfe_u32 v215, v39, 8, 4
	v_bfe_u32 v216, v39, 16, 4
	v_mul_i32_i24_e32 v38, v213, v57
	v_add3_u32 v87, v87, v91, v92
	v_bfe_u32 v217, v39, 24, 4
	v_mul_i32_i24_e32 v110, v215, v81
	v_mul_i32_i24_e32 v111, v216, v82
	v_bfe_u32 v219, v39, 12, 4
	v_add3_u32 v87, v87, v93, v95
	v_bfe_u32 v208, v39, 20, 4
	v_mul_i32_i24_e32 v112, v217, v52
	v_lshrrev_b32_e32 v220, 28, v39
	v_mul_i32_i24_e32 v121, v219, v84
	v_add3_u32 v87, v87, v96, v97
	v_mul_i32_i24_e32 v122, v208, v85
	s_delay_alu instid0(VALU_DEP_4) | instskip(NEXT) | instid1(VALU_DEP_3)
	v_mul_i32_i24_e32 v39, v220, v58
	v_add3_u32 v87, v87, v113, v99
	s_delay_alu instid0(VALU_DEP_1) | instskip(NEXT) | instid1(VALU_DEP_1)
	v_add3_u32 v87, v87, v100, v101
	v_add3_u32 v87, v87, v103, v104
	s_delay_alu instid0(VALU_DEP_1) | instskip(NEXT) | instid1(VALU_DEP_1)
	v_add3_u32 v87, v87, v105, v107
	;; [unrolled: 3-line block ×4, first 2 shown]
	v_cvt_f32_i32_e32 v38, v38
	s_delay_alu instid0(VALU_DEP_1) | instskip(NEXT) | instid1(VALU_DEP_1)
	v_fma_mix_f32 v38, v19, v38, -v86 op_sel_hi:[1,0,0]
	v_fmac_f32_e32 v72, v187, v38
	v_add_nc_u32_e32 v38, 0x2100, v116
	ds_load_b32 v154, v119
	ds_load_2addr_b32 v[38:39], v38 offset1:1
	v_add_nc_u32_e32 v119, 4, v119
	s_waitcnt lgkmcnt(0)
	v_bfe_u32 v156, v38, 20, 4
	v_and_b32_e32 v157, 15, v38
	v_bfe_u32 v158, v38, 8, 4
	v_bfe_u32 v160, v38, 16, 4
	;; [unrolled: 1-line block ×5, first 2 shown]
	v_lshrrev_b32_e32 v163, 28, v38
	v_add_nc_u32_e32 v38, 0x2108, v116
	v_bfe_u32 v159, v39, 20, 4
	v_and_b32_e32 v164, 15, v39
	v_bfe_u32 v165, v39, 8, 4
	v_bfe_u32 v166, v39, 16, 4
	;; [unrolled: 1-line block ×5, first 2 shown]
	v_lshrrev_b32_e32 v171, 28, v39
	ds_load_2addr_b32 v[38:39], v38 offset1:1
	v_mul_i32_i24_e32 v87, v157, v0
	v_mul_i32_i24_e32 v94, v164, v65
	;; [unrolled: 1-line block ×5, first 2 shown]
	v_mad_i32_i24 v87, v155, v53, v87
	v_mul_i32_i24_e32 v90, v161, v49
	v_mul_i32_i24_e32 v91, v162, v60
	;; [unrolled: 1-line block ×4, first 2 shown]
	v_add3_u32 v87, v87, v94, v98
	v_mul_i32_i24_e32 v95, v165, v68
	v_mul_i32_i24_e32 v96, v166, v69
	;; [unrolled: 1-line block ×6, first 2 shown]
	s_waitcnt lgkmcnt(0)
	v_and_b32_e32 v172, 15, v38
	v_bfe_u32 v177, v38, 4, 4
	v_and_b32_e32 v180, 15, v39
	v_bfe_u32 v184, v39, 4, 4
	v_bfe_u32 v173, v38, 8, 4
	v_mul_i32_i24_e32 v102, v172, v74
	v_mul_i32_i24_e32 v106, v177, v77
	;; [unrolled: 1-line block ×4, first 2 shown]
	v_bfe_u32 v175, v38, 16, 4
	v_add3_u32 v87, v87, v102, v88
	v_mul_i32_i24_e32 v103, v173, v75
	v_bfe_u32 v176, v38, 24, 4
	v_bfe_u32 v178, v38, 12, 4
	v_mul_i32_i24_e32 v104, v175, v76
	v_add3_u32 v87, v87, v89, v90
	v_bfe_u32 v168, v38, 20, 4
	v_mul_i32_i24_e32 v105, v176, v51
	v_mul_i32_i24_e32 v107, v178, v78
	v_lshrrev_b32_e32 v179, 28, v38
	v_add3_u32 v87, v87, v106, v109
	v_mul_i32_i24_e32 v108, v168, v79
	v_bfe_u32 v181, v39, 8, 4
	v_bfe_u32 v182, v39, 16, 4
	v_mul_i32_i24_e32 v38, v179, v57
	v_add3_u32 v87, v87, v91, v92
	v_bfe_u32 v183, v39, 24, 4
	v_mul_i32_i24_e32 v110, v181, v81
	v_mul_i32_i24_e32 v111, v182, v82
	v_bfe_u32 v185, v39, 12, 4
	v_add3_u32 v87, v87, v93, v95
	v_bfe_u32 v174, v39, 20, 4
	v_mul_i32_i24_e32 v112, v183, v52
	v_lshrrev_b32_e32 v186, 28, v39
	v_mul_i32_i24_e32 v121, v185, v84
	v_add3_u32 v87, v87, v96, v97
	v_mul_i32_i24_e32 v122, v174, v85
	s_delay_alu instid0(VALU_DEP_4) | instskip(NEXT) | instid1(VALU_DEP_3)
	v_mul_i32_i24_e32 v39, v186, v58
	v_add3_u32 v87, v87, v113, v99
	s_delay_alu instid0(VALU_DEP_1) | instskip(NEXT) | instid1(VALU_DEP_1)
	v_add3_u32 v87, v87, v100, v101
	v_add3_u32 v87, v87, v103, v104
	s_delay_alu instid0(VALU_DEP_1) | instskip(NEXT) | instid1(VALU_DEP_1)
	v_add3_u32 v87, v87, v105, v107
	;; [unrolled: 3-line block ×4, first 2 shown]
	v_cvt_f32_i32_e32 v38, v38
	s_delay_alu instid0(VALU_DEP_1) | instskip(NEXT) | instid1(VALU_DEP_1)
	v_fma_mix_f32 v38, v19, v38, -v86 op_sel_hi:[1,0,0]
	v_dual_fmac_f32 v67, v154, v38 :: v_dual_add_nc_u32 v38, 0x3180, v116
	ds_load_b32 v121, v120
	ds_load_2addr_b32 v[38:39], v38 offset1:1
	v_add_nc_u32_e32 v120, 4, v120
	s_waitcnt lgkmcnt(0)
	v_bfe_u32 v123, v38, 20, 4
	v_and_b32_e32 v124, 15, v38
	v_bfe_u32 v125, v38, 8, 4
	v_bfe_u32 v127, v38, 16, 4
	;; [unrolled: 1-line block ×5, first 2 shown]
	v_lshrrev_b32_e32 v130, 28, v38
	v_add_nc_u32_e32 v38, 0x3188, v116
	v_bfe_u32 v126, v39, 20, 4
	v_and_b32_e32 v131, 15, v39
	v_bfe_u32 v132, v39, 8, 4
	v_bfe_u32 v133, v39, 16, 4
	;; [unrolled: 1-line block ×5, first 2 shown]
	v_lshrrev_b32_e32 v138, 28, v39
	ds_load_2addr_b32 v[38:39], v38 offset1:1
	v_mul_i32_i24_e32 v0, v124, v0
	v_mul_i32_i24_e32 v65, v131, v65
	v_mul_i32_i24_e32 v70, v136, v70
	v_mul_i32_i24_e32 v45, v125, v45
	v_mul_i32_i24_e32 v47, v127, v47
	v_mad_i32_i24 v0, v122, v53, v0
	v_mul_i32_i24_e32 v49, v128, v49
	v_mul_i32_i24_e32 v60, v129, v60
	;; [unrolled: 1-line block ×4, first 2 shown]
	v_add3_u32 v0, v0, v65, v70
	v_mul_i32_i24_e32 v68, v132, v68
	v_mul_i32_i24_e32 v69, v133, v69
	;; [unrolled: 1-line block ×6, first 2 shown]
	v_add_nc_u32_e32 v116, 16, v116
	s_waitcnt lgkmcnt(0)
	v_and_b32_e32 v139, 15, v38
	v_bfe_u32 v144, v38, 4, 4
	v_lshrrev_b32_e32 v146, 28, v38
	v_and_b32_e32 v147, 15, v39
	v_bfe_u32 v135, v38, 20, 4
	v_mul_i32_i24_e32 v74, v139, v74
	v_bfe_u32 v140, v38, 8, 4
	v_bfe_u32 v142, v38, 16, 4
	;; [unrolled: 1-line block ×3, first 2 shown]
	v_mul_i32_i24_e32 v77, v144, v77
	v_add3_u32 v0, v0, v74, v45
	v_bfe_u32 v145, v38, 12, 4
	v_mul_i32_i24_e32 v38, v146, v57
	v_mul_i32_i24_e32 v57, v147, v80
	v_bfe_u32 v148, v39, 8, 4
	v_add3_u32 v0, v0, v47, v49
	v_bfe_u32 v149, v39, 16, 4
	v_bfe_u32 v151, v39, 4, 4
	v_mul_i32_i24_e32 v75, v140, v75
	v_mul_i32_i24_e32 v80, v148, v81
	v_add3_u32 v0, v0, v77, v57
	v_mul_i32_i24_e32 v81, v149, v82
	v_mul_i32_i24_e32 v82, v151, v83
	;; [unrolled: 1-line block ×4, first 2 shown]
	v_add3_u32 v0, v0, v60, v61
	v_mul_i32_i24_e32 v78, v145, v78
	v_mul_i32_i24_e32 v79, v135, v79
	v_bfe_u32 v150, v39, 24, 4
	v_bfe_u32 v152, v39, 12, 4
	v_add3_u32 v0, v0, v55, v68
	v_bfe_u32 v141, v39, 20, 4
	v_lshrrev_b32_e32 v153, 28, v39
	v_mul_i32_i24_e32 v52, v150, v52
	v_mul_i32_i24_e32 v83, v152, v84
	v_add3_u32 v0, v0, v69, v50
	v_mul_i32_i24_e32 v84, v141, v85
	v_mul_i32_i24_e32 v39, v153, v58
	s_delay_alu instid0(VALU_DEP_3) | instskip(NEXT) | instid1(VALU_DEP_1)
	v_add3_u32 v0, v0, v82, v71
	v_add3_u32 v0, v0, v73, v56
	s_delay_alu instid0(VALU_DEP_1) | instskip(NEXT) | instid1(VALU_DEP_1)
	v_add3_u32 v0, v0, v75, v76
	v_add3_u32 v0, v0, v51, v78
	s_delay_alu instid0(VALU_DEP_1) | instskip(NEXT) | instid1(VALU_DEP_1)
	v_add3_u32 v0, v0, v79, v38
	v_add3_u32 v0, v0, v80, v81
	s_delay_alu instid0(VALU_DEP_1) | instskip(SKIP_4) | instid1(VALU_DEP_2)
	v_add3_u32 v0, v0, v52, v83
	ds_load_b128 v[49:52], v115 offset:1024
	ds_load_b128 v[55:58], v115 offset:1040
	v_lshrrev_b32_e32 v83, 16, v20
	v_add3_u32 v0, v0, v84, v39
	v_cvt_f32_f16_e32 v83, v83
	s_delay_alu instid0(VALU_DEP_2) | instskip(NEXT) | instid1(VALU_DEP_2)
	v_cvt_f32_i32_e32 v0, v0
	v_mul_f32_e32 v83, 0x41000000, v83
	s_delay_alu instid0(VALU_DEP_2) | instskip(NEXT) | instid1(VALU_DEP_1)
	v_fma_mix_f32 v0, v19, v0, -v86 op_sel_hi:[1,0,0]
	v_fmac_f32_e32 v66, v121, v0
	s_waitcnt lgkmcnt(1)
	v_bfe_i32 v0, v49, 0, 8
	v_bfe_i32 v19, v49, 8, 8
	;; [unrolled: 1-line block ×3, first 2 shown]
	s_waitcnt lgkmcnt(0)
	v_bfe_i32 v45, v55, 0, 8
	v_ashrrev_i32_e32 v39, 24, v49
	v_mul_i32_i24_e32 v84, v0, v223
	v_bfe_i32 v47, v55, 8, 8
	v_bfe_i32 v49, v55, 16, 8
	v_ashrrev_i32_e32 v53, 24, v55
	v_bfe_i32 v55, v50, 0, 8
	v_mul_i32_i24_e32 v85, v19, v224
	v_mul_i32_i24_e32 v86, v38, v226
	v_mad_i32_i24 v84, v45, v221, v84
	v_mul_i32_i24_e32 v87, v39, v227
	v_mul_i32_i24_e32 v91, v55, v230
	v_bfe_i32 v65, v56, 0, 8
	v_mul_i32_i24_e32 v88, v47, v228
	v_add3_u32 v84, v84, v85, v86
	v_mul_i32_i24_e32 v89, v49, v222
	v_bfe_i32 v60, v50, 8, 8
	v_bfe_i32 v61, v50, 16, 8
	v_mul_i32_i24_e32 v90, v53, v229
	v_add3_u32 v84, v84, v87, v91
	v_mul_i32_i24_e32 v95, v65, v235
	v_ashrrev_i32_e32 v50, 24, v50
	v_bfe_i32 v70, v51, 0, 8
	v_mul_i32_i24_e32 v92, v60, v231
	v_add3_u32 v84, v84, v88, v89
	v_mul_i32_i24_e32 v93, v61, v232
	v_bfe_i32 v68, v56, 8, 8
	v_bfe_i32 v69, v56, 16, 8
	v_mul_i32_i24_e32 v94, v50, v234
	v_add3_u32 v84, v84, v90, v95
	v_mul_i32_i24_e32 v99, v70, v238
	v_ashrrev_i32_e32 v56, 24, v56
	;; [unrolled: 10-line block ×5, first 2 shown]
	v_bfe_i32 v81, v58, 8, 8
	v_mul_i32_i24_e32 v108, v78, v247
	v_add3_u32 v84, v84, v104, v105
	v_mul_i32_i24_e32 v109, v79, v248
	v_bfe_i32 v82, v58, 16, 8
	v_ashrrev_i32_e32 v58, 24, v58
	v_mul_i32_i24_e32 v110, v52, v249
	v_add3_u32 v84, v84, v106, v111
	v_mul_i32_i24_e32 v112, v81, v251
	v_mul_i32_i24_e32 v113, v82, v240
	v_mul_i32_i24_e32 v253, v58, v252
	v_mul_i32_i24_e32 v85, v19, v191
	v_add3_u32 v84, v84, v108, v109
	v_mul_i32_i24_e32 v86, v38, v193
	v_mul_i32_i24_e32 v87, v39, v194
	v_mul_i32_i24_e32 v91, v55, v198
	;; [unrolled: 5-line block ×4, first 2 shown]
	v_mul_i32_i24_e32 v96, v68, v204
	v_cvt_f32_i32_e32 v84, v84
	v_mul_i32_i24_e32 v97, v69, v192
	v_mul_i32_i24_e32 v98, v56, v205
	v_mul_i32_i24_e32 v103, v74, v211
	v_mul_i32_i24_e32 v100, v71, v207
	v_fma_mix_f32 v84, v20, v84, -v83 op_sel_hi:[1,0,0]
	v_mul_i32_i24_e32 v101, v73, v209
	v_mul_i32_i24_e32 v102, v51, v210
	;; [unrolled: 1-line block ×4, first 2 shown]
	v_fmac_f32_e32 v64, v196, v84
	v_mul_i32_i24_e32 v84, v0, v190
	v_mul_i32_i24_e32 v105, v76, v202
	;; [unrolled: 1-line block ×5, first 2 shown]
	v_mad_i32_i24 v84, v45, v188, v84
	v_mul_i32_i24_e32 v109, v79, v216
	v_mul_i32_i24_e32 v110, v52, v217
	v_mul_i32_i24_e32 v112, v81, v219
	v_mul_i32_i24_e32 v113, v82, v208
	v_add3_u32 v84, v84, v85, v86
	v_mul_i32_i24_e32 v253, v58, v220
	v_mul_i32_i24_e32 v85, v19, v158
	v_mul_i32_i24_e32 v86, v38, v160
	v_mul_i32_i24_e32 v19, v19, v125
	v_add3_u32 v84, v84, v87, v91
	;; [unrolled: 5-line block ×15, first 2 shown]
	v_mul_i32_i24_e32 v113, v82, v174
	v_mul_i32_i24_e32 v253, v58, v186
	;; [unrolled: 1-line block ×4, first 2 shown]
	v_cvt_f32_i32_e32 v84, v84
	s_delay_alu instid0(VALU_DEP_1) | instskip(NEXT) | instid1(VALU_DEP_1)
	v_fma_mix_f32 v84, v20, v84, -v83 op_sel_hi:[1,0,0]
	v_fmac_f32_e32 v63, v187, v84
	v_mul_i32_i24_e32 v84, v0, v157
	v_mul_i32_i24_e32 v0, v0, v124
	s_delay_alu instid0(VALU_DEP_2) | instskip(NEXT) | instid1(VALU_DEP_2)
	v_mad_i32_i24 v84, v45, v155, v84
	v_mad_i32_i24 v0, v45, v122, v0
	s_delay_alu instid0(VALU_DEP_2) | instskip(NEXT) | instid1(VALU_DEP_2)
	v_add3_u32 v84, v84, v85, v86
	v_add3_u32 v0, v0, v19, v38
	s_delay_alu instid0(VALU_DEP_2) | instskip(NEXT) | instid1(VALU_DEP_2)
	v_add3_u32 v84, v84, v87, v91
	v_add3_u32 v0, v0, v39, v55
	;; [unrolled: 3-line block ×5, first 2 shown]
	s_delay_alu instid0(VALU_DEP_2) | instskip(NEXT) | instid1(VALU_DEP_1)
	v_add3_u32 v84, v84, v94, v99
	v_add3_u32 v84, v84, v96, v97
	s_delay_alu instid0(VALU_DEP_1) | instskip(NEXT) | instid1(VALU_DEP_1)
	v_add3_u32 v84, v84, v98, v103
	v_add3_u32 v84, v84, v100, v101
	s_delay_alu instid0(VALU_DEP_1) | instskip(NEXT) | instid1(VALU_DEP_1)
	;; [unrolled: 3-line block ×5, first 2 shown]
	v_cvt_f32_i32_e32 v84, v84
	v_fma_mix_f32 v84, v20, v84, -v83 op_sel_hi:[1,0,0]
	s_delay_alu instid0(VALU_DEP_1) | instskip(SKIP_1) | instid1(VALU_DEP_1)
	v_fmac_f32_e32 v62, v154, v84
	v_mul_i32_i24_e32 v70, v70, v139
	v_add3_u32 v0, v0, v50, v70
	s_delay_alu instid0(VALU_DEP_1) | instskip(NEXT) | instid1(VALU_DEP_1)
	v_add3_u32 v0, v0, v68, v69
	v_add3_u32 v0, v0, v56, v74
	s_delay_alu instid0(VALU_DEP_1) | instskip(NEXT) | instid1(VALU_DEP_1)
	v_add3_u32 v0, v0, v71, v73
	v_add3_u32 v0, v0, v51, v77
	s_delay_alu instid0(VALU_DEP_1) | instskip(NEXT) | instid1(VALU_DEP_1)
	v_add3_u32 v0, v0, v75, v76
	v_add3_u32 v0, v0, v57, v80
	s_delay_alu instid0(VALU_DEP_1) | instskip(NEXT) | instid1(VALU_DEP_1)
	v_add3_u32 v0, v0, v78, v79
	v_add3_u32 v0, v0, v52, v81
	s_delay_alu instid0(VALU_DEP_1) | instskip(NEXT) | instid1(VALU_DEP_1)
	v_add3_u32 v0, v0, v82, v58
	v_cvt_f32_i32_e32 v0, v0
	s_delay_alu instid0(VALU_DEP_1)
	v_fma_mix_f32 v0, v20, v0, -v83 op_sel_hi:[1,0,0]
	ds_load_b128 v[49:52], v115 offset:2048
	ds_load_b128 v[55:58], v115 offset:2064
	ds_load_2addr_b32 v[19:20], v114 offset0:64 offset1:96
	v_fmac_f32_e32 v59, v121, v0
	s_waitcnt lgkmcnt(2)
	v_bfe_i32 v0, v49, 0, 8
	v_bfe_i32 v38, v49, 8, 8
	;; [unrolled: 1-line block ×3, first 2 shown]
	s_waitcnt lgkmcnt(1)
	v_bfe_i32 v47, v55, 0, 8
	v_ashrrev_i32_e32 v45, 24, v49
	v_mul_i32_i24_e32 v85, v0, v223
	v_bfe_i32 v60, v50, 0, 8
	v_mul_i32_i24_e32 v86, v38, v224
	v_mul_i32_i24_e32 v87, v39, v226
	v_bfe_i32 v49, v55, 8, 8
	v_mad_i32_i24 v85, v47, v221, v85
	v_bfe_i32 v53, v55, 16, 8
	v_mul_i32_i24_e32 v88, v45, v227
	v_mul_i32_i24_e32 v92, v60, v230
	v_ashrrev_i32_e32 v55, 24, v55
	v_add3_u32 v85, v85, v86, v87
	v_bfe_i32 v68, v56, 0, 8
	v_mul_i32_i24_e32 v89, v49, v228
	v_mul_i32_i24_e32 v90, v53, v222
	v_bfe_i32 v61, v50, 8, 8
	v_add3_u32 v85, v85, v88, v92
	v_bfe_i32 v65, v50, 16, 8
	v_mul_i32_i24_e32 v91, v55, v229
	v_mul_i32_i24_e32 v96, v68, v235
	v_ashrrev_i32_e32 v50, 24, v50
	v_add3_u32 v85, v85, v89, v90
	v_bfe_i32 v71, v51, 0, 8
	v_mul_i32_i24_e32 v93, v61, v231
	v_mul_i32_i24_e32 v94, v65, v232
	v_bfe_i32 v69, v56, 8, 8
	v_add3_u32 v85, v85, v91, v96
	;; [unrolled: 10-line block ×6, first 2 shown]
	v_ashrrev_i32_e32 v58, 24, v58
	v_mul_i32_i24_e32 v111, v52, v249
	v_mul_i32_i24_e32 v113, v82, v251
	s_waitcnt lgkmcnt(0)
	v_lshrrev_b32_e32 v84, 16, v19
	v_add3_u32 v85, v85, v109, v110
	v_mul_i32_i24_e32 v253, v83, v240
	v_mul_i32_i24_e32 v254, v58, v252
	;; [unrolled: 1-line block ×3, first 2 shown]
	v_cvt_f32_f16_e32 v84, v84
	v_add3_u32 v85, v85, v111, v113
	v_mul_i32_i24_e32 v87, v39, v193
	v_mul_i32_i24_e32 v88, v45, v194
	;; [unrolled: 1-line block ×3, first 2 shown]
	v_mul_f32_e32 v84, 0x41000000, v84
	v_add3_u32 v85, v85, v253, v254
	v_mul_i32_i24_e32 v89, v49, v195
	v_mul_i32_i24_e32 v90, v53, v189
	;; [unrolled: 1-line block ×4, first 2 shown]
	v_cvt_f32_i32_e32 v85, v85
	v_mul_i32_i24_e32 v93, v61, v199
	v_mul_i32_i24_e32 v94, v65, v200
	;; [unrolled: 1-line block ×4, first 2 shown]
	v_fma_mix_f32 v85, v19, v85, -v84 op_sel_hi:[1,0,0]
	v_mul_i32_i24_e32 v97, v69, v204
	v_mul_i32_i24_e32 v98, v70, v192
	;; [unrolled: 1-line block ×4, first 2 shown]
	v_fmac_f32_e32 v54, v196, v85
	v_mul_i32_i24_e32 v85, v0, v190
	v_mul_i32_i24_e32 v101, v73, v207
	;; [unrolled: 1-line block ×5, first 2 shown]
	v_mad_i32_i24 v85, v47, v188, v85
	v_mul_i32_i24_e32 v105, v76, v212
	v_mul_i32_i24_e32 v106, v77, v202
	v_mul_i32_i24_e32 v107, v57, v213
	v_mul_i32_i24_e32 v112, v81, v218
	v_add3_u32 v85, v85, v86, v87
	v_mul_i32_i24_e32 v109, v79, v215
	v_mul_i32_i24_e32 v110, v80, v216
	v_mul_i32_i24_e32 v111, v52, v217
	v_mul_i32_i24_e32 v113, v82, v219
	v_add3_u32 v85, v85, v88, v92
	;; [unrolled: 5-line block ×15, first 2 shown]
	v_mul_i32_i24_e32 v79, v79, v148
	v_mul_i32_i24_e32 v80, v80, v149
	;; [unrolled: 1-line block ×4, first 2 shown]
	v_cvt_f32_i32_e32 v85, v85
	v_mul_i32_i24_e32 v52, v52, v150
	v_mul_i32_i24_e32 v82, v82, v152
	;; [unrolled: 1-line block ×4, first 2 shown]
	v_fma_mix_f32 v85, v19, v85, -v84 op_sel_hi:[1,0,0]
	v_mul_i32_i24_e32 v83, v83, v141
	v_mul_i32_i24_e32 v58, v58, v153
	s_delay_alu instid0(VALU_DEP_3) | instskip(SKIP_2) | instid1(VALU_DEP_2)
	v_fmac_f32_e32 v48, v187, v85
	v_mul_i32_i24_e32 v85, v0, v157
	v_mul_i32_i24_e32 v0, v0, v124
	v_mad_i32_i24 v85, v47, v155, v85
	s_delay_alu instid0(VALU_DEP_2) | instskip(NEXT) | instid1(VALU_DEP_2)
	v_mad_i32_i24 v0, v47, v122, v0
	v_add3_u32 v85, v85, v86, v87
	s_delay_alu instid0(VALU_DEP_2) | instskip(NEXT) | instid1(VALU_DEP_2)
	v_add3_u32 v0, v0, v38, v39
	v_add3_u32 v85, v85, v88, v92
	s_delay_alu instid0(VALU_DEP_2) | instskip(NEXT) | instid1(VALU_DEP_2)
	v_add3_u32 v0, v0, v45, v60
	;; [unrolled: 3-line block ×14, first 2 shown]
	v_add3_u32 v85, v85, v253, v254
	s_delay_alu instid0(VALU_DEP_2)
	v_add3_u32 v0, v0, v83, v58
	ds_load_b128 v[49:52], v115 offset:3072
	ds_load_b128 v[55:58], v115 offset:3088
	v_lshrrev_b32_e32 v83, 16, v20
	v_cvt_f32_i32_e32 v85, v85
	v_cvt_f32_i32_e32 v0, v0
	s_delay_alu instid0(VALU_DEP_3) | instskip(NEXT) | instid1(VALU_DEP_3)
	v_cvt_f32_f16_e32 v83, v83
	v_fma_mix_f32 v85, v19, v85, -v84 op_sel_hi:[1,0,0]
	s_delay_alu instid0(VALU_DEP_3) | instskip(NEXT) | instid1(VALU_DEP_2)
	v_fma_mix_f32 v0, v19, v0, -v84 op_sel_hi:[1,0,0]
	v_dual_mul_f32 v83, 0x41000000, v83 :: v_dual_fmac_f32 v46, v154, v85
	s_delay_alu instid0(VALU_DEP_2)
	v_fmac_f32_e32 v44, v121, v0
	s_waitcnt lgkmcnt(1)
	v_bfe_i32 v0, v49, 0, 8
	v_bfe_i32 v19, v49, 8, 8
	;; [unrolled: 1-line block ×3, first 2 shown]
	s_waitcnt lgkmcnt(0)
	v_bfe_i32 v45, v55, 0, 8
	v_ashrrev_i32_e32 v39, 24, v49
	v_mul_i32_i24_e32 v84, v0, v223
	v_bfe_i32 v47, v55, 8, 8
	v_bfe_i32 v49, v55, 16, 8
	v_ashrrev_i32_e32 v53, 24, v55
	v_bfe_i32 v55, v50, 0, 8
	v_mul_i32_i24_e32 v85, v19, v224
	v_mul_i32_i24_e32 v86, v38, v226
	v_mad_i32_i24 v84, v45, v221, v84
	v_mul_i32_i24_e32 v87, v39, v227
	v_mul_i32_i24_e32 v91, v55, v230
	v_bfe_i32 v65, v56, 0, 8
	v_mul_i32_i24_e32 v88, v47, v228
	v_add3_u32 v84, v84, v85, v86
	v_mul_i32_i24_e32 v89, v49, v222
	v_bfe_i32 v60, v50, 8, 8
	v_bfe_i32 v61, v50, 16, 8
	v_mul_i32_i24_e32 v90, v53, v229
	v_add3_u32 v84, v84, v87, v91
	v_mul_i32_i24_e32 v95, v65, v235
	v_ashrrev_i32_e32 v50, 24, v50
	v_bfe_i32 v70, v51, 0, 8
	v_mul_i32_i24_e32 v92, v60, v231
	v_add3_u32 v84, v84, v88, v89
	v_mul_i32_i24_e32 v93, v61, v232
	v_bfe_i32 v68, v56, 8, 8
	v_bfe_i32 v69, v56, 16, 8
	v_mul_i32_i24_e32 v94, v50, v234
	v_add3_u32 v84, v84, v90, v95
	v_mul_i32_i24_e32 v99, v70, v238
	v_ashrrev_i32_e32 v56, 24, v56
	;; [unrolled: 10-line block ×5, first 2 shown]
	v_bfe_i32 v81, v58, 8, 8
	v_mul_i32_i24_e32 v108, v78, v247
	v_add3_u32 v84, v84, v104, v105
	v_mul_i32_i24_e32 v109, v79, v248
	v_bfe_i32 v82, v58, 16, 8
	v_ashrrev_i32_e32 v58, 24, v58
	v_mul_i32_i24_e32 v110, v52, v249
	v_add3_u32 v84, v84, v106, v111
	v_mul_i32_i24_e32 v112, v81, v251
	v_mul_i32_i24_e32 v113, v82, v240
	v_mul_i32_i24_e32 v253, v58, v252
	v_mul_i32_i24_e32 v85, v19, v191
	v_add3_u32 v84, v84, v108, v109
	v_mul_i32_i24_e32 v86, v38, v193
	v_mul_i32_i24_e32 v87, v39, v194
	v_mul_i32_i24_e32 v91, v55, v198
	;; [unrolled: 5-line block ×4, first 2 shown]
	v_mul_i32_i24_e32 v96, v68, v204
	v_cvt_f32_i32_e32 v84, v84
	v_mul_i32_i24_e32 v97, v69, v192
	v_mul_i32_i24_e32 v98, v56, v205
	;; [unrolled: 1-line block ×4, first 2 shown]
	v_fma_mix_f32 v84, v20, v84, -v83 op_sel_hi:[1,0,0]
	v_mul_i32_i24_e32 v101, v73, v209
	v_mul_i32_i24_e32 v102, v51, v210
	v_mul_i32_i24_e32 v104, v75, v212
	v_mul_i32_i24_e32 v105, v76, v202
	v_fmac_f32_e32 v43, v196, v84
	v_mul_i32_i24_e32 v84, v0, v190
	v_mul_i32_i24_e32 v107, v77, v214
	;; [unrolled: 1-line block ×5, first 2 shown]
	v_mad_i32_i24 v84, v45, v188, v84
	v_mul_i32_i24_e32 v109, v79, v216
	v_mul_i32_i24_e32 v110, v52, v217
	v_mul_i32_i24_e32 v112, v81, v219
	v_mul_i32_i24_e32 v113, v82, v208
	v_add3_u32 v84, v84, v85, v86
	v_mul_i32_i24_e32 v253, v58, v220
	v_mul_i32_i24_e32 v85, v19, v158
	v_mul_i32_i24_e32 v86, v38, v160
	v_mul_i32_i24_e32 v19, v19, v125
	v_add3_u32 v84, v84, v87, v91
	;; [unrolled: 5-line block ×15, first 2 shown]
	v_mul_i32_i24_e32 v81, v81, v152
	v_mul_i32_i24_e32 v113, v82, v174
	;; [unrolled: 1-line block ×4, first 2 shown]
	v_cvt_f32_i32_e32 v84, v84
	v_mul_i32_i24_e32 v58, v58, v153
	s_delay_alu instid0(VALU_DEP_2) | instskip(NEXT) | instid1(VALU_DEP_1)
	v_fma_mix_f32 v84, v20, v84, -v83 op_sel_hi:[1,0,0]
	v_fmac_f32_e32 v42, v187, v84
	v_mul_i32_i24_e32 v84, v0, v157
	v_mul_i32_i24_e32 v0, v0, v124
	s_delay_alu instid0(VALU_DEP_2) | instskip(NEXT) | instid1(VALU_DEP_2)
	v_mad_i32_i24 v84, v45, v155, v84
	v_mad_i32_i24 v0, v45, v122, v0
	s_delay_alu instid0(VALU_DEP_2) | instskip(NEXT) | instid1(VALU_DEP_2)
	v_add3_u32 v84, v84, v85, v86
	v_add3_u32 v0, v0, v19, v38
	s_delay_alu instid0(VALU_DEP_2) | instskip(NEXT) | instid1(VALU_DEP_2)
	v_add3_u32 v84, v84, v87, v91
	v_add3_u32 v0, v0, v39, v55
	;; [unrolled: 3-line block ×15, first 2 shown]
	s_delay_alu instid0(VALU_DEP_2) | instskip(NEXT) | instid1(VALU_DEP_2)
	v_cvt_f32_i32_e32 v84, v84
	v_cvt_f32_i32_e32 v0, v0
	s_delay_alu instid0(VALU_DEP_2) | instskip(NEXT) | instid1(VALU_DEP_2)
	v_fma_mix_f32 v84, v20, v84, -v83 op_sel_hi:[1,0,0]
	v_fma_mix_f32 v0, v20, v0, -v83 op_sel_hi:[1,0,0]
	ds_load_b128 v[49:52], v115 offset:4096
	ds_load_b128 v[55:58], v115 offset:4112
	ds_load_2addr_b32 v[19:20], v114 offset0:128 offset1:160
	v_fmac_f32_e32 v40, v154, v84
	v_fmac_f32_e32 v37, v121, v0
	s_waitcnt lgkmcnt(2)
	v_bfe_i32 v0, v49, 0, 8
	v_bfe_i32 v38, v49, 8, 8
	;; [unrolled: 1-line block ×3, first 2 shown]
	s_waitcnt lgkmcnt(1)
	v_bfe_i32 v47, v55, 0, 8
	v_ashrrev_i32_e32 v45, 24, v49
	v_mul_i32_i24_e32 v85, v0, v223
	v_bfe_i32 v60, v50, 0, 8
	v_mul_i32_i24_e32 v86, v38, v224
	v_mul_i32_i24_e32 v87, v39, v226
	v_bfe_i32 v49, v55, 8, 8
	v_mad_i32_i24 v85, v47, v221, v85
	v_bfe_i32 v53, v55, 16, 8
	v_mul_i32_i24_e32 v88, v45, v227
	v_mul_i32_i24_e32 v92, v60, v230
	v_ashrrev_i32_e32 v55, 24, v55
	v_add3_u32 v85, v85, v86, v87
	v_bfe_i32 v68, v56, 0, 8
	v_mul_i32_i24_e32 v89, v49, v228
	v_mul_i32_i24_e32 v90, v53, v222
	v_bfe_i32 v61, v50, 8, 8
	v_add3_u32 v85, v85, v88, v92
	v_bfe_i32 v65, v50, 16, 8
	v_mul_i32_i24_e32 v91, v55, v229
	v_mul_i32_i24_e32 v96, v68, v235
	v_ashrrev_i32_e32 v50, 24, v50
	v_add3_u32 v85, v85, v89, v90
	v_bfe_i32 v71, v51, 0, 8
	v_mul_i32_i24_e32 v93, v61, v231
	v_mul_i32_i24_e32 v94, v65, v232
	v_bfe_i32 v69, v56, 8, 8
	v_add3_u32 v85, v85, v91, v96
	;; [unrolled: 10-line block ×6, first 2 shown]
	v_ashrrev_i32_e32 v58, 24, v58
	v_mul_i32_i24_e32 v111, v52, v249
	v_mul_i32_i24_e32 v113, v82, v251
	s_waitcnt lgkmcnt(0)
	v_lshrrev_b32_e32 v84, 16, v19
	v_add3_u32 v85, v85, v109, v110
	v_mul_i32_i24_e32 v253, v83, v240
	v_mul_i32_i24_e32 v254, v58, v252
	;; [unrolled: 1-line block ×3, first 2 shown]
	v_cvt_f32_f16_e32 v84, v84
	v_add3_u32 v85, v85, v111, v113
	v_mul_i32_i24_e32 v87, v39, v193
	v_mul_i32_i24_e32 v88, v45, v194
	;; [unrolled: 1-line block ×3, first 2 shown]
	v_mul_f32_e32 v84, 0x41000000, v84
	v_add3_u32 v85, v85, v253, v254
	v_mul_i32_i24_e32 v89, v49, v195
	v_mul_i32_i24_e32 v90, v53, v189
	;; [unrolled: 1-line block ×4, first 2 shown]
	v_cvt_f32_i32_e32 v85, v85
	v_mul_i32_i24_e32 v93, v61, v199
	v_mul_i32_i24_e32 v94, v65, v200
	;; [unrolled: 1-line block ×4, first 2 shown]
	v_fma_mix_f32 v85, v19, v85, -v84 op_sel_hi:[1,0,0]
	v_mul_i32_i24_e32 v97, v69, v204
	v_mul_i32_i24_e32 v98, v70, v192
	;; [unrolled: 1-line block ×4, first 2 shown]
	v_fmac_f32_e32 v36, v196, v85
	v_mul_i32_i24_e32 v85, v0, v190
	v_mul_i32_i24_e32 v101, v73, v207
	v_mul_i32_i24_e32 v102, v74, v209
	v_mul_i32_i24_e32 v103, v51, v210
	v_mul_i32_i24_e32 v108, v78, v214
	v_mad_i32_i24 v85, v47, v188, v85
	v_mul_i32_i24_e32 v105, v76, v212
	v_mul_i32_i24_e32 v106, v77, v202
	v_mul_i32_i24_e32 v107, v57, v213
	v_mul_i32_i24_e32 v112, v81, v218
	v_add3_u32 v85, v85, v86, v87
	v_mul_i32_i24_e32 v109, v79, v215
	v_mul_i32_i24_e32 v110, v80, v216
	v_mul_i32_i24_e32 v111, v52, v217
	v_mul_i32_i24_e32 v113, v82, v219
	v_add3_u32 v85, v85, v88, v92
	v_mul_i32_i24_e32 v253, v83, v208
	v_mul_i32_i24_e32 v254, v58, v220
	v_mul_i32_i24_e32 v86, v38, v158
	v_mul_i32_i24_e32 v87, v39, v160
	v_add3_u32 v85, v85, v89, v90
	v_mul_i32_i24_e32 v38, v38, v125
	v_mul_i32_i24_e32 v39, v39, v127
	v_mul_i32_i24_e32 v88, v45, v161
	v_mul_i32_i24_e32 v92, v60, v164
	v_add3_u32 v85, v85, v91, v96
	v_mul_i32_i24_e32 v45, v45, v128
	v_mul_i32_i24_e32 v60, v60, v131
	v_mul_i32_i24_e32 v89, v49, v162
	v_mul_i32_i24_e32 v90, v53, v156
	v_add3_u32 v85, v85, v93, v94
	v_mul_i32_i24_e32 v49, v49, v129
	v_mul_i32_i24_e32 v53, v53, v123
	v_mul_i32_i24_e32 v91, v55, v163
	v_mul_i32_i24_e32 v96, v68, v169
	v_add3_u32 v85, v85, v95, v100
	v_mul_i32_i24_e32 v55, v55, v130
	v_mul_i32_i24_e32 v68, v68, v136
	v_mul_i32_i24_e32 v93, v61, v165
	v_mul_i32_i24_e32 v94, v65, v166
	v_add3_u32 v85, v85, v97, v98
	v_mul_i32_i24_e32 v61, v61, v132
	v_mul_i32_i24_e32 v65, v65, v133
	v_mul_i32_i24_e32 v95, v50, v167
	v_mul_i32_i24_e32 v100, v71, v172
	v_add3_u32 v85, v85, v99, v104
	v_mul_i32_i24_e32 v50, v50, v134
	v_mul_i32_i24_e32 v71, v71, v139
	v_mul_i32_i24_e32 v97, v69, v170
	v_mul_i32_i24_e32 v98, v70, v159
	v_add3_u32 v85, v85, v101, v102
	v_mul_i32_i24_e32 v69, v69, v137
	v_mul_i32_i24_e32 v70, v70, v126
	v_mul_i32_i24_e32 v99, v56, v171
	v_mul_i32_i24_e32 v104, v75, v177
	v_add3_u32 v85, v85, v103, v108
	v_mul_i32_i24_e32 v56, v56, v138
	v_mul_i32_i24_e32 v75, v75, v144
	v_mul_i32_i24_e32 v101, v73, v173
	v_mul_i32_i24_e32 v102, v74, v175
	v_add3_u32 v85, v85, v105, v106
	v_mul_i32_i24_e32 v73, v73, v140
	v_mul_i32_i24_e32 v74, v74, v142
	v_mul_i32_i24_e32 v103, v51, v176
	v_mul_i32_i24_e32 v108, v78, v180
	v_add3_u32 v85, v85, v107, v112
	v_mul_i32_i24_e32 v51, v51, v143
	v_mul_i32_i24_e32 v78, v78, v147
	v_mul_i32_i24_e32 v105, v76, v178
	v_mul_i32_i24_e32 v106, v77, v168
	v_add3_u32 v85, v85, v109, v110
	v_mul_i32_i24_e32 v76, v76, v145
	v_mul_i32_i24_e32 v77, v77, v135
	v_mul_i32_i24_e32 v107, v57, v179
	v_mul_i32_i24_e32 v112, v81, v184
	v_add3_u32 v85, v85, v111, v113
	v_mul_i32_i24_e32 v57, v57, v146
	v_mul_i32_i24_e32 v81, v81, v151
	v_mul_i32_i24_e32 v109, v79, v181
	v_mul_i32_i24_e32 v110, v80, v182
	v_add3_u32 v85, v85, v253, v254
	v_mul_i32_i24_e32 v79, v79, v148
	v_mul_i32_i24_e32 v80, v80, v149
	;; [unrolled: 1-line block ×4, first 2 shown]
	v_cvt_f32_i32_e32 v85, v85
	v_mul_i32_i24_e32 v52, v52, v150
	v_mul_i32_i24_e32 v82, v82, v152
	;; [unrolled: 1-line block ×4, first 2 shown]
	v_fma_mix_f32 v85, v19, v85, -v84 op_sel_hi:[1,0,0]
	v_mul_i32_i24_e32 v83, v83, v141
	v_mul_i32_i24_e32 v58, v58, v153
	s_delay_alu instid0(VALU_DEP_3) | instskip(SKIP_2) | instid1(VALU_DEP_2)
	v_fmac_f32_e32 v35, v187, v85
	v_mul_i32_i24_e32 v85, v0, v157
	v_mul_i32_i24_e32 v0, v0, v124
	v_mad_i32_i24 v85, v47, v155, v85
	s_delay_alu instid0(VALU_DEP_2) | instskip(NEXT) | instid1(VALU_DEP_2)
	v_mad_i32_i24 v0, v47, v122, v0
	v_add3_u32 v85, v85, v86, v87
	s_delay_alu instid0(VALU_DEP_2) | instskip(NEXT) | instid1(VALU_DEP_2)
	v_add3_u32 v0, v0, v38, v39
	v_add3_u32 v85, v85, v88, v92
	s_delay_alu instid0(VALU_DEP_2) | instskip(NEXT) | instid1(VALU_DEP_2)
	v_add3_u32 v0, v0, v45, v60
	;; [unrolled: 3-line block ×14, first 2 shown]
	v_add3_u32 v85, v85, v253, v254
	s_delay_alu instid0(VALU_DEP_2)
	v_add3_u32 v0, v0, v83, v58
	ds_load_b128 v[49:52], v115 offset:5120
	ds_load_b128 v[55:58], v115 offset:5136
	v_lshrrev_b32_e32 v83, 16, v20
	v_cvt_f32_i32_e32 v85, v85
	v_cvt_f32_i32_e32 v0, v0
	s_delay_alu instid0(VALU_DEP_3) | instskip(NEXT) | instid1(VALU_DEP_3)
	v_cvt_f32_f16_e32 v83, v83
	v_fma_mix_f32 v85, v19, v85, -v84 op_sel_hi:[1,0,0]
	s_delay_alu instid0(VALU_DEP_3) | instskip(NEXT) | instid1(VALU_DEP_2)
	v_fma_mix_f32 v0, v19, v0, -v84 op_sel_hi:[1,0,0]
	v_dual_mul_f32 v83, 0x41000000, v83 :: v_dual_fmac_f32 v34, v154, v85
	s_delay_alu instid0(VALU_DEP_2)
	v_fmac_f32_e32 v33, v121, v0
	s_waitcnt lgkmcnt(1)
	v_bfe_i32 v0, v49, 0, 8
	v_bfe_i32 v19, v49, 8, 8
	;; [unrolled: 1-line block ×3, first 2 shown]
	s_waitcnt lgkmcnt(0)
	v_bfe_i32 v45, v55, 0, 8
	v_ashrrev_i32_e32 v39, 24, v49
	v_mul_i32_i24_e32 v84, v0, v223
	v_bfe_i32 v47, v55, 8, 8
	v_bfe_i32 v49, v55, 16, 8
	v_ashrrev_i32_e32 v53, 24, v55
	v_bfe_i32 v55, v50, 0, 8
	v_mul_i32_i24_e32 v85, v19, v224
	v_mul_i32_i24_e32 v86, v38, v226
	v_mad_i32_i24 v84, v45, v221, v84
	v_mul_i32_i24_e32 v87, v39, v227
	v_mul_i32_i24_e32 v91, v55, v230
	v_bfe_i32 v65, v56, 0, 8
	v_mul_i32_i24_e32 v88, v47, v228
	v_add3_u32 v84, v84, v85, v86
	v_mul_i32_i24_e32 v89, v49, v222
	v_bfe_i32 v60, v50, 8, 8
	v_bfe_i32 v61, v50, 16, 8
	v_mul_i32_i24_e32 v90, v53, v229
	v_add3_u32 v84, v84, v87, v91
	v_mul_i32_i24_e32 v95, v65, v235
	v_ashrrev_i32_e32 v50, 24, v50
	v_bfe_i32 v70, v51, 0, 8
	v_mul_i32_i24_e32 v92, v60, v231
	v_add3_u32 v84, v84, v88, v89
	v_mul_i32_i24_e32 v93, v61, v232
	v_bfe_i32 v68, v56, 8, 8
	v_bfe_i32 v69, v56, 16, 8
	v_mul_i32_i24_e32 v94, v50, v234
	v_add3_u32 v84, v84, v90, v95
	v_mul_i32_i24_e32 v99, v70, v238
	v_ashrrev_i32_e32 v56, 24, v56
	;; [unrolled: 10-line block ×5, first 2 shown]
	v_bfe_i32 v81, v58, 8, 8
	v_mul_i32_i24_e32 v108, v78, v247
	v_add3_u32 v84, v84, v104, v105
	v_mul_i32_i24_e32 v109, v79, v248
	v_bfe_i32 v82, v58, 16, 8
	v_ashrrev_i32_e32 v58, 24, v58
	v_mul_i32_i24_e32 v110, v52, v249
	v_add3_u32 v84, v84, v106, v111
	v_mul_i32_i24_e32 v112, v81, v251
	v_mul_i32_i24_e32 v113, v82, v240
	v_mul_i32_i24_e32 v253, v58, v252
	v_mul_i32_i24_e32 v85, v19, v191
	v_add3_u32 v84, v84, v108, v109
	v_mul_i32_i24_e32 v86, v38, v193
	v_mul_i32_i24_e32 v87, v39, v194
	v_mul_i32_i24_e32 v91, v55, v198
	;; [unrolled: 5-line block ×4, first 2 shown]
	v_mul_i32_i24_e32 v96, v68, v204
	v_cvt_f32_i32_e32 v84, v84
	v_mul_i32_i24_e32 v97, v69, v192
	v_mul_i32_i24_e32 v98, v56, v205
	v_mul_i32_i24_e32 v103, v74, v211
	v_mul_i32_i24_e32 v100, v71, v207
	v_fma_mix_f32 v84, v20, v84, -v83 op_sel_hi:[1,0,0]
	v_mul_i32_i24_e32 v101, v73, v209
	v_mul_i32_i24_e32 v102, v51, v210
	;; [unrolled: 1-line block ×4, first 2 shown]
	v_fmac_f32_e32 v32, v196, v84
	v_mul_i32_i24_e32 v84, v0, v190
	v_mul_i32_i24_e32 v105, v76, v202
	;; [unrolled: 1-line block ×5, first 2 shown]
	v_mad_i32_i24 v84, v45, v188, v84
	v_mul_i32_i24_e32 v109, v79, v216
	v_mul_i32_i24_e32 v110, v52, v217
	v_mul_i32_i24_e32 v112, v81, v219
	v_mul_i32_i24_e32 v113, v82, v208
	v_add3_u32 v84, v84, v85, v86
	v_mul_i32_i24_e32 v253, v58, v220
	v_mul_i32_i24_e32 v85, v19, v158
	v_mul_i32_i24_e32 v86, v38, v160
	v_mul_i32_i24_e32 v19, v19, v125
	v_add3_u32 v84, v84, v87, v91
	;; [unrolled: 5-line block ×10, first 2 shown]
	v_mul_i32_i24_e32 v73, v73, v142
	v_mul_i32_i24_e32 v102, v51, v176
	;; [unrolled: 1-line block ×3, first 2 shown]
	s_delay_alu instid0(VALU_DEP_4)
	v_add3_u32 v84, v84, v104, v105
	v_mul_i32_i24_e32 v104, v75, v178
	v_mul_i32_i24_e32 v105, v76, v168
	v_mul_i32_i24_e32 v75, v75, v145
	v_mul_i32_i24_e32 v76, v76, v135
	v_add3_u32 v84, v84, v106, v111
	v_mul_i32_i24_e32 v106, v57, v179
	v_mul_i32_i24_e32 v111, v80, v184
	v_mul_i32_i24_e32 v57, v57, v146
	v_mul_i32_i24_e32 v80, v80, v151
	;; [unrolled: 5-line block ×5, first 2 shown]
	v_cvt_f32_i32_e32 v84, v84
	s_delay_alu instid0(VALU_DEP_1) | instskip(NEXT) | instid1(VALU_DEP_1)
	v_fma_mix_f32 v84, v20, v84, -v83 op_sel_hi:[1,0,0]
	v_fmac_f32_e32 v31, v187, v84
	v_mul_i32_i24_e32 v84, v0, v157
	v_mul_i32_i24_e32 v0, v0, v124
	;; [unrolled: 1-line block ×4, first 2 shown]
	s_delay_alu instid0(VALU_DEP_4) | instskip(NEXT) | instid1(VALU_DEP_4)
	v_mad_i32_i24 v84, v45, v155, v84
	v_mad_i32_i24 v0, v45, v122, v0
	s_delay_alu instid0(VALU_DEP_2) | instskip(NEXT) | instid1(VALU_DEP_2)
	v_add3_u32 v84, v84, v85, v86
	v_add3_u32 v0, v0, v19, v38
	s_delay_alu instid0(VALU_DEP_2) | instskip(NEXT) | instid1(VALU_DEP_2)
	v_add3_u32 v84, v84, v87, v91
	v_add3_u32 v0, v0, v39, v55
	;; [unrolled: 3-line block ×15, first 2 shown]
	s_delay_alu instid0(VALU_DEP_2) | instskip(NEXT) | instid1(VALU_DEP_2)
	v_cvt_f32_i32_e32 v84, v84
	v_cvt_f32_i32_e32 v0, v0
	s_delay_alu instid0(VALU_DEP_2) | instskip(NEXT) | instid1(VALU_DEP_2)
	v_fma_mix_f32 v84, v20, v84, -v83 op_sel_hi:[1,0,0]
	v_fma_mix_f32 v0, v20, v0, -v83 op_sel_hi:[1,0,0]
	ds_load_b128 v[49:52], v115 offset:6144
	ds_load_b128 v[55:58], v115 offset:6160
	ds_load_2addr_b32 v[19:20], v114 offset0:192 offset1:224
	v_add_nc_u32_e32 v114, 4, v114
	v_fmac_f32_e32 v30, v154, v84
	v_fmac_f32_e32 v29, v121, v0
	s_waitcnt lgkmcnt(2)
	v_bfe_i32 v0, v49, 0, 8
	v_bfe_i32 v38, v49, 8, 8
	;; [unrolled: 1-line block ×3, first 2 shown]
	s_waitcnt lgkmcnt(1)
	v_bfe_i32 v47, v55, 0, 8
	v_ashrrev_i32_e32 v45, 24, v49
	v_mul_i32_i24_e32 v85, v0, v223
	v_bfe_i32 v60, v50, 0, 8
	v_mul_i32_i24_e32 v86, v38, v224
	v_mul_i32_i24_e32 v87, v39, v226
	v_bfe_i32 v49, v55, 8, 8
	v_mad_i32_i24 v85, v47, v221, v85
	v_bfe_i32 v53, v55, 16, 8
	v_mul_i32_i24_e32 v88, v45, v227
	v_mul_i32_i24_e32 v92, v60, v230
	v_ashrrev_i32_e32 v55, 24, v55
	v_add3_u32 v85, v85, v86, v87
	v_bfe_i32 v68, v56, 0, 8
	v_mul_i32_i24_e32 v89, v49, v228
	v_mul_i32_i24_e32 v90, v53, v222
	v_bfe_i32 v61, v50, 8, 8
	v_add3_u32 v85, v85, v88, v92
	v_bfe_i32 v65, v50, 16, 8
	v_mul_i32_i24_e32 v91, v55, v229
	v_mul_i32_i24_e32 v96, v68, v235
	v_ashrrev_i32_e32 v50, 24, v50
	v_add3_u32 v85, v85, v89, v90
	v_bfe_i32 v71, v51, 0, 8
	v_mul_i32_i24_e32 v93, v61, v231
	v_mul_i32_i24_e32 v94, v65, v232
	v_bfe_i32 v69, v56, 8, 8
	v_add3_u32 v85, v85, v91, v96
	;; [unrolled: 10-line block ×6, first 2 shown]
	v_ashrrev_i32_e32 v58, 24, v58
	v_mul_i32_i24_e32 v111, v52, v249
	v_mul_i32_i24_e32 v113, v82, v251
	s_waitcnt lgkmcnt(0)
	v_lshrrev_b32_e32 v84, 16, v19
	v_add3_u32 v85, v85, v109, v110
	v_mul_i32_i24_e32 v253, v83, v240
	v_mul_i32_i24_e32 v254, v58, v252
	;; [unrolled: 1-line block ×3, first 2 shown]
	v_cvt_f32_f16_e32 v84, v84
	v_add3_u32 v85, v85, v111, v113
	v_mul_i32_i24_e32 v87, v39, v193
	v_mul_i32_i24_e32 v88, v45, v194
	;; [unrolled: 1-line block ×3, first 2 shown]
	v_mul_f32_e32 v84, 0x41000000, v84
	v_add3_u32 v85, v85, v253, v254
	v_mul_i32_i24_e32 v89, v49, v195
	v_mul_i32_i24_e32 v90, v53, v189
	;; [unrolled: 1-line block ×4, first 2 shown]
	v_cvt_f32_i32_e32 v85, v85
	v_mul_i32_i24_e32 v93, v61, v199
	v_mul_i32_i24_e32 v94, v65, v200
	v_mul_i32_i24_e32 v95, v50, v201
	v_mul_i32_i24_e32 v100, v71, v206
	v_fma_mix_f32 v85, v19, v85, -v84 op_sel_hi:[1,0,0]
	v_mul_i32_i24_e32 v97, v69, v204
	v_mul_i32_i24_e32 v98, v70, v192
	;; [unrolled: 1-line block ×4, first 2 shown]
	v_fmac_f32_e32 v28, v196, v85
	v_mul_i32_i24_e32 v85, v0, v190
	v_mul_i32_i24_e32 v101, v73, v207
	;; [unrolled: 1-line block ×5, first 2 shown]
	v_mad_i32_i24 v85, v47, v188, v85
	v_mul_i32_i24_e32 v105, v76, v212
	v_mul_i32_i24_e32 v106, v77, v202
	v_mul_i32_i24_e32 v107, v57, v213
	v_mul_i32_i24_e32 v112, v81, v218
	v_add3_u32 v85, v85, v86, v87
	v_mul_i32_i24_e32 v109, v79, v215
	v_mul_i32_i24_e32 v110, v80, v216
	v_mul_i32_i24_e32 v111, v52, v217
	v_mul_i32_i24_e32 v113, v82, v219
	v_add3_u32 v85, v85, v88, v92
	;; [unrolled: 5-line block ×15, first 2 shown]
	v_mul_i32_i24_e32 v79, v79, v148
	v_mul_i32_i24_e32 v80, v80, v149
	;; [unrolled: 1-line block ×4, first 2 shown]
	v_cvt_f32_i32_e32 v85, v85
	v_mul_i32_i24_e32 v52, v52, v150
	v_mul_i32_i24_e32 v82, v82, v152
	;; [unrolled: 1-line block ×4, first 2 shown]
	v_fma_mix_f32 v85, v19, v85, -v84 op_sel_hi:[1,0,0]
	v_mul_i32_i24_e32 v83, v83, v141
	v_mul_i32_i24_e32 v58, v58, v153
	s_delay_alu instid0(VALU_DEP_3) | instskip(SKIP_2) | instid1(VALU_DEP_2)
	v_fmac_f32_e32 v27, v187, v85
	v_mul_i32_i24_e32 v85, v0, v157
	v_mul_i32_i24_e32 v0, v0, v124
	v_mad_i32_i24 v85, v47, v155, v85
	s_delay_alu instid0(VALU_DEP_2) | instskip(NEXT) | instid1(VALU_DEP_2)
	v_mad_i32_i24 v0, v47, v122, v0
	v_add3_u32 v85, v85, v86, v87
	s_delay_alu instid0(VALU_DEP_2) | instskip(NEXT) | instid1(VALU_DEP_2)
	v_add3_u32 v0, v0, v38, v39
	v_add3_u32 v85, v85, v88, v92
	s_delay_alu instid0(VALU_DEP_2) | instskip(NEXT) | instid1(VALU_DEP_2)
	v_add3_u32 v0, v0, v45, v60
	;; [unrolled: 3-line block ×13, first 2 shown]
	v_add3_u32 v85, v85, v111, v113
	s_delay_alu instid0(VALU_DEP_2)
	v_add3_u32 v0, v0, v52, v82
	ds_load_b128 v[76:79], v115 offset:7168
	ds_load_b128 v[108:111], v115 offset:7184
	v_add_nc_u32_e32 v115, 32, v115
	v_add3_u32 v85, v85, v253, v254
	v_add3_u32 v0, v0, v83, v58
	s_delay_alu instid0(VALU_DEP_2) | instskip(NEXT) | instid1(VALU_DEP_2)
	v_cvt_f32_i32_e32 v85, v85
	v_cvt_f32_i32_e32 v0, v0
	s_delay_alu instid0(VALU_DEP_2) | instskip(NEXT) | instid1(VALU_DEP_2)
	v_fma_mix_f32 v85, v19, v85, -v84 op_sel_hi:[1,0,0]
	v_fma_mix_f32 v0, v19, v0, -v84 op_sel_hi:[1,0,0]
	s_delay_alu instid0(VALU_DEP_1)
	v_dual_fmac_f32 v26, v154, v85 :: v_dual_fmac_f32 v25, v121, v0
	v_lshrrev_b32_e32 v0, 16, v20
	s_waitcnt lgkmcnt(1)
	v_bfe_i32 v39, v76, 0, 8
	v_bfe_i32 v98, v76, 8, 8
	;; [unrolled: 1-line block ×3, first 2 shown]
	s_waitcnt lgkmcnt(0)
	v_bfe_i32 v253, v108, 0, 8
	v_cvt_f32_f16_e32 v0, v0
	v_ashrrev_i32_e32 v254, 24, v76
	v_bfe_i32 v38, v77, 0, 8
	v_mul_i32_i24_e32 v45, v98, v224
	v_mul_i32_i24_e32 v70, v105, v226
	v_mul_f32_e32 v19, 0x41000000, v0
	v_mul_i32_i24_e32 v0, v39, v223
	v_bfe_i32 v106, v108, 8, 8
	v_bfe_i32 v107, v108, 16, 8
	v_mul_i32_i24_e32 v75, v254, v227
	v_mul_i32_i24_e32 v83, v38, v230
	v_mad_i32_i24 v0, v253, v221, v0
	v_ashrrev_i32_e32 v108, 24, v108
	v_bfe_i32 v51, v109, 0, 8
	v_mul_i32_i24_e32 v80, v106, v228
	v_mul_i32_i24_e32 v81, v107, v222
	v_add3_u32 v0, v0, v45, v70
	v_bfe_i32 v47, v77, 8, 8
	v_bfe_i32 v49, v77, 16, 8
	v_mul_i32_i24_e32 v82, v108, v229
	v_mul_i32_i24_e32 v87, v51, v235
	v_add3_u32 v0, v0, v75, v83
	v_ashrrev_i32_e32 v50, 24, v77
	v_bfe_i32 v55, v78, 0, 8
	v_mul_i32_i24_e32 v84, v47, v231
	v_mul_i32_i24_e32 v85, v49, v232
	v_add3_u32 v0, v0, v80, v81
	v_bfe_i32 v52, v109, 8, 8
	v_bfe_i32 v53, v109, 16, 8
	v_mul_i32_i24_e32 v86, v50, v234
	v_mul_i32_i24_e32 v91, v55, v238
	v_add3_u32 v0, v0, v82, v87
	;; [unrolled: 10-line block ×5, first 2 shown]
	v_ashrrev_i32_e32 v74, 24, v79
	v_bfe_i32 v77, v111, 8, 8
	v_mul_i32_i24_e32 v101, v71, v247
	v_mul_i32_i24_e32 v102, v73, v248
	v_add3_u32 v0, v0, v96, v97
	v_bfe_i32 v78, v111, 16, 8
	v_ashrrev_i32_e32 v79, 24, v111
	v_mul_i32_i24_e32 v103, v74, v249
	v_mul_i32_i24_e32 v110, v77, v251
	v_add3_u32 v0, v0, v99, v104
	v_mul_i32_i24_e32 v111, v78, v240
	v_mul_i32_i24_e32 v112, v79, v252
	v_mul_i32_i24_e32 v45, v98, v191
	v_mul_i32_i24_e32 v70, v105, v193
	v_add3_u32 v0, v0, v101, v102
	v_mul_i32_i24_e32 v75, v254, v194
	v_mul_i32_i24_e32 v83, v38, v198
	;; [unrolled: 5-line block ×4, first 2 shown]
	v_mul_i32_i24_e32 v88, v52, v204
	v_mul_i32_i24_e32 v89, v53, v192
	v_cvt_f32_i32_e32 v0, v0
	v_mul_i32_i24_e32 v90, v109, v205
	v_mul_i32_i24_e32 v95, v60, v211
	;; [unrolled: 1-line block ×4, first 2 shown]
	v_fma_mix_f32 v0, v20, v0, -v19 op_sel_hi:[1,0,0]
	v_mul_i32_i24_e32 v94, v58, v210
	v_mul_i32_i24_e32 v100, v69, v214
	;; [unrolled: 1-line block ×4, first 2 shown]
	v_fmac_f32_e32 v24, v196, v0
	v_mul_i32_i24_e32 v0, v39, v190
	v_mul_i32_i24_e32 v99, v68, v213
	;; [unrolled: 1-line block ×5, first 2 shown]
	v_mad_i32_i24 v0, v253, v188, v0
	v_mul_i32_i24_e32 v103, v74, v217
	v_mul_i32_i24_e32 v110, v77, v219
	;; [unrolled: 1-line block ×4, first 2 shown]
	v_add3_u32 v0, v0, v45, v70
	v_mul_i32_i24_e32 v45, v98, v158
	v_mul_i32_i24_e32 v70, v105, v160
	;; [unrolled: 1-line block ×3, first 2 shown]
	s_delay_alu instid0(VALU_DEP_4) | instskip(SKIP_2) | instid1(VALU_DEP_3)
	v_add3_u32 v0, v0, v75, v83
	v_mul_i32_i24_e32 v75, v254, v161
	v_mul_i32_i24_e32 v83, v38, v164
	v_add3_u32 v0, v0, v80, v81
	v_mul_i32_i24_e32 v80, v106, v162
	v_mul_i32_i24_e32 v81, v107, v156
	;; [unrolled: 1-line block ×3, first 2 shown]
	s_delay_alu instid0(VALU_DEP_4) | instskip(SKIP_2) | instid1(VALU_DEP_3)
	v_add3_u32 v0, v0, v82, v87
	v_mul_i32_i24_e32 v82, v108, v163
	v_mul_i32_i24_e32 v87, v51, v169
	v_add3_u32 v0, v0, v84, v85
	v_mul_i32_i24_e32 v84, v47, v165
	v_mul_i32_i24_e32 v85, v49, v166
	s_delay_alu instid0(VALU_DEP_3) | instskip(SKIP_2) | instid1(VALU_DEP_3)
	v_add3_u32 v0, v0, v86, v91
	v_mul_i32_i24_e32 v86, v50, v167
	v_mul_i32_i24_e32 v91, v55, v172
	v_add3_u32 v0, v0, v88, v89
	v_mul_i32_i24_e32 v88, v52, v170
	v_mul_i32_i24_e32 v89, v53, v159
	s_delay_alu instid0(VALU_DEP_3)
	v_add3_u32 v0, v0, v90, v95
	v_mul_i32_i24_e32 v90, v109, v171
	v_mul_i32_i24_e32 v95, v60, v177
	;; [unrolled: 1-line block ×4, first 2 shown]
	v_add3_u32 v0, v0, v92, v93
	v_mul_i32_i24_e32 v92, v56, v173
	v_mul_i32_i24_e32 v93, v57, v175
	;; [unrolled: 1-line block ×3, first 2 shown]
	s_delay_alu instid0(VALU_DEP_4) | instskip(SKIP_2) | instid1(VALU_DEP_3)
	v_add3_u32 v0, v0, v94, v100
	v_mul_i32_i24_e32 v94, v58, v176
	v_mul_i32_i24_e32 v100, v69, v180
	v_add3_u32 v0, v0, v96, v97
	v_mul_i32_i24_e32 v96, v61, v178
	v_mul_i32_i24_e32 v97, v65, v168
	s_delay_alu instid0(VALU_DEP_3) | instskip(SKIP_2) | instid1(VALU_DEP_3)
	v_add3_u32 v0, v0, v99, v104
	v_mul_i32_i24_e32 v99, v68, v179
	v_mul_i32_i24_e32 v104, v76, v184
	v_add3_u32 v0, v0, v101, v102
	v_mul_i32_i24_e32 v101, v71, v181
	v_mul_i32_i24_e32 v102, v73, v182
	s_delay_alu instid0(VALU_DEP_3) | instskip(SKIP_2) | instid1(VALU_DEP_3)
	v_add3_u32 v0, v0, v103, v110
	v_mul_i32_i24_e32 v103, v74, v183
	v_mul_i32_i24_e32 v110, v77, v185
	v_add3_u32 v0, v0, v111, v112
	v_mul_i32_i24_e32 v111, v78, v174
	v_mul_i32_i24_e32 v112, v79, v186
	s_delay_alu instid0(VALU_DEP_3) | instskip(NEXT) | instid1(VALU_DEP_1)
	v_cvt_f32_i32_e32 v0, v0
	v_fma_mix_f32 v0, v20, v0, -v19 op_sel_hi:[1,0,0]
	s_delay_alu instid0(VALU_DEP_1) | instskip(SKIP_1) | instid1(VALU_DEP_1)
	v_fmac_f32_e32 v23, v187, v0
	v_mul_i32_i24_e32 v0, v39, v157
	v_mad_i32_i24 v0, v253, v155, v0
	s_delay_alu instid0(VALU_DEP_1)
	v_add3_u32 v0, v0, v45, v70
	v_mul_i32_i24_e32 v45, v98, v125
	v_mul_i32_i24_e32 v70, v105, v127
	v_mul_i32_i24_e32 v127, v108, v130
	v_mul_i32_i24_e32 v125, v49, v133
	v_add3_u32 v0, v0, v75, v83
	v_mul_i32_i24_e32 v75, v254, v128
	v_mul_i32_i24_e32 v128, v51, v136
	v_mul_i32_i24_e32 v108, v53, v126
	v_mul_i32_i24_e32 v98, v56, v140
	;; [unrolled: 5-line block ×4, first 2 shown]
	v_add3_u32 v0, v0, v84, v85
	v_mul_i32_i24_e32 v38, v78, v141
	s_delay_alu instid0(VALU_DEP_2) | instskip(NEXT) | instid1(VALU_DEP_1)
	v_add3_u32 v0, v0, v86, v91
	v_add3_u32 v0, v0, v88, v89
	s_delay_alu instid0(VALU_DEP_1) | instskip(NEXT) | instid1(VALU_DEP_1)
	v_add3_u32 v0, v0, v90, v95
	v_add3_u32 v0, v0, v92, v93
	s_delay_alu instid0(VALU_DEP_1) | instskip(NEXT) | instid1(VALU_DEP_1)
	;; [unrolled: 3-line block ×5, first 2 shown]
	v_cvt_f32_i32_e32 v0, v0
	v_fma_mix_f32 v0, v20, v0, -v19 op_sel_hi:[1,0,0]
	s_delay_alu instid0(VALU_DEP_1)
	v_fmac_f32_e32 v22, v154, v0
	v_mul_i32_i24_e32 v0, v39, v124
	v_mul_i32_i24_e32 v154, v107, v123
	;; [unrolled: 1-line block ×5, first 2 shown]
	v_mad_i32_i24 v0, v253, v122, v0
	v_mul_i32_i24_e32 v52, v68, v146
	v_mul_i32_i24_e32 v50, v71, v148
	;; [unrolled: 1-line block ×4, first 2 shown]
	v_add3_u32 v0, v0, v45, v70
	s_delay_alu instid0(VALU_DEP_1) | instskip(NEXT) | instid1(VALU_DEP_1)
	v_add3_u32 v0, v0, v75, v80
	v_add3_u32 v0, v0, v129, v154
	s_delay_alu instid0(VALU_DEP_1) | instskip(NEXT) | instid1(VALU_DEP_1)
	v_add3_u32 v0, v0, v127, v128
	;; [unrolled: 3-line block ×7, first 2 shown]
	v_add3_u32 v0, v0, v38, v39
	s_delay_alu instid0(VALU_DEP_1) | instskip(NEXT) | instid1(VALU_DEP_1)
	v_cvt_f32_i32_e32 v0, v0
	v_fma_mix_f32 v0, v20, v0, -v19 op_sel_hi:[1,0,0]
	s_delay_alu instid0(VALU_DEP_1)
	v_fmac_f32_e32 v21, v121, v0
	s_cbranch_scc1 .LBB158_10
; %bb.11:                               ;   in Loop: Header=BB158_6 Depth=1
	s_barrier
	buffer_gl0_inv
	s_branch .LBB158_5
.LBB158_12:
	s_clause 0x2
	scratch_load_b32 v1, off, off offset:240
	scratch_load_b32 v0, off, off offset:244
	scratch_load_b32 v4, off, off offset:248
.LBB158_13:
	s_mov_b32 s0, exec_lo
	s_waitcnt vmcnt(0)
	v_cmpx_gt_u32_e64 s6, v4
	s_cbranch_execz .LBB158_64
; %bb.14:
	v_add_nc_u32_e32 v0, s12, v0
	v_mul_lo_u32 v5, v4, s10
	s_delay_alu instid0(VALU_DEP_2)
	v_cmp_gt_u32_e32 vcc_lo, s10, v0
	s_and_saveexec_b32 s1, vcc_lo
	s_cbranch_execz .LBB158_16
; %bb.15:
	v_bfe_u32 v3, v41, 16, 1
	s_delay_alu instid0(VALU_DEP_3) | instskip(SKIP_1) | instid1(VALU_DEP_3)
	v_add_nc_u32_e32 v2, v0, v5
	v_cmp_o_f32_e64 s0, v41, v41
	v_add3_u32 v4, v41, v3, 0x7fff
	v_mov_b32_e32 v3, 0
	s_delay_alu instid0(VALU_DEP_2) | instskip(NEXT) | instid1(VALU_DEP_2)
	v_lshrrev_b32_e32 v4, 16, v4
	v_lshlrev_b64 v[2:3], 1, v[2:3]
	s_delay_alu instid0(VALU_DEP_2) | instskip(SKIP_1) | instid1(VALU_DEP_2)
	v_cndmask_b32_e64 v4, 0x7fc0, v4, s0
	s_waitcnt lgkmcnt(0)
	v_add_co_u32 v2, s0, s8, v2
	s_delay_alu instid0(VALU_DEP_1)
	v_add_co_ci_u32_e64 v3, s0, s9, v3, s0
	global_store_b16 v[2:3], v4, off
.LBB158_16:
	s_or_b32 exec_lo, exec_lo, s1
	v_add_nc_u32_e32 v2, 32, v0
	s_delay_alu instid0(VALU_DEP_1) | instskip(NEXT) | instid1(VALU_DEP_1)
	v_cmp_gt_u32_e64 s0, s10, v2
	s_and_saveexec_b32 s2, s0
	s_cbranch_execz .LBB158_18
; %bb.17:
	v_bfe_u32 v4, v72, 16, 1
	v_add_nc_u32_e32 v3, v2, v5
	v_cmp_o_f32_e64 s1, v72, v72
	s_delay_alu instid0(VALU_DEP_3) | instskip(SKIP_1) | instid1(VALU_DEP_2)
	v_add3_u32 v6, v72, v4, 0x7fff
	v_mov_b32_e32 v4, 0
	v_lshrrev_b32_e32 v6, 16, v6
	s_delay_alu instid0(VALU_DEP_2) | instskip(NEXT) | instid1(VALU_DEP_2)
	v_lshlrev_b64 v[3:4], 1, v[3:4]
	v_cndmask_b32_e64 v6, 0x7fc0, v6, s1
	s_waitcnt lgkmcnt(0)
	s_delay_alu instid0(VALU_DEP_2) | instskip(NEXT) | instid1(VALU_DEP_1)
	v_add_co_u32 v3, s1, s8, v3
	v_add_co_ci_u32_e64 v4, s1, s9, v4, s1
	global_store_b16 v[3:4], v6, off
.LBB158_18:
	s_or_b32 exec_lo, exec_lo, s2
	v_add_nc_u32_e32 v3, 64, v0
	s_delay_alu instid0(VALU_DEP_1) | instskip(NEXT) | instid1(VALU_DEP_1)
	v_cmp_gt_u32_e64 s1, s10, v3
	s_and_saveexec_b32 s3, s1
	s_cbranch_execz .LBB158_20
; %bb.19:
	v_bfe_u32 v4, v67, 16, 1
	v_dual_mov_b32 v7, 0 :: v_dual_add_nc_u32 v6, v3, v5
	v_cmp_o_f32_e64 s2, v67, v67
	s_delay_alu instid0(VALU_DEP_3) | instskip(NEXT) | instid1(VALU_DEP_3)
	v_add3_u32 v4, v67, v4, 0x7fff
	v_lshlrev_b64 v[6:7], 1, v[6:7]
	s_delay_alu instid0(VALU_DEP_2) | instskip(NEXT) | instid1(VALU_DEP_1)
	v_lshrrev_b32_e32 v4, 16, v4
	v_cndmask_b32_e64 v4, 0x7fc0, v4, s2
	s_waitcnt lgkmcnt(0)
	s_delay_alu instid0(VALU_DEP_3) | instskip(NEXT) | instid1(VALU_DEP_1)
	v_add_co_u32 v6, s2, s8, v6
	v_add_co_ci_u32_e64 v7, s2, s9, v7, s2
	global_store_b16 v[6:7], v4, off
.LBB158_20:
	s_or_b32 exec_lo, exec_lo, s3
	v_add_nc_u32_e32 v4, 0x60, v0
	s_delay_alu instid0(VALU_DEP_1) | instskip(NEXT) | instid1(VALU_DEP_1)
	v_cmp_gt_u32_e64 s2, s10, v4
	s_and_saveexec_b32 s4, s2
	s_cbranch_execz .LBB158_22
; %bb.21:
	v_bfe_u32 v6, v66, 16, 1
	v_add_nc_u32_e32 v5, v4, v5
	v_cmp_o_f32_e64 s3, v66, v66
	s_delay_alu instid0(VALU_DEP_3) | instskip(SKIP_1) | instid1(VALU_DEP_2)
	v_add3_u32 v7, v66, v6, 0x7fff
	v_mov_b32_e32 v6, 0
	v_lshrrev_b32_e32 v7, 16, v7
	s_delay_alu instid0(VALU_DEP_2) | instskip(NEXT) | instid1(VALU_DEP_2)
	v_lshlrev_b64 v[5:6], 1, v[5:6]
	v_cndmask_b32_e64 v7, 0x7fc0, v7, s3
	s_waitcnt lgkmcnt(0)
	s_delay_alu instid0(VALU_DEP_2) | instskip(NEXT) | instid1(VALU_DEP_1)
	v_add_co_u32 v5, s3, s8, v5
	v_add_co_ci_u32_e64 v6, s3, s9, v6, s3
	global_store_b16 v[5:6], v7, off
.LBB158_22:
	s_or_b32 exec_lo, exec_lo, s4
	v_add3_u32 v5, v1, s11, 8
	s_delay_alu instid0(VALU_DEP_1) | instskip(NEXT) | instid1(VALU_DEP_1)
	v_cmp_gt_u32_e64 s3, s6, v5
	s_and_b32 exec_lo, exec_lo, s3
	s_cbranch_execz .LBB158_64
; %bb.23:
	v_mul_lo_u32 v5, v5, s10
	s_and_saveexec_b32 s4, vcc_lo
	s_cbranch_execnz .LBB158_65
; %bb.24:
	s_or_b32 exec_lo, exec_lo, s4
	s_and_saveexec_b32 s4, s0
	s_cbranch_execnz .LBB158_66
.LBB158_25:
	s_or_b32 exec_lo, exec_lo, s4
	s_and_saveexec_b32 s4, s1
	s_cbranch_execnz .LBB158_67
.LBB158_26:
	s_or_b32 exec_lo, exec_lo, s4
	s_and_saveexec_b32 s4, s2
	s_cbranch_execz .LBB158_28
.LBB158_27:
	v_bfe_u32 v6, v59, 16, 1
	v_add_nc_u32_e32 v5, v5, v4
	v_cmp_o_f32_e64 s3, v59, v59
	s_delay_alu instid0(VALU_DEP_3) | instskip(SKIP_1) | instid1(VALU_DEP_2)
	v_add3_u32 v7, v59, v6, 0x7fff
	v_mov_b32_e32 v6, 0
	v_lshrrev_b32_e32 v7, 16, v7
	s_delay_alu instid0(VALU_DEP_2) | instskip(NEXT) | instid1(VALU_DEP_2)
	v_lshlrev_b64 v[5:6], 1, v[5:6]
	v_cndmask_b32_e64 v7, 0x7fc0, v7, s3
	s_waitcnt lgkmcnt(0)
	s_delay_alu instid0(VALU_DEP_2) | instskip(NEXT) | instid1(VALU_DEP_1)
	v_add_co_u32 v5, s3, s8, v5
	v_add_co_ci_u32_e64 v6, s3, s9, v6, s3
	global_store_b16 v[5:6], v7, off
.LBB158_28:
	s_or_b32 exec_lo, exec_lo, s4
	v_add3_u32 v5, v1, s11, 16
	s_delay_alu instid0(VALU_DEP_1) | instskip(NEXT) | instid1(VALU_DEP_1)
	v_cmp_gt_u32_e64 s3, s6, v5
	s_and_b32 exec_lo, exec_lo, s3
	s_cbranch_execz .LBB158_64
; %bb.29:
	v_mul_lo_u32 v5, v5, s10
	s_and_saveexec_b32 s4, vcc_lo
	s_cbranch_execnz .LBB158_68
; %bb.30:
	s_or_b32 exec_lo, exec_lo, s4
	s_and_saveexec_b32 s4, s0
	s_cbranch_execnz .LBB158_69
.LBB158_31:
	s_or_b32 exec_lo, exec_lo, s4
	s_and_saveexec_b32 s4, s1
	s_cbranch_execnz .LBB158_70
.LBB158_32:
	s_or_b32 exec_lo, exec_lo, s4
	s_and_saveexec_b32 s4, s2
	s_cbranch_execz .LBB158_34
.LBB158_33:
	v_bfe_u32 v6, v44, 16, 1
	v_add_nc_u32_e32 v5, v5, v4
	v_cmp_o_f32_e64 s3, v44, v44
	s_delay_alu instid0(VALU_DEP_3) | instskip(SKIP_1) | instid1(VALU_DEP_2)
	v_add3_u32 v7, v44, v6, 0x7fff
	v_mov_b32_e32 v6, 0
	v_lshrrev_b32_e32 v7, 16, v7
	s_delay_alu instid0(VALU_DEP_2) | instskip(NEXT) | instid1(VALU_DEP_2)
	v_lshlrev_b64 v[5:6], 1, v[5:6]
	v_cndmask_b32_e64 v7, 0x7fc0, v7, s3
	s_waitcnt lgkmcnt(0)
	s_delay_alu instid0(VALU_DEP_2) | instskip(NEXT) | instid1(VALU_DEP_1)
	v_add_co_u32 v5, s3, s8, v5
	v_add_co_ci_u32_e64 v6, s3, s9, v6, s3
	global_store_b16 v[5:6], v7, off
.LBB158_34:
	s_or_b32 exec_lo, exec_lo, s4
	v_add3_u32 v5, v1, s11, 24
	s_delay_alu instid0(VALU_DEP_1) | instskip(NEXT) | instid1(VALU_DEP_1)
	v_cmp_gt_u32_e64 s3, s6, v5
	s_and_b32 exec_lo, exec_lo, s3
	s_cbranch_execz .LBB158_64
; %bb.35:
	v_mul_lo_u32 v5, v5, s10
	s_and_saveexec_b32 s4, vcc_lo
	s_cbranch_execnz .LBB158_71
; %bb.36:
	s_or_b32 exec_lo, exec_lo, s4
	s_and_saveexec_b32 s4, s0
	s_cbranch_execnz .LBB158_72
.LBB158_37:
	s_or_b32 exec_lo, exec_lo, s4
	s_and_saveexec_b32 s4, s1
	s_cbranch_execnz .LBB158_73
.LBB158_38:
	s_or_b32 exec_lo, exec_lo, s4
	s_and_saveexec_b32 s4, s2
	s_cbranch_execz .LBB158_40
.LBB158_39:
	v_bfe_u32 v6, v37, 16, 1
	v_add_nc_u32_e32 v5, v5, v4
	v_cmp_o_f32_e64 s3, v37, v37
	s_delay_alu instid0(VALU_DEP_3) | instskip(SKIP_1) | instid1(VALU_DEP_2)
	v_add3_u32 v7, v37, v6, 0x7fff
	v_mov_b32_e32 v6, 0
	v_lshrrev_b32_e32 v7, 16, v7
	s_delay_alu instid0(VALU_DEP_2) | instskip(NEXT) | instid1(VALU_DEP_2)
	v_lshlrev_b64 v[5:6], 1, v[5:6]
	v_cndmask_b32_e64 v7, 0x7fc0, v7, s3
	s_waitcnt lgkmcnt(0)
	s_delay_alu instid0(VALU_DEP_2) | instskip(NEXT) | instid1(VALU_DEP_1)
	v_add_co_u32 v5, s3, s8, v5
	v_add_co_ci_u32_e64 v6, s3, s9, v6, s3
	global_store_b16 v[5:6], v7, off
.LBB158_40:
	s_or_b32 exec_lo, exec_lo, s4
	v_add3_u32 v5, v1, s11, 32
	s_delay_alu instid0(VALU_DEP_1) | instskip(NEXT) | instid1(VALU_DEP_1)
	v_cmp_gt_u32_e64 s3, s6, v5
	s_and_b32 exec_lo, exec_lo, s3
	s_cbranch_execz .LBB158_64
; %bb.41:
	v_mul_lo_u32 v5, v5, s10
	s_and_saveexec_b32 s4, vcc_lo
	s_cbranch_execnz .LBB158_74
; %bb.42:
	s_or_b32 exec_lo, exec_lo, s4
	s_and_saveexec_b32 s4, s0
	s_cbranch_execnz .LBB158_75
.LBB158_43:
	s_or_b32 exec_lo, exec_lo, s4
	s_and_saveexec_b32 s4, s1
	s_cbranch_execnz .LBB158_76
.LBB158_44:
	s_or_b32 exec_lo, exec_lo, s4
	s_and_saveexec_b32 s4, s2
	s_cbranch_execz .LBB158_46
.LBB158_45:
	v_bfe_u32 v6, v33, 16, 1
	v_add_nc_u32_e32 v5, v5, v4
	v_cmp_o_f32_e64 s3, v33, v33
	s_delay_alu instid0(VALU_DEP_3) | instskip(SKIP_1) | instid1(VALU_DEP_2)
	v_add3_u32 v7, v33, v6, 0x7fff
	v_mov_b32_e32 v6, 0
	v_lshrrev_b32_e32 v7, 16, v7
	s_delay_alu instid0(VALU_DEP_2) | instskip(NEXT) | instid1(VALU_DEP_2)
	v_lshlrev_b64 v[5:6], 1, v[5:6]
	v_cndmask_b32_e64 v7, 0x7fc0, v7, s3
	s_waitcnt lgkmcnt(0)
	s_delay_alu instid0(VALU_DEP_2) | instskip(NEXT) | instid1(VALU_DEP_1)
	v_add_co_u32 v5, s3, s8, v5
	v_add_co_ci_u32_e64 v6, s3, s9, v6, s3
	global_store_b16 v[5:6], v7, off
.LBB158_46:
	s_or_b32 exec_lo, exec_lo, s4
	v_add3_u32 v5, v1, s11, 40
	s_delay_alu instid0(VALU_DEP_1) | instskip(NEXT) | instid1(VALU_DEP_1)
	v_cmp_gt_u32_e64 s3, s6, v5
	s_and_b32 exec_lo, exec_lo, s3
	s_cbranch_execz .LBB158_64
; %bb.47:
	v_mul_lo_u32 v5, v5, s10
	s_and_saveexec_b32 s4, vcc_lo
	s_cbranch_execnz .LBB158_77
; %bb.48:
	s_or_b32 exec_lo, exec_lo, s4
	s_and_saveexec_b32 s4, s0
	s_cbranch_execnz .LBB158_78
.LBB158_49:
	s_or_b32 exec_lo, exec_lo, s4
	s_and_saveexec_b32 s4, s1
	s_cbranch_execnz .LBB158_79
.LBB158_50:
	s_or_b32 exec_lo, exec_lo, s4
	s_and_saveexec_b32 s4, s2
	s_cbranch_execz .LBB158_52
.LBB158_51:
	v_bfe_u32 v6, v29, 16, 1
	v_add_nc_u32_e32 v5, v5, v4
	v_cmp_o_f32_e64 s3, v29, v29
	s_delay_alu instid0(VALU_DEP_3) | instskip(SKIP_1) | instid1(VALU_DEP_2)
	v_add3_u32 v7, v29, v6, 0x7fff
	v_mov_b32_e32 v6, 0
	v_lshrrev_b32_e32 v7, 16, v7
	s_delay_alu instid0(VALU_DEP_2) | instskip(NEXT) | instid1(VALU_DEP_2)
	v_lshlrev_b64 v[5:6], 1, v[5:6]
	v_cndmask_b32_e64 v7, 0x7fc0, v7, s3
	s_waitcnt lgkmcnt(0)
	s_delay_alu instid0(VALU_DEP_2) | instskip(NEXT) | instid1(VALU_DEP_1)
	v_add_co_u32 v5, s3, s8, v5
	v_add_co_ci_u32_e64 v6, s3, s9, v6, s3
	global_store_b16 v[5:6], v7, off
.LBB158_52:
	s_or_b32 exec_lo, exec_lo, s4
	v_add3_u32 v5, v1, s11, 48
	s_delay_alu instid0(VALU_DEP_1) | instskip(NEXT) | instid1(VALU_DEP_1)
	v_cmp_gt_u32_e64 s3, s6, v5
	s_and_b32 exec_lo, exec_lo, s3
	s_cbranch_execz .LBB158_64
; %bb.53:
	v_mul_lo_u32 v5, v5, s10
	s_and_saveexec_b32 s4, vcc_lo
	s_cbranch_execnz .LBB158_80
; %bb.54:
	s_or_b32 exec_lo, exec_lo, s4
	s_and_saveexec_b32 s4, s0
	s_cbranch_execnz .LBB158_81
.LBB158_55:
	s_or_b32 exec_lo, exec_lo, s4
	s_and_saveexec_b32 s4, s1
	s_cbranch_execnz .LBB158_82
.LBB158_56:
	s_or_b32 exec_lo, exec_lo, s4
	s_and_saveexec_b32 s4, s2
	s_cbranch_execz .LBB158_58
.LBB158_57:
	v_bfe_u32 v6, v25, 16, 1
	v_add_nc_u32_e32 v5, v5, v4
	v_cmp_o_f32_e64 s3, v25, v25
	s_delay_alu instid0(VALU_DEP_3) | instskip(SKIP_1) | instid1(VALU_DEP_2)
	v_add3_u32 v7, v25, v6, 0x7fff
	v_mov_b32_e32 v6, 0
	v_lshrrev_b32_e32 v7, 16, v7
	s_delay_alu instid0(VALU_DEP_2) | instskip(NEXT) | instid1(VALU_DEP_2)
	v_lshlrev_b64 v[5:6], 1, v[5:6]
	v_cndmask_b32_e64 v7, 0x7fc0, v7, s3
	s_waitcnt lgkmcnt(0)
	s_delay_alu instid0(VALU_DEP_2) | instskip(NEXT) | instid1(VALU_DEP_1)
	v_add_co_u32 v5, s3, s8, v5
	v_add_co_ci_u32_e64 v6, s3, s9, v6, s3
	global_store_b16 v[5:6], v7, off
.LBB158_58:
	s_or_b32 exec_lo, exec_lo, s4
	v_add3_u32 v1, v1, s11, 56
	s_delay_alu instid0(VALU_DEP_1) | instskip(NEXT) | instid1(VALU_DEP_1)
	v_cmp_gt_u32_e64 s3, s6, v1
	s_and_b32 exec_lo, exec_lo, s3
	s_cbranch_execz .LBB158_64
; %bb.59:
	v_mul_lo_u32 v1, v1, s10
	s_and_saveexec_b32 s3, vcc_lo
	s_cbranch_execnz .LBB158_83
; %bb.60:
	s_or_b32 exec_lo, exec_lo, s3
	s_and_saveexec_b32 s3, s0
	s_cbranch_execnz .LBB158_84
.LBB158_61:
	s_or_b32 exec_lo, exec_lo, s3
	s_and_saveexec_b32 s0, s1
	s_cbranch_execnz .LBB158_85
.LBB158_62:
	s_or_b32 exec_lo, exec_lo, s0
	s_delay_alu instid0(SALU_CYCLE_1)
	s_and_b32 exec_lo, exec_lo, s2
	s_cbranch_execz .LBB158_64
.LBB158_63:
	v_bfe_u32 v2, v21, 16, 1
	v_dual_mov_b32 v1, 0 :: v_dual_add_nc_u32 v0, v1, v4
	v_cmp_o_f32_e32 vcc_lo, v21, v21
	s_delay_alu instid0(VALU_DEP_3) | instskip(NEXT) | instid1(VALU_DEP_3)
	v_add3_u32 v2, v21, v2, 0x7fff
	v_lshlrev_b64 v[0:1], 1, v[0:1]
	s_delay_alu instid0(VALU_DEP_2) | instskip(NEXT) | instid1(VALU_DEP_1)
	v_lshrrev_b32_e32 v2, 16, v2
	v_cndmask_b32_e32 v2, 0x7fc0, v2, vcc_lo
	s_waitcnt lgkmcnt(0)
	s_delay_alu instid0(VALU_DEP_3) | instskip(NEXT) | instid1(VALU_DEP_4)
	v_add_co_u32 v0, vcc_lo, s8, v0
	v_add_co_ci_u32_e32 v1, vcc_lo, s9, v1, vcc_lo
	global_store_b16 v[0:1], v2, off
.LBB158_64:
	s_nop 0
	s_sendmsg sendmsg(MSG_DEALLOC_VGPRS)
	s_endpgm
.LBB158_65:
	v_bfe_u32 v7, v64, 16, 1
	s_delay_alu instid0(VALU_DEP_2) | instskip(SKIP_1) | instid1(VALU_DEP_3)
	v_add_nc_u32_e32 v6, v5, v0
	v_cmp_o_f32_e64 s3, v64, v64
	v_add3_u32 v8, v64, v7, 0x7fff
	v_mov_b32_e32 v7, 0
	s_delay_alu instid0(VALU_DEP_2) | instskip(NEXT) | instid1(VALU_DEP_2)
	v_lshrrev_b32_e32 v8, 16, v8
	v_lshlrev_b64 v[6:7], 1, v[6:7]
	s_delay_alu instid0(VALU_DEP_2) | instskip(SKIP_1) | instid1(VALU_DEP_2)
	v_cndmask_b32_e64 v8, 0x7fc0, v8, s3
	s_waitcnt lgkmcnt(0)
	v_add_co_u32 v6, s3, s8, v6
	s_delay_alu instid0(VALU_DEP_1)
	v_add_co_ci_u32_e64 v7, s3, s9, v7, s3
	global_store_b16 v[6:7], v8, off
	s_or_b32 exec_lo, exec_lo, s4
	s_and_saveexec_b32 s4, s0
	s_cbranch_execz .LBB158_25
.LBB158_66:
	v_bfe_u32 v7, v63, 16, 1
	s_delay_alu instid0(VALU_DEP_2) | instskip(SKIP_1) | instid1(VALU_DEP_3)
	v_add_nc_u32_e32 v6, v5, v2
	v_cmp_o_f32_e64 s3, v63, v63
	v_add3_u32 v8, v63, v7, 0x7fff
	v_mov_b32_e32 v7, 0
	s_delay_alu instid0(VALU_DEP_2) | instskip(NEXT) | instid1(VALU_DEP_2)
	v_lshrrev_b32_e32 v8, 16, v8
	v_lshlrev_b64 v[6:7], 1, v[6:7]
	s_delay_alu instid0(VALU_DEP_2) | instskip(SKIP_1) | instid1(VALU_DEP_2)
	v_cndmask_b32_e64 v8, 0x7fc0, v8, s3
	s_waitcnt lgkmcnt(0)
	v_add_co_u32 v6, s3, s8, v6
	s_delay_alu instid0(VALU_DEP_1)
	v_add_co_ci_u32_e64 v7, s3, s9, v7, s3
	global_store_b16 v[6:7], v8, off
	s_or_b32 exec_lo, exec_lo, s4
	s_and_saveexec_b32 s4, s1
	s_cbranch_execz .LBB158_26
.LBB158_67:
	v_bfe_u32 v7, v62, 16, 1
	v_add_nc_u32_e32 v6, v5, v3
	v_cmp_o_f32_e64 s3, v62, v62
	s_delay_alu instid0(VALU_DEP_3) | instskip(SKIP_1) | instid1(VALU_DEP_2)
	v_add3_u32 v8, v62, v7, 0x7fff
	v_mov_b32_e32 v7, 0
	v_lshrrev_b32_e32 v8, 16, v8
	s_delay_alu instid0(VALU_DEP_2) | instskip(NEXT) | instid1(VALU_DEP_2)
	v_lshlrev_b64 v[6:7], 1, v[6:7]
	v_cndmask_b32_e64 v8, 0x7fc0, v8, s3
	s_waitcnt lgkmcnt(0)
	s_delay_alu instid0(VALU_DEP_2) | instskip(NEXT) | instid1(VALU_DEP_1)
	v_add_co_u32 v6, s3, s8, v6
	v_add_co_ci_u32_e64 v7, s3, s9, v7, s3
	global_store_b16 v[6:7], v8, off
	s_or_b32 exec_lo, exec_lo, s4
	s_and_saveexec_b32 s4, s2
	s_cbranch_execnz .LBB158_27
	s_branch .LBB158_28
.LBB158_68:
	v_bfe_u32 v7, v54, 16, 1
	s_delay_alu instid0(VALU_DEP_2) | instskip(SKIP_1) | instid1(VALU_DEP_3)
	v_add_nc_u32_e32 v6, v5, v0
	v_cmp_o_f32_e64 s3, v54, v54
	v_add3_u32 v8, v54, v7, 0x7fff
	v_mov_b32_e32 v7, 0
	s_delay_alu instid0(VALU_DEP_2) | instskip(NEXT) | instid1(VALU_DEP_2)
	v_lshrrev_b32_e32 v8, 16, v8
	v_lshlrev_b64 v[6:7], 1, v[6:7]
	s_delay_alu instid0(VALU_DEP_2) | instskip(SKIP_1) | instid1(VALU_DEP_2)
	v_cndmask_b32_e64 v8, 0x7fc0, v8, s3
	s_waitcnt lgkmcnt(0)
	v_add_co_u32 v6, s3, s8, v6
	s_delay_alu instid0(VALU_DEP_1)
	v_add_co_ci_u32_e64 v7, s3, s9, v7, s3
	global_store_b16 v[6:7], v8, off
	s_or_b32 exec_lo, exec_lo, s4
	s_and_saveexec_b32 s4, s0
	s_cbranch_execz .LBB158_31
.LBB158_69:
	v_bfe_u32 v7, v48, 16, 1
	s_delay_alu instid0(VALU_DEP_2) | instskip(SKIP_1) | instid1(VALU_DEP_3)
	v_add_nc_u32_e32 v6, v5, v2
	v_cmp_o_f32_e64 s3, v48, v48
	v_add3_u32 v8, v48, v7, 0x7fff
	v_mov_b32_e32 v7, 0
	s_delay_alu instid0(VALU_DEP_2) | instskip(NEXT) | instid1(VALU_DEP_2)
	v_lshrrev_b32_e32 v8, 16, v8
	v_lshlrev_b64 v[6:7], 1, v[6:7]
	s_delay_alu instid0(VALU_DEP_2) | instskip(SKIP_1) | instid1(VALU_DEP_2)
	v_cndmask_b32_e64 v8, 0x7fc0, v8, s3
	s_waitcnt lgkmcnt(0)
	v_add_co_u32 v6, s3, s8, v6
	s_delay_alu instid0(VALU_DEP_1)
	v_add_co_ci_u32_e64 v7, s3, s9, v7, s3
	global_store_b16 v[6:7], v8, off
	s_or_b32 exec_lo, exec_lo, s4
	s_and_saveexec_b32 s4, s1
	s_cbranch_execz .LBB158_32
.LBB158_70:
	v_bfe_u32 v7, v46, 16, 1
	v_add_nc_u32_e32 v6, v5, v3
	v_cmp_o_f32_e64 s3, v46, v46
	s_delay_alu instid0(VALU_DEP_3) | instskip(SKIP_1) | instid1(VALU_DEP_2)
	v_add3_u32 v8, v46, v7, 0x7fff
	v_mov_b32_e32 v7, 0
	v_lshrrev_b32_e32 v8, 16, v8
	s_delay_alu instid0(VALU_DEP_2) | instskip(NEXT) | instid1(VALU_DEP_2)
	v_lshlrev_b64 v[6:7], 1, v[6:7]
	v_cndmask_b32_e64 v8, 0x7fc0, v8, s3
	s_waitcnt lgkmcnt(0)
	s_delay_alu instid0(VALU_DEP_2) | instskip(NEXT) | instid1(VALU_DEP_1)
	v_add_co_u32 v6, s3, s8, v6
	v_add_co_ci_u32_e64 v7, s3, s9, v7, s3
	global_store_b16 v[6:7], v8, off
	s_or_b32 exec_lo, exec_lo, s4
	s_and_saveexec_b32 s4, s2
	s_cbranch_execnz .LBB158_33
	s_branch .LBB158_34
.LBB158_71:
	v_bfe_u32 v7, v43, 16, 1
	s_delay_alu instid0(VALU_DEP_2) | instskip(SKIP_1) | instid1(VALU_DEP_3)
	v_add_nc_u32_e32 v6, v5, v0
	v_cmp_o_f32_e64 s3, v43, v43
	v_add3_u32 v8, v43, v7, 0x7fff
	v_mov_b32_e32 v7, 0
	s_delay_alu instid0(VALU_DEP_2) | instskip(NEXT) | instid1(VALU_DEP_2)
	v_lshrrev_b32_e32 v8, 16, v8
	v_lshlrev_b64 v[6:7], 1, v[6:7]
	s_delay_alu instid0(VALU_DEP_2) | instskip(SKIP_1) | instid1(VALU_DEP_2)
	v_cndmask_b32_e64 v8, 0x7fc0, v8, s3
	s_waitcnt lgkmcnt(0)
	v_add_co_u32 v6, s3, s8, v6
	s_delay_alu instid0(VALU_DEP_1)
	v_add_co_ci_u32_e64 v7, s3, s9, v7, s3
	global_store_b16 v[6:7], v8, off
	s_or_b32 exec_lo, exec_lo, s4
	s_and_saveexec_b32 s4, s0
	s_cbranch_execz .LBB158_37
.LBB158_72:
	v_bfe_u32 v7, v42, 16, 1
	s_delay_alu instid0(VALU_DEP_2) | instskip(SKIP_1) | instid1(VALU_DEP_3)
	v_add_nc_u32_e32 v6, v5, v2
	v_cmp_o_f32_e64 s3, v42, v42
	v_add3_u32 v8, v42, v7, 0x7fff
	v_mov_b32_e32 v7, 0
	s_delay_alu instid0(VALU_DEP_2) | instskip(NEXT) | instid1(VALU_DEP_2)
	v_lshrrev_b32_e32 v8, 16, v8
	v_lshlrev_b64 v[6:7], 1, v[6:7]
	s_delay_alu instid0(VALU_DEP_2) | instskip(SKIP_1) | instid1(VALU_DEP_2)
	v_cndmask_b32_e64 v8, 0x7fc0, v8, s3
	s_waitcnt lgkmcnt(0)
	v_add_co_u32 v6, s3, s8, v6
	s_delay_alu instid0(VALU_DEP_1)
	v_add_co_ci_u32_e64 v7, s3, s9, v7, s3
	global_store_b16 v[6:7], v8, off
	s_or_b32 exec_lo, exec_lo, s4
	s_and_saveexec_b32 s4, s1
	s_cbranch_execz .LBB158_38
.LBB158_73:
	v_bfe_u32 v7, v40, 16, 1
	v_add_nc_u32_e32 v6, v5, v3
	v_cmp_o_f32_e64 s3, v40, v40
	s_delay_alu instid0(VALU_DEP_3) | instskip(SKIP_1) | instid1(VALU_DEP_2)
	v_add3_u32 v8, v40, v7, 0x7fff
	v_mov_b32_e32 v7, 0
	v_lshrrev_b32_e32 v8, 16, v8
	s_delay_alu instid0(VALU_DEP_2) | instskip(NEXT) | instid1(VALU_DEP_2)
	v_lshlrev_b64 v[6:7], 1, v[6:7]
	v_cndmask_b32_e64 v8, 0x7fc0, v8, s3
	s_waitcnt lgkmcnt(0)
	s_delay_alu instid0(VALU_DEP_2) | instskip(NEXT) | instid1(VALU_DEP_1)
	v_add_co_u32 v6, s3, s8, v6
	v_add_co_ci_u32_e64 v7, s3, s9, v7, s3
	global_store_b16 v[6:7], v8, off
	s_or_b32 exec_lo, exec_lo, s4
	s_and_saveexec_b32 s4, s2
	s_cbranch_execnz .LBB158_39
	s_branch .LBB158_40
.LBB158_74:
	v_bfe_u32 v7, v36, 16, 1
	s_delay_alu instid0(VALU_DEP_2) | instskip(SKIP_1) | instid1(VALU_DEP_3)
	v_add_nc_u32_e32 v6, v5, v0
	v_cmp_o_f32_e64 s3, v36, v36
	v_add3_u32 v8, v36, v7, 0x7fff
	v_mov_b32_e32 v7, 0
	s_delay_alu instid0(VALU_DEP_2) | instskip(NEXT) | instid1(VALU_DEP_2)
	v_lshrrev_b32_e32 v8, 16, v8
	v_lshlrev_b64 v[6:7], 1, v[6:7]
	s_delay_alu instid0(VALU_DEP_2) | instskip(SKIP_1) | instid1(VALU_DEP_2)
	v_cndmask_b32_e64 v8, 0x7fc0, v8, s3
	s_waitcnt lgkmcnt(0)
	v_add_co_u32 v6, s3, s8, v6
	s_delay_alu instid0(VALU_DEP_1)
	v_add_co_ci_u32_e64 v7, s3, s9, v7, s3
	global_store_b16 v[6:7], v8, off
	s_or_b32 exec_lo, exec_lo, s4
	s_and_saveexec_b32 s4, s0
	s_cbranch_execz .LBB158_43
.LBB158_75:
	v_bfe_u32 v7, v35, 16, 1
	s_delay_alu instid0(VALU_DEP_2) | instskip(SKIP_1) | instid1(VALU_DEP_3)
	v_add_nc_u32_e32 v6, v5, v2
	v_cmp_o_f32_e64 s3, v35, v35
	v_add3_u32 v8, v35, v7, 0x7fff
	v_mov_b32_e32 v7, 0
	s_delay_alu instid0(VALU_DEP_2) | instskip(NEXT) | instid1(VALU_DEP_2)
	v_lshrrev_b32_e32 v8, 16, v8
	v_lshlrev_b64 v[6:7], 1, v[6:7]
	s_delay_alu instid0(VALU_DEP_2) | instskip(SKIP_1) | instid1(VALU_DEP_2)
	v_cndmask_b32_e64 v8, 0x7fc0, v8, s3
	s_waitcnt lgkmcnt(0)
	v_add_co_u32 v6, s3, s8, v6
	s_delay_alu instid0(VALU_DEP_1)
	v_add_co_ci_u32_e64 v7, s3, s9, v7, s3
	global_store_b16 v[6:7], v8, off
	s_or_b32 exec_lo, exec_lo, s4
	s_and_saveexec_b32 s4, s1
	s_cbranch_execz .LBB158_44
.LBB158_76:
	v_bfe_u32 v7, v34, 16, 1
	v_add_nc_u32_e32 v6, v5, v3
	v_cmp_o_f32_e64 s3, v34, v34
	s_delay_alu instid0(VALU_DEP_3) | instskip(SKIP_1) | instid1(VALU_DEP_2)
	v_add3_u32 v8, v34, v7, 0x7fff
	v_mov_b32_e32 v7, 0
	v_lshrrev_b32_e32 v8, 16, v8
	s_delay_alu instid0(VALU_DEP_2) | instskip(NEXT) | instid1(VALU_DEP_2)
	v_lshlrev_b64 v[6:7], 1, v[6:7]
	v_cndmask_b32_e64 v8, 0x7fc0, v8, s3
	s_waitcnt lgkmcnt(0)
	s_delay_alu instid0(VALU_DEP_2) | instskip(NEXT) | instid1(VALU_DEP_1)
	v_add_co_u32 v6, s3, s8, v6
	v_add_co_ci_u32_e64 v7, s3, s9, v7, s3
	global_store_b16 v[6:7], v8, off
	s_or_b32 exec_lo, exec_lo, s4
	s_and_saveexec_b32 s4, s2
	s_cbranch_execnz .LBB158_45
	s_branch .LBB158_46
.LBB158_77:
	v_bfe_u32 v7, v32, 16, 1
	s_delay_alu instid0(VALU_DEP_2) | instskip(SKIP_1) | instid1(VALU_DEP_3)
	v_add_nc_u32_e32 v6, v5, v0
	v_cmp_o_f32_e64 s3, v32, v32
	v_add3_u32 v8, v32, v7, 0x7fff
	v_mov_b32_e32 v7, 0
	s_delay_alu instid0(VALU_DEP_2) | instskip(NEXT) | instid1(VALU_DEP_2)
	v_lshrrev_b32_e32 v8, 16, v8
	v_lshlrev_b64 v[6:7], 1, v[6:7]
	s_delay_alu instid0(VALU_DEP_2) | instskip(SKIP_1) | instid1(VALU_DEP_2)
	v_cndmask_b32_e64 v8, 0x7fc0, v8, s3
	s_waitcnt lgkmcnt(0)
	v_add_co_u32 v6, s3, s8, v6
	s_delay_alu instid0(VALU_DEP_1)
	v_add_co_ci_u32_e64 v7, s3, s9, v7, s3
	global_store_b16 v[6:7], v8, off
	s_or_b32 exec_lo, exec_lo, s4
	s_and_saveexec_b32 s4, s0
	s_cbranch_execz .LBB158_49
.LBB158_78:
	v_bfe_u32 v7, v31, 16, 1
	s_delay_alu instid0(VALU_DEP_2) | instskip(SKIP_1) | instid1(VALU_DEP_3)
	v_add_nc_u32_e32 v6, v5, v2
	v_cmp_o_f32_e64 s3, v31, v31
	v_add3_u32 v8, v31, v7, 0x7fff
	v_mov_b32_e32 v7, 0
	s_delay_alu instid0(VALU_DEP_2) | instskip(NEXT) | instid1(VALU_DEP_2)
	v_lshrrev_b32_e32 v8, 16, v8
	v_lshlrev_b64 v[6:7], 1, v[6:7]
	s_delay_alu instid0(VALU_DEP_2) | instskip(SKIP_1) | instid1(VALU_DEP_2)
	v_cndmask_b32_e64 v8, 0x7fc0, v8, s3
	s_waitcnt lgkmcnt(0)
	v_add_co_u32 v6, s3, s8, v6
	s_delay_alu instid0(VALU_DEP_1)
	v_add_co_ci_u32_e64 v7, s3, s9, v7, s3
	global_store_b16 v[6:7], v8, off
	s_or_b32 exec_lo, exec_lo, s4
	s_and_saveexec_b32 s4, s1
	s_cbranch_execz .LBB158_50
.LBB158_79:
	v_bfe_u32 v7, v30, 16, 1
	v_add_nc_u32_e32 v6, v5, v3
	v_cmp_o_f32_e64 s3, v30, v30
	s_delay_alu instid0(VALU_DEP_3) | instskip(SKIP_1) | instid1(VALU_DEP_2)
	v_add3_u32 v8, v30, v7, 0x7fff
	v_mov_b32_e32 v7, 0
	v_lshrrev_b32_e32 v8, 16, v8
	s_delay_alu instid0(VALU_DEP_2) | instskip(NEXT) | instid1(VALU_DEP_2)
	v_lshlrev_b64 v[6:7], 1, v[6:7]
	v_cndmask_b32_e64 v8, 0x7fc0, v8, s3
	s_waitcnt lgkmcnt(0)
	s_delay_alu instid0(VALU_DEP_2) | instskip(NEXT) | instid1(VALU_DEP_1)
	v_add_co_u32 v6, s3, s8, v6
	v_add_co_ci_u32_e64 v7, s3, s9, v7, s3
	global_store_b16 v[6:7], v8, off
	s_or_b32 exec_lo, exec_lo, s4
	s_and_saveexec_b32 s4, s2
	s_cbranch_execnz .LBB158_51
	s_branch .LBB158_52
.LBB158_80:
	v_bfe_u32 v7, v28, 16, 1
	s_delay_alu instid0(VALU_DEP_2) | instskip(SKIP_1) | instid1(VALU_DEP_3)
	v_add_nc_u32_e32 v6, v5, v0
	v_cmp_o_f32_e64 s3, v28, v28
	v_add3_u32 v8, v28, v7, 0x7fff
	v_mov_b32_e32 v7, 0
	s_delay_alu instid0(VALU_DEP_2) | instskip(NEXT) | instid1(VALU_DEP_2)
	v_lshrrev_b32_e32 v8, 16, v8
	v_lshlrev_b64 v[6:7], 1, v[6:7]
	s_delay_alu instid0(VALU_DEP_2) | instskip(SKIP_1) | instid1(VALU_DEP_2)
	v_cndmask_b32_e64 v8, 0x7fc0, v8, s3
	s_waitcnt lgkmcnt(0)
	v_add_co_u32 v6, s3, s8, v6
	s_delay_alu instid0(VALU_DEP_1)
	v_add_co_ci_u32_e64 v7, s3, s9, v7, s3
	global_store_b16 v[6:7], v8, off
	s_or_b32 exec_lo, exec_lo, s4
	s_and_saveexec_b32 s4, s0
	s_cbranch_execz .LBB158_55
.LBB158_81:
	v_bfe_u32 v7, v27, 16, 1
	s_delay_alu instid0(VALU_DEP_2) | instskip(SKIP_1) | instid1(VALU_DEP_3)
	v_add_nc_u32_e32 v6, v5, v2
	v_cmp_o_f32_e64 s3, v27, v27
	v_add3_u32 v8, v27, v7, 0x7fff
	v_mov_b32_e32 v7, 0
	s_delay_alu instid0(VALU_DEP_2) | instskip(NEXT) | instid1(VALU_DEP_2)
	v_lshrrev_b32_e32 v8, 16, v8
	v_lshlrev_b64 v[6:7], 1, v[6:7]
	s_delay_alu instid0(VALU_DEP_2) | instskip(SKIP_1) | instid1(VALU_DEP_2)
	v_cndmask_b32_e64 v8, 0x7fc0, v8, s3
	s_waitcnt lgkmcnt(0)
	v_add_co_u32 v6, s3, s8, v6
	s_delay_alu instid0(VALU_DEP_1)
	v_add_co_ci_u32_e64 v7, s3, s9, v7, s3
	global_store_b16 v[6:7], v8, off
	s_or_b32 exec_lo, exec_lo, s4
	s_and_saveexec_b32 s4, s1
	s_cbranch_execz .LBB158_56
.LBB158_82:
	v_bfe_u32 v7, v26, 16, 1
	v_add_nc_u32_e32 v6, v5, v3
	v_cmp_o_f32_e64 s3, v26, v26
	s_delay_alu instid0(VALU_DEP_3) | instskip(SKIP_1) | instid1(VALU_DEP_2)
	v_add3_u32 v8, v26, v7, 0x7fff
	v_mov_b32_e32 v7, 0
	v_lshrrev_b32_e32 v8, 16, v8
	s_delay_alu instid0(VALU_DEP_2) | instskip(NEXT) | instid1(VALU_DEP_2)
	v_lshlrev_b64 v[6:7], 1, v[6:7]
	v_cndmask_b32_e64 v8, 0x7fc0, v8, s3
	s_waitcnt lgkmcnt(0)
	s_delay_alu instid0(VALU_DEP_2) | instskip(NEXT) | instid1(VALU_DEP_1)
	v_add_co_u32 v6, s3, s8, v6
	v_add_co_ci_u32_e64 v7, s3, s9, v7, s3
	global_store_b16 v[6:7], v8, off
	s_or_b32 exec_lo, exec_lo, s4
	s_and_saveexec_b32 s4, s2
	s_cbranch_execnz .LBB158_57
	s_branch .LBB158_58
.LBB158_83:
	v_bfe_u32 v6, v24, 16, 1
	s_delay_alu instid0(VALU_DEP_2) | instskip(SKIP_1) | instid1(VALU_DEP_3)
	v_add_nc_u32_e32 v5, v1, v0
	v_cmp_o_f32_e32 vcc_lo, v24, v24
	v_add3_u32 v0, v24, v6, 0x7fff
	v_mov_b32_e32 v6, 0
	s_delay_alu instid0(VALU_DEP_2) | instskip(NEXT) | instid1(VALU_DEP_2)
	v_lshrrev_b32_e32 v0, 16, v0
	v_lshlrev_b64 v[5:6], 1, v[5:6]
	s_delay_alu instid0(VALU_DEP_2) | instskip(SKIP_1) | instid1(VALU_DEP_2)
	v_cndmask_b32_e32 v0, 0x7fc0, v0, vcc_lo
	s_waitcnt lgkmcnt(0)
	v_add_co_u32 v5, vcc_lo, s8, v5
	s_delay_alu instid0(VALU_DEP_3)
	v_add_co_ci_u32_e32 v6, vcc_lo, s9, v6, vcc_lo
	global_store_b16 v[5:6], v0, off
	s_or_b32 exec_lo, exec_lo, s3
	s_and_saveexec_b32 s3, s0
	s_cbranch_execz .LBB158_61
.LBB158_84:
	v_bfe_u32 v0, v23, 16, 1
	s_delay_alu instid0(VALU_DEP_2) | instskip(SKIP_1) | instid1(VALU_DEP_3)
	v_dual_mov_b32 v6, 0 :: v_dual_add_nc_u32 v5, v1, v2
	v_cmp_o_f32_e32 vcc_lo, v23, v23
	v_add3_u32 v0, v23, v0, 0x7fff
	s_delay_alu instid0(VALU_DEP_3) | instskip(NEXT) | instid1(VALU_DEP_2)
	v_lshlrev_b64 v[5:6], 1, v[5:6]
	v_lshrrev_b32_e32 v0, 16, v0
	s_delay_alu instid0(VALU_DEP_1) | instskip(SKIP_1) | instid1(VALU_DEP_3)
	v_cndmask_b32_e32 v0, 0x7fc0, v0, vcc_lo
	s_waitcnt lgkmcnt(0)
	v_add_co_u32 v5, vcc_lo, s8, v5
	s_delay_alu instid0(VALU_DEP_4)
	v_add_co_ci_u32_e32 v6, vcc_lo, s9, v6, vcc_lo
	global_store_b16 v[5:6], v0, off
	s_or_b32 exec_lo, exec_lo, s3
	s_and_saveexec_b32 s0, s1
	s_cbranch_execz .LBB158_62
.LBB158_85:
	v_bfe_u32 v0, v22, 16, 1
	v_dual_mov_b32 v3, 0 :: v_dual_add_nc_u32 v2, v1, v3
	v_cmp_o_f32_e32 vcc_lo, v22, v22
	s_delay_alu instid0(VALU_DEP_3) | instskip(NEXT) | instid1(VALU_DEP_3)
	v_add3_u32 v0, v22, v0, 0x7fff
	v_lshlrev_b64 v[2:3], 1, v[2:3]
	s_delay_alu instid0(VALU_DEP_2) | instskip(NEXT) | instid1(VALU_DEP_1)
	v_lshrrev_b32_e32 v0, 16, v0
	v_cndmask_b32_e32 v0, 0x7fc0, v0, vcc_lo
	s_waitcnt lgkmcnt(0)
	s_delay_alu instid0(VALU_DEP_3) | instskip(NEXT) | instid1(VALU_DEP_4)
	v_add_co_u32 v2, vcc_lo, s8, v2
	v_add_co_ci_u32_e32 v3, vcc_lo, s9, v3, vcc_lo
	global_store_b16 v[2:3], v0, off
	s_or_b32 exec_lo, exec_lo, s0
	s_delay_alu instid0(SALU_CYCLE_1)
	s_and_b32 exec_lo, exec_lo, s2
	s_cbranch_execnz .LBB158_63
	s_branch .LBB158_64
	.section	.rodata,"a",@progbits
	.p2align	6, 0x0
	.amdhsa_kernel _ZL12mul_mat_q4_0IN3c108BFloat16ELb1EEvPKvS3_PT_iiiii
		.amdhsa_group_segment_fixed_size 30336
		.amdhsa_private_segment_fixed_size 256
		.amdhsa_kernarg_size 44
		.amdhsa_user_sgpr_count 14
		.amdhsa_user_sgpr_dispatch_ptr 0
		.amdhsa_user_sgpr_queue_ptr 0
		.amdhsa_user_sgpr_kernarg_segment_ptr 1
		.amdhsa_user_sgpr_dispatch_id 0
		.amdhsa_user_sgpr_private_segment_size 0
		.amdhsa_wavefront_size32 1
		.amdhsa_uses_dynamic_stack 0
		.amdhsa_enable_private_segment 1
		.amdhsa_system_sgpr_workgroup_id_x 1
		.amdhsa_system_sgpr_workgroup_id_y 1
		.amdhsa_system_sgpr_workgroup_id_z 0
		.amdhsa_system_sgpr_workgroup_info 0
		.amdhsa_system_vgpr_workitem_id 1
		.amdhsa_next_free_vgpr 256
		.amdhsa_next_free_sgpr 16
		.amdhsa_reserve_vcc 1
		.amdhsa_float_round_mode_32 0
		.amdhsa_float_round_mode_16_64 0
		.amdhsa_float_denorm_mode_32 3
		.amdhsa_float_denorm_mode_16_64 3
		.amdhsa_dx10_clamp 1
		.amdhsa_ieee_mode 1
		.amdhsa_fp16_overflow 0
		.amdhsa_workgroup_processor_mode 1
		.amdhsa_memory_ordered 1
		.amdhsa_forward_progress 0
		.amdhsa_shared_vgpr_count 0
		.amdhsa_exception_fp_ieee_invalid_op 0
		.amdhsa_exception_fp_denorm_src 0
		.amdhsa_exception_fp_ieee_div_zero 0
		.amdhsa_exception_fp_ieee_overflow 0
		.amdhsa_exception_fp_ieee_underflow 0
		.amdhsa_exception_fp_ieee_inexact 0
		.amdhsa_exception_int_div_zero 0
	.end_amdhsa_kernel
	.section	.text._ZL12mul_mat_q4_0IN3c108BFloat16ELb1EEvPKvS3_PT_iiiii,"axG",@progbits,_ZL12mul_mat_q4_0IN3c108BFloat16ELb1EEvPKvS3_PT_iiiii,comdat
.Lfunc_end158:
	.size	_ZL12mul_mat_q4_0IN3c108BFloat16ELb1EEvPKvS3_PT_iiiii, .Lfunc_end158-_ZL12mul_mat_q4_0IN3c108BFloat16ELb1EEvPKvS3_PT_iiiii
                                        ; -- End function
	.section	.AMDGPU.csdata,"",@progbits
; Kernel info:
; codeLenInByte = 33816
; NumSgprs: 18
; NumVgprs: 256
; ScratchSize: 256
; MemoryBound: 0
; FloatMode: 240
; IeeeMode: 1
; LDSByteSize: 30336 bytes/workgroup (compile time only)
; SGPRBlocks: 2
; VGPRBlocks: 31
; NumSGPRsForWavesPerEU: 18
; NumVGPRsForWavesPerEU: 256
; Occupancy: 5
; WaveLimiterHint : 0
; COMPUTE_PGM_RSRC2:SCRATCH_EN: 1
; COMPUTE_PGM_RSRC2:USER_SGPR: 14
; COMPUTE_PGM_RSRC2:TRAP_HANDLER: 0
; COMPUTE_PGM_RSRC2:TGID_X_EN: 1
; COMPUTE_PGM_RSRC2:TGID_Y_EN: 1
; COMPUTE_PGM_RSRC2:TGID_Z_EN: 0
; COMPUTE_PGM_RSRC2:TIDIG_COMP_CNT: 1
	.section	.text._ZL12mul_mat_q4_1IN3c108BFloat16ELb0EEvPKvS3_PT_iiiii,"axG",@progbits,_ZL12mul_mat_q4_1IN3c108BFloat16ELb0EEvPKvS3_PT_iiiii,comdat
	.globl	_ZL12mul_mat_q4_1IN3c108BFloat16ELb0EEvPKvS3_PT_iiiii ; -- Begin function _ZL12mul_mat_q4_1IN3c108BFloat16ELb0EEvPKvS3_PT_iiiii
	.p2align	8
	.type	_ZL12mul_mat_q4_1IN3c108BFloat16ELb0EEvPKvS3_PT_iiiii,@function
_ZL12mul_mat_q4_1IN3c108BFloat16ELb0EEvPKvS3_PT_iiiii: ; @_ZL12mul_mat_q4_1IN3c108BFloat16ELb0EEvPKvS3_PT_iiiii
; %bb.0:
	s_clause 0x1
	s_load_b32 s11, s[0:1], 0x18
	s_load_b128 s[4:7], s[0:1], 0x20
	v_bfe_u32 v30, v0, 10, 10
	v_and_b32_e32 v39, 0x3ff, v0
	s_waitcnt lgkmcnt(0)
	s_lshl_b32 s7, s15, 6
	s_cmp_gt_i32 s11, 31
	s_cbranch_scc1 .LBB159_2
; %bb.1:
	v_bfe_u32 v1, v0, 10, 10
	v_and_b32_e32 v0, 0x3ff, v0
	s_mov_b32 s2, 0
	s_mov_b32 s3, 0
	s_delay_alu instid0(VALU_DEP_2)
	v_add_nc_u32_e32 v2, s7, v1
	s_branch .LBB159_3
.LBB159_2:
	s_mov_b32 s2, -1
                                        ; implicit-def: $sgpr3
                                        ; implicit-def: $vgpr1
                                        ; implicit-def: $vgpr0
                                        ; implicit-def: $vgpr2
.LBB159_3:
	s_load_b64 s[8:9], s[0:1], 0x10
	v_dual_mov_b32 v5, s3 :: v_dual_mov_b32 v32, s3
	v_dual_mov_b32 v9, s3 :: v_dual_mov_b32 v6, s3
	;; [unrolled: 1-line block ×16, first 2 shown]
	s_and_not1_b32 vcc_lo, exec_lo, s2
	s_lshl_b32 s10, s14, 7
	s_cbranch_vccnz .LBB159_13
; %bb.4:
	s_load_b128 s[0:3], s[0:1], 0x0
	s_ashr_i32 s12, s11, 31
	s_ashr_i32 s13, s5, 31
	s_lshr_b32 s12, s12, 27
	s_lshr_b32 s13, s13, 27
	s_add_i32 s11, s11, s12
	v_dual_mov_b32 v36, 0 :: v_dual_add_nc_u32 v13, s7, v30
	s_add_i32 s12, s5, s13
	s_ashr_i32 s5, s11, 5
	s_ashr_i32 s12, s12, 5
	s_mul_i32 s13, s5, s10
	v_add_nc_u32_e32 v4, 16, v13
	v_add_nc_u32_e32 v8, 24, v13
	;; [unrolled: 1-line block ×3, first 2 shown]
	s_mul_hi_i32 s14, s13, 20
	s_mul_i32 s13, s13, 20
	v_add_nc_u32_e32 v14, 48, v13
	v_cvt_f64_u32_e32 v[4:5], v4
	v_cvt_f64_u32_e32 v[8:9], v8
	s_waitcnt lgkmcnt(0)
	s_add_u32 s0, s0, s13
	s_addc_u32 s1, s1, s14
	s_add_i32 s13, s4, -1
	v_cvt_f64_u32_e32 v[10:11], v10
	v_cvt_f64_i32_e32 v[6:7], s13
	v_cvt_f64_u32_e32 v[14:15], v14
	v_lshlrev_b32_e32 v19, 2, v39
	v_mul_lo_u32 v27, s5, v30
	v_dual_mov_b32 v35, 0 :: v_dual_add_nc_u32 v2, 8, v13
	v_add_nc_u32_e32 v12, 40, v13
	v_add_nc_u32_e32 v16, 56, v13
	v_and_b32_e32 v25, 12, v19
	v_mad_u32_u24 v26, 0x84, v30, v19
	v_cvt_f64_u32_e32 v[0:1], v13
	v_cvt_f64_u32_e32 v[2:3], v2
	;; [unrolled: 1-line block ×3, first 2 shown]
	v_lshrrev_b32_e32 v24, 2, v39
	v_and_b32_e32 v23, 7, v39
	v_lshrrev_b32_e32 v22, 3, v39
	scratch_store_b32 off, v25, off offset:24 ; 4-byte Folded Spill
	v_dual_mov_b32 v37, 0 :: v_dual_add_nc_u32 v28, 0x420, v26
	s_clause 0x1
	scratch_store_b32 off, v27, off offset:32
	scratch_store_b32 off, v13, off offset:240
	v_cvt_f64_u32_e32 v[12:13], v12
	scratch_store_b32 off, v28, off offset:40 ; 4-byte Folded Spill
	v_add_nc_u32_e32 v28, 0x840, v26
	s_lshl_b32 s14, s5, 3
	v_dual_mov_b32 v33, 0 :: v_dual_and_b32 v18, 3, v39
	v_dual_mov_b32 v38, 0 :: v_dual_add_nc_u32 v27, s14, v27
	scratch_store_b32 off, v28, off offset:44 ; 4-byte Folded Spill
	v_add_nc_u32_e32 v28, 0xc60, v26
	s_clause 0x2
	scratch_store_b32 off, v22, off offset:20
	scratch_store_b32 off, v23, off offset:16
	;; [unrolled: 1-line block ×3, first 2 shown]
	v_lshl_add_u32 v24, v30, 3, v24
	scratch_store_b32 off, v28, off offset:48 ; 4-byte Folded Spill
	v_add_nc_u32_e32 v28, 0x1080, v26
	s_clause 0x1
	scratch_store_b32 off, v28, off offset:52
	scratch_store_b32 off, v27, off offset:36
	v_min_f64 v[4:5], v[4:5], v[6:7]
	v_min_f64 v[8:9], v[8:9], v[6:7]
	;; [unrolled: 1-line block ×4, first 2 shown]
	v_add_nc_u32_e32 v27, s14, v27
	v_add_nc_u32_e32 v28, 0x14a0, v26
	v_min_f64 v[0:1], v[0:1], v[6:7]
	v_min_f64 v[2:3], v[2:3], v[6:7]
	v_dual_mov_b32 v34, 0 :: v_dual_lshlrev_b32 v25, 2, v18
	scratch_store_b32 off, v27, off offset:56 ; 4-byte Folded Spill
	v_and_b32_e32 v24, 63, v24
	v_add_nc_u32_e32 v27, s14, v27
	v_and_b32_e32 v20, 31, v39
	v_lshlrev_b32_e32 v21, 7, v30
	v_lshl_add_u32 v22, v30, 2, v22
	s_and_not1_b32 s11, s11, 31
	v_min_f64 v[12:13], v[12:13], v[6:7]
	v_min_f64 v[6:7], v[16:17], v[6:7]
	v_add_nc_u32_e32 v16, 0x18c0, v26
	scratch_store_b32 off, v28, off offset:64 ; 4-byte Folded Spill
	v_add_nc_u32_e32 v17, 0x2100, v26
	v_lshl_or_b32 v20, v20, 2, v21
	v_mul_lo_u32 v31, s5, v22
	scratch_store_b32 off, v16, off offset:68 ; 4-byte Folded Spill
	v_add_nc_u32_e32 v16, 0x1ce0, v26
	s_clause 0x2
	scratch_store_b32 off, v16, off offset:72
	scratch_store_b32 off, v27, off offset:60
	scratch_store_b32 off, v17, off offset:80
	v_add_nc_u32_e32 v17, 0x2520, v26
	v_add_nc_u32_e32 v16, s14, v27
	;; [unrolled: 1-line block ×6, first 2 shown]
	v_cvt_i32_f64_e32 v4, v[4:5]
	v_cvt_i32_f64_e32 v5, v[8:9]
	;; [unrolled: 1-line block ×4, first 2 shown]
	v_lshl_or_b32 v14, v24, 4, v25
	v_add_nc_u32_e32 v94, 0x5a00, v20
	v_add_nc_u32_e32 v96, 0x5e00, v20
	v_dual_mov_b32 v42, 0 :: v_dual_and_b32 v19, 28, v19
	s_delay_alu instid0(VALU_DEP_4)
	v_dual_mov_b32 v14, 0 :: v_dual_add_nc_u32 v83, 0x7280, v14
	scratch_store_b32 off, v17, off offset:84 ; 4-byte Folded Spill
	v_add_nc_u32_e32 v17, 0x2940, v26
	v_lshl_add_u32 v104, v30, 4, 0x7280
	scratch_store_b32 off, v17, off offset:88 ; 4-byte Folded Spill
	v_add_nc_u32_e32 v17, 0x2d60, v26
	s_clause 0x1
	scratch_store_b32 off, v17, off offset:92
	scratch_store_b32 off, v16, off offset:76
	v_add_nc_u32_e32 v17, 0x3180, v26
	v_add_nc_u32_e32 v16, s14, v16
	v_cvt_i32_f64_e32 v6, v[6:7]
	v_cvt_i32_f64_e32 v9, v[12:13]
	scratch_store_b32 off, v17, off offset:100 ; 4-byte Folded Spill
	v_add_nc_u32_e32 v17, 0x35a0, v26
	v_add_nc_u32_e32 v27, s14, v16
	scratch_store_b32 off, v17, off offset:104 ; 4-byte Folded Spill
	v_add_nc_u32_e32 v17, 0x39c0, v26
	s_clause 0x1
	scratch_store_b32 off, v17, off offset:108
	scratch_store_b32 off, v26, off offset:28
	v_add_nc_u32_e32 v17, 0x3de0, v26
	v_add_nc_u32_e32 v28, s14, v27
	s_clause 0x4
	scratch_store_b32 off, v17, off offset:112
	scratch_store_b32 off, v16, off offset:96
	;; [unrolled: 1-line block ×3, first 2 shown]
	scratch_store_b32 off, v29, off
	scratch_store_b32 off, v28, off offset:124
	v_add_nc_u32_e32 v28, s14, v28
	v_add_nc_u32_e32 v29, 0x4600, v20
	v_and_b32_e32 v16, 0x7fc, v22
	v_add_nc_u32_e32 v26, 32, v22
	v_lshlrev_b32_e32 v17, 5, v22
	v_add_nc_u32_e32 v32, s14, v28
	s_clause 0x1
	scratch_store_b32 off, v29, off offset:4
	scratch_store_b32 off, v31, off offset:120
	v_dual_mov_b32 v20, 0 :: v_dual_add_nc_u32 v29, 0x4a00, v20
	v_lshlrev_b32_e32 v23, 2, v23
	v_add_nc_u32_e32 v27, 64, v22
	v_add_nc_u32_e32 v22, 0x60, v22
	scratch_store_b32 off, v29, off offset:8 ; 4-byte Folded Spill
	v_cvt_i32_f64_e32 v29, v[2:3]
	v_add_nc_u32_e32 v3, s14, v32
	scratch_store_b32 off, v28, off offset:128 ; 4-byte Folded Spill
	v_cvt_i32_f64_e32 v28, v[0:1]
	v_add3_u32 v10, v16, v23, 0x6200
	v_and_b32_e32 v0, 0xffc, v26
	v_add_nc_u32_e32 v16, s14, v3
	v_and_b32_e32 v2, 0xffc, v22
	v_and_b32_e32 v1, 0xffc, v27
	v_lshlrev_b32_e32 v13, 5, v22
	v_add3_u32 v15, v0, v23, 0x6200
	v_add_nc_u32_e32 v0, s14, v16
	scratch_store_b32 off, v3, off offset:136 ; 4-byte Folded Spill
	v_or_b32_e32 v3, s7, v24
	v_add3_u32 v22, v2, v23, 0x6200
	v_add_nc_u32_e32 v2, s11, v31
	s_clause 0x1
	scratch_store_b32 off, v32, off offset:132
	scratch_store_b32 off, v16, off offset:140
	v_add3_u32 v16, v1, v23, 0x6200
	v_add_nc_u32_e32 v23, s14, v0
	scratch_store_b32 off, v0, off offset:144 ; 4-byte Folded Spill
	v_add_co_u32 v0, s15, s2, v19
	v_min_i32_e32 v19, s13, v3
	scratch_store_b32 off, v23, off offset:152 ; 4-byte Folded Spill
	v_add_nc_u32_e32 v24, s11, v2
	scratch_store_b32 off, v2, off offset:148 ; 4-byte Folded Spill
	v_add_nc_u32_e32 v23, s14, v23
	v_mad_u64_u32 v[2:3], null, v19, s12, v[18:19]
	scratch_store_b32 off, v24, off offset:156 ; 4-byte Folded Spill
	v_add_nc_u32_e32 v3, s11, v24
	s_clause 0x1
	scratch_store_b32 off, v3, off offset:164
	scratch_store_b32 off, v23, off offset:160
	v_add_nc_u32_e32 v3, s14, v23
	v_mul_lo_u32 v93, s12, v11
	v_mul_u32_u24_e32 v11, 0x84, v39
	v_mul_lo_u32 v88, s12, v4
	v_mul_lo_u32 v89, s12, v5
	scratch_store_b32 off, v3, off offset:168 ; 4-byte Folded Spill
	v_add_nc_u32_e32 v3, 0x60, v39
	v_mul_lo_u32 v95, s12, v6
	v_add_nc_u32_e32 v4, 64, v39
	v_add_nc_u32_e32 v5, 32, v39
	v_lshlrev_b32_e32 v6, 5, v39
	v_and_b32_e32 v3, 0x1fc, v3
	v_mul_lo_u32 v90, s12, v8
	v_and_b32_e32 v4, 0x1fc, v4
	v_and_b32_e32 v8, 0x1fc, v5
	v_lshrrev_b32_e32 v5, 3, v5
	v_add_nc_u32_e32 v3, v6, v3
	v_mul_lo_u32 v91, s12, v9
	v_add_nc_u32_e32 v4, v6, v4
	v_and_b32_e32 v9, 0xfc, v39
	scratch_store_b32 off, v5, off offset:208 ; 4-byte Folded Spill
	v_add_nc_u32_e32 v5, 0x6e00, v3
	scratch_store_b32 off, v11, off offset:172 ; 4-byte Folded Spill
	v_add_nc_u32_e32 v8, v6, v8
	v_add_nc_u32_e32 v6, v6, v9
	;; [unrolled: 1-line block ×3, first 2 shown]
	s_clause 0x1
	scratch_store_b32 off, v5, off offset:176
	scratch_store_b32 off, v30, off offset:232
	v_add_nc_u32_e32 v5, 0x6a00, v4
	v_lshlrev_b32_e32 v7, 5, v26
	v_lshlrev_b32_e32 v12, 5, v27
	v_mul_lo_u32 v86, s12, v28
	v_mul_lo_u32 v87, s12, v29
	scratch_store_b32 off, v5, off offset:180 ; 4-byte Folded Spill
	v_add_nc_u32_e32 v5, 0x6600, v8
	v_add_co_ci_u32_e64 v1, null, s3, 0, s15
	v_dual_mov_b32 v31, 0 :: v_dual_mov_b32 v24, 0
	scratch_store_b32 off, v5, off offset:184 ; 4-byte Folded Spill
	v_add_nc_u32_e32 v5, 0x6200, v6
	v_mov_b32_e32 v29, 0
	v_mov_b32_e32 v23, 0
	;; [unrolled: 1-line block ×4, first 2 shown]
	s_clause 0x2
	scratch_store_b32 off, v5, off offset:188
	scratch_store_b32 off, v3, off offset:212
	;; [unrolled: 1-line block ×3, first 2 shown]
	v_mad_u32_u24 v3, 0x84, v39, 64
	v_mov_b32_e32 v28, 0
	v_mov_b32_e32 v18, 0
	v_dual_mov_b32 v32, 0 :: v_dual_mov_b32 v27, 0
	scratch_store_b32 off, v3, off offset:216 ; 4-byte Folded Spill
	v_add_nc_u32_e32 v3, 0x6a10, v4
	v_mov_b32_e32 v9, 0
	v_mov_b32_e32 v5, 0
	s_mov_b32 s11, 0
	scratch_store_b32 off, v3, off offset:220 ; 4-byte Folded Spill
	v_dual_mov_b32 v8, 0 :: v_dual_add_nc_u32 v3, 0x6610, v8
	scratch_store_b32 off, v3, off offset:224 ; 4-byte Folded Spill
	v_dual_mov_b32 v6, 0 :: v_dual_add_nc_u32 v3, 0x6210, v6
	scratch_store_b32 off, v3, off offset:228 ; 4-byte Folded Spill
	v_dual_mov_b32 v10, 0 :: v_dual_add_nc_u32 v3, v10, v17
	v_mov_b32_e32 v17, 0
	scratch_store_b32 off, v3, off offset:192 ; 4-byte Folded Spill
	v_add_nc_u32_e32 v3, v15, v7
	v_mov_b32_e32 v15, 0
	v_mov_b32_e32 v7, 0
	scratch_store_b32 off, v3, off offset:196 ; 4-byte Folded Spill
	v_dual_mov_b32 v16, 0 :: v_dual_add_nc_u32 v3, v16, v12
	v_dual_mov_b32 v12, 0 :: v_dual_add_nc_u32 v103, 0x4200, v21
	v_mov_b32_e32 v21, 0
	scratch_store_b32 off, v3, off offset:200 ; 4-byte Folded Spill
	v_dual_mov_b32 v22, 0 :: v_dual_add_nc_u32 v3, v22, v13
	v_mov_b32_e32 v13, 0
	scratch_store_b32 off, v3, off offset:204 ; 4-byte Folded Spill
	s_branch .LBB159_6
.LBB159_5:                              ;   in Loop: Header=BB159_6 Depth=1
	s_add_i32 s11, s11, 8
	s_delay_alu instid0(SALU_CYCLE_1)
	s_cmp_ge_i32 s11, s5
	s_cbranch_scc1 .LBB159_12
.LBB159_6:                              ; =>This Loop Header: Depth=1
                                        ;     Child Loop BB159_7 Depth 2
                                        ;     Child Loop BB159_10 Depth 2
	s_clause 0x1
	scratch_load_b32 v25, off, off offset:12
	scratch_load_b32 v30, off, off offset:32
	s_mul_i32 s12, s11, 20
	s_mul_hi_u32 s13, s11, 20
	s_add_u32 s12, s0, s12
	s_addc_u32 s13, s1, s13
	v_dual_mov_b32 v115, v104 :: v_dual_add_nc_u32 v114, s11, v2
	v_mov_b32_e32 v116, v103
	s_waitcnt vmcnt(1)
	v_mad_u64_u32 v[3:4], null, v25, 20, s[12:13]
	scratch_load_b32 v25, off, off offset:24 ; 4-byte Folded Reload
	s_waitcnt vmcnt(0)
	v_add_co_u32 v3, vcc_lo, v3, v25
	v_add_co_ci_u32_e32 v4, vcc_lo, 0, v4, vcc_lo
	s_delay_alu instid0(VALU_DEP_2) | instskip(NEXT) | instid1(VALU_DEP_2)
	v_add_co_u32 v3, vcc_lo, v3, 4
	v_add_co_ci_u32_e32 v4, vcc_lo, 0, v4, vcc_lo
	s_delay_alu instid0(VALU_DEP_1)
	v_mad_u64_u32 v[25:26], null, v30, 20, v[3:4]
	scratch_load_b32 v30, off, off offset:36 ; 4-byte Folded Reload
	s_waitcnt vmcnt(0)
	v_mad_u64_u32 v[47:48], null, v30, 20, v[3:4]
	scratch_load_b32 v30, off, off offset:56 ; 4-byte Folded Reload
	s_waitcnt vmcnt(0)
	;; [unrolled: 3-line block ×7, first 2 shown]
	v_mad_u64_u32 v[64:65], null, v30, 20, v[3:4]
	s_clause 0x7
	global_load_b32 v30, v[25:26], off
	global_load_b32 v43, v[47:48], off
	;; [unrolled: 1-line block ×8, first 2 shown]
	scratch_load_b32 v39, off, off offset:128 ; 4-byte Folded Reload
	s_waitcnt vmcnt(0)
	v_mad_u64_u32 v[25:26], null, v39, 20, v[3:4]
	scratch_load_b32 v39, off, off offset:132 ; 4-byte Folded Reload
	s_waitcnt vmcnt(0)
	v_mad_u64_u32 v[47:48], null, v39, 20, v[3:4]
	;; [unrolled: 3-line block ×6, first 2 shown]
	scratch_load_b32 v39, off, off offset:152 ; 4-byte Folded Reload
	s_mov_b32 s12, -4
	s_waitcnt vmcnt(0)
	v_mad_u64_u32 v[62:63], null, v39, 20, v[3:4]
	scratch_load_b32 v39, off, off offset:160 ; 4-byte Folded Reload
	s_waitcnt vmcnt(0)
	v_mad_u64_u32 v[64:65], null, v39, 20, v[3:4]
	scratch_load_b32 v39, off, off offset:168 ; 4-byte Folded Reload
	;; [unrolled: 3-line block ×7, first 2 shown]
	s_clause 0xb
	global_load_b32 v124, v[25:26], off
	global_load_b32 v125, v[47:48], off
	;; [unrolled: 1-line block ×12, first 2 shown]
	s_waitcnt vmcnt(12)
	v_add_nc_u32_e32 v59, s11, v39
	s_delay_alu instid0(VALU_DEP_1)
	v_add_nc_u32_e32 v25, v59, v86
	v_add_nc_u32_e32 v47, v59, v87
	;; [unrolled: 1-line block ×5, first 2 shown]
	v_mad_i64_i32 v[3:4], null, v25, 36, v[0:1]
	v_add_nc_u32_e32 v60, v59, v91
	v_mad_i64_i32 v[25:26], null, v47, 36, v[0:1]
	v_add_nc_u32_e32 v62, v59, v93
	;; [unrolled: 2-line block ×3, first 2 shown]
	v_mad_i64_i32 v[49:50], null, v53, 36, v[0:1]
	v_mad_i64_i32 v[53:54], null, v57, 36, v[0:1]
	;; [unrolled: 1-line block ×5, first 2 shown]
	v_mad_u64_u32 v[64:65], null, v114, 36, s[2:3]
	s_clause 0x8
	global_load_b32 v3, v[3:4], off offset:4
	global_load_b32 v4, v[25:26], off offset:4
	global_load_b32 v25, v[47:48], off offset:4
	global_load_b32 v26, v[49:50], off offset:4
	global_load_b32 v47, v[53:54], off offset:4
	global_load_b32 v48, v[57:58], off offset:4
	global_load_b32 v49, v[59:60], off offset:4
	global_load_b32 v50, v[62:63], off offset:4
	global_load_b32 v53, v[64:65], off
	s_clause 0x5
	scratch_load_b32 v117, off, off offset:172
	scratch_load_b32 v118, off, off offset:188
	;; [unrolled: 1-line block ×6, first 2 shown]
	s_waitcnt vmcnt(0)
	ds_store_b32 v39, v30
	scratch_load_b32 v30, off, off offset:40 ; 4-byte Folded Reload
	s_waitcnt vmcnt(0)
	ds_store_b32 v30, v43
	scratch_load_b32 v30, off, off offset:44 ; 4-byte Folded Reload
	;; [unrolled: 3-line block ×19, first 2 shown]
	s_waitcnt vmcnt(0)
	ds_store_b32 v30, v109
	scratch_load_b32 v30, off, off          ; 4-byte Folded Reload
	s_waitcnt vmcnt(0)
	ds_store_b32 v30, v3
	scratch_load_b32 v3, off, off offset:4  ; 4-byte Folded Reload
	s_waitcnt vmcnt(0)
	ds_store_b32 v3, v4
	scratch_load_b32 v3, off, off offset:8  ; 4-byte Folded Reload
	s_waitcnt vmcnt(0)
	ds_store_b32 v3, v25
	ds_store_b32 v73, v26
	;; [unrolled: 1-line block ×7, first 2 shown]
	s_waitcnt lgkmcnt(0)
	s_waitcnt_vscnt null, 0x0
	s_barrier
	buffer_gl0_inv
.LBB159_7:                              ;   Parent Loop BB159_6 Depth=1
                                        ; =>  This Inner Loop Header: Depth=2
	ds_load_b128 v[47:50], v116
	ds_load_b128 v[57:60], v116 offset:16
	ds_load_2addr_b32 v[3:4], v115 offset1:32
	ds_load_b32 v152, v118
	ds_load_2addr_b32 v[25:26], v117 offset1:1
	s_add_i32 s12, s12, 4
	v_add_nc_u32_e32 v118, 4, v118
	s_cmp_lt_u32 s12, 12
	s_waitcnt lgkmcnt(4)
	v_bfe_i32 v30, v47, 0, 8
	s_waitcnt lgkmcnt(3)
	v_bfe_i32 v54, v57, 0, 8
	v_bfe_i32 v63, v48, 0, 8
	s_waitcnt lgkmcnt(0)
	v_bfe_u32 v155, v25, 20, 4
	v_and_b32_e32 v156, 15, v25
	v_bfe_u32 v157, v25, 8, 4
	v_bfe_u32 v159, v25, 16, 4
	;; [unrolled: 1-line block ×5, first 2 shown]
	v_lshrrev_b32_e32 v162, 28, v25
	v_bfe_u32 v158, v26, 20, 4
	v_and_b32_e32 v163, 15, v26
	v_bfe_u32 v164, v26, 8, 4
	v_bfe_u32 v165, v26, 16, 4
	;; [unrolled: 1-line block ×5, first 2 shown]
	v_lshrrev_b32_e32 v171, 28, v26
	ds_load_2addr_b32 v[25:26], v117 offset0:2 offset1:3
	v_bfe_i32 v84, v58, 0, 8
	v_mul_i32_i24_e32 v122, v156, v30
	v_bfe_i32 v43, v47, 8, 8
	v_bfe_i32 v106, v49, 0, 8
	v_mul_i32_i24_e32 v129, v163, v63
	v_mul_i32_i24_e32 v133, v168, v84
	v_mad_i32_i24 v122, v153, v54, v122
	v_bfe_i32 v53, v47, 16, 8
	v_ashrrev_i32_e32 v47, 24, v47
	v_mul_i32_i24_e32 v123, v157, v43
	v_bfe_i32 v109, v59, 0, 8
	v_add3_u32 v122, v122, v129, v133
	v_bfe_i32 v112, v50, 0, 8
	v_mul_i32_i24_e32 v124, v159, v53
	v_mul_i32_i24_e32 v125, v160, v47
	v_bfe_i32 v55, v57, 8, 8
	v_bfe_i32 v62, v57, 16, 8
	v_ashrrev_i32_e32 v57, 24, v57
	v_bfe_i32 v64, v48, 8, 8
	s_waitcnt lgkmcnt(0)
	v_and_b32_e32 v172, 15, v25
	v_bfe_u32 v177, v25, 4, 4
	v_and_b32_e32 v181, 15, v26
	v_mul_i32_i24_e32 v126, v161, v55
	v_mul_i32_i24_e32 v127, v155, v62
	;; [unrolled: 1-line block ×5, first 2 shown]
	v_bfe_i32 v65, v48, 16, 8
	v_ashrrev_i32_e32 v48, 24, v48
	v_add3_u32 v122, v122, v137, v123
	v_mul_i32_i24_e32 v128, v162, v57
	v_mul_i32_i24_e32 v130, v164, v64
	v_bfe_i32 v98, v58, 8, 8
	v_bfe_i32 v150, v60, 0, 8
	v_add3_u32 v122, v122, v124, v125
	v_mul_i32_i24_e32 v131, v165, v65
	v_mul_i32_i24_e32 v132, v167, v48
	v_bfe_u32 v185, v26, 4, 4
	v_bfe_i32 v105, v58, 16, 8
	v_add3_u32 v122, v122, v141, v144
	v_ashrrev_i32_e32 v58, 24, v58
	v_mul_i32_i24_e32 v134, v169, v98
	v_mul_i32_i24_e32 v149, v185, v150
	v_bfe_i32 v107, v49, 8, 8
	v_add3_u32 v122, v122, v126, v127
	v_bfe_i32 v108, v49, 16, 8
	v_mul_i32_i24_e32 v135, v158, v105
	v_mul_i32_i24_e32 v136, v171, v58
	v_bfe_u32 v173, v25, 8, 4
	v_add3_u32 v122, v122, v128, v130
	v_bfe_u32 v175, v25, 16, 4
	v_ashrrev_i32_e32 v49, 24, v49
	v_bfe_i32 v110, v59, 8, 8
	v_mul_i32_i24_e32 v138, v173, v107
	v_add3_u32 v122, v122, v131, v132
	v_mul_i32_i24_e32 v139, v175, v108
	v_bfe_u32 v176, v25, 24, 4
	v_bfe_u32 v178, v25, 12, 4
	v_bfe_i32 v111, v59, 16, 8
	v_add3_u32 v122, v122, v149, v134
	v_ashrrev_i32_e32 v59, 24, v59
	v_bfe_u32 v166, v25, 20, 4
	v_mul_i32_i24_e32 v140, v176, v49
	v_mul_i32_i24_e32 v142, v178, v110
	v_add3_u32 v122, v122, v135, v136
	v_lshrrev_b32_e32 v179, 28, v25
	v_bfe_i32 v113, v50, 8, 8
	v_bfe_i32 v148, v50, 16, 8
	v_mul_i32_i24_e32 v143, v166, v111
	v_add3_u32 v122, v122, v138, v139
	v_mul_i32_i24_e32 v25, v179, v59
	v_bfe_u32 v182, v26, 8, 4
	v_bfe_u32 v183, v26, 16, 4
	v_ashrrev_i32_e32 v50, 24, v50
	v_add3_u32 v122, v122, v140, v142
	v_bfe_i32 v151, v60, 8, 8
	v_mul_i32_i24_e32 v145, v182, v113
	v_mul_i32_i24_e32 v146, v183, v148
	v_bfe_u32 v184, v26, 24, 4
	v_bfe_u32 v186, v26, 12, 4
	v_add3_u32 v25, v122, v143, v25
	v_bfe_i32 v254, v60, 16, 8
	v_ashrrev_i32_e32 v60, 24, v60
	v_bfe_u32 v174, v26, 20, 4
	v_mul_i32_i24_e32 v147, v184, v50
	v_mul_i32_i24_e32 v154, v186, v151
	v_lshrrev_b32_e32 v188, 28, v26
	v_add3_u32 v25, v25, v145, v146
	v_mul_i32_i24_e32 v170, v174, v254
	s_delay_alu instid0(VALU_DEP_3) | instskip(NEXT) | instid1(VALU_DEP_3)
	v_mul_i32_i24_e32 v26, v188, v60
	v_add3_u32 v25, v25, v147, v154
	s_delay_alu instid0(VALU_DEP_1) | instskip(SKIP_1) | instid1(VALU_DEP_2)
	v_add3_u32 v25, v25, v170, v26
	v_pk_mul_f16 v26, v3, v152
	v_cvt_f32_i32_e32 v25, v25
	s_delay_alu instid0(VALU_DEP_1) | instskip(NEXT) | instid1(VALU_DEP_1)
	v_fma_mix_f32 v25, v26, v25, v26 op_sel:[0,0,1] op_sel_hi:[1,0,1]
	v_add_f32_e32 v35, v35, v25
	v_add_nc_u32_e32 v25, 0x1080, v117
	ds_load_b32 v154, v119
	ds_load_2addr_b32 v[25:26], v25 offset1:1
	v_add_nc_u32_e32 v119, 4, v119
	s_waitcnt lgkmcnt(0)
	v_bfe_u32 v187, v25, 20, 4
	v_and_b32_e32 v189, 15, v25
	v_bfe_u32 v190, v25, 8, 4
	v_bfe_u32 v192, v25, 16, 4
	;; [unrolled: 1-line block ×5, first 2 shown]
	v_lshrrev_b32_e32 v195, 28, v25
	v_add_nc_u32_e32 v25, 0x1088, v117
	v_bfe_u32 v191, v26, 20, 4
	v_and_b32_e32 v196, 15, v26
	v_bfe_u32 v197, v26, 8, 4
	v_bfe_u32 v198, v26, 16, 4
	;; [unrolled: 1-line block ×5, first 2 shown]
	v_lshrrev_b32_e32 v203, 28, v26
	ds_load_2addr_b32 v[25:26], v25 offset1:1
	v_mul_i32_i24_e32 v122, v189, v30
	v_mul_i32_i24_e32 v129, v196, v63
	;; [unrolled: 1-line block ×5, first 2 shown]
	v_mad_i32_i24 v122, v170, v54, v122
	v_mul_i32_i24_e32 v125, v193, v47
	v_mul_i32_i24_e32 v126, v194, v55
	;; [unrolled: 1-line block ×4, first 2 shown]
	v_add3_u32 v122, v122, v129, v133
	v_mul_i32_i24_e32 v130, v197, v64
	v_mul_i32_i24_e32 v131, v198, v65
	v_mul_i32_i24_e32 v132, v199, v48
	v_mul_i32_i24_e32 v134, v202, v98
	v_mul_i32_i24_e32 v135, v191, v105
	v_mul_i32_i24_e32 v136, v203, v58
	s_waitcnt lgkmcnt(0)
	v_and_b32_e32 v205, 15, v25
	v_bfe_u32 v210, v25, 4, 4
	v_and_b32_e32 v213, 15, v26
	v_bfe_u32 v217, v26, 4, 4
	v_bfe_u32 v206, v25, 8, 4
	v_mul_i32_i24_e32 v137, v205, v106
	v_mul_i32_i24_e32 v141, v210, v109
	;; [unrolled: 1-line block ×4, first 2 shown]
	v_bfe_u32 v208, v25, 16, 4
	v_add3_u32 v122, v122, v137, v123
	v_mul_i32_i24_e32 v138, v206, v107
	v_bfe_u32 v209, v25, 24, 4
	v_bfe_u32 v211, v25, 12, 4
	v_mul_i32_i24_e32 v139, v208, v108
	v_add3_u32 v122, v122, v124, v125
	v_bfe_u32 v200, v25, 20, 4
	v_mul_i32_i24_e32 v140, v209, v49
	v_mul_i32_i24_e32 v142, v211, v110
	v_lshrrev_b32_e32 v212, 28, v25
	v_add3_u32 v122, v122, v141, v144
	v_mul_i32_i24_e32 v143, v200, v111
	v_bfe_u32 v214, v26, 8, 4
	v_bfe_u32 v215, v26, 16, 4
	v_mul_i32_i24_e32 v25, v212, v59
	v_add3_u32 v122, v122, v126, v127
	v_bfe_u32 v216, v26, 24, 4
	v_mul_i32_i24_e32 v145, v214, v113
	v_mul_i32_i24_e32 v146, v215, v148
	v_bfe_u32 v218, v26, 12, 4
	v_add3_u32 v122, v122, v128, v130
	v_bfe_u32 v207, v26, 20, 4
	v_mul_i32_i24_e32 v147, v216, v50
	v_lshrrev_b32_e32 v220, 28, v26
	v_mul_i32_i24_e32 v180, v218, v151
	v_add3_u32 v122, v122, v131, v132
	v_mul_i32_i24_e32 v204, v207, v254
	s_delay_alu instid0(VALU_DEP_4) | instskip(NEXT) | instid1(VALU_DEP_3)
	v_mul_i32_i24_e32 v26, v220, v60
	v_add3_u32 v122, v122, v149, v134
	s_delay_alu instid0(VALU_DEP_1) | instskip(NEXT) | instid1(VALU_DEP_1)
	v_add3_u32 v122, v122, v135, v136
	v_add3_u32 v122, v122, v138, v139
	s_delay_alu instid0(VALU_DEP_1) | instskip(NEXT) | instid1(VALU_DEP_1)
	v_add3_u32 v122, v122, v140, v142
	;; [unrolled: 3-line block ×3, first 2 shown]
	v_add3_u32 v25, v25, v147, v180
	s_delay_alu instid0(VALU_DEP_1) | instskip(SKIP_1) | instid1(VALU_DEP_2)
	v_add3_u32 v25, v25, v204, v26
	v_pk_mul_f16 v26, v3, v154
	v_cvt_f32_i32_e32 v25, v25
	s_delay_alu instid0(VALU_DEP_1) | instskip(NEXT) | instid1(VALU_DEP_1)
	v_fma_mix_f32 v25, v26, v25, v26 op_sel:[0,0,1] op_sel_hi:[1,0,1]
	v_add_f32_e32 v42, v42, v25
	v_add_nc_u32_e32 v25, 0x2100, v117
	ds_load_b32 v180, v120
	ds_load_2addr_b32 v[25:26], v25 offset1:1
	v_add_nc_u32_e32 v120, 4, v120
	s_waitcnt lgkmcnt(0)
	v_bfe_u32 v219, v25, 20, 4
	v_and_b32_e32 v221, 15, v25
	v_bfe_u32 v222, v25, 8, 4
	v_bfe_u32 v224, v25, 16, 4
	v_bfe_u32 v225, v25, 24, 4
	v_bfe_u32 v204, v25, 4, 4
	v_bfe_u32 v226, v25, 12, 4
	v_lshrrev_b32_e32 v227, 28, v25
	v_add_nc_u32_e32 v25, 0x2108, v117
	v_bfe_u32 v223, v26, 20, 4
	v_and_b32_e32 v228, 15, v26
	v_bfe_u32 v229, v26, 8, 4
	v_bfe_u32 v230, v26, 16, 4
	;; [unrolled: 1-line block ×5, first 2 shown]
	v_lshrrev_b32_e32 v235, 28, v26
	ds_load_2addr_b32 v[25:26], v25 offset1:1
	v_mul_i32_i24_e32 v122, v221, v30
	v_mul_i32_i24_e32 v129, v228, v63
	;; [unrolled: 1-line block ×5, first 2 shown]
	v_mad_i32_i24 v122, v204, v54, v122
	v_mul_i32_i24_e32 v125, v225, v47
	v_mul_i32_i24_e32 v126, v226, v55
	;; [unrolled: 1-line block ×4, first 2 shown]
	v_add3_u32 v122, v122, v129, v133
	v_mul_i32_i24_e32 v130, v229, v64
	v_mul_i32_i24_e32 v131, v230, v65
	;; [unrolled: 1-line block ×6, first 2 shown]
	s_waitcnt lgkmcnt(0)
	v_and_b32_e32 v236, 15, v25
	v_bfe_u32 v241, v25, 4, 4
	v_and_b32_e32 v244, 15, v26
	v_bfe_u32 v248, v26, 4, 4
	v_bfe_u32 v237, v25, 8, 4
	v_mul_i32_i24_e32 v137, v236, v106
	v_mul_i32_i24_e32 v141, v241, v109
	;; [unrolled: 1-line block ×4, first 2 shown]
	v_bfe_u32 v239, v25, 16, 4
	v_add3_u32 v122, v122, v137, v123
	v_mul_i32_i24_e32 v138, v237, v107
	v_bfe_u32 v240, v25, 24, 4
	v_bfe_u32 v242, v25, 12, 4
	v_mul_i32_i24_e32 v139, v239, v108
	v_add3_u32 v122, v122, v124, v125
	v_bfe_u32 v232, v25, 20, 4
	v_mul_i32_i24_e32 v140, v240, v49
	v_mul_i32_i24_e32 v142, v242, v110
	v_lshrrev_b32_e32 v243, 28, v25
	v_add3_u32 v122, v122, v141, v144
	v_mul_i32_i24_e32 v143, v232, v111
	v_bfe_u32 v245, v26, 8, 4
	v_bfe_u32 v246, v26, 16, 4
	v_mul_i32_i24_e32 v25, v243, v59
	v_add3_u32 v122, v122, v126, v127
	v_bfe_u32 v247, v26, 24, 4
	v_mul_i32_i24_e32 v145, v245, v113
	v_mul_i32_i24_e32 v146, v246, v148
	v_bfe_u32 v249, v26, 12, 4
	v_add3_u32 v122, v122, v128, v130
	v_bfe_u32 v238, v26, 20, 4
	v_mul_i32_i24_e32 v147, v247, v50
	v_lshrrev_b32_e32 v250, 28, v26
	v_mul_i32_i24_e32 v251, v249, v151
	v_add3_u32 v122, v122, v131, v132
	v_mul_i32_i24_e32 v252, v238, v254
	s_delay_alu instid0(VALU_DEP_4) | instskip(NEXT) | instid1(VALU_DEP_3)
	v_mul_i32_i24_e32 v26, v250, v60
	v_add3_u32 v122, v122, v149, v134
	s_delay_alu instid0(VALU_DEP_1) | instskip(NEXT) | instid1(VALU_DEP_1)
	v_add3_u32 v122, v122, v135, v136
	v_add3_u32 v122, v122, v138, v139
	s_delay_alu instid0(VALU_DEP_1) | instskip(NEXT) | instid1(VALU_DEP_1)
	v_add3_u32 v122, v122, v140, v142
	;; [unrolled: 3-line block ×3, first 2 shown]
	v_add3_u32 v25, v25, v147, v251
	s_delay_alu instid0(VALU_DEP_1) | instskip(SKIP_1) | instid1(VALU_DEP_2)
	v_add3_u32 v25, v25, v252, v26
	v_pk_mul_f16 v26, v3, v180
	v_cvt_f32_i32_e32 v25, v25
	s_delay_alu instid0(VALU_DEP_1) | instskip(NEXT) | instid1(VALU_DEP_1)
	v_fma_mix_f32 v25, v26, v25, v26 op_sel:[0,0,1] op_sel_hi:[1,0,1]
	v_add_f32_e32 v38, v38, v25
	v_add_nc_u32_e32 v25, 0x3180, v117
	ds_load_b32 v122, v121
	ds_load_2addr_b32 v[25:26], v25 offset1:1
	v_add_nc_u32_e32 v121, 4, v121
	s_waitcnt lgkmcnt(1)
	v_pk_mul_f16 v3, v3, v122
	s_waitcnt lgkmcnt(0)
	v_bfe_u32 v124, v25, 20, 4
	v_and_b32_e32 v251, 15, v25
	v_bfe_u32 v252, v25, 8, 4
	v_bfe_u32 v253, v25, 16, 4
	;; [unrolled: 1-line block ×5, first 2 shown]
	v_lshrrev_b32_e32 v128, 28, v25
	v_add_nc_u32_e32 v25, 0x3188, v117
	v_bfe_u32 v125, v26, 20, 4
	v_and_b32_e32 v129, 15, v26
	v_bfe_u32 v130, v26, 8, 4
	v_bfe_u32 v131, v26, 16, 4
	;; [unrolled: 1-line block ×5, first 2 shown]
	v_lshrrev_b32_e32 v136, 28, v26
	ds_load_2addr_b32 v[25:26], v25 offset1:1
	v_mul_i32_i24_e32 v30, v251, v30
	v_mul_i32_i24_e32 v63, v129, v63
	;; [unrolled: 1-line block ×5, first 2 shown]
	v_mad_i32_i24 v30, v123, v54, v30
	v_mul_i32_i24_e32 v47, v126, v47
	v_mul_i32_i24_e32 v55, v127, v55
	;; [unrolled: 1-line block ×4, first 2 shown]
	v_add3_u32 v30, v30, v63, v84
	v_mul_i32_i24_e32 v64, v130, v64
	v_mul_i32_i24_e32 v65, v131, v65
	;; [unrolled: 1-line block ×6, first 2 shown]
	v_add_nc_u32_e32 v117, 16, v117
	s_waitcnt lgkmcnt(0)
	v_and_b32_e32 v137, 15, v25
	v_bfe_u32 v142, v25, 4, 4
	v_lshrrev_b32_e32 v144, 28, v25
	v_and_b32_e32 v145, 15, v26
	v_bfe_u32 v133, v25, 20, 4
	v_mul_i32_i24_e32 v106, v137, v106
	v_bfe_u32 v138, v25, 8, 4
	v_bfe_u32 v140, v25, 16, 4
	v_bfe_u32 v141, v25, 24, 4
	v_mul_i32_i24_e32 v109, v142, v109
	v_add3_u32 v30, v30, v106, v43
	v_bfe_u32 v143, v25, 12, 4
	v_mul_i32_i24_e32 v25, v144, v59
	v_mul_i32_i24_e32 v59, v145, v112
	v_bfe_u32 v149, v26, 4, 4
	v_add3_u32 v30, v30, v53, v47
	v_mul_i32_i24_e32 v107, v138, v107
	v_mul_i32_i24_e32 v108, v140, v108
	;; [unrolled: 1-line block ×4, first 2 shown]
	v_add3_u32 v30, v30, v109, v59
	v_mul_i32_i24_e32 v110, v143, v110
	v_mul_i32_i24_e32 v111, v133, v111
	v_bfe_u32 v146, v26, 8, 4
	v_bfe_u32 v147, v26, 16, 4
	v_add3_u32 v30, v30, v55, v62
	v_bfe_u32 v150, v26, 12, 4
	v_bfe_u32 v139, v26, 20, 4
	v_mul_i32_i24_e32 v112, v146, v113
	v_mul_i32_i24_e32 v113, v147, v148
	v_add3_u32 v30, v30, v57, v64
	v_bfe_u32 v148, v26, 24, 4
	v_mul_i32_i24_e32 v85, v150, v151
	v_lshrrev_b32_e32 v151, 28, v26
	v_mul_i32_i24_e32 v254, v139, v254
	v_add3_u32 v30, v30, v65, v48
	v_mul_i32_i24_e32 v50, v148, v50
	s_delay_alu instid0(VALU_DEP_4) | instskip(NEXT) | instid1(VALU_DEP_3)
	v_mul_i32_i24_e32 v26, v151, v60
	v_add3_u32 v30, v30, v255, v98
	s_delay_alu instid0(VALU_DEP_1) | instskip(NEXT) | instid1(VALU_DEP_1)
	v_add3_u32 v30, v30, v105, v58
	v_add3_u32 v30, v30, v107, v108
	s_delay_alu instid0(VALU_DEP_1) | instskip(NEXT) | instid1(VALU_DEP_1)
	v_add3_u32 v30, v30, v49, v110
	;; [unrolled: 3-line block ×3, first 2 shown]
	v_add3_u32 v25, v25, v50, v85
	ds_load_b128 v[47:50], v116 offset:1024
	ds_load_b128 v[57:60], v116 offset:1040
	v_add3_u32 v25, v25, v254, v26
	s_delay_alu instid0(VALU_DEP_1) | instskip(NEXT) | instid1(VALU_DEP_1)
	v_cvt_f32_i32_e32 v25, v25
	v_fma_mix_f32 v3, v3, v25, v3 op_sel:[0,0,1] op_sel_hi:[1,0,1]
	s_delay_alu instid0(VALU_DEP_1)
	v_add_f32_e32 v37, v37, v3
	s_waitcnt lgkmcnt(1)
	v_bfe_i32 v3, v47, 0, 8
	v_bfe_i32 v25, v47, 8, 8
	;; [unrolled: 1-line block ×3, first 2 shown]
	s_waitcnt lgkmcnt(0)
	v_bfe_i32 v43, v57, 0, 8
	v_ashrrev_i32_e32 v30, 24, v47
	v_mul_i32_i24_e32 v254, v3, v156
	v_bfe_i32 v55, v48, 0, 8
	v_mul_i32_i24_e32 v255, v25, v157
	v_mul_i32_i24_e32 v97, v26, v159
	v_bfe_i32 v47, v57, 8, 8
	v_mad_i32_i24 v254, v43, v153, v254
	v_bfe_i32 v53, v57, 16, 8
	v_mul_i32_i24_e32 v99, v30, v160
	v_mul_i32_i24_e32 v39, v55, v163
	v_ashrrev_i32_e32 v54, 24, v57
	v_add3_u32 v97, v254, v255, v97
	v_bfe_i32 v63, v58, 0, 8
	v_mul_i32_i24_e32 v100, v47, v161
	v_mul_i32_i24_e32 v101, v53, v155
	v_bfe_i32 v57, v48, 8, 8
	v_add3_u32 v39, v97, v99, v39
	v_bfe_i32 v62, v48, 16, 8
	v_mul_i32_i24_e32 v102, v54, v162
	v_mul_i32_i24_e32 v46, v63, v168
	v_ashrrev_i32_e32 v48, 24, v48
	v_add3_u32 v39, v39, v100, v101
	v_bfe_i32 v84, v49, 0, 8
	v_mul_i32_i24_e32 v40, v57, v164
	v_mul_i32_i24_e32 v41, v62, v165
	v_bfe_i32 v64, v58, 8, 8
	v_add3_u32 v39, v39, v102, v46
	v_bfe_i32 v65, v58, 16, 8
	v_mul_i32_i24_e32 v45, v48, v167
	v_mul_i32_i24_e32 v61, v84, v172
	v_ashrrev_i32_e32 v58, 24, v58
	v_add3_u32 v39, v39, v40, v41
	v_bfe_i32 v105, v59, 0, 8
	v_mul_i32_i24_e32 v51, v64, v169
	v_mul_i32_i24_e32 v52, v65, v158
	v_bfe_i32 v85, v49, 8, 8
	v_add3_u32 v39, v39, v45, v61
	v_bfe_i32 v98, v49, 16, 8
	v_mul_i32_i24_e32 v56, v58, v171
	v_mul_i32_i24_e32 v70, v105, v177
	v_ashrrev_i32_e32 v49, 24, v49
	v_add3_u32 v39, v39, v51, v52
	v_bfe_i32 v108, v50, 0, 8
	v_mul_i32_i24_e32 v66, v85, v173
	v_mul_i32_i24_e32 v67, v98, v175
	v_bfe_i32 v106, v59, 8, 8
	v_add3_u32 v39, v39, v56, v70
	v_bfe_i32 v107, v59, 16, 8
	v_mul_i32_i24_e32 v68, v49, v176
	v_mul_i32_i24_e32 v78, v108, v181
	v_ashrrev_i32_e32 v59, 24, v59
	v_add3_u32 v39, v39, v66, v67
	v_bfe_i32 v111, v60, 0, 8
	v_mul_i32_i24_e32 v75, v106, v178
	v_mul_i32_i24_e32 v76, v107, v166
	v_bfe_i32 v109, v50, 8, 8
	v_add3_u32 v39, v39, v68, v78
	v_bfe_i32 v110, v50, 16, 8
	v_mul_i32_i24_e32 v77, v59, v179
	v_mul_i32_i24_e32 v82, v111, v185
	v_ashrrev_i32_e32 v50, 24, v50
	v_add3_u32 v39, v39, v75, v76
	v_bfe_i32 v112, v60, 8, 8
	v_mul_i32_i24_e32 v79, v109, v182
	v_mul_i32_i24_e32 v80, v110, v183
	v_bfe_i32 v113, v60, 16, 8
	v_add3_u32 v39, v39, v77, v82
	v_ashrrev_i32_e32 v60, 24, v60
	v_mul_i32_i24_e32 v81, v50, v184
	v_mul_i32_i24_e32 v44, v112, v186
	;; [unrolled: 1-line block ×3, first 2 shown]
	v_add3_u32 v39, v39, v79, v80
	v_mul_i32_i24_e32 v71, v60, v188
	v_pk_mul_f16 v40, v152, v4
	v_mul_i32_i24_e32 v41, v26, v192
	v_mul_i32_i24_e32 v52, v55, v196
	v_add3_u32 v39, v39, v81, v44
	v_mul_i32_i24_e32 v44, v30, v193
	v_mul_i32_i24_e32 v45, v47, v194
	;; [unrolled: 1-line block ×4, first 2 shown]
	v_add3_u32 v39, v39, v69, v71
	v_mul_i32_i24_e32 v67, v63, v201
	v_mul_i32_i24_e32 v56, v57, v197
	;; [unrolled: 1-line block ×4, first 2 shown]
	v_cvt_f32_i32_e32 v39, v39
	v_mul_i32_i24_e32 v71, v84, v205
	v_mul_i32_i24_e32 v68, v64, v202
	;; [unrolled: 1-line block ×4, first 2 shown]
	v_fma_mix_f32 v39, v40, v39, v40 op_sel:[0,0,1] op_sel_hi:[1,0,1]
	v_mul_i32_i24_e32 v40, v25, v190
	v_mul_i32_i24_e32 v78, v105, v210
	v_mul_i32_i24_e32 v75, v85, v206
	v_mul_i32_i24_e32 v76, v98, v208
	v_add_f32_e32 v36, v36, v39
	v_mul_i32_i24_e32 v39, v3, v189
	v_mul_i32_i24_e32 v77, v49, v209
	;; [unrolled: 1-line block ×5, first 2 shown]
	v_mad_i32_i24 v39, v43, v170, v39
	v_mul_i32_i24_e32 v81, v59, v212
	v_mul_i32_i24_e32 v101, v111, v217
	;; [unrolled: 1-line block ×4, first 2 shown]
	v_add3_u32 v39, v39, v40, v41
	v_mul_i32_i24_e32 v100, v50, v216
	v_mul_i32_i24_e32 v102, v112, v218
	;; [unrolled: 1-line block ×4, first 2 shown]
	v_add3_u32 v39, v39, v44, v52
	v_pk_mul_f16 v40, v154, v4
	v_mul_i32_i24_e32 v41, v26, v224
	v_mul_i32_i24_e32 v44, v30, v225
	;; [unrolled: 1-line block ×3, first 2 shown]
	v_add3_u32 v39, v39, v45, v46
	v_mul_i32_i24_e32 v45, v47, v226
	v_mul_i32_i24_e32 v46, v53, v219
	v_mul_i32_i24_e32 v26, v26, v253
	v_mul_i32_i24_e32 v30, v30, v126
	v_add3_u32 v39, v39, v51, v67
	v_mul_i32_i24_e32 v51, v54, v227
	v_mul_i32_i24_e32 v67, v63, v233
	s_delay_alu instid0(VALU_DEP_3) | instskip(SKIP_2) | instid1(VALU_DEP_3)
	v_add3_u32 v39, v39, v56, v61
	v_mul_i32_i24_e32 v56, v57, v229
	v_mul_i32_i24_e32 v61, v62, v230
	v_add3_u32 v39, v39, v66, v71
	v_mul_i32_i24_e32 v66, v48, v231
	v_mul_i32_i24_e32 v71, v84, v236
	s_delay_alu instid0(VALU_DEP_3) | instskip(SKIP_2) | instid1(VALU_DEP_3)
	v_add3_u32 v39, v39, v68, v69
	v_mul_i32_i24_e32 v68, v64, v234
	v_mul_i32_i24_e32 v69, v65, v223
	;; [unrolled: 7-line block ×3, first 2 shown]
	v_add3_u32 v39, v39, v77, v82
	v_mul_i32_i24_e32 v77, v49, v240
	v_mul_i32_i24_e32 v82, v108, v244
	;; [unrolled: 1-line block ×3, first 2 shown]
	s_delay_alu instid0(VALU_DEP_4) | instskip(SKIP_2) | instid1(VALU_DEP_3)
	v_add3_u32 v39, v39, v79, v80
	v_mul_i32_i24_e32 v79, v106, v242
	v_mul_i32_i24_e32 v80, v107, v232
	v_add3_u32 v39, v39, v81, v101
	v_mul_i32_i24_e32 v81, v59, v243
	v_mul_i32_i24_e32 v101, v111, v248
	;; [unrolled: 1-line block ×3, first 2 shown]
	s_delay_alu instid0(VALU_DEP_4) | instskip(SKIP_2) | instid1(VALU_DEP_3)
	v_add3_u32 v39, v39, v97, v99
	v_mul_i32_i24_e32 v97, v109, v245
	v_mul_i32_i24_e32 v99, v110, v246
	v_add3_u32 v39, v39, v100, v102
	v_mul_i32_i24_e32 v100, v50, v247
	v_mul_i32_i24_e32 v102, v112, v249
	;; [unrolled: 1-line block ×3, first 2 shown]
	s_delay_alu instid0(VALU_DEP_4) | instskip(SKIP_3) | instid1(VALU_DEP_4)
	v_add3_u32 v39, v39, v254, v255
	v_mul_i32_i24_e32 v254, v113, v238
	v_mul_i32_i24_e32 v255, v60, v250
	;; [unrolled: 1-line block ×3, first 2 shown]
	v_cvt_f32_i32_e32 v39, v39
	s_delay_alu instid0(VALU_DEP_1) | instskip(SKIP_2) | instid1(VALU_DEP_3)
	v_fma_mix_f32 v39, v40, v39, v40 op_sel:[0,0,1] op_sel_hi:[1,0,1]
	v_mul_i32_i24_e32 v40, v25, v222
	v_mul_i32_i24_e32 v25, v25, v252
	v_add_f32_e32 v34, v34, v39
	v_mul_i32_i24_e32 v39, v3, v221
	v_mul_i32_i24_e32 v3, v3, v251
	s_delay_alu instid0(VALU_DEP_2) | instskip(NEXT) | instid1(VALU_DEP_2)
	v_mad_i32_i24 v39, v43, v204, v39
	v_mad_i32_i24 v3, v43, v123, v3
	s_delay_alu instid0(VALU_DEP_2) | instskip(SKIP_1) | instid1(VALU_DEP_3)
	v_add3_u32 v39, v39, v40, v41
	v_pk_mul_f16 v40, v180, v4
	v_add3_u32 v3, v3, v25, v26
	v_mul_i32_i24_e32 v41, v54, v128
	v_mul_i32_i24_e32 v54, v84, v137
	v_add3_u32 v39, v39, v44, v52
	v_mul_i32_i24_e32 v44, v55, v129
	v_mul_i32_i24_e32 v52, v65, v125
	;; [unrolled: 1-line block ×4, first 2 shown]
	v_add3_u32 v39, v39, v45, v46
	v_add3_u32 v3, v3, v30, v44
	v_mul_i32_i24_e32 v45, v57, v130
	v_mul_i32_i24_e32 v46, v62, v131
	;; [unrolled: 1-line block ×3, first 2 shown]
	v_add3_u32 v39, v39, v51, v67
	v_mul_i32_i24_e32 v51, v64, v135
	v_mul_i32_i24_e32 v62, v108, v145
	;; [unrolled: 1-line block ×4, first 2 shown]
	v_add3_u32 v39, v39, v56, v61
	v_mul_i32_i24_e32 v56, v98, v140
	v_mul_i32_i24_e32 v61, v107, v133
	v_pk_mul_f16 v4, v122, v4
	s_delay_alu instid0(VALU_DEP_4) | instskip(SKIP_1) | instid1(VALU_DEP_2)
	v_add3_u32 v39, v39, v66, v71
	v_mul_i32_i24_e32 v66, v112, v150
	v_add3_u32 v39, v39, v68, v69
	s_delay_alu instid0(VALU_DEP_1) | instskip(NEXT) | instid1(VALU_DEP_1)
	v_add3_u32 v39, v39, v70, v78
	v_add3_u32 v39, v39, v75, v76
	s_delay_alu instid0(VALU_DEP_1) | instskip(NEXT) | instid1(VALU_DEP_1)
	v_add3_u32 v39, v39, v77, v82
	;; [unrolled: 3-line block ×4, first 2 shown]
	v_add3_u32 v39, v39, v254, v255
	s_delay_alu instid0(VALU_DEP_1) | instskip(NEXT) | instid1(VALU_DEP_1)
	v_cvt_f32_i32_e32 v39, v39
	v_fma_mix_f32 v39, v40, v39, v40 op_sel:[0,0,1] op_sel_hi:[1,0,1]
	v_mul_i32_i24_e32 v40, v53, v124
	v_mul_i32_i24_e32 v53, v58, v136
	;; [unrolled: 1-line block ×3, first 2 shown]
	s_delay_alu instid0(VALU_DEP_4) | instskip(SKIP_4) | instid1(VALU_DEP_4)
	v_add_f32_e32 v33, v33, v39
	v_mul_i32_i24_e32 v39, v47, v127
	v_mul_i32_i24_e32 v47, v48, v132
	;; [unrolled: 1-line block ×4, first 2 shown]
	v_add3_u32 v3, v3, v39, v40
	s_delay_alu instid0(VALU_DEP_1) | instskip(NEXT) | instid1(VALU_DEP_1)
	v_add3_u32 v3, v3, v41, v48
	v_add3_u32 v3, v3, v45, v46
	s_delay_alu instid0(VALU_DEP_1) | instskip(NEXT) | instid1(VALU_DEP_1)
	v_add3_u32 v3, v3, v47, v54
	;; [unrolled: 3-line block ×6, first 2 shown]
	v_add3_u32 v3, v3, v67, v60
	s_delay_alu instid0(VALU_DEP_1) | instskip(NEXT) | instid1(VALU_DEP_1)
	v_cvt_f32_i32_e32 v3, v3
	v_fma_mix_f32 v3, v4, v3, v4 op_sel:[0,0,1] op_sel_hi:[1,0,1]
	s_delay_alu instid0(VALU_DEP_1)
	v_add_f32_e32 v32, v32, v3
	ds_load_b128 v[47:50], v116 offset:2048
	ds_load_b128 v[57:60], v116 offset:2064
	ds_load_2addr_b32 v[3:4], v115 offset0:64 offset1:96
	s_waitcnt lgkmcnt(2)
	v_bfe_i32 v25, v47, 0, 8
	v_bfe_i32 v26, v47, 8, 8
	;; [unrolled: 1-line block ×3, first 2 shown]
	s_waitcnt lgkmcnt(1)
	v_bfe_i32 v40, v57, 0, 8
	v_ashrrev_i32_e32 v39, 24, v47
	v_mul_i32_i24_e32 v69, v25, v156
	v_bfe_i32 v45, v48, 0, 8
	v_mul_i32_i24_e32 v70, v26, v157
	v_mul_i32_i24_e32 v71, v30, v159
	v_bfe_i32 v41, v57, 8, 8
	v_mad_i32_i24 v69, v40, v153, v69
	v_bfe_i32 v43, v57, 16, 8
	v_mul_i32_i24_e32 v75, v39, v160
	v_mul_i32_i24_e32 v79, v45, v163
	v_ashrrev_i32_e32 v44, 24, v57
	v_add3_u32 v69, v69, v70, v71
	v_bfe_i32 v51, v58, 0, 8
	v_mul_i32_i24_e32 v76, v41, v161
	v_mul_i32_i24_e32 v77, v43, v155
	v_bfe_i32 v46, v48, 8, 8
	v_add3_u32 v69, v69, v75, v79
	v_bfe_i32 v47, v48, 16, 8
	v_mul_i32_i24_e32 v78, v44, v162
	v_mul_i32_i24_e32 v84, v51, v168
	v_ashrrev_i32_e32 v48, 24, v48
	v_add3_u32 v69, v69, v76, v77
	v_bfe_i32 v55, v49, 0, 8
	v_mul_i32_i24_e32 v80, v46, v164
	v_mul_i32_i24_e32 v81, v47, v165
	v_bfe_i32 v52, v58, 8, 8
	v_add3_u32 v69, v69, v78, v84
	;; [unrolled: 10-line block ×6, first 2 shown]
	v_ashrrev_i32_e32 v60, 24, v60
	v_mul_i32_i24_e32 v112, v50, v184
	v_mul_i32_i24_e32 v254, v67, v186
	v_mul_i32_i24_e32 v255, v68, v174
	v_add3_u32 v69, v69, v110, v111
	v_mul_i32_i24_e32 v72, v60, v188
	s_waitcnt lgkmcnt(0)
	v_pk_mul_f16 v70, v152, v3
	v_mul_i32_i24_e32 v71, v30, v192
	v_mul_i32_i24_e32 v78, v45, v196
	v_add3_u32 v69, v69, v112, v254
	v_mul_i32_i24_e32 v75, v41, v194
	v_mul_i32_i24_e32 v76, v43, v187
	;; [unrolled: 1-line block ×4, first 2 shown]
	v_add3_u32 v69, v69, v255, v72
	v_mul_i32_i24_e32 v72, v39, v193
	v_mul_i32_i24_e32 v79, v46, v197
	v_mul_i32_i24_e32 v80, v47, v198
	v_mul_i32_i24_e32 v81, v48, v199
	v_cvt_f32_i32_e32 v69, v69
	v_mul_i32_i24_e32 v98, v55, v205
	v_mul_i32_i24_e32 v84, v52, v202
	;; [unrolled: 1-line block ×4, first 2 shown]
	v_fma_mix_f32 v69, v70, v69, v70 op_sel:[0,0,1] op_sel_hi:[1,0,1]
	v_mul_i32_i24_e32 v70, v26, v190
	v_mul_i32_i24_e32 v102, v58, v210
	;; [unrolled: 1-line block ×4, first 2 shown]
	v_add_f32_e32 v31, v31, v69
	v_mul_i32_i24_e32 v69, v25, v189
	v_mul_i32_i24_e32 v101, v49, v209
	;; [unrolled: 1-line block ×5, first 2 shown]
	v_mad_i32_i24 v69, v40, v170, v69
	v_mul_i32_i24_e32 v107, v59, v212
	v_mul_i32_i24_e32 v112, v66, v217
	;; [unrolled: 1-line block ×4, first 2 shown]
	v_add3_u32 v69, v69, v70, v71
	v_mul_i32_i24_e32 v111, v50, v216
	v_mul_i32_i24_e32 v113, v67, v218
	;; [unrolled: 1-line block ×4, first 2 shown]
	v_add3_u32 v69, v69, v72, v78
	v_pk_mul_f16 v70, v154, v3
	v_mul_i32_i24_e32 v71, v30, v224
	v_mul_i32_i24_e32 v30, v30, v253
	v_mul_i32_i24_e32 v72, v39, v225
	v_add3_u32 v69, v69, v75, v76
	v_mul_i32_i24_e32 v78, v45, v228
	v_mul_i32_i24_e32 v39, v39, v126
	v_mul_i32_i24_e32 v45, v45, v129
	v_mul_i32_i24_e32 v75, v41, v226
	v_add3_u32 v69, v69, v77, v82
	v_mul_i32_i24_e32 v76, v43, v219
	;; [unrolled: 5-line block ×13, first 2 shown]
	v_mul_i32_i24_e32 v254, v68, v238
	v_mul_i32_i24_e32 v255, v60, v250
	;; [unrolled: 1-line block ×3, first 2 shown]
	v_cvt_f32_i32_e32 v69, v69
	v_mul_i32_i24_e32 v60, v60, v151
	s_delay_alu instid0(VALU_DEP_2) | instskip(SKIP_2) | instid1(VALU_DEP_3)
	v_fma_mix_f32 v69, v70, v69, v70 op_sel:[0,0,1] op_sel_hi:[1,0,1]
	v_mul_i32_i24_e32 v70, v26, v222
	v_mul_i32_i24_e32 v26, v26, v252
	v_add_f32_e32 v29, v29, v69
	v_mul_i32_i24_e32 v69, v25, v221
	v_mul_i32_i24_e32 v25, v25, v251
	;; [unrolled: 1-line block ×4, first 2 shown]
	s_delay_alu instid0(VALU_DEP_4) | instskip(NEXT) | instid1(VALU_DEP_4)
	v_mad_i32_i24 v69, v40, v204, v69
	v_mad_i32_i24 v25, v40, v123, v25
	s_delay_alu instid0(VALU_DEP_2) | instskip(NEXT) | instid1(VALU_DEP_2)
	v_add3_u32 v69, v69, v70, v71
	v_add3_u32 v25, v25, v26, v30
	v_pk_mul_f16 v70, v180, v3
	v_pk_mul_f16 v3, v122, v3
	s_delay_alu instid0(VALU_DEP_4) | instskip(NEXT) | instid1(VALU_DEP_4)
	v_add3_u32 v69, v69, v72, v78
	v_add3_u32 v25, v25, v39, v45
	s_delay_alu instid0(VALU_DEP_2) | instskip(NEXT) | instid1(VALU_DEP_2)
	v_add3_u32 v69, v69, v75, v76
	v_add3_u32 v25, v25, v41, v43
	s_delay_alu instid0(VALU_DEP_2) | instskip(NEXT) | instid1(VALU_DEP_2)
	;; [unrolled: 3-line block ×13, first 2 shown]
	v_add3_u32 v69, v69, v254, v255
	v_add3_u32 v25, v25, v68, v60
	ds_load_b128 v[47:50], v116 offset:3072
	ds_load_b128 v[57:60], v116 offset:3088
	v_cvt_f32_i32_e32 v69, v69
	v_cvt_f32_i32_e32 v25, v25
	s_delay_alu instid0(VALU_DEP_2) | instskip(NEXT) | instid1(VALU_DEP_2)
	v_fma_mix_f32 v69, v70, v69, v70 op_sel:[0,0,1] op_sel_hi:[1,0,1]
	v_fma_mix_f32 v3, v3, v25, v3 op_sel:[0,0,1] op_sel_hi:[1,0,1]
	s_delay_alu instid0(VALU_DEP_1)
	v_dual_add_f32 v28, v28, v69 :: v_dual_add_f32 v27, v27, v3
	s_waitcnt lgkmcnt(1)
	v_bfe_i32 v3, v47, 0, 8
	v_bfe_i32 v25, v47, 8, 8
	;; [unrolled: 1-line block ×3, first 2 shown]
	s_waitcnt lgkmcnt(0)
	v_bfe_i32 v39, v57, 0, 8
	v_ashrrev_i32_e32 v30, 24, v47
	v_mul_i32_i24_e32 v68, v3, v156
	v_bfe_i32 v44, v48, 0, 8
	v_mul_i32_i24_e32 v69, v25, v157
	v_mul_i32_i24_e32 v70, v26, v159
	v_bfe_i32 v40, v57, 8, 8
	v_mad_i32_i24 v68, v39, v153, v68
	v_bfe_i32 v41, v57, 16, 8
	v_mul_i32_i24_e32 v71, v30, v160
	v_mul_i32_i24_e32 v77, v44, v163
	v_ashrrev_i32_e32 v43, 24, v57
	v_add3_u32 v68, v68, v69, v70
	v_bfe_i32 v45, v48, 8, 8
	v_bfe_i32 v46, v48, 16, 8
	v_ashrrev_i32_e32 v47, 24, v48
	v_bfe_i32 v48, v58, 0, 8
	v_mul_i32_i24_e32 v72, v40, v161
	v_mul_i32_i24_e32 v75, v41, v155
	v_add3_u32 v68, v68, v71, v77
	v_mul_i32_i24_e32 v76, v43, v162
	v_mul_i32_i24_e32 v81, v48, v168
	v_bfe_i32 v54, v49, 0, 8
	v_mul_i32_i24_e32 v78, v45, v164
	v_add3_u32 v68, v68, v72, v75
	v_mul_i32_i24_e32 v79, v46, v165
	v_bfe_i32 v51, v58, 8, 8
	v_bfe_i32 v52, v58, 16, 8
	v_mul_i32_i24_e32 v80, v47, v167
	v_add3_u32 v68, v68, v76, v81
	v_mul_i32_i24_e32 v97, v54, v172
	v_ashrrev_i32_e32 v53, 24, v58
	v_bfe_i32 v57, v59, 0, 8
	v_mul_i32_i24_e32 v82, v51, v169
	v_add3_u32 v68, v68, v78, v79
	v_mul_i32_i24_e32 v84, v52, v158
	v_bfe_i32 v55, v49, 8, 8
	v_bfe_i32 v56, v49, 16, 8
	v_mul_i32_i24_e32 v85, v53, v171
	v_add3_u32 v68, v68, v80, v97
	v_mul_i32_i24_e32 v101, v57, v177
	v_ashrrev_i32_e32 v49, 24, v49
	v_bfe_i32 v62, v50, 0, 8
	v_mul_i32_i24_e32 v98, v55, v173
	v_add3_u32 v68, v68, v82, v84
	v_mul_i32_i24_e32 v99, v56, v175
	v_bfe_i32 v58, v59, 8, 8
	v_bfe_i32 v61, v59, 16, 8
	v_mul_i32_i24_e32 v100, v49, v176
	v_add3_u32 v68, v68, v85, v101
	v_mul_i32_i24_e32 v107, v62, v181
	v_ashrrev_i32_e32 v59, 24, v59
	v_bfe_i32 v65, v60, 0, 8
	v_mul_i32_i24_e32 v102, v58, v178
	v_add3_u32 v68, v68, v98, v99
	v_mul_i32_i24_e32 v105, v61, v166
	v_bfe_i32 v63, v50, 8, 8
	v_bfe_i32 v64, v50, 16, 8
	v_mul_i32_i24_e32 v106, v59, v179
	v_add3_u32 v68, v68, v100, v107
	v_mul_i32_i24_e32 v111, v65, v185
	v_ashrrev_i32_e32 v50, 24, v50
	v_bfe_i32 v66, v60, 8, 8
	v_mul_i32_i24_e32 v108, v63, v182
	v_add3_u32 v68, v68, v102, v105
	v_mul_i32_i24_e32 v109, v64, v183
	v_bfe_i32 v67, v60, 16, 8
	v_ashrrev_i32_e32 v60, 24, v60
	v_mul_i32_i24_e32 v110, v50, v184
	v_add3_u32 v68, v68, v106, v111
	v_mul_i32_i24_e32 v112, v66, v186
	v_mul_i32_i24_e32 v113, v67, v174
	;; [unrolled: 1-line block ×3, first 2 shown]
	v_pk_mul_f16 v69, v152, v4
	v_add3_u32 v68, v68, v108, v109
	v_mul_i32_i24_e32 v70, v26, v192
	v_mul_i32_i24_e32 v71, v30, v193
	v_mul_i32_i24_e32 v77, v44, v196
	v_mul_i32_i24_e32 v72, v40, v194
	v_add3_u32 v68, v68, v110, v112
	v_mul_i32_i24_e32 v75, v41, v187
	v_mul_i32_i24_e32 v76, v43, v195
	v_mul_i32_i24_e32 v81, v48, v201
	v_mul_i32_i24_e32 v78, v45, v197
	;; [unrolled: 5-line block ×3, first 2 shown]
	v_cvt_f32_i32_e32 v68, v68
	v_mul_i32_i24_e32 v85, v53, v203
	v_mul_i32_i24_e32 v101, v57, v210
	;; [unrolled: 1-line block ×4, first 2 shown]
	v_fma_mix_f32 v68, v69, v68, v69 op_sel:[0,0,1] op_sel_hi:[1,0,1]
	v_mul_i32_i24_e32 v69, v25, v190
	v_mul_i32_i24_e32 v100, v49, v209
	;; [unrolled: 1-line block ×4, first 2 shown]
	v_add_f32_e32 v24, v24, v68
	v_mul_i32_i24_e32 v68, v3, v189
	v_mul_i32_i24_e32 v97, v54, v205
	;; [unrolled: 1-line block ×5, first 2 shown]
	v_mad_i32_i24 v68, v39, v170, v68
	v_mul_i32_i24_e32 v108, v63, v214
	v_mul_i32_i24_e32 v109, v64, v215
	;; [unrolled: 1-line block ×4, first 2 shown]
	v_add3_u32 v68, v68, v69, v70
	v_mul_i32_i24_e32 v113, v67, v207
	v_mul_i32_i24_e32 v254, v60, v220
	v_pk_mul_f16 v69, v154, v4
	v_mul_i32_i24_e32 v70, v26, v224
	v_add3_u32 v68, v68, v71, v77
	v_mul_i32_i24_e32 v26, v26, v253
	v_mul_i32_i24_e32 v71, v30, v225
	v_mul_i32_i24_e32 v77, v44, v228
	v_mul_i32_i24_e32 v30, v30, v126
	v_add3_u32 v68, v68, v72, v75
	v_mul_i32_i24_e32 v44, v44, v129
	v_mul_i32_i24_e32 v72, v40, v226
	v_mul_i32_i24_e32 v75, v41, v219
	v_mul_i32_i24_e32 v40, v40, v127
	v_add3_u32 v68, v68, v76, v81
	v_mul_i32_i24_e32 v41, v41, v124
	v_mul_i32_i24_e32 v76, v43, v227
	v_mul_i32_i24_e32 v81, v48, v233
	v_mul_i32_i24_e32 v43, v43, v128
	v_add3_u32 v68, v68, v78, v79
	v_mul_i32_i24_e32 v48, v48, v134
	v_mul_i32_i24_e32 v78, v45, v229
	v_mul_i32_i24_e32 v79, v46, v230
	v_mul_i32_i24_e32 v45, v45, v130
	v_add3_u32 v68, v68, v80, v97
	v_mul_i32_i24_e32 v46, v46, v131
	v_mul_i32_i24_e32 v80, v47, v231
	v_mul_i32_i24_e32 v97, v54, v236
	v_mul_i32_i24_e32 v47, v47, v132
	v_add3_u32 v68, v68, v82, v84
	v_mul_i32_i24_e32 v54, v54, v137
	v_mul_i32_i24_e32 v82, v51, v234
	v_mul_i32_i24_e32 v84, v52, v223
	v_mul_i32_i24_e32 v51, v51, v135
	v_add3_u32 v68, v68, v85, v101
	v_mul_i32_i24_e32 v52, v52, v125
	v_mul_i32_i24_e32 v85, v53, v235
	v_mul_i32_i24_e32 v101, v57, v241
	v_mul_i32_i24_e32 v53, v53, v136
	v_add3_u32 v68, v68, v98, v99
	v_mul_i32_i24_e32 v57, v57, v142
	v_mul_i32_i24_e32 v98, v55, v237
	v_mul_i32_i24_e32 v99, v56, v239
	v_mul_i32_i24_e32 v55, v55, v138
	v_add3_u32 v68, v68, v100, v107
	v_mul_i32_i24_e32 v56, v56, v140
	v_mul_i32_i24_e32 v100, v49, v240
	v_mul_i32_i24_e32 v107, v62, v244
	v_mul_i32_i24_e32 v49, v49, v141
	v_add3_u32 v68, v68, v102, v105
	v_mul_i32_i24_e32 v62, v62, v145
	v_mul_i32_i24_e32 v102, v58, v242
	v_mul_i32_i24_e32 v105, v61, v232
	v_mul_i32_i24_e32 v58, v58, v143
	v_add3_u32 v68, v68, v106, v111
	v_mul_i32_i24_e32 v61, v61, v133
	v_mul_i32_i24_e32 v106, v59, v243
	v_mul_i32_i24_e32 v111, v65, v248
	v_mul_i32_i24_e32 v59, v59, v144
	v_add3_u32 v68, v68, v108, v109
	v_mul_i32_i24_e32 v65, v65, v149
	v_mul_i32_i24_e32 v108, v63, v245
	v_mul_i32_i24_e32 v109, v64, v246
	v_mul_i32_i24_e32 v63, v63, v146
	v_add3_u32 v68, v68, v110, v112
	v_mul_i32_i24_e32 v64, v64, v147
	v_mul_i32_i24_e32 v110, v50, v247
	v_mul_i32_i24_e32 v112, v66, v249
	v_mul_i32_i24_e32 v50, v50, v148
	v_add3_u32 v68, v68, v113, v254
	v_mul_i32_i24_e32 v66, v66, v150
	v_mul_i32_i24_e32 v113, v67, v238
	v_mul_i32_i24_e32 v254, v60, v250
	v_mul_i32_i24_e32 v67, v67, v139
	v_cvt_f32_i32_e32 v68, v68
	v_mul_i32_i24_e32 v60, v60, v151
	s_delay_alu instid0(VALU_DEP_2) | instskip(SKIP_2) | instid1(VALU_DEP_3)
	v_fma_mix_f32 v68, v69, v68, v69 op_sel:[0,0,1] op_sel_hi:[1,0,1]
	v_mul_i32_i24_e32 v69, v25, v222
	v_mul_i32_i24_e32 v25, v25, v252
	v_add_f32_e32 v23, v23, v68
	v_mul_i32_i24_e32 v68, v3, v221
	v_mul_i32_i24_e32 v3, v3, v251
	s_delay_alu instid0(VALU_DEP_2) | instskip(NEXT) | instid1(VALU_DEP_2)
	v_mad_i32_i24 v68, v39, v204, v68
	v_mad_i32_i24 v3, v39, v123, v3
	s_delay_alu instid0(VALU_DEP_2) | instskip(NEXT) | instid1(VALU_DEP_2)
	v_add3_u32 v68, v68, v69, v70
	v_add3_u32 v3, v3, v25, v26
	v_pk_mul_f16 v69, v180, v4
	v_pk_mul_f16 v4, v122, v4
	s_delay_alu instid0(VALU_DEP_4) | instskip(NEXT) | instid1(VALU_DEP_4)
	v_add3_u32 v68, v68, v71, v77
	v_add3_u32 v3, v3, v30, v44
	s_delay_alu instid0(VALU_DEP_2) | instskip(NEXT) | instid1(VALU_DEP_2)
	v_add3_u32 v68, v68, v72, v75
	v_add3_u32 v3, v3, v40, v41
	s_delay_alu instid0(VALU_DEP_2) | instskip(NEXT) | instid1(VALU_DEP_2)
	v_add3_u32 v68, v68, v76, v81
	v_add3_u32 v3, v3, v43, v48
	s_delay_alu instid0(VALU_DEP_2) | instskip(NEXT) | instid1(VALU_DEP_2)
	v_add3_u32 v68, v68, v78, v79
	v_add3_u32 v3, v3, v45, v46
	s_delay_alu instid0(VALU_DEP_2) | instskip(NEXT) | instid1(VALU_DEP_2)
	v_add3_u32 v68, v68, v80, v97
	v_add3_u32 v3, v3, v47, v54
	s_delay_alu instid0(VALU_DEP_2) | instskip(NEXT) | instid1(VALU_DEP_2)
	v_add3_u32 v68, v68, v82, v84
	v_add3_u32 v3, v3, v51, v52
	s_delay_alu instid0(VALU_DEP_2) | instskip(NEXT) | instid1(VALU_DEP_2)
	v_add3_u32 v68, v68, v85, v101
	v_add3_u32 v3, v3, v53, v57
	s_delay_alu instid0(VALU_DEP_2) | instskip(NEXT) | instid1(VALU_DEP_2)
	v_add3_u32 v68, v68, v98, v99
	v_add3_u32 v3, v3, v55, v56
	s_delay_alu instid0(VALU_DEP_2) | instskip(NEXT) | instid1(VALU_DEP_2)
	v_add3_u32 v68, v68, v100, v107
	v_add3_u32 v3, v3, v49, v62
	s_delay_alu instid0(VALU_DEP_2) | instskip(NEXT) | instid1(VALU_DEP_2)
	v_add3_u32 v68, v68, v102, v105
	v_add3_u32 v3, v3, v58, v61
	s_delay_alu instid0(VALU_DEP_2) | instskip(NEXT) | instid1(VALU_DEP_2)
	v_add3_u32 v68, v68, v106, v111
	v_add3_u32 v3, v3, v59, v65
	s_delay_alu instid0(VALU_DEP_2) | instskip(NEXT) | instid1(VALU_DEP_2)
	v_add3_u32 v68, v68, v108, v109
	v_add3_u32 v3, v3, v63, v64
	s_delay_alu instid0(VALU_DEP_2) | instskip(NEXT) | instid1(VALU_DEP_2)
	v_add3_u32 v68, v68, v110, v112
	v_add3_u32 v3, v3, v50, v66
	s_delay_alu instid0(VALU_DEP_2) | instskip(NEXT) | instid1(VALU_DEP_2)
	v_add3_u32 v68, v68, v113, v254
	v_add3_u32 v3, v3, v67, v60
	s_delay_alu instid0(VALU_DEP_2) | instskip(NEXT) | instid1(VALU_DEP_2)
	v_cvt_f32_i32_e32 v68, v68
	v_cvt_f32_i32_e32 v3, v3
	s_delay_alu instid0(VALU_DEP_2) | instskip(NEXT) | instid1(VALU_DEP_2)
	v_fma_mix_f32 v68, v69, v68, v69 op_sel:[0,0,1] op_sel_hi:[1,0,1]
	v_fma_mix_f32 v3, v4, v3, v4 op_sel:[0,0,1] op_sel_hi:[1,0,1]
	s_delay_alu instid0(VALU_DEP_1)
	v_dual_add_f32 v22, v22, v68 :: v_dual_add_f32 v21, v21, v3
	ds_load_b128 v[47:50], v116 offset:4096
	ds_load_b128 v[57:60], v116 offset:4112
	ds_load_2addr_b32 v[3:4], v115 offset0:128 offset1:160
	s_waitcnt lgkmcnt(2)
	v_bfe_i32 v25, v47, 0, 8
	v_bfe_i32 v26, v47, 8, 8
	;; [unrolled: 1-line block ×3, first 2 shown]
	s_waitcnt lgkmcnt(1)
	v_bfe_i32 v40, v57, 0, 8
	v_ashrrev_i32_e32 v39, 24, v47
	v_mul_i32_i24_e32 v69, v25, v156
	v_bfe_i32 v45, v48, 0, 8
	v_mul_i32_i24_e32 v70, v26, v157
	v_mul_i32_i24_e32 v71, v30, v159
	v_bfe_i32 v41, v57, 8, 8
	v_mad_i32_i24 v69, v40, v153, v69
	v_bfe_i32 v43, v57, 16, 8
	v_mul_i32_i24_e32 v72, v39, v160
	v_mul_i32_i24_e32 v78, v45, v163
	v_ashrrev_i32_e32 v44, 24, v57
	v_add3_u32 v69, v69, v70, v71
	v_bfe_i32 v51, v58, 0, 8
	v_mul_i32_i24_e32 v75, v41, v161
	v_mul_i32_i24_e32 v76, v43, v155
	v_bfe_i32 v46, v48, 8, 8
	v_add3_u32 v69, v69, v72, v78
	v_bfe_i32 v47, v48, 16, 8
	v_mul_i32_i24_e32 v77, v44, v162
	v_mul_i32_i24_e32 v82, v51, v168
	v_ashrrev_i32_e32 v48, 24, v48
	v_add3_u32 v69, v69, v75, v76
	v_bfe_i32 v55, v49, 0, 8
	v_mul_i32_i24_e32 v79, v46, v164
	v_mul_i32_i24_e32 v80, v47, v165
	v_bfe_i32 v52, v58, 8, 8
	v_add3_u32 v69, v69, v77, v82
	;; [unrolled: 10-line block ×6, first 2 shown]
	v_ashrrev_i32_e32 v60, 24, v60
	v_mul_i32_i24_e32 v111, v50, v184
	v_mul_i32_i24_e32 v113, v67, v186
	;; [unrolled: 1-line block ×3, first 2 shown]
	v_add3_u32 v69, v69, v109, v110
	v_mul_i32_i24_e32 v255, v60, v188
	s_waitcnt lgkmcnt(0)
	v_pk_mul_f16 v70, v152, v3
	v_mul_i32_i24_e32 v71, v30, v192
	v_mul_i32_i24_e32 v72, v39, v193
	v_add3_u32 v69, v69, v111, v113
	v_mul_i32_i24_e32 v78, v45, v196
	v_mul_i32_i24_e32 v75, v41, v194
	;; [unrolled: 1-line block ×4, first 2 shown]
	v_add3_u32 v69, v69, v254, v255
	v_mul_i32_i24_e32 v82, v51, v201
	v_mul_i32_i24_e32 v79, v46, v197
	;; [unrolled: 1-line block ×4, first 2 shown]
	v_cvt_f32_i32_e32 v69, v69
	v_mul_i32_i24_e32 v98, v55, v205
	v_mul_i32_i24_e32 v84, v52, v202
	;; [unrolled: 1-line block ×4, first 2 shown]
	v_fma_mix_f32 v69, v70, v69, v70 op_sel:[0,0,1] op_sel_hi:[1,0,1]
	v_mul_i32_i24_e32 v70, v26, v190
	v_mul_i32_i24_e32 v102, v58, v210
	;; [unrolled: 1-line block ×4, first 2 shown]
	v_add_f32_e32 v20, v20, v69
	v_mul_i32_i24_e32 v69, v25, v189
	v_mul_i32_i24_e32 v101, v49, v209
	;; [unrolled: 1-line block ×5, first 2 shown]
	v_mad_i32_i24 v69, v40, v170, v69
	v_mul_i32_i24_e32 v107, v59, v212
	v_mul_i32_i24_e32 v112, v66, v217
	;; [unrolled: 1-line block ×4, first 2 shown]
	v_add3_u32 v69, v69, v70, v71
	v_mul_i32_i24_e32 v111, v50, v216
	v_mul_i32_i24_e32 v113, v67, v218
	;; [unrolled: 1-line block ×4, first 2 shown]
	v_add3_u32 v69, v69, v72, v78
	v_pk_mul_f16 v70, v154, v3
	v_mul_i32_i24_e32 v71, v30, v224
	v_mul_i32_i24_e32 v72, v39, v225
	v_mul_i32_i24_e32 v78, v45, v228
	v_add3_u32 v69, v69, v75, v76
	v_mul_i32_i24_e32 v75, v41, v226
	v_mul_i32_i24_e32 v76, v43, v219
	v_mul_i32_i24_e32 v30, v30, v253
	v_mul_i32_i24_e32 v39, v39, v126
	v_add3_u32 v69, v69, v77, v82
	v_mul_i32_i24_e32 v77, v44, v227
	;; [unrolled: 5-line block ×13, first 2 shown]
	v_mul_i32_i24_e32 v255, v60, v250
	v_mul_i32_i24_e32 v50, v50, v148
	;; [unrolled: 1-line block ×3, first 2 shown]
	v_cvt_f32_i32_e32 v69, v69
	v_mul_i32_i24_e32 v68, v68, v139
	v_mul_i32_i24_e32 v60, v60, v151
	s_delay_alu instid0(VALU_DEP_3) | instskip(SKIP_2) | instid1(VALU_DEP_3)
	v_fma_mix_f32 v69, v70, v69, v70 op_sel:[0,0,1] op_sel_hi:[1,0,1]
	v_mul_i32_i24_e32 v70, v26, v222
	v_mul_i32_i24_e32 v26, v26, v252
	v_add_f32_e32 v19, v19, v69
	v_mul_i32_i24_e32 v69, v25, v221
	v_mul_i32_i24_e32 v25, v25, v251
	s_delay_alu instid0(VALU_DEP_2) | instskip(NEXT) | instid1(VALU_DEP_2)
	v_mad_i32_i24 v69, v40, v204, v69
	v_mad_i32_i24 v25, v40, v123, v25
	s_delay_alu instid0(VALU_DEP_2) | instskip(NEXT) | instid1(VALU_DEP_2)
	v_add3_u32 v69, v69, v70, v71
	v_add3_u32 v25, v25, v26, v30
	v_pk_mul_f16 v70, v180, v3
	v_pk_mul_f16 v3, v122, v3
	s_delay_alu instid0(VALU_DEP_4) | instskip(NEXT) | instid1(VALU_DEP_4)
	v_add3_u32 v69, v69, v72, v78
	v_add3_u32 v25, v25, v39, v45
	s_delay_alu instid0(VALU_DEP_2) | instskip(NEXT) | instid1(VALU_DEP_2)
	v_add3_u32 v69, v69, v75, v76
	v_add3_u32 v25, v25, v41, v43
	s_delay_alu instid0(VALU_DEP_2) | instskip(NEXT) | instid1(VALU_DEP_2)
	;; [unrolled: 3-line block ×7, first 2 shown]
	v_add3_u32 v69, v69, v99, v100
	v_add3_u32 v25, v25, v56, v57
	s_delay_alu instid0(VALU_DEP_2) | instskip(NEXT) | instid1(VALU_DEP_1)
	v_add3_u32 v69, v69, v101, v108
	v_add3_u32 v69, v69, v105, v106
	s_delay_alu instid0(VALU_DEP_1) | instskip(NEXT) | instid1(VALU_DEP_1)
	v_add3_u32 v69, v69, v107, v112
	v_add3_u32 v69, v69, v109, v110
	s_delay_alu instid0(VALU_DEP_1) | instskip(NEXT) | instid1(VALU_DEP_1)
	v_add3_u32 v69, v69, v111, v113
	v_add3_u32 v69, v69, v254, v255
	s_delay_alu instid0(VALU_DEP_1) | instskip(NEXT) | instid1(VALU_DEP_1)
	v_cvt_f32_i32_e32 v69, v69
	v_fma_mix_f32 v69, v70, v69, v70 op_sel:[0,0,1] op_sel_hi:[1,0,1]
	s_delay_alu instid0(VALU_DEP_1) | instskip(SKIP_1) | instid1(VALU_DEP_1)
	v_add_f32_e32 v18, v18, v69
	v_mul_i32_i24_e32 v63, v63, v145
	v_add3_u32 v25, v25, v49, v63
	s_delay_alu instid0(VALU_DEP_1) | instskip(NEXT) | instid1(VALU_DEP_1)
	v_add3_u32 v25, v25, v61, v62
	v_add3_u32 v25, v25, v59, v66
	s_delay_alu instid0(VALU_DEP_1) | instskip(NEXT) | instid1(VALU_DEP_1)
	v_add3_u32 v25, v25, v64, v65
	v_add3_u32 v25, v25, v50, v67
	s_delay_alu instid0(VALU_DEP_1) | instskip(SKIP_3) | instid1(VALU_DEP_1)
	v_add3_u32 v25, v25, v68, v60
	ds_load_b128 v[47:50], v116 offset:5120
	ds_load_b128 v[57:60], v116 offset:5136
	v_cvt_f32_i32_e32 v25, v25
	v_fma_mix_f32 v3, v3, v25, v3 op_sel:[0,0,1] op_sel_hi:[1,0,1]
	s_delay_alu instid0(VALU_DEP_1)
	v_add_f32_e32 v17, v17, v3
	s_waitcnt lgkmcnt(1)
	v_bfe_i32 v3, v47, 0, 8
	v_bfe_i32 v25, v47, 8, 8
	;; [unrolled: 1-line block ×3, first 2 shown]
	s_waitcnt lgkmcnt(0)
	v_bfe_i32 v39, v57, 0, 8
	v_ashrrev_i32_e32 v30, 24, v47
	v_mul_i32_i24_e32 v68, v3, v156
	v_bfe_i32 v44, v48, 0, 8
	v_mul_i32_i24_e32 v69, v25, v157
	v_mul_i32_i24_e32 v70, v26, v159
	v_bfe_i32 v40, v57, 8, 8
	v_mad_i32_i24 v68, v39, v153, v68
	v_bfe_i32 v41, v57, 16, 8
	v_mul_i32_i24_e32 v71, v30, v160
	v_mul_i32_i24_e32 v77, v44, v163
	v_ashrrev_i32_e32 v43, 24, v57
	v_add3_u32 v68, v68, v69, v70
	v_bfe_i32 v45, v48, 8, 8
	v_bfe_i32 v46, v48, 16, 8
	v_ashrrev_i32_e32 v47, 24, v48
	v_bfe_i32 v48, v58, 0, 8
	v_mul_i32_i24_e32 v72, v40, v161
	v_mul_i32_i24_e32 v75, v41, v155
	v_add3_u32 v68, v68, v71, v77
	v_mul_i32_i24_e32 v76, v43, v162
	v_mul_i32_i24_e32 v81, v48, v168
	v_bfe_i32 v54, v49, 0, 8
	v_mul_i32_i24_e32 v78, v45, v164
	v_add3_u32 v68, v68, v72, v75
	v_mul_i32_i24_e32 v79, v46, v165
	v_bfe_i32 v51, v58, 8, 8
	v_bfe_i32 v52, v58, 16, 8
	v_mul_i32_i24_e32 v80, v47, v167
	v_add3_u32 v68, v68, v76, v81
	v_mul_i32_i24_e32 v97, v54, v172
	v_ashrrev_i32_e32 v53, 24, v58
	v_bfe_i32 v57, v59, 0, 8
	v_mul_i32_i24_e32 v82, v51, v169
	v_add3_u32 v68, v68, v78, v79
	v_mul_i32_i24_e32 v84, v52, v158
	v_bfe_i32 v55, v49, 8, 8
	v_bfe_i32 v56, v49, 16, 8
	v_mul_i32_i24_e32 v85, v53, v171
	v_add3_u32 v68, v68, v80, v97
	v_mul_i32_i24_e32 v101, v57, v177
	v_ashrrev_i32_e32 v49, 24, v49
	;; [unrolled: 10-line block ×4, first 2 shown]
	v_bfe_i32 v66, v60, 8, 8
	v_mul_i32_i24_e32 v108, v63, v182
	v_add3_u32 v68, v68, v102, v105
	v_mul_i32_i24_e32 v109, v64, v183
	v_bfe_i32 v67, v60, 16, 8
	v_ashrrev_i32_e32 v60, 24, v60
	v_mul_i32_i24_e32 v110, v50, v184
	v_add3_u32 v68, v68, v106, v111
	v_mul_i32_i24_e32 v112, v66, v186
	v_mul_i32_i24_e32 v113, v67, v174
	;; [unrolled: 1-line block ×3, first 2 shown]
	v_pk_mul_f16 v69, v152, v4
	v_add3_u32 v68, v68, v108, v109
	v_mul_i32_i24_e32 v70, v26, v192
	v_mul_i32_i24_e32 v71, v30, v193
	v_mul_i32_i24_e32 v77, v44, v196
	v_mul_i32_i24_e32 v72, v40, v194
	v_add3_u32 v68, v68, v110, v112
	v_mul_i32_i24_e32 v75, v41, v187
	v_mul_i32_i24_e32 v76, v43, v195
	v_mul_i32_i24_e32 v81, v48, v201
	v_mul_i32_i24_e32 v78, v45, v197
	;; [unrolled: 5-line block ×3, first 2 shown]
	v_cvt_f32_i32_e32 v68, v68
	v_mul_i32_i24_e32 v84, v52, v191
	v_mul_i32_i24_e32 v85, v53, v203
	;; [unrolled: 1-line block ×4, first 2 shown]
	v_fma_mix_f32 v68, v69, v68, v69 op_sel:[0,0,1] op_sel_hi:[1,0,1]
	v_mul_i32_i24_e32 v69, v25, v190
	v_mul_i32_i24_e32 v99, v56, v208
	v_mul_i32_i24_e32 v100, v49, v209
	v_mul_i32_i24_e32 v107, v62, v213
	v_add_f32_e32 v16, v16, v68
	v_mul_i32_i24_e32 v68, v3, v189
	v_mul_i32_i24_e32 v102, v58, v211
	v_mul_i32_i24_e32 v105, v61, v200
	v_mul_i32_i24_e32 v106, v59, v212
	v_mul_i32_i24_e32 v111, v65, v217
	v_mad_i32_i24 v68, v39, v170, v68
	v_mul_i32_i24_e32 v108, v63, v214
	v_mul_i32_i24_e32 v109, v64, v215
	;; [unrolled: 1-line block ×4, first 2 shown]
	v_add3_u32 v68, v68, v69, v70
	v_mul_i32_i24_e32 v113, v67, v207
	v_mul_i32_i24_e32 v254, v60, v220
	v_pk_mul_f16 v69, v154, v4
	v_mul_i32_i24_e32 v70, v26, v224
	v_add3_u32 v68, v68, v71, v77
	v_mul_i32_i24_e32 v26, v26, v253
	v_mul_i32_i24_e32 v71, v30, v225
	v_mul_i32_i24_e32 v77, v44, v228
	v_mul_i32_i24_e32 v30, v30, v126
	v_add3_u32 v68, v68, v72, v75
	v_mul_i32_i24_e32 v44, v44, v129
	v_mul_i32_i24_e32 v72, v40, v226
	v_mul_i32_i24_e32 v75, v41, v219
	;; [unrolled: 5-line block ×14, first 2 shown]
	v_mul_i32_i24_e32 v67, v67, v139
	v_cvt_f32_i32_e32 v68, v68
	v_mul_i32_i24_e32 v60, v60, v151
	s_delay_alu instid0(VALU_DEP_2) | instskip(SKIP_2) | instid1(VALU_DEP_3)
	v_fma_mix_f32 v68, v69, v68, v69 op_sel:[0,0,1] op_sel_hi:[1,0,1]
	v_mul_i32_i24_e32 v69, v25, v222
	v_mul_i32_i24_e32 v25, v25, v252
	v_add_f32_e32 v15, v15, v68
	v_mul_i32_i24_e32 v68, v3, v221
	v_mul_i32_i24_e32 v3, v3, v251
	s_delay_alu instid0(VALU_DEP_2) | instskip(NEXT) | instid1(VALU_DEP_2)
	v_mad_i32_i24 v68, v39, v204, v68
	v_mad_i32_i24 v3, v39, v123, v3
	s_delay_alu instid0(VALU_DEP_2) | instskip(NEXT) | instid1(VALU_DEP_2)
	v_add3_u32 v68, v68, v69, v70
	v_add3_u32 v3, v3, v25, v26
	v_pk_mul_f16 v69, v180, v4
	v_pk_mul_f16 v4, v122, v4
	s_delay_alu instid0(VALU_DEP_4) | instskip(NEXT) | instid1(VALU_DEP_4)
	v_add3_u32 v68, v68, v71, v77
	v_add3_u32 v3, v3, v30, v44
	s_delay_alu instid0(VALU_DEP_2) | instskip(NEXT) | instid1(VALU_DEP_2)
	v_add3_u32 v68, v68, v72, v75
	v_add3_u32 v3, v3, v40, v41
	s_delay_alu instid0(VALU_DEP_2) | instskip(NEXT) | instid1(VALU_DEP_2)
	;; [unrolled: 3-line block ×14, first 2 shown]
	v_cvt_f32_i32_e32 v68, v68
	v_cvt_f32_i32_e32 v3, v3
	s_delay_alu instid0(VALU_DEP_2) | instskip(NEXT) | instid1(VALU_DEP_2)
	v_fma_mix_f32 v68, v69, v68, v69 op_sel:[0,0,1] op_sel_hi:[1,0,1]
	v_fma_mix_f32 v3, v4, v3, v4 op_sel:[0,0,1] op_sel_hi:[1,0,1]
	s_delay_alu instid0(VALU_DEP_1)
	v_dual_add_f32 v14, v14, v68 :: v_dual_add_f32 v13, v13, v3
	ds_load_b128 v[47:50], v116 offset:6144
	ds_load_b128 v[57:60], v116 offset:6160
	ds_load_2addr_b32 v[3:4], v115 offset0:192 offset1:224
	v_add_nc_u32_e32 v115, 4, v115
	s_waitcnt lgkmcnt(2)
	v_bfe_i32 v25, v47, 0, 8
	v_bfe_i32 v26, v47, 8, 8
	;; [unrolled: 1-line block ×3, first 2 shown]
	s_waitcnt lgkmcnt(1)
	v_bfe_i32 v40, v57, 0, 8
	v_ashrrev_i32_e32 v39, 24, v47
	v_mul_i32_i24_e32 v69, v25, v156
	v_bfe_i32 v45, v48, 0, 8
	v_mul_i32_i24_e32 v70, v26, v157
	v_mul_i32_i24_e32 v71, v30, v159
	v_bfe_i32 v41, v57, 8, 8
	v_mad_i32_i24 v69, v40, v153, v69
	v_bfe_i32 v43, v57, 16, 8
	v_mul_i32_i24_e32 v72, v39, v160
	v_mul_i32_i24_e32 v78, v45, v163
	v_ashrrev_i32_e32 v44, 24, v57
	v_add3_u32 v69, v69, v70, v71
	v_bfe_i32 v51, v58, 0, 8
	v_mul_i32_i24_e32 v75, v41, v161
	v_mul_i32_i24_e32 v76, v43, v155
	v_bfe_i32 v46, v48, 8, 8
	v_add3_u32 v69, v69, v72, v78
	v_bfe_i32 v47, v48, 16, 8
	v_mul_i32_i24_e32 v77, v44, v162
	v_mul_i32_i24_e32 v82, v51, v168
	v_ashrrev_i32_e32 v48, 24, v48
	v_add3_u32 v69, v69, v75, v76
	v_bfe_i32 v55, v49, 0, 8
	v_mul_i32_i24_e32 v79, v46, v164
	v_mul_i32_i24_e32 v80, v47, v165
	v_bfe_i32 v52, v58, 8, 8
	v_add3_u32 v69, v69, v77, v82
	v_bfe_i32 v53, v58, 16, 8
	v_mul_i32_i24_e32 v81, v48, v167
	v_mul_i32_i24_e32 v98, v55, v172
	v_ashrrev_i32_e32 v54, 24, v58
	v_add3_u32 v69, v69, v79, v80
	v_bfe_i32 v58, v59, 0, 8
	v_mul_i32_i24_e32 v84, v52, v169
	v_mul_i32_i24_e32 v85, v53, v158
	v_bfe_i32 v56, v49, 8, 8
	v_add3_u32 v69, v69, v81, v98
	v_bfe_i32 v57, v49, 16, 8
	v_mul_i32_i24_e32 v97, v54, v171
	v_mul_i32_i24_e32 v102, v58, v177
	v_ashrrev_i32_e32 v49, 24, v49
	v_add3_u32 v69, v69, v84, v85
	v_bfe_i32 v63, v50, 0, 8
	v_mul_i32_i24_e32 v99, v56, v173
	v_mul_i32_i24_e32 v100, v57, v175
	v_bfe_i32 v61, v59, 8, 8
	v_add3_u32 v69, v69, v97, v102
	v_bfe_i32 v62, v59, 16, 8
	v_mul_i32_i24_e32 v101, v49, v176
	v_mul_i32_i24_e32 v108, v63, v181
	v_ashrrev_i32_e32 v59, 24, v59
	v_add3_u32 v69, v69, v99, v100
	v_bfe_i32 v66, v60, 0, 8
	v_mul_i32_i24_e32 v105, v61, v178
	v_mul_i32_i24_e32 v106, v62, v166
	v_bfe_i32 v64, v50, 8, 8
	v_add3_u32 v69, v69, v101, v108
	v_bfe_i32 v65, v50, 16, 8
	v_mul_i32_i24_e32 v107, v59, v179
	v_mul_i32_i24_e32 v112, v66, v185
	v_ashrrev_i32_e32 v50, 24, v50
	v_add3_u32 v69, v69, v105, v106
	v_bfe_i32 v67, v60, 8, 8
	v_mul_i32_i24_e32 v109, v64, v182
	v_mul_i32_i24_e32 v110, v65, v183
	v_bfe_i32 v68, v60, 16, 8
	v_add3_u32 v69, v69, v107, v112
	v_ashrrev_i32_e32 v60, 24, v60
	v_mul_i32_i24_e32 v111, v50, v184
	v_mul_i32_i24_e32 v113, v67, v186
	;; [unrolled: 1-line block ×3, first 2 shown]
	v_add3_u32 v69, v69, v109, v110
	v_mul_i32_i24_e32 v255, v60, v188
	s_waitcnt lgkmcnt(0)
	v_pk_mul_f16 v70, v152, v3
	v_mul_i32_i24_e32 v71, v30, v192
	v_mul_i32_i24_e32 v72, v39, v193
	v_add3_u32 v69, v69, v111, v113
	v_mul_i32_i24_e32 v78, v45, v196
	v_mul_i32_i24_e32 v75, v41, v194
	;; [unrolled: 1-line block ×4, first 2 shown]
	v_add3_u32 v69, v69, v254, v255
	v_mul_i32_i24_e32 v82, v51, v201
	v_mul_i32_i24_e32 v79, v46, v197
	;; [unrolled: 1-line block ×4, first 2 shown]
	v_cvt_f32_i32_e32 v69, v69
	v_mul_i32_i24_e32 v98, v55, v205
	v_mul_i32_i24_e32 v84, v52, v202
	;; [unrolled: 1-line block ×4, first 2 shown]
	v_fma_mix_f32 v69, v70, v69, v70 op_sel:[0,0,1] op_sel_hi:[1,0,1]
	v_mul_i32_i24_e32 v70, v26, v190
	v_mul_i32_i24_e32 v102, v58, v210
	;; [unrolled: 1-line block ×4, first 2 shown]
	v_add_f32_e32 v12, v12, v69
	v_mul_i32_i24_e32 v69, v25, v189
	v_mul_i32_i24_e32 v101, v49, v209
	v_mul_i32_i24_e32 v108, v63, v213
	v_mul_i32_i24_e32 v105, v61, v211
	v_mul_i32_i24_e32 v106, v62, v200
	v_mad_i32_i24 v69, v40, v170, v69
	v_mul_i32_i24_e32 v107, v59, v212
	v_mul_i32_i24_e32 v112, v66, v217
	;; [unrolled: 1-line block ×4, first 2 shown]
	v_add3_u32 v69, v69, v70, v71
	v_mul_i32_i24_e32 v111, v50, v216
	v_mul_i32_i24_e32 v113, v67, v218
	;; [unrolled: 1-line block ×4, first 2 shown]
	v_add3_u32 v69, v69, v72, v78
	v_pk_mul_f16 v70, v154, v3
	v_mul_i32_i24_e32 v71, v30, v224
	v_mul_i32_i24_e32 v30, v30, v253
	v_mul_i32_i24_e32 v72, v39, v225
	v_add3_u32 v69, v69, v75, v76
	v_mul_i32_i24_e32 v78, v45, v228
	v_mul_i32_i24_e32 v39, v39, v126
	v_mul_i32_i24_e32 v45, v45, v129
	v_mul_i32_i24_e32 v75, v41, v226
	v_add3_u32 v69, v69, v77, v82
	v_mul_i32_i24_e32 v76, v43, v219
	;; [unrolled: 5-line block ×13, first 2 shown]
	v_mul_i32_i24_e32 v50, v50, v148
	v_mul_i32_i24_e32 v67, v67, v150
	;; [unrolled: 1-line block ×3, first 2 shown]
	v_cvt_f32_i32_e32 v69, v69
	v_mul_i32_i24_e32 v255, v60, v250
	v_mul_i32_i24_e32 v68, v68, v139
	;; [unrolled: 1-line block ×3, first 2 shown]
	s_delay_alu instid0(VALU_DEP_4) | instskip(SKIP_2) | instid1(VALU_DEP_3)
	v_fma_mix_f32 v69, v70, v69, v70 op_sel:[0,0,1] op_sel_hi:[1,0,1]
	v_mul_i32_i24_e32 v70, v26, v222
	v_mul_i32_i24_e32 v26, v26, v252
	v_add_f32_e32 v11, v11, v69
	v_mul_i32_i24_e32 v69, v25, v221
	v_mul_i32_i24_e32 v25, v25, v251
	s_delay_alu instid0(VALU_DEP_2) | instskip(NEXT) | instid1(VALU_DEP_2)
	v_mad_i32_i24 v69, v40, v204, v69
	v_mad_i32_i24 v25, v40, v123, v25
	s_delay_alu instid0(VALU_DEP_2) | instskip(NEXT) | instid1(VALU_DEP_2)
	v_add3_u32 v69, v69, v70, v71
	v_add3_u32 v25, v25, v26, v30
	v_pk_mul_f16 v70, v180, v3
	v_pk_mul_f16 v3, v122, v3
	s_delay_alu instid0(VALU_DEP_4) | instskip(NEXT) | instid1(VALU_DEP_4)
	v_add3_u32 v69, v69, v72, v78
	v_add3_u32 v25, v25, v39, v45
	s_delay_alu instid0(VALU_DEP_2) | instskip(NEXT) | instid1(VALU_DEP_2)
	v_add3_u32 v69, v69, v75, v76
	v_add3_u32 v25, v25, v41, v43
	s_delay_alu instid0(VALU_DEP_2) | instskip(NEXT) | instid1(VALU_DEP_2)
	;; [unrolled: 3-line block ×11, first 2 shown]
	v_add3_u32 v69, v69, v109, v110
	v_add3_u32 v25, v25, v64, v65
	s_delay_alu instid0(VALU_DEP_2)
	v_add3_u32 v69, v69, v111, v113
	ds_load_b128 v[62:65], v116 offset:7168
	ds_load_b128 v[110:113], v116 offset:7184
	v_add_nc_u32_e32 v116, 32, v116
	v_add3_u32 v25, v25, v50, v67
	v_add3_u32 v69, v69, v254, v255
	s_delay_alu instid0(VALU_DEP_2) | instskip(NEXT) | instid1(VALU_DEP_2)
	v_add3_u32 v25, v25, v68, v60
	v_cvt_f32_i32_e32 v69, v69
	s_delay_alu instid0(VALU_DEP_2) | instskip(NEXT) | instid1(VALU_DEP_2)
	v_cvt_f32_i32_e32 v25, v25
	v_fma_mix_f32 v69, v70, v69, v70 op_sel:[0,0,1] op_sel_hi:[1,0,1]
	s_delay_alu instid0(VALU_DEP_2)
	v_fma_mix_f32 v3, v3, v25, v3 op_sel:[0,0,1] op_sel_hi:[1,0,1]
	s_waitcnt lgkmcnt(1)
	v_bfe_i32 v39, v62, 0, 8
	v_bfe_i32 v40, v62, 8, 8
	v_bfe_i32 v41, v62, 16, 8
	v_add_f32_e32 v9, v9, v3
	s_waitcnt lgkmcnt(0)
	v_bfe_i32 v3, v110, 0, 8
	v_mul_i32_i24_e32 v44, v39, v156
	v_ashrrev_i32_e32 v254, 24, v62
	v_bfe_i32 v98, v63, 0, 8
	v_mul_i32_i24_e32 v45, v40, v157
	v_mul_i32_i24_e32 v46, v41, v159
	v_mad_i32_i24 v44, v3, v153, v44
	v_bfe_i32 v255, v110, 8, 8
	v_bfe_i32 v25, v110, 16, 8
	v_mul_i32_i24_e32 v51, v254, v160
	v_mul_i32_i24_e32 v66, v98, v163
	v_add3_u32 v44, v44, v45, v46
	v_ashrrev_i32_e32 v26, 24, v110
	v_bfe_i32 v108, v111, 0, 8
	v_mul_i32_i24_e32 v52, v255, v161
	v_mul_i32_i24_e32 v56, v25, v155
	v_add3_u32 v44, v44, v51, v66
	v_bfe_i32 v105, v63, 8, 8
	v_bfe_i32 v106, v63, 16, 8
	v_mul_i32_i24_e32 v61, v26, v162
	v_mul_i32_i24_e32 v70, v108, v168
	v_add3_u32 v44, v44, v52, v56
	v_ashrrev_i32_e32 v107, 24, v63
	v_bfe_i32 v47, v64, 0, 8
	v_mul_i32_i24_e32 v67, v105, v164
	v_mul_i32_i24_e32 v68, v106, v165
	v_add3_u32 v44, v44, v61, v70
	v_add_f32_e32 v10, v10, v69
	v_bfe_i32 v109, v111, 8, 8
	v_bfe_i32 v30, v111, 16, 8
	v_mul_i32_i24_e32 v69, v107, v167
	v_mul_i32_i24_e32 v76, v47, v172
	v_add3_u32 v44, v44, v67, v68
	v_ashrrev_i32_e32 v43, 24, v111
	v_bfe_i32 v53, v112, 0, 8
	v_mul_i32_i24_e32 v71, v109, v169
	v_mul_i32_i24_e32 v72, v30, v158
	v_add3_u32 v44, v44, v69, v76
	v_bfe_i32 v48, v64, 8, 8
	v_bfe_i32 v49, v64, 16, 8
	v_mul_i32_i24_e32 v75, v43, v171
	v_mul_i32_i24_e32 v80, v53, v177
	v_add3_u32 v44, v44, v71, v72
	v_ashrrev_i32_e32 v50, 24, v64
	v_bfe_i32 v58, v65, 0, 8
	v_mul_i32_i24_e32 v77, v48, v173
	v_mul_i32_i24_e32 v78, v49, v175
	v_add3_u32 v44, v44, v75, v80
	v_bfe_i32 v54, v112, 8, 8
	v_bfe_i32 v55, v112, 16, 8
	v_mul_i32_i24_e32 v79, v50, v176
	v_mul_i32_i24_e32 v97, v58, v181
	v_add3_u32 v44, v44, v77, v78
	v_ashrrev_i32_e32 v57, 24, v112
	v_bfe_i32 v63, v113, 0, 8
	v_mul_i32_i24_e32 v81, v54, v178
	v_mul_i32_i24_e32 v82, v55, v166
	v_add3_u32 v44, v44, v79, v97
	v_bfe_i32 v59, v65, 8, 8
	v_bfe_i32 v60, v65, 16, 8
	v_mul_i32_i24_e32 v85, v57, v179
	v_mul_i32_i24_e32 v102, v63, v185
	v_add3_u32 v44, v44, v81, v82
	v_ashrrev_i32_e32 v62, 24, v65
	v_bfe_i32 v64, v113, 8, 8
	v_mul_i32_i24_e32 v99, v59, v182
	v_mul_i32_i24_e32 v100, v60, v183
	v_add3_u32 v44, v44, v85, v102
	v_bfe_i32 v65, v113, 16, 8
	v_ashrrev_i32_e32 v84, 24, v113
	v_mul_i32_i24_e32 v101, v62, v184
	v_mul_i32_i24_e32 v110, v64, v186
	v_add3_u32 v44, v44, v99, v100
	v_mul_i32_i24_e32 v111, v65, v174
	v_mul_i32_i24_e32 v112, v84, v188
	v_pk_mul_f16 v45, v152, v4
	v_mul_i32_i24_e32 v46, v41, v192
	v_add3_u32 v44, v44, v101, v110
	v_mul_i32_i24_e32 v51, v254, v193
	v_mul_i32_i24_e32 v66, v98, v196
	;; [unrolled: 1-line block ×4, first 2 shown]
	v_add3_u32 v44, v44, v111, v112
	v_mul_i32_i24_e32 v61, v26, v195
	v_mul_i32_i24_e32 v70, v108, v201
	;; [unrolled: 1-line block ×4, first 2 shown]
	v_cvt_f32_i32_e32 v44, v44
	v_mul_i32_i24_e32 v69, v107, v199
	v_mul_i32_i24_e32 v76, v47, v205
	;; [unrolled: 1-line block ×4, first 2 shown]
	v_fma_mix_f32 v44, v45, v44, v45 op_sel:[0,0,1] op_sel_hi:[1,0,1]
	v_mul_i32_i24_e32 v45, v40, v190
	v_mul_i32_i24_e32 v75, v43, v203
	;; [unrolled: 1-line block ×4, first 2 shown]
	v_add_f32_e32 v8, v8, v44
	v_mul_i32_i24_e32 v44, v39, v189
	v_mul_i32_i24_e32 v78, v49, v208
	;; [unrolled: 1-line block ×5, first 2 shown]
	v_mad_i32_i24 v44, v3, v170, v44
	v_mul_i32_i24_e32 v82, v55, v200
	v_mul_i32_i24_e32 v85, v57, v212
	;; [unrolled: 1-line block ×4, first 2 shown]
	v_add3_u32 v44, v44, v45, v46
	v_mul_i32_i24_e32 v100, v60, v215
	v_mul_i32_i24_e32 v101, v62, v216
	;; [unrolled: 1-line block ×4, first 2 shown]
	v_add3_u32 v44, v44, v51, v66
	v_mul_i32_i24_e32 v112, v84, v220
	v_pk_mul_f16 v45, v154, v4
	v_mul_i32_i24_e32 v46, v41, v224
	v_mul_i32_i24_e32 v51, v254, v225
	v_add3_u32 v44, v44, v52, v56
	v_mul_i32_i24_e32 v66, v98, v228
	v_mul_i32_i24_e32 v52, v255, v226
	v_mul_i32_i24_e32 v56, v25, v219
	v_mul_i32_i24_e32 v153, v40, v252
	v_add3_u32 v44, v44, v61, v70
	v_mul_i32_i24_e32 v61, v26, v227
	v_mul_i32_i24_e32 v70, v108, v233
	;; [unrolled: 5-line block ×4, first 2 shown]
	v_mul_i32_i24_e32 v47, v47, v137
	s_delay_alu instid0(VALU_DEP_4) | instskip(SKIP_3) | instid1(VALU_DEP_4)
	v_add3_u32 v44, v44, v71, v72
	v_mul_i32_i24_e32 v71, v109, v234
	v_mul_i32_i24_e32 v72, v30, v223
	v_mul_i32_i24_e32 v30, v30, v125
	v_add3_u32 v44, v44, v75, v80
	v_mul_i32_i24_e32 v75, v43, v235
	v_mul_i32_i24_e32 v80, v53, v241
	v_mul_i32_i24_e32 v43, v43, v136
	v_mul_i32_i24_e32 v53, v53, v142
	v_add3_u32 v44, v44, v77, v78
	v_mul_i32_i24_e32 v77, v48, v237
	;; [unrolled: 5-line block ×3, first 2 shown]
	v_mul_i32_i24_e32 v97, v58, v244
	v_mul_i32_i24_e32 v50, v50, v141
	s_delay_alu instid0(VALU_DEP_4)
	v_add3_u32 v44, v44, v81, v82
	v_mul_i32_i24_e32 v81, v54, v242
	v_mul_i32_i24_e32 v82, v55, v232
	;; [unrolled: 1-line block ×4, first 2 shown]
	v_add3_u32 v44, v44, v85, v102
	v_mul_i32_i24_e32 v85, v57, v243
	v_mul_i32_i24_e32 v102, v63, v248
	s_delay_alu instid0(VALU_DEP_3) | instskip(SKIP_2) | instid1(VALU_DEP_3)
	v_add3_u32 v44, v44, v99, v100
	v_mul_i32_i24_e32 v99, v59, v245
	v_mul_i32_i24_e32 v100, v60, v246
	v_add3_u32 v44, v44, v101, v110
	v_mul_i32_i24_e32 v101, v62, v247
	v_mul_i32_i24_e32 v110, v64, v249
	s_delay_alu instid0(VALU_DEP_3) | instskip(SKIP_2) | instid1(VALU_DEP_3)
	v_add3_u32 v44, v44, v111, v112
	v_mul_i32_i24_e32 v111, v65, v238
	v_mul_i32_i24_e32 v112, v84, v250
	v_cvt_f32_i32_e32 v44, v44
	s_delay_alu instid0(VALU_DEP_1) | instskip(SKIP_2) | instid1(VALU_DEP_3)
	v_fma_mix_f32 v44, v45, v44, v45 op_sel:[0,0,1] op_sel_hi:[1,0,1]
	v_mul_i32_i24_e32 v45, v40, v222
	v_mul_i32_i24_e32 v40, v255, v127
	v_add_f32_e32 v7, v7, v44
	v_mul_i32_i24_e32 v44, v39, v221
	s_delay_alu instid0(VALU_DEP_1) | instskip(NEXT) | instid1(VALU_DEP_1)
	v_mad_i32_i24 v44, v3, v204, v44
	v_add3_u32 v44, v44, v45, v46
	v_pk_mul_f16 v45, v180, v4
	v_mul_i32_i24_e32 v46, v107, v132
	v_pk_mul_f16 v4, v122, v4
	s_delay_alu instid0(VALU_DEP_4) | instskip(SKIP_1) | instid1(VALU_DEP_2)
	v_add3_u32 v44, v44, v51, v66
	v_mul_i32_i24_e32 v51, v108, v134
	v_add3_u32 v44, v44, v52, v56
	v_mul_i32_i24_e32 v52, v109, v135
	v_mul_i32_i24_e32 v56, v57, v144
	v_mul_i32_i24_e32 v57, v58, v145
	v_mul_i32_i24_e32 v58, v59, v146
	v_add3_u32 v44, v44, v61, v70
	v_mul_i32_i24_e32 v61, v63, v149
	v_mul_i32_i24_e32 v59, v60, v147
	;; [unrolled: 1-line block ×4, first 2 shown]
	v_add3_u32 v44, v44, v67, v68
	v_mul_i32_i24_e32 v63, v65, v139
	v_mul_i32_i24_e32 v64, v84, v151
	s_delay_alu instid0(VALU_DEP_3) | instskip(NEXT) | instid1(VALU_DEP_1)
	v_add3_u32 v44, v44, v69, v76
	v_add3_u32 v44, v44, v71, v72
	s_delay_alu instid0(VALU_DEP_1) | instskip(NEXT) | instid1(VALU_DEP_1)
	v_add3_u32 v44, v44, v75, v80
	v_add3_u32 v44, v44, v77, v78
	s_delay_alu instid0(VALU_DEP_1) | instskip(NEXT) | instid1(VALU_DEP_1)
	;; [unrolled: 3-line block ×5, first 2 shown]
	v_cvt_f32_i32_e32 v44, v44
	v_fma_mix_f32 v44, v45, v44, v45 op_sel:[0,0,1] op_sel_hi:[1,0,1]
	v_mul_i32_i24_e32 v45, v106, v131
	s_delay_alu instid0(VALU_DEP_2) | instskip(SKIP_3) | instid1(VALU_DEP_3)
	v_add_f32_e32 v6, v6, v44
	v_mul_i32_i24_e32 v152, v39, v251
	v_mul_i32_i24_e32 v39, v254, v126
	;; [unrolled: 1-line block ×3, first 2 shown]
	v_mad_i32_i24 v3, v3, v123, v152
	s_delay_alu instid0(VALU_DEP_1) | instskip(NEXT) | instid1(VALU_DEP_1)
	v_add3_u32 v3, v3, v153, v154
	v_add3_u32 v3, v3, v39, v41
	s_delay_alu instid0(VALU_DEP_1) | instskip(NEXT) | instid1(VALU_DEP_1)
	v_add3_u32 v3, v3, v40, v25
	v_add3_u32 v3, v3, v26, v51
	;; [unrolled: 3-line block ×7, first 2 shown]
	s_delay_alu instid0(VALU_DEP_1) | instskip(NEXT) | instid1(VALU_DEP_1)
	v_add3_u32 v3, v3, v63, v64
	v_cvt_f32_i32_e32 v3, v3
	s_delay_alu instid0(VALU_DEP_1) | instskip(NEXT) | instid1(VALU_DEP_1)
	v_fma_mix_f32 v3, v4, v3, v4 op_sel:[0,0,1] op_sel_hi:[1,0,1]
	v_add_f32_e32 v5, v5, v3
	s_cbranch_scc1 .LBB159_7
; %bb.8:                                ;   in Loop: Header=BB159_6 Depth=1
	s_or_b32 s12, s11, 4
	s_delay_alu instid0(SALU_CYCLE_1)
	s_cmp_ge_i32 s12, s5
	s_barrier
	buffer_gl0_inv
	s_cbranch_scc1 .LBB159_5
; %bb.9:                                ;   in Loop: Header=BB159_6 Depth=1
	scratch_load_b32 v3, off, off offset:208 ; 4-byte Folded Reload
	s_mov_b32 s12, 12
	s_waitcnt vmcnt(0)
	v_dual_mov_b32 v115, v103 :: v_dual_add_nc_u32 v30, s11, v3
	s_delay_alu instid0(VALU_DEP_1) | instskip(SKIP_3) | instid1(VALU_DEP_4)
	v_add_nc_u32_e32 v40, v30, v88
	v_add_nc_u32_e32 v25, v30, v86
	;; [unrolled: 1-line block ×4, first 2 shown]
	v_mad_i64_i32 v[47:48], null, v40, 36, v[0:1]
	v_add_nc_u32_e32 v40, v30, v91
	s_delay_alu instid0(VALU_DEP_3) | instskip(NEXT) | instid1(VALU_DEP_2)
	v_mad_i64_i32 v[49:50], null, v41, 36, v[0:1]
	v_mad_i64_i32 v[57:58], null, v40, 36, v[0:1]
	v_add_nc_u32_e32 v40, 4, v114
	v_mov_b32_e32 v114, v104
	v_mad_i64_i32 v[3:4], null, v25, 36, v[0:1]
	v_mad_i64_i32 v[25:26], null, v39, 36, v[0:1]
	v_add_nc_u32_e32 v39, v30, v90
	v_mad_u64_u32 v[64:65], null, v40, 36, s[2:3]
	s_delay_alu instid0(VALU_DEP_2) | instskip(SKIP_2) | instid1(VALU_DEP_2)
	v_mad_i64_i32 v[53:54], null, v39, 36, v[0:1]
	v_add_nc_u32_e32 v39, v30, v93
	v_add_nc_u32_e32 v30, v30, v95
	v_mad_i64_i32 v[59:60], null, v39, 36, v[0:1]
	s_delay_alu instid0(VALU_DEP_2)
	v_mad_i64_i32 v[62:63], null, v30, 36, v[0:1]
	s_clause 0x8
	global_load_b32 v3, v[3:4], off offset:4
	global_load_b32 v4, v[25:26], off offset:4
	;; [unrolled: 1-line block ×8, first 2 shown]
	global_load_b32 v43, v[64:65], off
	s_clause 0x5
	scratch_load_b32 v116, off, off offset:228
	scratch_load_b32 v117, off, off offset:224
	;; [unrolled: 1-line block ×5, first 2 shown]
	scratch_load_b32 v44, off, off
	s_waitcnt vmcnt(0)
	ds_store_b32 v44, v3
	scratch_load_b32 v3, off, off offset:4  ; 4-byte Folded Reload
	s_waitcnt vmcnt(0)
	ds_store_b32 v3, v4
	scratch_load_b32 v3, off, off offset:8  ; 4-byte Folded Reload
	s_waitcnt vmcnt(0)
	ds_store_b32 v3, v25
	ds_store_b32 v73, v26
	;; [unrolled: 1-line block ×7, first 2 shown]
	s_waitcnt lgkmcnt(0)
	s_barrier
	buffer_gl0_inv
.LBB159_10:                             ;   Parent Loop BB159_6 Depth=1
                                        ; =>  This Inner Loop Header: Depth=2
	ds_load_b128 v[47:50], v115
	ds_load_b128 v[57:60], v115 offset:16
	ds_load_2addr_b32 v[3:4], v114 offset1:32
	ds_load_b32 v151, v116
	ds_load_2addr_b32 v[25:26], v119 offset1:1
	v_add_nc_u32_e32 v116, 4, v116
	s_add_i32 s12, s12, 4
	s_delay_alu instid0(SALU_CYCLE_1)
	s_cmp_lt_u32 s12, 28
	s_waitcnt lgkmcnt(4)
	v_bfe_i32 v30, v47, 0, 8
	v_bfe_i32 v39, v47, 8, 8
	v_bfe_i32 v40, v47, 16, 8
	s_waitcnt lgkmcnt(0)
	v_bfe_u32 v154, v25, 20, 4
	v_and_b32_e32 v155, 15, v25
	v_bfe_u32 v156, v25, 8, 4
	v_bfe_u32 v158, v25, 16, 4
	;; [unrolled: 1-line block ×5, first 2 shown]
	v_lshrrev_b32_e32 v161, 28, v25
	v_bfe_u32 v157, v26, 20, 4
	v_and_b32_e32 v162, 15, v26
	v_bfe_u32 v163, v26, 8, 4
	v_bfe_u32 v164, v26, 16, 4
	;; [unrolled: 1-line block ×5, first 2 shown]
	v_lshrrev_b32_e32 v170, 28, v26
	ds_load_2addr_b32 v[25:26], v119 offset0:2 offset1:3
	v_ashrrev_i32_e32 v41, 24, v47
	v_bfe_i32 v43, v57, 0, 8
	v_bfe_i32 v47, v48, 0, 8
	;; [unrolled: 1-line block ×3, first 2 shown]
	v_mul_i32_i24_e32 v71, v155, v30
	v_bfe_i32 v44, v57, 8, 8
	v_bfe_i32 v45, v57, 16, 8
	v_ashrrev_i32_e32 v46, 24, v57
	v_bfe_i32 v57, v49, 0, 8
	v_mul_i32_i24_e32 v80, v162, v47
	v_mul_i32_i24_e32 v85, v167, v53
	v_mad_i32_i24 v71, v152, v43, v71
	v_mul_i32_i24_e32 v72, v156, v39
	v_bfe_i32 v62, v59, 0, 8
	v_bfe_i32 v65, v50, 0, 8
	v_mul_i32_i24_e32 v75, v158, v40
	v_add3_u32 v71, v71, v80, v85
	v_mul_i32_i24_e32 v76, v159, v41
	v_bfe_i32 v51, v48, 8, 8
	s_waitcnt lgkmcnt(0)
	v_and_b32_e32 v171, 15, v25
	v_bfe_u32 v176, v25, 4, 4
	v_and_b32_e32 v180, 15, v26
	v_mul_i32_i24_e32 v77, v160, v44
	v_mul_i32_i24_e32 v78, v154, v45
	;; [unrolled: 1-line block ×5, first 2 shown]
	v_bfe_i32 v52, v48, 16, 8
	v_ashrrev_i32_e32 v48, 24, v48
	v_add3_u32 v71, v71, v100, v72
	v_mul_i32_i24_e32 v79, v161, v46
	v_mul_i32_i24_e32 v81, v163, v51
	v_bfe_i32 v54, v58, 8, 8
	v_bfe_i32 v68, v60, 0, 8
	v_add3_u32 v71, v71, v75, v76
	v_mul_i32_i24_e32 v82, v164, v52
	v_mul_i32_i24_e32 v84, v166, v48
	v_bfe_u32 v184, v26, 4, 4
	v_bfe_i32 v55, v58, 16, 8
	v_add3_u32 v71, v71, v106, v109
	v_ashrrev_i32_e32 v56, 24, v58
	v_mul_i32_i24_e32 v97, v168, v54
	v_mul_i32_i24_e32 v113, v184, v68
	v_bfe_i32 v58, v49, 8, 8
	v_add3_u32 v71, v71, v77, v78
	v_bfe_i32 v61, v49, 16, 8
	v_mul_i32_i24_e32 v98, v157, v55
	v_mul_i32_i24_e32 v99, v170, v56
	v_bfe_u32 v172, v25, 8, 4
	v_add3_u32 v71, v71, v79, v81
	v_bfe_u32 v174, v25, 16, 4
	v_ashrrev_i32_e32 v49, 24, v49
	v_bfe_i32 v63, v59, 8, 8
	v_mul_i32_i24_e32 v101, v172, v58
	v_add3_u32 v71, v71, v82, v84
	v_mul_i32_i24_e32 v102, v174, v61
	v_bfe_u32 v175, v25, 24, 4
	v_bfe_u32 v177, v25, 12, 4
	v_bfe_i32 v64, v59, 16, 8
	v_add3_u32 v71, v71, v113, v97
	v_ashrrev_i32_e32 v59, 24, v59
	v_bfe_u32 v165, v25, 20, 4
	v_mul_i32_i24_e32 v105, v175, v49
	v_mul_i32_i24_e32 v107, v177, v63
	v_add3_u32 v71, v71, v98, v99
	v_lshrrev_b32_e32 v178, 28, v25
	v_bfe_i32 v66, v50, 8, 8
	v_bfe_i32 v67, v50, 16, 8
	v_mul_i32_i24_e32 v108, v165, v64
	v_add3_u32 v71, v71, v101, v102
	v_mul_i32_i24_e32 v25, v178, v59
	v_bfe_u32 v181, v26, 8, 4
	v_bfe_u32 v182, v26, 16, 4
	v_ashrrev_i32_e32 v50, 24, v50
	v_add3_u32 v71, v71, v105, v107
	v_bfe_i32 v69, v60, 8, 8
	v_mul_i32_i24_e32 v110, v181, v66
	v_mul_i32_i24_e32 v111, v182, v67
	v_bfe_u32 v183, v26, 24, 4
	v_bfe_u32 v185, v26, 12, 4
	v_add3_u32 v25, v71, v108, v25
	v_bfe_i32 v70, v60, 16, 8
	v_ashrrev_i32_e32 v60, 24, v60
	v_bfe_u32 v173, v26, 20, 4
	v_mul_i32_i24_e32 v112, v183, v50
	v_mul_i32_i24_e32 v121, v185, v69
	v_lshrrev_b32_e32 v187, 28, v26
	v_add3_u32 v25, v25, v110, v111
	v_mul_i32_i24_e32 v122, v173, v70
	s_delay_alu instid0(VALU_DEP_3) | instskip(NEXT) | instid1(VALU_DEP_3)
	v_mul_i32_i24_e32 v26, v187, v60
	v_add3_u32 v25, v25, v112, v121
	s_delay_alu instid0(VALU_DEP_1) | instskip(SKIP_1) | instid1(VALU_DEP_2)
	v_add3_u32 v25, v25, v122, v26
	v_pk_mul_f16 v26, v3, v151
	v_cvt_f32_i32_e32 v25, v25
	s_delay_alu instid0(VALU_DEP_1) | instskip(NEXT) | instid1(VALU_DEP_1)
	v_fma_mix_f32 v25, v26, v25, v26 op_sel:[0,0,1] op_sel_hi:[1,0,1]
	v_add_f32_e32 v35, v35, v25
	v_add_nc_u32_e32 v25, 0x1080, v119
	ds_load_b32 v153, v117
	ds_load_2addr_b32 v[25:26], v25 offset1:1
	v_add_nc_u32_e32 v117, 4, v117
	s_waitcnt lgkmcnt(0)
	v_bfe_u32 v186, v25, 20, 4
	v_and_b32_e32 v188, 15, v25
	v_bfe_u32 v189, v25, 8, 4
	v_bfe_u32 v191, v25, 16, 4
	;; [unrolled: 1-line block ×5, first 2 shown]
	v_lshrrev_b32_e32 v194, 28, v25
	v_add_nc_u32_e32 v25, 0x1088, v119
	v_bfe_u32 v190, v26, 20, 4
	v_and_b32_e32 v195, 15, v26
	v_bfe_u32 v196, v26, 8, 4
	v_bfe_u32 v197, v26, 16, 4
	;; [unrolled: 1-line block ×5, first 2 shown]
	v_lshrrev_b32_e32 v202, 28, v26
	ds_load_2addr_b32 v[25:26], v25 offset1:1
	v_mul_i32_i24_e32 v71, v188, v30
	v_mul_i32_i24_e32 v80, v195, v47
	;; [unrolled: 1-line block ×5, first 2 shown]
	v_mad_i32_i24 v71, v169, v43, v71
	v_mul_i32_i24_e32 v76, v192, v41
	v_mul_i32_i24_e32 v77, v193, v44
	;; [unrolled: 1-line block ×4, first 2 shown]
	v_add3_u32 v71, v71, v80, v85
	v_mul_i32_i24_e32 v81, v196, v51
	v_mul_i32_i24_e32 v82, v197, v52
	v_mul_i32_i24_e32 v84, v198, v48
	v_mul_i32_i24_e32 v97, v201, v54
	v_mul_i32_i24_e32 v98, v190, v55
	v_mul_i32_i24_e32 v99, v202, v56
	s_waitcnt lgkmcnt(0)
	v_and_b32_e32 v204, 15, v25
	v_bfe_u32 v209, v25, 4, 4
	v_and_b32_e32 v212, 15, v26
	v_bfe_u32 v216, v26, 4, 4
	v_bfe_u32 v205, v25, 8, 4
	v_mul_i32_i24_e32 v100, v204, v57
	v_mul_i32_i24_e32 v106, v209, v62
	;; [unrolled: 1-line block ×4, first 2 shown]
	v_bfe_u32 v207, v25, 16, 4
	v_add3_u32 v71, v71, v100, v72
	v_mul_i32_i24_e32 v101, v205, v58
	v_bfe_u32 v208, v25, 24, 4
	v_bfe_u32 v210, v25, 12, 4
	v_mul_i32_i24_e32 v102, v207, v61
	v_add3_u32 v71, v71, v75, v76
	v_bfe_u32 v199, v25, 20, 4
	v_mul_i32_i24_e32 v105, v208, v49
	v_mul_i32_i24_e32 v107, v210, v63
	v_lshrrev_b32_e32 v211, 28, v25
	v_add3_u32 v71, v71, v106, v109
	v_mul_i32_i24_e32 v108, v199, v64
	v_bfe_u32 v213, v26, 8, 4
	v_bfe_u32 v214, v26, 16, 4
	v_mul_i32_i24_e32 v25, v211, v59
	v_add3_u32 v71, v71, v77, v78
	v_bfe_u32 v215, v26, 24, 4
	v_mul_i32_i24_e32 v110, v213, v66
	v_mul_i32_i24_e32 v111, v214, v67
	v_bfe_u32 v217, v26, 12, 4
	v_add3_u32 v71, v71, v79, v81
	v_bfe_u32 v206, v26, 20, 4
	v_mul_i32_i24_e32 v112, v215, v50
	v_lshrrev_b32_e32 v219, 28, v26
	v_mul_i32_i24_e32 v121, v217, v69
	v_add3_u32 v71, v71, v82, v84
	v_mul_i32_i24_e32 v122, v206, v70
	s_delay_alu instid0(VALU_DEP_4) | instskip(NEXT) | instid1(VALU_DEP_3)
	v_mul_i32_i24_e32 v26, v219, v60
	v_add3_u32 v71, v71, v113, v97
	s_delay_alu instid0(VALU_DEP_1) | instskip(NEXT) | instid1(VALU_DEP_1)
	v_add3_u32 v71, v71, v98, v99
	v_add3_u32 v71, v71, v101, v102
	s_delay_alu instid0(VALU_DEP_1) | instskip(NEXT) | instid1(VALU_DEP_1)
	v_add3_u32 v71, v71, v105, v107
	;; [unrolled: 3-line block ×3, first 2 shown]
	v_add3_u32 v25, v25, v112, v121
	s_delay_alu instid0(VALU_DEP_1) | instskip(SKIP_1) | instid1(VALU_DEP_2)
	v_add3_u32 v25, v25, v122, v26
	v_pk_mul_f16 v26, v3, v153
	v_cvt_f32_i32_e32 v25, v25
	s_delay_alu instid0(VALU_DEP_1) | instskip(NEXT) | instid1(VALU_DEP_1)
	v_fma_mix_f32 v25, v26, v25, v26 op_sel:[0,0,1] op_sel_hi:[1,0,1]
	v_dual_add_f32 v42, v42, v25 :: v_dual_add_nc_u32 v25, 0x2100, v119
	ds_load_b32 v179, v118
	ds_load_2addr_b32 v[25:26], v25 offset1:1
	v_add_nc_u32_e32 v118, 4, v118
	s_waitcnt lgkmcnt(0)
	v_bfe_u32 v218, v25, 20, 4
	v_and_b32_e32 v220, 15, v25
	v_bfe_u32 v221, v25, 8, 4
	v_bfe_u32 v223, v25, 16, 4
	;; [unrolled: 1-line block ×5, first 2 shown]
	v_lshrrev_b32_e32 v226, 28, v25
	v_add_nc_u32_e32 v25, 0x2108, v119
	v_bfe_u32 v222, v26, 20, 4
	v_and_b32_e32 v227, 15, v26
	v_bfe_u32 v228, v26, 8, 4
	v_bfe_u32 v229, v26, 16, 4
	v_bfe_u32 v230, v26, 24, 4
	v_bfe_u32 v232, v26, 4, 4
	v_bfe_u32 v233, v26, 12, 4
	v_lshrrev_b32_e32 v234, 28, v26
	ds_load_2addr_b32 v[25:26], v25 offset1:1
	v_mul_i32_i24_e32 v71, v220, v30
	v_mul_i32_i24_e32 v80, v227, v47
	;; [unrolled: 1-line block ×5, first 2 shown]
	v_mad_i32_i24 v71, v203, v43, v71
	v_mul_i32_i24_e32 v76, v224, v41
	v_mul_i32_i24_e32 v77, v225, v44
	;; [unrolled: 1-line block ×4, first 2 shown]
	v_add3_u32 v71, v71, v80, v85
	v_mul_i32_i24_e32 v81, v228, v51
	v_mul_i32_i24_e32 v82, v229, v52
	;; [unrolled: 1-line block ×6, first 2 shown]
	s_waitcnt lgkmcnt(0)
	v_and_b32_e32 v235, 15, v25
	v_bfe_u32 v240, v25, 4, 4
	v_and_b32_e32 v243, 15, v26
	v_bfe_u32 v247, v26, 4, 4
	v_bfe_u32 v236, v25, 8, 4
	v_mul_i32_i24_e32 v100, v235, v57
	v_mul_i32_i24_e32 v106, v240, v62
	;; [unrolled: 1-line block ×4, first 2 shown]
	v_bfe_u32 v238, v25, 16, 4
	v_add3_u32 v71, v71, v100, v72
	v_mul_i32_i24_e32 v101, v236, v58
	v_bfe_u32 v239, v25, 24, 4
	v_bfe_u32 v241, v25, 12, 4
	v_mul_i32_i24_e32 v102, v238, v61
	v_add3_u32 v71, v71, v75, v76
	v_bfe_u32 v231, v25, 20, 4
	v_mul_i32_i24_e32 v105, v239, v49
	v_mul_i32_i24_e32 v107, v241, v63
	v_lshrrev_b32_e32 v242, 28, v25
	v_add3_u32 v71, v71, v106, v109
	v_mul_i32_i24_e32 v108, v231, v64
	v_bfe_u32 v244, v26, 8, 4
	v_bfe_u32 v245, v26, 16, 4
	v_mul_i32_i24_e32 v25, v242, v59
	v_add3_u32 v71, v71, v77, v78
	v_bfe_u32 v246, v26, 24, 4
	v_mul_i32_i24_e32 v110, v244, v66
	v_mul_i32_i24_e32 v111, v245, v67
	v_bfe_u32 v248, v26, 12, 4
	v_add3_u32 v71, v71, v79, v81
	v_bfe_u32 v237, v26, 20, 4
	v_mul_i32_i24_e32 v112, v246, v50
	v_lshrrev_b32_e32 v249, 28, v26
	v_mul_i32_i24_e32 v121, v248, v69
	v_add3_u32 v71, v71, v82, v84
	v_mul_i32_i24_e32 v122, v237, v70
	s_delay_alu instid0(VALU_DEP_4) | instskip(NEXT) | instid1(VALU_DEP_3)
	v_mul_i32_i24_e32 v26, v249, v60
	v_add3_u32 v71, v71, v113, v97
	s_delay_alu instid0(VALU_DEP_1) | instskip(NEXT) | instid1(VALU_DEP_1)
	v_add3_u32 v71, v71, v98, v99
	v_add3_u32 v71, v71, v101, v102
	s_delay_alu instid0(VALU_DEP_1) | instskip(NEXT) | instid1(VALU_DEP_1)
	v_add3_u32 v71, v71, v105, v107
	;; [unrolled: 3-line block ×3, first 2 shown]
	v_add3_u32 v25, v25, v112, v121
	s_delay_alu instid0(VALU_DEP_1) | instskip(SKIP_1) | instid1(VALU_DEP_2)
	v_add3_u32 v25, v25, v122, v26
	v_pk_mul_f16 v26, v3, v179
	v_cvt_f32_i32_e32 v25, v25
	s_delay_alu instid0(VALU_DEP_1) | instskip(NEXT) | instid1(VALU_DEP_1)
	v_fma_mix_f32 v25, v26, v25, v26 op_sel:[0,0,1] op_sel_hi:[1,0,1]
	v_dual_add_f32 v38, v38, v25 :: v_dual_add_nc_u32 v25, 0x3180, v119
	ds_load_b32 v121, v120
	ds_load_2addr_b32 v[25:26], v25 offset1:1
	v_add_nc_u32_e32 v120, 4, v120
	s_waitcnt lgkmcnt(1)
	v_pk_mul_f16 v3, v3, v121
	s_waitcnt lgkmcnt(0)
	v_bfe_u32 v123, v25, 20, 4
	v_and_b32_e32 v250, 15, v25
	v_bfe_u32 v251, v25, 8, 4
	v_bfe_u32 v252, v25, 16, 4
	;; [unrolled: 1-line block ×5, first 2 shown]
	v_lshrrev_b32_e32 v127, 28, v25
	v_add_nc_u32_e32 v25, 0x3188, v119
	v_bfe_u32 v124, v26, 20, 4
	v_and_b32_e32 v128, 15, v26
	v_bfe_u32 v129, v26, 8, 4
	v_bfe_u32 v130, v26, 16, 4
	;; [unrolled: 1-line block ×5, first 2 shown]
	v_lshrrev_b32_e32 v135, 28, v26
	ds_load_2addr_b32 v[25:26], v25 offset1:1
	v_mul_i32_i24_e32 v30, v250, v30
	v_mul_i32_i24_e32 v47, v128, v47
	;; [unrolled: 1-line block ×5, first 2 shown]
	v_mad_i32_i24 v30, v122, v43, v30
	v_mul_i32_i24_e32 v41, v125, v41
	v_mul_i32_i24_e32 v44, v126, v44
	;; [unrolled: 1-line block ×4, first 2 shown]
	v_add3_u32 v30, v30, v47, v53
	v_mul_i32_i24_e32 v51, v129, v51
	v_mul_i32_i24_e32 v52, v130, v52
	;; [unrolled: 1-line block ×6, first 2 shown]
	v_add_nc_u32_e32 v119, 16, v119
	s_waitcnt lgkmcnt(0)
	v_and_b32_e32 v136, 15, v25
	v_bfe_u32 v141, v25, 4, 4
	v_lshrrev_b32_e32 v143, 28, v25
	v_and_b32_e32 v144, 15, v26
	v_bfe_u32 v132, v25, 20, 4
	v_mul_i32_i24_e32 v57, v136, v57
	v_bfe_u32 v137, v25, 8, 4
	v_bfe_u32 v139, v25, 16, 4
	;; [unrolled: 1-line block ×3, first 2 shown]
	v_mul_i32_i24_e32 v62, v141, v62
	v_add3_u32 v30, v30, v57, v39
	v_bfe_u32 v142, v25, 12, 4
	v_mul_i32_i24_e32 v25, v143, v59
	v_mul_i32_i24_e32 v59, v144, v65
	v_bfe_u32 v145, v26, 8, 4
	v_add3_u32 v30, v30, v40, v41
	v_bfe_u32 v146, v26, 16, 4
	v_bfe_u32 v148, v26, 4, 4
	v_mul_i32_i24_e32 v58, v137, v58
	v_mul_i32_i24_e32 v65, v145, v66
	v_add3_u32 v30, v30, v62, v59
	v_mul_i32_i24_e32 v66, v146, v67
	v_mul_i32_i24_e32 v67, v148, v68
	;; [unrolled: 1-line block ×4, first 2 shown]
	v_add3_u32 v30, v30, v44, v45
	v_mul_i32_i24_e32 v63, v142, v63
	v_mul_i32_i24_e32 v64, v132, v64
	v_bfe_u32 v147, v26, 24, 4
	v_bfe_u32 v149, v26, 12, 4
	v_add3_u32 v30, v30, v46, v51
	v_bfe_u32 v138, v26, 20, 4
	v_lshrrev_b32_e32 v150, 28, v26
	v_mul_i32_i24_e32 v50, v147, v50
	v_mul_i32_i24_e32 v68, v149, v69
	v_add3_u32 v30, v30, v52, v48
	v_mul_i32_i24_e32 v69, v138, v70
	v_mul_i32_i24_e32 v26, v150, v60
	s_delay_alu instid0(VALU_DEP_3) | instskip(NEXT) | instid1(VALU_DEP_1)
	v_add3_u32 v30, v30, v67, v54
	v_add3_u32 v30, v30, v55, v56
	s_delay_alu instid0(VALU_DEP_1) | instskip(NEXT) | instid1(VALU_DEP_1)
	v_add3_u32 v30, v30, v58, v61
	v_add3_u32 v30, v30, v49, v63
	s_delay_alu instid0(VALU_DEP_1) | instskip(NEXT) | instid1(VALU_DEP_1)
	v_add3_u32 v25, v30, v64, v25
	v_add3_u32 v25, v25, v65, v66
	s_delay_alu instid0(VALU_DEP_1) | instskip(SKIP_3) | instid1(VALU_DEP_1)
	v_add3_u32 v25, v25, v50, v68
	ds_load_b128 v[47:50], v115 offset:1024
	ds_load_b128 v[57:60], v115 offset:1040
	v_add3_u32 v25, v25, v69, v26
	v_cvt_f32_i32_e32 v25, v25
	s_delay_alu instid0(VALU_DEP_1) | instskip(NEXT) | instid1(VALU_DEP_1)
	v_fma_mix_f32 v3, v3, v25, v3 op_sel:[0,0,1] op_sel_hi:[1,0,1]
	v_add_f32_e32 v37, v37, v3
	s_waitcnt lgkmcnt(1)
	v_bfe_i32 v3, v47, 0, 8
	v_bfe_i32 v25, v47, 8, 8
	;; [unrolled: 1-line block ×3, first 2 shown]
	s_waitcnt lgkmcnt(0)
	v_bfe_i32 v39, v57, 0, 8
	v_ashrrev_i32_e32 v30, 24, v47
	v_mul_i32_i24_e32 v68, v3, v155
	v_bfe_i32 v44, v48, 0, 8
	v_mul_i32_i24_e32 v69, v25, v156
	v_mul_i32_i24_e32 v70, v26, v158
	v_bfe_i32 v40, v57, 8, 8
	v_mad_i32_i24 v68, v39, v152, v68
	v_bfe_i32 v41, v57, 16, 8
	v_mul_i32_i24_e32 v71, v30, v159
	v_mul_i32_i24_e32 v77, v44, v162
	v_ashrrev_i32_e32 v43, 24, v57
	v_add3_u32 v68, v68, v69, v70
	v_bfe_i32 v45, v48, 8, 8
	v_bfe_i32 v46, v48, 16, 8
	v_ashrrev_i32_e32 v47, 24, v48
	v_bfe_i32 v48, v58, 0, 8
	v_mul_i32_i24_e32 v72, v40, v160
	v_mul_i32_i24_e32 v75, v41, v154
	v_add3_u32 v68, v68, v71, v77
	v_mul_i32_i24_e32 v76, v43, v161
	v_mul_i32_i24_e32 v81, v48, v167
	v_bfe_i32 v54, v49, 0, 8
	v_mul_i32_i24_e32 v78, v45, v163
	v_add3_u32 v68, v68, v72, v75
	v_mul_i32_i24_e32 v79, v46, v164
	v_bfe_i32 v51, v58, 8, 8
	v_bfe_i32 v52, v58, 16, 8
	v_mul_i32_i24_e32 v80, v47, v166
	v_add3_u32 v68, v68, v76, v81
	v_mul_i32_i24_e32 v97, v54, v171
	v_ashrrev_i32_e32 v53, 24, v58
	v_bfe_i32 v57, v59, 0, 8
	v_mul_i32_i24_e32 v82, v51, v168
	v_add3_u32 v68, v68, v78, v79
	v_mul_i32_i24_e32 v84, v52, v157
	v_bfe_i32 v55, v49, 8, 8
	v_bfe_i32 v56, v49, 16, 8
	v_mul_i32_i24_e32 v85, v53, v170
	v_add3_u32 v68, v68, v80, v97
	v_mul_i32_i24_e32 v101, v57, v176
	v_ashrrev_i32_e32 v49, 24, v49
	;; [unrolled: 10-line block ×4, first 2 shown]
	v_bfe_i32 v66, v60, 8, 8
	v_mul_i32_i24_e32 v108, v63, v181
	v_add3_u32 v68, v68, v102, v105
	v_mul_i32_i24_e32 v109, v64, v182
	v_bfe_i32 v67, v60, 16, 8
	v_ashrrev_i32_e32 v60, 24, v60
	v_mul_i32_i24_e32 v110, v50, v183
	v_add3_u32 v68, v68, v106, v111
	v_mul_i32_i24_e32 v112, v66, v185
	v_mul_i32_i24_e32 v113, v67, v173
	;; [unrolled: 1-line block ×3, first 2 shown]
	v_pk_mul_f16 v69, v151, v4
	v_add3_u32 v68, v68, v108, v109
	v_mul_i32_i24_e32 v70, v26, v191
	v_mul_i32_i24_e32 v71, v30, v192
	v_mul_i32_i24_e32 v77, v44, v195
	v_mul_i32_i24_e32 v72, v40, v193
	v_add3_u32 v68, v68, v110, v112
	v_mul_i32_i24_e32 v75, v41, v186
	v_mul_i32_i24_e32 v76, v43, v194
	v_mul_i32_i24_e32 v81, v48, v200
	v_mul_i32_i24_e32 v78, v45, v196
	;; [unrolled: 5-line block ×3, first 2 shown]
	v_cvt_f32_i32_e32 v68, v68
	v_mul_i32_i24_e32 v84, v52, v190
	v_mul_i32_i24_e32 v85, v53, v202
	;; [unrolled: 1-line block ×4, first 2 shown]
	v_fma_mix_f32 v68, v69, v68, v69 op_sel:[0,0,1] op_sel_hi:[1,0,1]
	v_mul_i32_i24_e32 v69, v25, v189
	v_mul_i32_i24_e32 v99, v56, v207
	;; [unrolled: 1-line block ×4, first 2 shown]
	v_add_f32_e32 v36, v36, v68
	v_mul_i32_i24_e32 v68, v3, v188
	v_mul_i32_i24_e32 v102, v58, v210
	;; [unrolled: 1-line block ×5, first 2 shown]
	v_mad_i32_i24 v68, v39, v169, v68
	v_mul_i32_i24_e32 v108, v63, v213
	v_mul_i32_i24_e32 v109, v64, v214
	;; [unrolled: 1-line block ×4, first 2 shown]
	v_add3_u32 v68, v68, v69, v70
	v_mul_i32_i24_e32 v113, v67, v206
	v_mul_i32_i24_e32 v253, v60, v219
	v_pk_mul_f16 v69, v153, v4
	v_mul_i32_i24_e32 v70, v26, v223
	v_add3_u32 v68, v68, v71, v77
	v_mul_i32_i24_e32 v26, v26, v252
	v_mul_i32_i24_e32 v71, v30, v224
	v_mul_i32_i24_e32 v77, v44, v227
	v_mul_i32_i24_e32 v30, v30, v125
	v_add3_u32 v68, v68, v72, v75
	v_mul_i32_i24_e32 v44, v44, v128
	v_mul_i32_i24_e32 v72, v40, v225
	v_mul_i32_i24_e32 v75, v41, v218
	;; [unrolled: 5-line block ×14, first 2 shown]
	v_mul_i32_i24_e32 v67, v67, v138
	v_cvt_f32_i32_e32 v68, v68
	v_mul_i32_i24_e32 v60, v60, v150
	s_delay_alu instid0(VALU_DEP_2) | instskip(SKIP_2) | instid1(VALU_DEP_3)
	v_fma_mix_f32 v68, v69, v68, v69 op_sel:[0,0,1] op_sel_hi:[1,0,1]
	v_mul_i32_i24_e32 v69, v25, v221
	v_mul_i32_i24_e32 v25, v25, v251
	v_add_f32_e32 v34, v34, v68
	v_mul_i32_i24_e32 v68, v3, v220
	v_mul_i32_i24_e32 v3, v3, v250
	s_delay_alu instid0(VALU_DEP_2) | instskip(NEXT) | instid1(VALU_DEP_2)
	v_mad_i32_i24 v68, v39, v203, v68
	v_mad_i32_i24 v3, v39, v122, v3
	s_delay_alu instid0(VALU_DEP_2) | instskip(NEXT) | instid1(VALU_DEP_2)
	v_add3_u32 v68, v68, v69, v70
	v_add3_u32 v3, v3, v25, v26
	v_pk_mul_f16 v69, v179, v4
	v_pk_mul_f16 v4, v121, v4
	s_delay_alu instid0(VALU_DEP_4) | instskip(NEXT) | instid1(VALU_DEP_4)
	v_add3_u32 v68, v68, v71, v77
	v_add3_u32 v3, v3, v30, v44
	s_delay_alu instid0(VALU_DEP_2) | instskip(NEXT) | instid1(VALU_DEP_2)
	v_add3_u32 v68, v68, v72, v75
	v_add3_u32 v3, v3, v40, v41
	s_delay_alu instid0(VALU_DEP_2) | instskip(NEXT) | instid1(VALU_DEP_2)
	;; [unrolled: 3-line block ×14, first 2 shown]
	v_cvt_f32_i32_e32 v68, v68
	v_cvt_f32_i32_e32 v3, v3
	s_delay_alu instid0(VALU_DEP_2) | instskip(NEXT) | instid1(VALU_DEP_2)
	v_fma_mix_f32 v68, v69, v68, v69 op_sel:[0,0,1] op_sel_hi:[1,0,1]
	v_fma_mix_f32 v3, v4, v3, v4 op_sel:[0,0,1] op_sel_hi:[1,0,1]
	s_delay_alu instid0(VALU_DEP_1)
	v_dual_add_f32 v33, v33, v68 :: v_dual_add_f32 v32, v32, v3
	ds_load_b128 v[47:50], v115 offset:2048
	ds_load_b128 v[57:60], v115 offset:2064
	ds_load_2addr_b32 v[3:4], v114 offset0:64 offset1:96
	s_waitcnt lgkmcnt(2)
	v_bfe_i32 v25, v47, 0, 8
	v_bfe_i32 v26, v47, 8, 8
	;; [unrolled: 1-line block ×3, first 2 shown]
	s_waitcnt lgkmcnt(1)
	v_bfe_i32 v40, v57, 0, 8
	v_ashrrev_i32_e32 v39, 24, v47
	v_mul_i32_i24_e32 v69, v25, v155
	v_bfe_i32 v45, v48, 0, 8
	v_mul_i32_i24_e32 v70, v26, v156
	v_mul_i32_i24_e32 v71, v30, v158
	v_bfe_i32 v41, v57, 8, 8
	v_mad_i32_i24 v69, v40, v152, v69
	v_bfe_i32 v43, v57, 16, 8
	v_mul_i32_i24_e32 v72, v39, v159
	v_mul_i32_i24_e32 v78, v45, v162
	v_ashrrev_i32_e32 v44, 24, v57
	v_add3_u32 v69, v69, v70, v71
	v_bfe_i32 v51, v58, 0, 8
	v_mul_i32_i24_e32 v75, v41, v160
	v_mul_i32_i24_e32 v76, v43, v154
	v_bfe_i32 v46, v48, 8, 8
	v_add3_u32 v69, v69, v72, v78
	v_bfe_i32 v47, v48, 16, 8
	v_mul_i32_i24_e32 v77, v44, v161
	v_mul_i32_i24_e32 v82, v51, v167
	v_ashrrev_i32_e32 v48, 24, v48
	v_add3_u32 v69, v69, v75, v76
	v_bfe_i32 v55, v49, 0, 8
	v_mul_i32_i24_e32 v79, v46, v163
	v_mul_i32_i24_e32 v80, v47, v164
	v_bfe_i32 v52, v58, 8, 8
	v_add3_u32 v69, v69, v77, v82
	;; [unrolled: 10-line block ×6, first 2 shown]
	v_ashrrev_i32_e32 v60, 24, v60
	v_mul_i32_i24_e32 v111, v50, v183
	v_mul_i32_i24_e32 v113, v67, v185
	;; [unrolled: 1-line block ×3, first 2 shown]
	v_add3_u32 v69, v69, v109, v110
	v_mul_i32_i24_e32 v254, v60, v187
	s_waitcnt lgkmcnt(0)
	v_pk_mul_f16 v70, v151, v3
	v_mul_i32_i24_e32 v71, v30, v191
	v_mul_i32_i24_e32 v72, v39, v192
	v_add3_u32 v69, v69, v111, v113
	v_mul_i32_i24_e32 v78, v45, v195
	v_mul_i32_i24_e32 v75, v41, v193
	;; [unrolled: 1-line block ×4, first 2 shown]
	v_add3_u32 v69, v69, v253, v254
	v_mul_i32_i24_e32 v82, v51, v200
	v_mul_i32_i24_e32 v79, v46, v196
	;; [unrolled: 1-line block ×4, first 2 shown]
	v_cvt_f32_i32_e32 v69, v69
	v_mul_i32_i24_e32 v98, v55, v204
	v_mul_i32_i24_e32 v84, v52, v201
	;; [unrolled: 1-line block ×4, first 2 shown]
	v_fma_mix_f32 v69, v70, v69, v70 op_sel:[0,0,1] op_sel_hi:[1,0,1]
	v_mul_i32_i24_e32 v70, v26, v189
	v_mul_i32_i24_e32 v102, v58, v209
	v_mul_i32_i24_e32 v99, v56, v205
	v_mul_i32_i24_e32 v100, v57, v207
	v_add_f32_e32 v31, v31, v69
	v_mul_i32_i24_e32 v69, v25, v188
	v_mul_i32_i24_e32 v101, v49, v208
	;; [unrolled: 1-line block ×5, first 2 shown]
	v_mad_i32_i24 v69, v40, v169, v69
	v_mul_i32_i24_e32 v107, v59, v211
	v_mul_i32_i24_e32 v112, v66, v216
	;; [unrolled: 1-line block ×4, first 2 shown]
	v_add3_u32 v69, v69, v70, v71
	v_mul_i32_i24_e32 v111, v50, v215
	v_mul_i32_i24_e32 v113, v67, v217
	;; [unrolled: 1-line block ×4, first 2 shown]
	v_add3_u32 v69, v69, v72, v78
	v_pk_mul_f16 v70, v153, v3
	v_mul_i32_i24_e32 v71, v30, v223
	v_mul_i32_i24_e32 v30, v30, v252
	v_mul_i32_i24_e32 v72, v39, v224
	v_add3_u32 v69, v69, v75, v76
	v_mul_i32_i24_e32 v78, v45, v227
	v_mul_i32_i24_e32 v39, v39, v125
	v_mul_i32_i24_e32 v75, v41, v225
	v_mul_i32_i24_e32 v76, v43, v218
	v_add3_u32 v69, v69, v77, v82
	v_mul_i32_i24_e32 v41, v41, v126
	;; [unrolled: 5-line block ×13, first 2 shown]
	v_mul_i32_i24_e32 v67, v67, v149
	v_mul_i32_i24_e32 v253, v68, v237
	v_mul_i32_i24_e32 v254, v60, v249
	v_cvt_f32_i32_e32 v69, v69
	v_mul_i32_i24_e32 v68, v68, v138
	v_mul_i32_i24_e32 v60, v60, v150
	s_delay_alu instid0(VALU_DEP_3) | instskip(SKIP_2) | instid1(VALU_DEP_3)
	v_fma_mix_f32 v69, v70, v69, v70 op_sel:[0,0,1] op_sel_hi:[1,0,1]
	v_mul_i32_i24_e32 v70, v26, v221
	v_mul_i32_i24_e32 v26, v26, v251
	v_add_f32_e32 v29, v29, v69
	v_mul_i32_i24_e32 v69, v25, v220
	v_mul_i32_i24_e32 v25, v25, v250
	;; [unrolled: 1-line block ×3, first 2 shown]
	s_delay_alu instid0(VALU_DEP_3) | instskip(NEXT) | instid1(VALU_DEP_3)
	v_mad_i32_i24 v69, v40, v203, v69
	v_mad_i32_i24 v25, v40, v122, v25
	s_delay_alu instid0(VALU_DEP_2) | instskip(NEXT) | instid1(VALU_DEP_2)
	v_add3_u32 v69, v69, v70, v71
	v_add3_u32 v25, v25, v26, v30
	v_pk_mul_f16 v70, v179, v3
	v_pk_mul_f16 v3, v121, v3
	s_delay_alu instid0(VALU_DEP_4) | instskip(NEXT) | instid1(VALU_DEP_4)
	v_add3_u32 v69, v69, v72, v78
	v_add3_u32 v25, v25, v39, v45
	s_delay_alu instid0(VALU_DEP_2) | instskip(NEXT) | instid1(VALU_DEP_2)
	v_add3_u32 v69, v69, v75, v76
	v_add3_u32 v25, v25, v41, v43
	s_delay_alu instid0(VALU_DEP_2) | instskip(NEXT) | instid1(VALU_DEP_2)
	;; [unrolled: 3-line block ×13, first 2 shown]
	v_add3_u32 v69, v69, v253, v254
	v_add3_u32 v25, v25, v68, v60
	ds_load_b128 v[47:50], v115 offset:3072
	ds_load_b128 v[57:60], v115 offset:3088
	v_cvt_f32_i32_e32 v69, v69
	v_cvt_f32_i32_e32 v25, v25
	s_delay_alu instid0(VALU_DEP_2) | instskip(NEXT) | instid1(VALU_DEP_2)
	v_fma_mix_f32 v69, v70, v69, v70 op_sel:[0,0,1] op_sel_hi:[1,0,1]
	v_fma_mix_f32 v3, v3, v25, v3 op_sel:[0,0,1] op_sel_hi:[1,0,1]
	s_delay_alu instid0(VALU_DEP_1)
	v_dual_add_f32 v28, v28, v69 :: v_dual_add_f32 v27, v27, v3
	s_waitcnt lgkmcnt(1)
	v_bfe_i32 v3, v47, 0, 8
	v_bfe_i32 v25, v47, 8, 8
	;; [unrolled: 1-line block ×3, first 2 shown]
	s_waitcnt lgkmcnt(0)
	v_bfe_i32 v39, v57, 0, 8
	v_ashrrev_i32_e32 v30, 24, v47
	v_mul_i32_i24_e32 v68, v3, v155
	v_bfe_i32 v44, v48, 0, 8
	v_mul_i32_i24_e32 v69, v25, v156
	v_mul_i32_i24_e32 v70, v26, v158
	v_bfe_i32 v40, v57, 8, 8
	v_mad_i32_i24 v68, v39, v152, v68
	v_bfe_i32 v41, v57, 16, 8
	v_mul_i32_i24_e32 v71, v30, v159
	v_mul_i32_i24_e32 v77, v44, v162
	v_ashrrev_i32_e32 v43, 24, v57
	v_add3_u32 v68, v68, v69, v70
	v_bfe_i32 v45, v48, 8, 8
	v_bfe_i32 v46, v48, 16, 8
	v_ashrrev_i32_e32 v47, 24, v48
	v_bfe_i32 v48, v58, 0, 8
	v_mul_i32_i24_e32 v72, v40, v160
	v_mul_i32_i24_e32 v75, v41, v154
	v_add3_u32 v68, v68, v71, v77
	v_mul_i32_i24_e32 v76, v43, v161
	v_mul_i32_i24_e32 v81, v48, v167
	v_bfe_i32 v54, v49, 0, 8
	v_mul_i32_i24_e32 v78, v45, v163
	v_add3_u32 v68, v68, v72, v75
	v_mul_i32_i24_e32 v79, v46, v164
	v_bfe_i32 v51, v58, 8, 8
	v_bfe_i32 v52, v58, 16, 8
	v_mul_i32_i24_e32 v80, v47, v166
	v_add3_u32 v68, v68, v76, v81
	v_mul_i32_i24_e32 v97, v54, v171
	v_ashrrev_i32_e32 v53, 24, v58
	v_bfe_i32 v57, v59, 0, 8
	v_mul_i32_i24_e32 v82, v51, v168
	v_add3_u32 v68, v68, v78, v79
	v_mul_i32_i24_e32 v84, v52, v157
	v_bfe_i32 v55, v49, 8, 8
	v_bfe_i32 v56, v49, 16, 8
	v_mul_i32_i24_e32 v85, v53, v170
	v_add3_u32 v68, v68, v80, v97
	v_mul_i32_i24_e32 v101, v57, v176
	v_ashrrev_i32_e32 v49, 24, v49
	v_bfe_i32 v62, v50, 0, 8
	v_mul_i32_i24_e32 v98, v55, v172
	v_add3_u32 v68, v68, v82, v84
	v_mul_i32_i24_e32 v99, v56, v174
	v_bfe_i32 v58, v59, 8, 8
	v_bfe_i32 v61, v59, 16, 8
	v_mul_i32_i24_e32 v100, v49, v175
	v_add3_u32 v68, v68, v85, v101
	v_mul_i32_i24_e32 v107, v62, v180
	v_ashrrev_i32_e32 v59, 24, v59
	v_bfe_i32 v65, v60, 0, 8
	v_mul_i32_i24_e32 v102, v58, v177
	v_add3_u32 v68, v68, v98, v99
	v_mul_i32_i24_e32 v105, v61, v165
	v_bfe_i32 v63, v50, 8, 8
	v_bfe_i32 v64, v50, 16, 8
	v_mul_i32_i24_e32 v106, v59, v178
	v_add3_u32 v68, v68, v100, v107
	v_mul_i32_i24_e32 v111, v65, v184
	v_ashrrev_i32_e32 v50, 24, v50
	v_bfe_i32 v66, v60, 8, 8
	v_mul_i32_i24_e32 v108, v63, v181
	v_add3_u32 v68, v68, v102, v105
	v_mul_i32_i24_e32 v109, v64, v182
	v_bfe_i32 v67, v60, 16, 8
	v_ashrrev_i32_e32 v60, 24, v60
	v_mul_i32_i24_e32 v110, v50, v183
	v_add3_u32 v68, v68, v106, v111
	v_mul_i32_i24_e32 v112, v66, v185
	v_mul_i32_i24_e32 v113, v67, v173
	;; [unrolled: 1-line block ×3, first 2 shown]
	v_pk_mul_f16 v69, v151, v4
	v_add3_u32 v68, v68, v108, v109
	v_mul_i32_i24_e32 v70, v26, v191
	v_mul_i32_i24_e32 v71, v30, v192
	v_mul_i32_i24_e32 v77, v44, v195
	v_mul_i32_i24_e32 v72, v40, v193
	v_add3_u32 v68, v68, v110, v112
	v_mul_i32_i24_e32 v75, v41, v186
	v_mul_i32_i24_e32 v76, v43, v194
	v_mul_i32_i24_e32 v81, v48, v200
	v_mul_i32_i24_e32 v78, v45, v196
	;; [unrolled: 5-line block ×3, first 2 shown]
	v_cvt_f32_i32_e32 v68, v68
	v_mul_i32_i24_e32 v84, v52, v190
	v_mul_i32_i24_e32 v85, v53, v202
	;; [unrolled: 1-line block ×4, first 2 shown]
	v_fma_mix_f32 v68, v69, v68, v69 op_sel:[0,0,1] op_sel_hi:[1,0,1]
	v_mul_i32_i24_e32 v69, v25, v189
	v_mul_i32_i24_e32 v99, v56, v207
	;; [unrolled: 1-line block ×4, first 2 shown]
	v_add_f32_e32 v24, v24, v68
	v_mul_i32_i24_e32 v68, v3, v188
	v_mul_i32_i24_e32 v102, v58, v210
	;; [unrolled: 1-line block ×5, first 2 shown]
	v_mad_i32_i24 v68, v39, v169, v68
	v_mul_i32_i24_e32 v108, v63, v213
	v_mul_i32_i24_e32 v109, v64, v214
	;; [unrolled: 1-line block ×4, first 2 shown]
	v_add3_u32 v68, v68, v69, v70
	v_mul_i32_i24_e32 v113, v67, v206
	v_mul_i32_i24_e32 v253, v60, v219
	v_pk_mul_f16 v69, v153, v4
	v_mul_i32_i24_e32 v70, v26, v223
	v_add3_u32 v68, v68, v71, v77
	v_mul_i32_i24_e32 v26, v26, v252
	v_mul_i32_i24_e32 v71, v30, v224
	v_mul_i32_i24_e32 v77, v44, v227
	v_mul_i32_i24_e32 v30, v30, v125
	v_add3_u32 v68, v68, v72, v75
	v_mul_i32_i24_e32 v44, v44, v128
	v_mul_i32_i24_e32 v72, v40, v225
	v_mul_i32_i24_e32 v75, v41, v218
	;; [unrolled: 5-line block ×14, first 2 shown]
	v_mul_i32_i24_e32 v67, v67, v138
	v_cvt_f32_i32_e32 v68, v68
	v_mul_i32_i24_e32 v60, v60, v150
	s_delay_alu instid0(VALU_DEP_2) | instskip(SKIP_2) | instid1(VALU_DEP_3)
	v_fma_mix_f32 v68, v69, v68, v69 op_sel:[0,0,1] op_sel_hi:[1,0,1]
	v_mul_i32_i24_e32 v69, v25, v221
	v_mul_i32_i24_e32 v25, v25, v251
	v_add_f32_e32 v23, v23, v68
	v_mul_i32_i24_e32 v68, v3, v220
	v_mul_i32_i24_e32 v3, v3, v250
	s_delay_alu instid0(VALU_DEP_2) | instskip(NEXT) | instid1(VALU_DEP_2)
	v_mad_i32_i24 v68, v39, v203, v68
	v_mad_i32_i24 v3, v39, v122, v3
	s_delay_alu instid0(VALU_DEP_2) | instskip(NEXT) | instid1(VALU_DEP_2)
	v_add3_u32 v68, v68, v69, v70
	v_add3_u32 v3, v3, v25, v26
	v_pk_mul_f16 v69, v179, v4
	v_pk_mul_f16 v4, v121, v4
	s_delay_alu instid0(VALU_DEP_4) | instskip(NEXT) | instid1(VALU_DEP_4)
	v_add3_u32 v68, v68, v71, v77
	v_add3_u32 v3, v3, v30, v44
	s_delay_alu instid0(VALU_DEP_2) | instskip(NEXT) | instid1(VALU_DEP_2)
	v_add3_u32 v68, v68, v72, v75
	v_add3_u32 v3, v3, v40, v41
	s_delay_alu instid0(VALU_DEP_2) | instskip(NEXT) | instid1(VALU_DEP_2)
	;; [unrolled: 3-line block ×14, first 2 shown]
	v_cvt_f32_i32_e32 v68, v68
	v_cvt_f32_i32_e32 v3, v3
	s_delay_alu instid0(VALU_DEP_2) | instskip(NEXT) | instid1(VALU_DEP_2)
	v_fma_mix_f32 v68, v69, v68, v69 op_sel:[0,0,1] op_sel_hi:[1,0,1]
	v_fma_mix_f32 v3, v4, v3, v4 op_sel:[0,0,1] op_sel_hi:[1,0,1]
	s_delay_alu instid0(VALU_DEP_1)
	v_dual_add_f32 v22, v22, v68 :: v_dual_add_f32 v21, v21, v3
	ds_load_b128 v[47:50], v115 offset:4096
	ds_load_b128 v[57:60], v115 offset:4112
	ds_load_2addr_b32 v[3:4], v114 offset0:128 offset1:160
	s_waitcnt lgkmcnt(2)
	v_bfe_i32 v25, v47, 0, 8
	v_bfe_i32 v26, v47, 8, 8
	;; [unrolled: 1-line block ×3, first 2 shown]
	s_waitcnt lgkmcnt(1)
	v_bfe_i32 v40, v57, 0, 8
	v_ashrrev_i32_e32 v39, 24, v47
	v_mul_i32_i24_e32 v69, v25, v155
	v_bfe_i32 v45, v48, 0, 8
	v_mul_i32_i24_e32 v70, v26, v156
	v_mul_i32_i24_e32 v71, v30, v158
	v_bfe_i32 v41, v57, 8, 8
	v_mad_i32_i24 v69, v40, v152, v69
	v_bfe_i32 v43, v57, 16, 8
	v_mul_i32_i24_e32 v72, v39, v159
	v_mul_i32_i24_e32 v78, v45, v162
	v_ashrrev_i32_e32 v44, 24, v57
	v_add3_u32 v69, v69, v70, v71
	v_bfe_i32 v51, v58, 0, 8
	v_mul_i32_i24_e32 v75, v41, v160
	v_mul_i32_i24_e32 v76, v43, v154
	v_bfe_i32 v46, v48, 8, 8
	v_add3_u32 v69, v69, v72, v78
	v_bfe_i32 v47, v48, 16, 8
	v_mul_i32_i24_e32 v77, v44, v161
	v_mul_i32_i24_e32 v82, v51, v167
	v_ashrrev_i32_e32 v48, 24, v48
	v_add3_u32 v69, v69, v75, v76
	v_bfe_i32 v55, v49, 0, 8
	v_mul_i32_i24_e32 v79, v46, v163
	v_mul_i32_i24_e32 v80, v47, v164
	v_bfe_i32 v52, v58, 8, 8
	v_add3_u32 v69, v69, v77, v82
	;; [unrolled: 10-line block ×6, first 2 shown]
	v_ashrrev_i32_e32 v60, 24, v60
	v_mul_i32_i24_e32 v111, v50, v183
	v_mul_i32_i24_e32 v113, v67, v185
	v_mul_i32_i24_e32 v253, v68, v173
	v_add3_u32 v69, v69, v109, v110
	v_mul_i32_i24_e32 v254, v60, v187
	s_waitcnt lgkmcnt(0)
	v_pk_mul_f16 v70, v151, v3
	v_mul_i32_i24_e32 v71, v30, v191
	v_mul_i32_i24_e32 v72, v39, v192
	v_add3_u32 v69, v69, v111, v113
	v_mul_i32_i24_e32 v78, v45, v195
	v_mul_i32_i24_e32 v75, v41, v193
	;; [unrolled: 1-line block ×4, first 2 shown]
	v_add3_u32 v69, v69, v253, v254
	v_mul_i32_i24_e32 v82, v51, v200
	v_mul_i32_i24_e32 v79, v46, v196
	;; [unrolled: 1-line block ×4, first 2 shown]
	v_cvt_f32_i32_e32 v69, v69
	v_mul_i32_i24_e32 v98, v55, v204
	v_mul_i32_i24_e32 v84, v52, v201
	;; [unrolled: 1-line block ×4, first 2 shown]
	v_fma_mix_f32 v69, v70, v69, v70 op_sel:[0,0,1] op_sel_hi:[1,0,1]
	v_mul_i32_i24_e32 v70, v26, v189
	v_mul_i32_i24_e32 v102, v58, v209
	;; [unrolled: 1-line block ×4, first 2 shown]
	v_add_f32_e32 v20, v20, v69
	v_mul_i32_i24_e32 v69, v25, v188
	v_mul_i32_i24_e32 v101, v49, v208
	v_mul_i32_i24_e32 v108, v63, v212
	v_mul_i32_i24_e32 v105, v61, v210
	v_mul_i32_i24_e32 v106, v62, v199
	v_mad_i32_i24 v69, v40, v169, v69
	v_mul_i32_i24_e32 v107, v59, v211
	v_mul_i32_i24_e32 v112, v66, v216
	;; [unrolled: 1-line block ×4, first 2 shown]
	v_add3_u32 v69, v69, v70, v71
	v_mul_i32_i24_e32 v111, v50, v215
	v_mul_i32_i24_e32 v113, v67, v217
	;; [unrolled: 1-line block ×4, first 2 shown]
	v_add3_u32 v69, v69, v72, v78
	v_pk_mul_f16 v70, v153, v3
	v_mul_i32_i24_e32 v71, v30, v223
	v_mul_i32_i24_e32 v30, v30, v252
	v_mul_i32_i24_e32 v72, v39, v224
	v_add3_u32 v69, v69, v75, v76
	v_mul_i32_i24_e32 v78, v45, v227
	v_mul_i32_i24_e32 v39, v39, v125
	v_mul_i32_i24_e32 v45, v45, v128
	v_mul_i32_i24_e32 v75, v41, v225
	v_add3_u32 v69, v69, v77, v82
	v_mul_i32_i24_e32 v76, v43, v218
	v_mul_i32_i24_e32 v41, v41, v126
	v_mul_i32_i24_e32 v43, v43, v123
	v_mul_i32_i24_e32 v77, v44, v226
	v_add3_u32 v69, v69, v79, v80
	v_mul_i32_i24_e32 v82, v51, v232
	v_mul_i32_i24_e32 v44, v44, v127
	v_mul_i32_i24_e32 v51, v51, v133
	v_mul_i32_i24_e32 v79, v46, v228
	v_add3_u32 v69, v69, v81, v98
	v_mul_i32_i24_e32 v80, v47, v229
	v_mul_i32_i24_e32 v46, v46, v129
	v_mul_i32_i24_e32 v47, v47, v130
	v_mul_i32_i24_e32 v81, v48, v230
	v_add3_u32 v69, v69, v84, v85
	v_mul_i32_i24_e32 v98, v55, v235
	v_mul_i32_i24_e32 v48, v48, v131
	v_mul_i32_i24_e32 v55, v55, v136
	v_mul_i32_i24_e32 v84, v52, v233
	v_add3_u32 v69, v69, v97, v102
	v_mul_i32_i24_e32 v85, v53, v222
	v_mul_i32_i24_e32 v52, v52, v134
	v_mul_i32_i24_e32 v53, v53, v124
	v_mul_i32_i24_e32 v97, v54, v234
	v_add3_u32 v69, v69, v99, v100
	v_mul_i32_i24_e32 v102, v58, v240
	v_mul_i32_i24_e32 v54, v54, v135
	v_mul_i32_i24_e32 v58, v58, v141
	v_mul_i32_i24_e32 v99, v56, v236
	v_add3_u32 v69, v69, v101, v108
	v_mul_i32_i24_e32 v100, v57, v238
	v_mul_i32_i24_e32 v56, v56, v137
	v_mul_i32_i24_e32 v57, v57, v139
	v_mul_i32_i24_e32 v101, v49, v239
	v_add3_u32 v69, v69, v105, v106
	v_mul_i32_i24_e32 v108, v63, v243
	v_mul_i32_i24_e32 v49, v49, v140
	v_mul_i32_i24_e32 v105, v61, v241
	v_mul_i32_i24_e32 v106, v62, v231
	v_add3_u32 v69, v69, v107, v112
	v_mul_i32_i24_e32 v61, v61, v142
	v_mul_i32_i24_e32 v62, v62, v132
	v_mul_i32_i24_e32 v107, v59, v242
	v_mul_i32_i24_e32 v112, v66, v247
	v_add3_u32 v69, v69, v109, v110
	v_mul_i32_i24_e32 v59, v59, v143
	v_mul_i32_i24_e32 v66, v66, v148
	v_mul_i32_i24_e32 v109, v64, v244
	v_mul_i32_i24_e32 v110, v65, v245
	v_add3_u32 v69, v69, v111, v113
	v_mul_i32_i24_e32 v64, v64, v145
	v_mul_i32_i24_e32 v65, v65, v146
	v_mul_i32_i24_e32 v111, v50, v246
	v_mul_i32_i24_e32 v113, v67, v248
	v_add3_u32 v69, v69, v253, v254
	v_mul_i32_i24_e32 v50, v50, v147
	v_mul_i32_i24_e32 v67, v67, v149
	v_mul_i32_i24_e32 v253, v68, v237
	;; [unrolled: 1-line block ×3, first 2 shown]
	v_cvt_f32_i32_e32 v69, v69
	v_mul_i32_i24_e32 v68, v68, v138
	v_mul_i32_i24_e32 v60, v60, v150
	s_delay_alu instid0(VALU_DEP_3) | instskip(SKIP_2) | instid1(VALU_DEP_3)
	v_fma_mix_f32 v69, v70, v69, v70 op_sel:[0,0,1] op_sel_hi:[1,0,1]
	v_mul_i32_i24_e32 v70, v26, v221
	v_mul_i32_i24_e32 v26, v26, v251
	v_add_f32_e32 v19, v19, v69
	v_mul_i32_i24_e32 v69, v25, v220
	v_mul_i32_i24_e32 v25, v25, v250
	;; [unrolled: 1-line block ×3, first 2 shown]
	s_delay_alu instid0(VALU_DEP_3) | instskip(NEXT) | instid1(VALU_DEP_3)
	v_mad_i32_i24 v69, v40, v203, v69
	v_mad_i32_i24 v25, v40, v122, v25
	s_delay_alu instid0(VALU_DEP_2) | instskip(NEXT) | instid1(VALU_DEP_2)
	v_add3_u32 v69, v69, v70, v71
	v_add3_u32 v25, v25, v26, v30
	v_pk_mul_f16 v70, v179, v3
	v_pk_mul_f16 v3, v121, v3
	s_delay_alu instid0(VALU_DEP_4) | instskip(NEXT) | instid1(VALU_DEP_4)
	v_add3_u32 v69, v69, v72, v78
	v_add3_u32 v25, v25, v39, v45
	s_delay_alu instid0(VALU_DEP_2) | instskip(NEXT) | instid1(VALU_DEP_2)
	v_add3_u32 v69, v69, v75, v76
	v_add3_u32 v25, v25, v41, v43
	s_delay_alu instid0(VALU_DEP_2) | instskip(NEXT) | instid1(VALU_DEP_2)
	;; [unrolled: 3-line block ×13, first 2 shown]
	v_add3_u32 v69, v69, v253, v254
	v_add3_u32 v25, v25, v68, v60
	ds_load_b128 v[47:50], v115 offset:5120
	ds_load_b128 v[57:60], v115 offset:5136
	v_cvt_f32_i32_e32 v69, v69
	v_cvt_f32_i32_e32 v25, v25
	s_delay_alu instid0(VALU_DEP_2) | instskip(NEXT) | instid1(VALU_DEP_2)
	v_fma_mix_f32 v69, v70, v69, v70 op_sel:[0,0,1] op_sel_hi:[1,0,1]
	v_fma_mix_f32 v3, v3, v25, v3 op_sel:[0,0,1] op_sel_hi:[1,0,1]
	s_delay_alu instid0(VALU_DEP_1)
	v_dual_add_f32 v18, v18, v69 :: v_dual_add_f32 v17, v17, v3
	s_waitcnt lgkmcnt(1)
	v_bfe_i32 v3, v47, 0, 8
	v_bfe_i32 v25, v47, 8, 8
	;; [unrolled: 1-line block ×3, first 2 shown]
	s_waitcnt lgkmcnt(0)
	v_bfe_i32 v39, v57, 0, 8
	v_ashrrev_i32_e32 v30, 24, v47
	v_mul_i32_i24_e32 v68, v3, v155
	v_bfe_i32 v44, v48, 0, 8
	v_mul_i32_i24_e32 v69, v25, v156
	v_mul_i32_i24_e32 v70, v26, v158
	v_bfe_i32 v40, v57, 8, 8
	v_mad_i32_i24 v68, v39, v152, v68
	v_bfe_i32 v41, v57, 16, 8
	v_mul_i32_i24_e32 v71, v30, v159
	v_mul_i32_i24_e32 v77, v44, v162
	v_ashrrev_i32_e32 v43, 24, v57
	v_add3_u32 v68, v68, v69, v70
	v_bfe_i32 v45, v48, 8, 8
	v_bfe_i32 v46, v48, 16, 8
	v_ashrrev_i32_e32 v47, 24, v48
	v_bfe_i32 v48, v58, 0, 8
	v_mul_i32_i24_e32 v72, v40, v160
	v_mul_i32_i24_e32 v75, v41, v154
	v_add3_u32 v68, v68, v71, v77
	v_mul_i32_i24_e32 v76, v43, v161
	v_mul_i32_i24_e32 v81, v48, v167
	v_bfe_i32 v54, v49, 0, 8
	v_mul_i32_i24_e32 v78, v45, v163
	v_add3_u32 v68, v68, v72, v75
	v_mul_i32_i24_e32 v79, v46, v164
	v_bfe_i32 v51, v58, 8, 8
	v_bfe_i32 v52, v58, 16, 8
	v_mul_i32_i24_e32 v80, v47, v166
	v_add3_u32 v68, v68, v76, v81
	v_mul_i32_i24_e32 v97, v54, v171
	v_ashrrev_i32_e32 v53, 24, v58
	v_bfe_i32 v57, v59, 0, 8
	v_mul_i32_i24_e32 v82, v51, v168
	v_add3_u32 v68, v68, v78, v79
	v_mul_i32_i24_e32 v84, v52, v157
	v_bfe_i32 v55, v49, 8, 8
	v_bfe_i32 v56, v49, 16, 8
	v_mul_i32_i24_e32 v85, v53, v170
	v_add3_u32 v68, v68, v80, v97
	v_mul_i32_i24_e32 v101, v57, v176
	v_ashrrev_i32_e32 v49, 24, v49
	v_bfe_i32 v62, v50, 0, 8
	v_mul_i32_i24_e32 v98, v55, v172
	v_add3_u32 v68, v68, v82, v84
	v_mul_i32_i24_e32 v99, v56, v174
	v_bfe_i32 v58, v59, 8, 8
	v_bfe_i32 v61, v59, 16, 8
	v_mul_i32_i24_e32 v100, v49, v175
	v_add3_u32 v68, v68, v85, v101
	v_mul_i32_i24_e32 v107, v62, v180
	v_ashrrev_i32_e32 v59, 24, v59
	v_bfe_i32 v65, v60, 0, 8
	v_mul_i32_i24_e32 v102, v58, v177
	v_add3_u32 v68, v68, v98, v99
	v_mul_i32_i24_e32 v105, v61, v165
	v_bfe_i32 v63, v50, 8, 8
	v_bfe_i32 v64, v50, 16, 8
	v_mul_i32_i24_e32 v106, v59, v178
	v_add3_u32 v68, v68, v100, v107
	v_mul_i32_i24_e32 v111, v65, v184
	v_ashrrev_i32_e32 v50, 24, v50
	v_bfe_i32 v66, v60, 8, 8
	v_mul_i32_i24_e32 v108, v63, v181
	v_add3_u32 v68, v68, v102, v105
	v_mul_i32_i24_e32 v109, v64, v182
	v_bfe_i32 v67, v60, 16, 8
	v_ashrrev_i32_e32 v60, 24, v60
	v_mul_i32_i24_e32 v110, v50, v183
	v_add3_u32 v68, v68, v106, v111
	v_mul_i32_i24_e32 v112, v66, v185
	v_mul_i32_i24_e32 v113, v67, v173
	;; [unrolled: 1-line block ×3, first 2 shown]
	v_pk_mul_f16 v69, v151, v4
	v_add3_u32 v68, v68, v108, v109
	v_mul_i32_i24_e32 v70, v26, v191
	v_mul_i32_i24_e32 v71, v30, v192
	v_mul_i32_i24_e32 v77, v44, v195
	v_mul_i32_i24_e32 v72, v40, v193
	v_add3_u32 v68, v68, v110, v112
	v_mul_i32_i24_e32 v75, v41, v186
	v_mul_i32_i24_e32 v76, v43, v194
	v_mul_i32_i24_e32 v81, v48, v200
	v_mul_i32_i24_e32 v78, v45, v196
	;; [unrolled: 5-line block ×3, first 2 shown]
	v_cvt_f32_i32_e32 v68, v68
	v_mul_i32_i24_e32 v84, v52, v190
	v_mul_i32_i24_e32 v85, v53, v202
	;; [unrolled: 1-line block ×4, first 2 shown]
	v_fma_mix_f32 v68, v69, v68, v69 op_sel:[0,0,1] op_sel_hi:[1,0,1]
	v_mul_i32_i24_e32 v69, v25, v189
	v_mul_i32_i24_e32 v99, v56, v207
	;; [unrolled: 1-line block ×4, first 2 shown]
	v_add_f32_e32 v16, v16, v68
	v_mul_i32_i24_e32 v68, v3, v188
	v_mul_i32_i24_e32 v102, v58, v210
	v_mul_i32_i24_e32 v105, v61, v199
	v_mul_i32_i24_e32 v106, v59, v211
	v_mul_i32_i24_e32 v111, v65, v216
	v_mad_i32_i24 v68, v39, v169, v68
	v_mul_i32_i24_e32 v108, v63, v213
	v_mul_i32_i24_e32 v109, v64, v214
	;; [unrolled: 1-line block ×4, first 2 shown]
	v_add3_u32 v68, v68, v69, v70
	v_mul_i32_i24_e32 v113, v67, v206
	v_mul_i32_i24_e32 v253, v60, v219
	v_pk_mul_f16 v69, v153, v4
	v_mul_i32_i24_e32 v70, v26, v223
	v_add3_u32 v68, v68, v71, v77
	v_mul_i32_i24_e32 v26, v26, v252
	v_mul_i32_i24_e32 v71, v30, v224
	v_mul_i32_i24_e32 v77, v44, v227
	v_mul_i32_i24_e32 v30, v30, v125
	v_add3_u32 v68, v68, v72, v75
	v_mul_i32_i24_e32 v44, v44, v128
	v_mul_i32_i24_e32 v72, v40, v225
	v_mul_i32_i24_e32 v75, v41, v218
	;; [unrolled: 5-line block ×14, first 2 shown]
	v_mul_i32_i24_e32 v67, v67, v138
	v_cvt_f32_i32_e32 v68, v68
	v_mul_i32_i24_e32 v60, v60, v150
	s_delay_alu instid0(VALU_DEP_2) | instskip(SKIP_2) | instid1(VALU_DEP_3)
	v_fma_mix_f32 v68, v69, v68, v69 op_sel:[0,0,1] op_sel_hi:[1,0,1]
	v_mul_i32_i24_e32 v69, v25, v221
	v_mul_i32_i24_e32 v25, v25, v251
	v_add_f32_e32 v15, v15, v68
	v_mul_i32_i24_e32 v68, v3, v220
	v_mul_i32_i24_e32 v3, v3, v250
	s_delay_alu instid0(VALU_DEP_2) | instskip(NEXT) | instid1(VALU_DEP_2)
	v_mad_i32_i24 v68, v39, v203, v68
	v_mad_i32_i24 v3, v39, v122, v3
	s_delay_alu instid0(VALU_DEP_2) | instskip(NEXT) | instid1(VALU_DEP_2)
	v_add3_u32 v68, v68, v69, v70
	v_add3_u32 v3, v3, v25, v26
	v_pk_mul_f16 v69, v179, v4
	v_pk_mul_f16 v4, v121, v4
	s_delay_alu instid0(VALU_DEP_4) | instskip(NEXT) | instid1(VALU_DEP_4)
	v_add3_u32 v68, v68, v71, v77
	v_add3_u32 v3, v3, v30, v44
	s_delay_alu instid0(VALU_DEP_2) | instskip(NEXT) | instid1(VALU_DEP_2)
	v_add3_u32 v68, v68, v72, v75
	v_add3_u32 v3, v3, v40, v41
	s_delay_alu instid0(VALU_DEP_2) | instskip(NEXT) | instid1(VALU_DEP_2)
	;; [unrolled: 3-line block ×14, first 2 shown]
	v_cvt_f32_i32_e32 v68, v68
	v_cvt_f32_i32_e32 v3, v3
	s_delay_alu instid0(VALU_DEP_2) | instskip(NEXT) | instid1(VALU_DEP_2)
	v_fma_mix_f32 v68, v69, v68, v69 op_sel:[0,0,1] op_sel_hi:[1,0,1]
	v_fma_mix_f32 v3, v4, v3, v4 op_sel:[0,0,1] op_sel_hi:[1,0,1]
	s_delay_alu instid0(VALU_DEP_1)
	v_dual_add_f32 v14, v14, v68 :: v_dual_add_f32 v13, v13, v3
	ds_load_b128 v[47:50], v115 offset:6144
	ds_load_b128 v[57:60], v115 offset:6160
	ds_load_2addr_b32 v[3:4], v114 offset0:192 offset1:224
	v_add_nc_u32_e32 v114, 4, v114
	s_waitcnt lgkmcnt(2)
	v_bfe_i32 v25, v47, 0, 8
	v_bfe_i32 v26, v47, 8, 8
	;; [unrolled: 1-line block ×3, first 2 shown]
	s_waitcnt lgkmcnt(1)
	v_bfe_i32 v40, v57, 0, 8
	v_ashrrev_i32_e32 v39, 24, v47
	v_mul_i32_i24_e32 v69, v25, v155
	v_bfe_i32 v45, v48, 0, 8
	v_mul_i32_i24_e32 v70, v26, v156
	v_mul_i32_i24_e32 v71, v30, v158
	v_bfe_i32 v41, v57, 8, 8
	v_mad_i32_i24 v69, v40, v152, v69
	v_bfe_i32 v43, v57, 16, 8
	v_mul_i32_i24_e32 v72, v39, v159
	v_mul_i32_i24_e32 v78, v45, v162
	v_ashrrev_i32_e32 v44, 24, v57
	v_add3_u32 v69, v69, v70, v71
	v_bfe_i32 v51, v58, 0, 8
	v_mul_i32_i24_e32 v75, v41, v160
	v_mul_i32_i24_e32 v76, v43, v154
	v_bfe_i32 v46, v48, 8, 8
	v_add3_u32 v69, v69, v72, v78
	v_bfe_i32 v47, v48, 16, 8
	v_mul_i32_i24_e32 v77, v44, v161
	v_mul_i32_i24_e32 v82, v51, v167
	v_ashrrev_i32_e32 v48, 24, v48
	v_add3_u32 v69, v69, v75, v76
	v_bfe_i32 v55, v49, 0, 8
	v_mul_i32_i24_e32 v79, v46, v163
	v_mul_i32_i24_e32 v80, v47, v164
	v_bfe_i32 v52, v58, 8, 8
	v_add3_u32 v69, v69, v77, v82
	;; [unrolled: 10-line block ×6, first 2 shown]
	v_ashrrev_i32_e32 v60, 24, v60
	v_mul_i32_i24_e32 v111, v50, v183
	v_mul_i32_i24_e32 v113, v67, v185
	;; [unrolled: 1-line block ×3, first 2 shown]
	v_add3_u32 v69, v69, v109, v110
	v_mul_i32_i24_e32 v254, v60, v187
	s_waitcnt lgkmcnt(0)
	v_pk_mul_f16 v70, v151, v3
	v_mul_i32_i24_e32 v71, v30, v191
	v_mul_i32_i24_e32 v72, v39, v192
	v_add3_u32 v69, v69, v111, v113
	v_mul_i32_i24_e32 v78, v45, v195
	v_mul_i32_i24_e32 v75, v41, v193
	;; [unrolled: 1-line block ×4, first 2 shown]
	v_add3_u32 v69, v69, v253, v254
	v_mul_i32_i24_e32 v82, v51, v200
	v_mul_i32_i24_e32 v79, v46, v196
	;; [unrolled: 1-line block ×4, first 2 shown]
	v_cvt_f32_i32_e32 v69, v69
	v_mul_i32_i24_e32 v98, v55, v204
	v_mul_i32_i24_e32 v84, v52, v201
	;; [unrolled: 1-line block ×4, first 2 shown]
	v_fma_mix_f32 v69, v70, v69, v70 op_sel:[0,0,1] op_sel_hi:[1,0,1]
	v_mul_i32_i24_e32 v70, v26, v189
	v_mul_i32_i24_e32 v102, v58, v209
	;; [unrolled: 1-line block ×4, first 2 shown]
	v_add_f32_e32 v12, v12, v69
	v_mul_i32_i24_e32 v69, v25, v188
	v_mul_i32_i24_e32 v101, v49, v208
	;; [unrolled: 1-line block ×5, first 2 shown]
	v_mad_i32_i24 v69, v40, v169, v69
	v_mul_i32_i24_e32 v107, v59, v211
	v_mul_i32_i24_e32 v112, v66, v216
	;; [unrolled: 1-line block ×4, first 2 shown]
	v_add3_u32 v69, v69, v70, v71
	v_mul_i32_i24_e32 v111, v50, v215
	v_mul_i32_i24_e32 v113, v67, v217
	;; [unrolled: 1-line block ×4, first 2 shown]
	v_add3_u32 v69, v69, v72, v78
	v_pk_mul_f16 v70, v153, v3
	v_mul_i32_i24_e32 v71, v30, v223
	v_mul_i32_i24_e32 v30, v30, v252
	v_mul_i32_i24_e32 v72, v39, v224
	v_add3_u32 v69, v69, v75, v76
	v_mul_i32_i24_e32 v78, v45, v227
	v_mul_i32_i24_e32 v39, v39, v125
	v_mul_i32_i24_e32 v45, v45, v128
	v_mul_i32_i24_e32 v75, v41, v225
	v_add3_u32 v69, v69, v77, v82
	v_mul_i32_i24_e32 v76, v43, v218
	;; [unrolled: 5-line block ×13, first 2 shown]
	v_mul_i32_i24_e32 v50, v50, v147
	v_mul_i32_i24_e32 v67, v67, v149
	;; [unrolled: 1-line block ×3, first 2 shown]
	v_cvt_f32_i32_e32 v69, v69
	v_mul_i32_i24_e32 v254, v60, v249
	v_mul_i32_i24_e32 v68, v68, v138
	;; [unrolled: 1-line block ×3, first 2 shown]
	s_delay_alu instid0(VALU_DEP_4) | instskip(SKIP_2) | instid1(VALU_DEP_3)
	v_fma_mix_f32 v69, v70, v69, v70 op_sel:[0,0,1] op_sel_hi:[1,0,1]
	v_mul_i32_i24_e32 v70, v26, v221
	v_mul_i32_i24_e32 v26, v26, v251
	v_add_f32_e32 v11, v11, v69
	v_mul_i32_i24_e32 v69, v25, v220
	v_mul_i32_i24_e32 v25, v25, v250
	s_delay_alu instid0(VALU_DEP_2) | instskip(NEXT) | instid1(VALU_DEP_2)
	v_mad_i32_i24 v69, v40, v203, v69
	v_mad_i32_i24 v25, v40, v122, v25
	s_delay_alu instid0(VALU_DEP_2) | instskip(NEXT) | instid1(VALU_DEP_2)
	v_add3_u32 v69, v69, v70, v71
	v_add3_u32 v25, v25, v26, v30
	v_pk_mul_f16 v70, v179, v3
	v_pk_mul_f16 v3, v121, v3
	s_delay_alu instid0(VALU_DEP_4) | instskip(NEXT) | instid1(VALU_DEP_4)
	v_add3_u32 v69, v69, v72, v78
	v_add3_u32 v25, v25, v39, v45
	s_delay_alu instid0(VALU_DEP_2) | instskip(NEXT) | instid1(VALU_DEP_2)
	v_add3_u32 v69, v69, v75, v76
	v_add3_u32 v25, v25, v41, v43
	s_delay_alu instid0(VALU_DEP_2) | instskip(NEXT) | instid1(VALU_DEP_2)
	;; [unrolled: 3-line block ×11, first 2 shown]
	v_add3_u32 v69, v69, v109, v110
	v_add3_u32 v25, v25, v64, v65
	s_delay_alu instid0(VALU_DEP_2)
	v_add3_u32 v69, v69, v111, v113
	ds_load_b128 v[62:65], v115 offset:7168
	ds_load_b128 v[108:111], v115 offset:7184
	v_add3_u32 v25, v25, v50, v67
	v_add_nc_u32_e32 v115, 32, v115
	v_add3_u32 v69, v69, v253, v254
	s_delay_alu instid0(VALU_DEP_3) | instskip(NEXT) | instid1(VALU_DEP_2)
	v_add3_u32 v25, v25, v68, v60
	v_cvt_f32_i32_e32 v69, v69
	s_delay_alu instid0(VALU_DEP_2) | instskip(NEXT) | instid1(VALU_DEP_2)
	v_cvt_f32_i32_e32 v25, v25
	v_fma_mix_f32 v69, v70, v69, v70 op_sel:[0,0,1] op_sel_hi:[1,0,1]
	s_delay_alu instid0(VALU_DEP_2) | instskip(SKIP_3) | instid1(VALU_DEP_3)
	v_fma_mix_f32 v3, v3, v25, v3 op_sel:[0,0,1] op_sel_hi:[1,0,1]
	s_waitcnt lgkmcnt(1)
	v_bfe_i32 v39, v62, 0, 8
	v_bfe_i32 v40, v62, 8, 8
	v_add_f32_e32 v9, v9, v3
	v_bfe_i32 v41, v62, 16, 8
	s_waitcnt lgkmcnt(0)
	v_bfe_i32 v3, v108, 0, 8
	v_mul_i32_i24_e32 v44, v39, v155
	v_ashrrev_i32_e32 v253, 24, v62
	v_bfe_i32 v30, v63, 0, 8
	v_mul_i32_i24_e32 v45, v40, v156
	v_mul_i32_i24_e32 v46, v41, v158
	v_mad_i32_i24 v44, v3, v152, v44
	v_bfe_i32 v25, v108, 8, 8
	v_bfe_i32 v26, v108, 16, 8
	v_mul_i32_i24_e32 v51, v253, v159
	v_mul_i32_i24_e32 v66, v30, v162
	v_add3_u32 v44, v44, v45, v46
	v_ashrrev_i32_e32 v254, 24, v108
	v_bfe_i32 v106, v109, 0, 8
	v_mul_i32_i24_e32 v52, v25, v160
	v_mul_i32_i24_e32 v56, v26, v154
	v_add3_u32 v44, v44, v51, v66
	v_bfe_i32 v43, v63, 8, 8
	v_bfe_i32 v98, v63, 16, 8
	v_mul_i32_i24_e32 v61, v254, v161
	v_mul_i32_i24_e32 v70, v106, v167
	v_add3_u32 v44, v44, v52, v56
	v_ashrrev_i32_e32 v105, 24, v63
	v_bfe_i32 v47, v64, 0, 8
	v_mul_i32_i24_e32 v67, v43, v163
	v_mul_i32_i24_e32 v68, v98, v164
	v_add3_u32 v44, v44, v61, v70
	v_add_f32_e32 v10, v10, v69
	v_bfe_i32 v107, v109, 8, 8
	v_bfe_i32 v108, v109, 16, 8
	v_mul_i32_i24_e32 v69, v105, v166
	v_mul_i32_i24_e32 v76, v47, v171
	v_add3_u32 v44, v44, v67, v68
	v_ashrrev_i32_e32 v109, 24, v109
	v_bfe_i32 v53, v110, 0, 8
	v_mul_i32_i24_e32 v71, v107, v168
	v_mul_i32_i24_e32 v72, v108, v157
	v_add3_u32 v44, v44, v69, v76
	v_bfe_i32 v48, v64, 8, 8
	v_bfe_i32 v49, v64, 16, 8
	v_mul_i32_i24_e32 v75, v109, v170
	v_mul_i32_i24_e32 v80, v53, v176
	v_add3_u32 v44, v44, v71, v72
	v_ashrrev_i32_e32 v50, 24, v64
	v_bfe_i32 v58, v65, 0, 8
	v_mul_i32_i24_e32 v77, v48, v172
	v_mul_i32_i24_e32 v78, v49, v174
	v_add3_u32 v44, v44, v75, v80
	;; [unrolled: 10-line block ×4, first 2 shown]
	v_bfe_i32 v65, v111, 16, 8
	v_ashrrev_i32_e32 v84, 24, v111
	v_mul_i32_i24_e32 v101, v62, v183
	v_mul_i32_i24_e32 v110, v64, v185
	v_add3_u32 v44, v44, v99, v100
	v_mul_i32_i24_e32 v111, v65, v173
	v_mul_i32_i24_e32 v112, v84, v187
	v_pk_mul_f16 v45, v151, v4
	v_mul_i32_i24_e32 v46, v41, v191
	v_add3_u32 v44, v44, v101, v110
	v_mul_i32_i24_e32 v51, v253, v192
	v_mul_i32_i24_e32 v66, v30, v195
	;; [unrolled: 1-line block ×4, first 2 shown]
	v_add3_u32 v44, v44, v111, v112
	v_mul_i32_i24_e32 v61, v254, v194
	v_mul_i32_i24_e32 v70, v106, v200
	;; [unrolled: 1-line block ×4, first 2 shown]
	v_cvt_f32_i32_e32 v44, v44
	v_mul_i32_i24_e32 v69, v105, v198
	v_mul_i32_i24_e32 v76, v47, v204
	;; [unrolled: 1-line block ×4, first 2 shown]
	v_fma_mix_f32 v44, v45, v44, v45 op_sel:[0,0,1] op_sel_hi:[1,0,1]
	v_mul_i32_i24_e32 v45, v40, v189
	v_mul_i32_i24_e32 v75, v109, v202
	;; [unrolled: 1-line block ×4, first 2 shown]
	v_add_f32_e32 v8, v8, v44
	v_mul_i32_i24_e32 v44, v39, v188
	v_mul_i32_i24_e32 v78, v49, v207
	;; [unrolled: 1-line block ×5, first 2 shown]
	v_mad_i32_i24 v44, v3, v169, v44
	v_mul_i32_i24_e32 v82, v55, v199
	v_mul_i32_i24_e32 v85, v57, v211
	;; [unrolled: 1-line block ×4, first 2 shown]
	v_add3_u32 v44, v44, v45, v46
	v_mul_i32_i24_e32 v100, v60, v214
	v_mul_i32_i24_e32 v101, v62, v215
	;; [unrolled: 1-line block ×4, first 2 shown]
	v_add3_u32 v44, v44, v51, v66
	v_mul_i32_i24_e32 v112, v84, v219
	v_pk_mul_f16 v45, v153, v4
	v_mul_i32_i24_e32 v46, v41, v223
	v_mul_i32_i24_e32 v51, v253, v224
	v_add3_u32 v44, v44, v52, v56
	v_mul_i32_i24_e32 v66, v30, v227
	v_mul_i32_i24_e32 v52, v25, v225
	v_mul_i32_i24_e32 v56, v26, v218
	v_mul_i32_i24_e32 v151, v39, v250
	v_add3_u32 v44, v44, v61, v70
	v_mul_i32_i24_e32 v61, v254, v226
	v_mul_i32_i24_e32 v70, v106, v232
	;; [unrolled: 5-line block ×6, first 2 shown]
	v_mul_i32_i24_e32 v53, v53, v141
	s_delay_alu instid0(VALU_DEP_4)
	v_add3_u32 v44, v44, v77, v78
	v_mul_i32_i24_e32 v77, v48, v236
	v_mul_i32_i24_e32 v78, v49, v238
	;; [unrolled: 1-line block ×4, first 2 shown]
	v_add3_u32 v44, v44, v79, v97
	v_mul_i32_i24_e32 v79, v50, v239
	v_mul_i32_i24_e32 v97, v58, v243
	;; [unrolled: 1-line block ×3, first 2 shown]
	s_delay_alu instid0(VALU_DEP_4)
	v_add3_u32 v44, v44, v81, v82
	v_mul_i32_i24_e32 v81, v54, v241
	v_mul_i32_i24_e32 v82, v55, v231
	;; [unrolled: 1-line block ×4, first 2 shown]
	v_add3_u32 v44, v44, v85, v102
	v_mul_i32_i24_e32 v85, v57, v242
	v_mul_i32_i24_e32 v102, v63, v247
	s_delay_alu instid0(VALU_DEP_3) | instskip(SKIP_2) | instid1(VALU_DEP_3)
	v_add3_u32 v44, v44, v99, v100
	v_mul_i32_i24_e32 v99, v59, v244
	v_mul_i32_i24_e32 v100, v60, v245
	v_add3_u32 v44, v44, v101, v110
	v_mul_i32_i24_e32 v101, v62, v246
	v_mul_i32_i24_e32 v110, v64, v248
	s_delay_alu instid0(VALU_DEP_3) | instskip(SKIP_2) | instid1(VALU_DEP_3)
	v_add3_u32 v44, v44, v111, v112
	v_mul_i32_i24_e32 v111, v65, v237
	v_mul_i32_i24_e32 v112, v84, v249
	v_cvt_f32_i32_e32 v44, v44
	s_delay_alu instid0(VALU_DEP_1) | instskip(SKIP_2) | instid1(VALU_DEP_3)
	v_fma_mix_f32 v44, v45, v44, v45 op_sel:[0,0,1] op_sel_hi:[1,0,1]
	v_mul_i32_i24_e32 v45, v40, v221
	v_mul_i32_i24_e32 v40, v254, v127
	v_add_f32_e32 v7, v7, v44
	v_mul_i32_i24_e32 v44, v39, v220
	v_mul_i32_i24_e32 v39, v253, v125
	s_delay_alu instid0(VALU_DEP_2) | instskip(SKIP_1) | instid1(VALU_DEP_2)
	v_mad_i32_i24 v44, v3, v203, v44
	v_mad_i32_i24 v3, v3, v122, v151
	v_add3_u32 v44, v44, v45, v46
	s_delay_alu instid0(VALU_DEP_2)
	v_add3_u32 v3, v3, v152, v153
	v_pk_mul_f16 v45, v179, v4
	v_mul_i32_i24_e32 v46, v107, v134
	v_pk_mul_f16 v4, v121, v4
	v_add3_u32 v44, v44, v51, v66
	v_add3_u32 v3, v3, v39, v30
	v_mul_i32_i24_e32 v51, v108, v124
	s_delay_alu instid0(VALU_DEP_3) | instskip(NEXT) | instid1(VALU_DEP_3)
	v_add3_u32 v44, v44, v52, v56
	v_add3_u32 v3, v3, v25, v26
	v_mul_i32_i24_e32 v52, v109, v135
	v_mul_i32_i24_e32 v56, v57, v143
	v_mul_i32_i24_e32 v57, v58, v144
	v_add3_u32 v44, v44, v61, v70
	v_mul_i32_i24_e32 v61, v63, v148
	v_mul_i32_i24_e32 v58, v59, v145
	;; [unrolled: 1-line block ×4, first 2 shown]
	v_add3_u32 v44, v44, v67, v68
	v_mul_i32_i24_e32 v62, v64, v149
	v_mul_i32_i24_e32 v63, v65, v138
	;; [unrolled: 1-line block ×3, first 2 shown]
	s_delay_alu instid0(VALU_DEP_4) | instskip(NEXT) | instid1(VALU_DEP_1)
	v_add3_u32 v44, v44, v69, v76
	v_add3_u32 v44, v44, v71, v72
	s_delay_alu instid0(VALU_DEP_1) | instskip(NEXT) | instid1(VALU_DEP_1)
	v_add3_u32 v44, v44, v75, v80
	v_add3_u32 v44, v44, v77, v78
	s_delay_alu instid0(VALU_DEP_1) | instskip(NEXT) | instid1(VALU_DEP_1)
	;; [unrolled: 3-line block ×5, first 2 shown]
	v_cvt_f32_i32_e32 v44, v44
	v_fma_mix_f32 v44, v45, v44, v45 op_sel:[0,0,1] op_sel_hi:[1,0,1]
	v_mul_i32_i24_e32 v45, v106, v133
	s_delay_alu instid0(VALU_DEP_2) | instskip(NEXT) | instid1(VALU_DEP_2)
	v_add_f32_e32 v6, v6, v44
	v_add3_u32 v3, v3, v40, v45
	v_mul_i32_i24_e32 v44, v105, v131
	s_delay_alu instid0(VALU_DEP_2) | instskip(NEXT) | instid1(VALU_DEP_1)
	v_add3_u32 v3, v3, v41, v43
	v_add3_u32 v3, v3, v44, v47
	s_delay_alu instid0(VALU_DEP_1) | instskip(NEXT) | instid1(VALU_DEP_1)
	v_add3_u32 v3, v3, v46, v51
	v_add3_u32 v3, v3, v52, v53
	s_delay_alu instid0(VALU_DEP_1) | instskip(NEXT) | instid1(VALU_DEP_1)
	;; [unrolled: 3-line block ×5, first 2 shown]
	v_add3_u32 v3, v3, v63, v64
	v_cvt_f32_i32_e32 v3, v3
	s_delay_alu instid0(VALU_DEP_1) | instskip(NEXT) | instid1(VALU_DEP_1)
	v_fma_mix_f32 v3, v4, v3, v4 op_sel:[0,0,1] op_sel_hi:[1,0,1]
	v_add_f32_e32 v5, v5, v3
	s_cbranch_scc1 .LBB159_10
; %bb.11:                               ;   in Loop: Header=BB159_6 Depth=1
	s_barrier
	buffer_gl0_inv
	s_branch .LBB159_5
.LBB159_12:
	s_clause 0x2
	scratch_load_b32 v1, off, off offset:232
	scratch_load_b32 v0, off, off offset:236
	;; [unrolled: 1-line block ×3, first 2 shown]
.LBB159_13:
	s_mov_b32 s0, exec_lo
	s_waitcnt vmcnt(0)
	v_cmpx_gt_u32_e64 s4, v2
	s_cbranch_execz .LBB159_64
; %bb.14:
	v_add_nc_u32_e32 v0, s10, v0
	v_mul_lo_u32 v25, v2, s6
	s_delay_alu instid0(VALU_DEP_2)
	v_cmp_gt_u32_e32 vcc_lo, s6, v0
	s_and_saveexec_b32 s1, vcc_lo
	s_cbranch_execz .LBB159_16
; %bb.15:
	v_bfe_u32 v3, v35, 16, 1
	s_delay_alu instid0(VALU_DEP_3) | instskip(SKIP_1) | instid1(VALU_DEP_3)
	v_add_nc_u32_e32 v2, v0, v25
	v_cmp_o_f32_e64 s0, v35, v35
	v_add3_u32 v4, v35, v3, 0x7fff
	v_mov_b32_e32 v3, 0
	s_delay_alu instid0(VALU_DEP_2) | instskip(NEXT) | instid1(VALU_DEP_2)
	v_lshrrev_b32_e32 v4, 16, v4
	v_lshlrev_b64 v[2:3], 1, v[2:3]
	s_delay_alu instid0(VALU_DEP_2) | instskip(SKIP_1) | instid1(VALU_DEP_2)
	v_cndmask_b32_e64 v4, 0x7fc0, v4, s0
	s_waitcnt lgkmcnt(0)
	v_add_co_u32 v2, s0, s8, v2
	s_delay_alu instid0(VALU_DEP_1)
	v_add_co_ci_u32_e64 v3, s0, s9, v3, s0
	global_store_b16 v[2:3], v4, off
.LBB159_16:
	s_or_b32 exec_lo, exec_lo, s1
	v_add_nc_u32_e32 v2, 32, v0
	s_delay_alu instid0(VALU_DEP_1) | instskip(NEXT) | instid1(VALU_DEP_1)
	v_cmp_gt_u32_e64 s0, s6, v2
	s_and_saveexec_b32 s2, s0
	s_cbranch_execz .LBB159_18
; %bb.17:
	v_bfe_u32 v4, v42, 16, 1
	v_add_nc_u32_e32 v3, v2, v25
	v_cmp_o_f32_e64 s1, v42, v42
	s_delay_alu instid0(VALU_DEP_3) | instskip(SKIP_1) | instid1(VALU_DEP_2)
	v_add3_u32 v26, v42, v4, 0x7fff
	v_mov_b32_e32 v4, 0
	v_lshrrev_b32_e32 v26, 16, v26
	s_delay_alu instid0(VALU_DEP_2) | instskip(NEXT) | instid1(VALU_DEP_2)
	v_lshlrev_b64 v[3:4], 1, v[3:4]
	v_cndmask_b32_e64 v26, 0x7fc0, v26, s1
	s_waitcnt lgkmcnt(0)
	s_delay_alu instid0(VALU_DEP_2) | instskip(NEXT) | instid1(VALU_DEP_1)
	v_add_co_u32 v3, s1, s8, v3
	v_add_co_ci_u32_e64 v4, s1, s9, v4, s1
	global_store_b16 v[3:4], v26, off
.LBB159_18:
	s_or_b32 exec_lo, exec_lo, s2
	v_add_nc_u32_e32 v3, 64, v0
	s_delay_alu instid0(VALU_DEP_1) | instskip(NEXT) | instid1(VALU_DEP_1)
	v_cmp_gt_u32_e64 s1, s6, v3
	s_and_saveexec_b32 s3, s1
	s_cbranch_execz .LBB159_20
; %bb.19:
	v_bfe_u32 v4, v38, 16, 1
	v_dual_mov_b32 v40, 0 :: v_dual_add_nc_u32 v39, v3, v25
	v_cmp_o_f32_e64 s2, v38, v38
	s_delay_alu instid0(VALU_DEP_3) | instskip(NEXT) | instid1(VALU_DEP_3)
	v_add3_u32 v4, v38, v4, 0x7fff
	v_lshlrev_b64 v[39:40], 1, v[39:40]
	s_delay_alu instid0(VALU_DEP_2) | instskip(NEXT) | instid1(VALU_DEP_1)
	v_lshrrev_b32_e32 v4, 16, v4
	v_cndmask_b32_e64 v4, 0x7fc0, v4, s2
	s_waitcnt lgkmcnt(0)
	s_delay_alu instid0(VALU_DEP_3) | instskip(NEXT) | instid1(VALU_DEP_1)
	v_add_co_u32 v38, s2, s8, v39
	v_add_co_ci_u32_e64 v39, s2, s9, v40, s2
	global_store_b16 v[38:39], v4, off
.LBB159_20:
	s_or_b32 exec_lo, exec_lo, s3
	v_add_nc_u32_e32 v4, 0x60, v0
	s_delay_alu instid0(VALU_DEP_1) | instskip(NEXT) | instid1(VALU_DEP_1)
	v_cmp_gt_u32_e64 s2, s6, v4
	s_and_saveexec_b32 s5, s2
	s_cbranch_execz .LBB159_22
; %bb.21:
	v_bfe_u32 v26, v37, 16, 1
	v_add_nc_u32_e32 v25, v4, v25
	v_cmp_o_f32_e64 s3, v37, v37
	s_delay_alu instid0(VALU_DEP_3) | instskip(SKIP_1) | instid1(VALU_DEP_2)
	v_add3_u32 v30, v37, v26, 0x7fff
	v_mov_b32_e32 v26, 0
	v_lshrrev_b32_e32 v30, 16, v30
	s_delay_alu instid0(VALU_DEP_2) | instskip(NEXT) | instid1(VALU_DEP_2)
	v_lshlrev_b64 v[25:26], 1, v[25:26]
	v_cndmask_b32_e64 v30, 0x7fc0, v30, s3
	s_waitcnt lgkmcnt(0)
	s_delay_alu instid0(VALU_DEP_2) | instskip(NEXT) | instid1(VALU_DEP_1)
	v_add_co_u32 v25, s3, s8, v25
	v_add_co_ci_u32_e64 v26, s3, s9, v26, s3
	global_store_b16 v[25:26], v30, off
.LBB159_22:
	s_or_b32 exec_lo, exec_lo, s5
	v_add3_u32 v25, v1, s7, 8
	s_delay_alu instid0(VALU_DEP_1) | instskip(NEXT) | instid1(VALU_DEP_1)
	v_cmp_gt_u32_e64 s3, s4, v25
	s_and_b32 exec_lo, exec_lo, s3
	s_cbranch_execz .LBB159_64
; %bb.23:
	v_mul_lo_u32 v25, v25, s6
	s_and_saveexec_b32 s5, vcc_lo
	s_cbranch_execnz .LBB159_65
; %bb.24:
	s_or_b32 exec_lo, exec_lo, s5
	s_and_saveexec_b32 s5, s0
	s_cbranch_execnz .LBB159_66
.LBB159_25:
	s_or_b32 exec_lo, exec_lo, s5
	s_and_saveexec_b32 s5, s1
	s_cbranch_execnz .LBB159_67
.LBB159_26:
	s_or_b32 exec_lo, exec_lo, s5
	s_and_saveexec_b32 s5, s2
	s_cbranch_execz .LBB159_28
.LBB159_27:
	v_bfe_u32 v26, v32, 16, 1
	v_add_nc_u32_e32 v25, v25, v4
	v_cmp_o_f32_e64 s3, v32, v32
	s_delay_alu instid0(VALU_DEP_3) | instskip(SKIP_1) | instid1(VALU_DEP_2)
	v_add3_u32 v30, v32, v26, 0x7fff
	v_mov_b32_e32 v26, 0
	v_lshrrev_b32_e32 v30, 16, v30
	s_delay_alu instid0(VALU_DEP_2) | instskip(NEXT) | instid1(VALU_DEP_2)
	v_lshlrev_b64 v[25:26], 1, v[25:26]
	v_cndmask_b32_e64 v30, 0x7fc0, v30, s3
	s_waitcnt lgkmcnt(0)
	s_delay_alu instid0(VALU_DEP_2) | instskip(NEXT) | instid1(VALU_DEP_1)
	v_add_co_u32 v25, s3, s8, v25
	v_add_co_ci_u32_e64 v26, s3, s9, v26, s3
	global_store_b16 v[25:26], v30, off
.LBB159_28:
	s_or_b32 exec_lo, exec_lo, s5
	v_add3_u32 v25, v1, s7, 16
	s_delay_alu instid0(VALU_DEP_1) | instskip(NEXT) | instid1(VALU_DEP_1)
	v_cmp_gt_u32_e64 s3, s4, v25
	s_and_b32 exec_lo, exec_lo, s3
	s_cbranch_execz .LBB159_64
; %bb.29:
	v_mul_lo_u32 v25, v25, s6
	s_and_saveexec_b32 s5, vcc_lo
	s_cbranch_execnz .LBB159_68
; %bb.30:
	s_or_b32 exec_lo, exec_lo, s5
	s_and_saveexec_b32 s5, s0
	s_cbranch_execnz .LBB159_69
.LBB159_31:
	s_or_b32 exec_lo, exec_lo, s5
	s_and_saveexec_b32 s5, s1
	s_cbranch_execnz .LBB159_70
.LBB159_32:
	s_or_b32 exec_lo, exec_lo, s5
	s_and_saveexec_b32 s5, s2
	s_cbranch_execz .LBB159_34
.LBB159_33:
	v_bfe_u32 v26, v27, 16, 1
	v_add_nc_u32_e32 v25, v25, v4
	v_cmp_o_f32_e64 s3, v27, v27
	s_delay_alu instid0(VALU_DEP_3) | instskip(SKIP_1) | instid1(VALU_DEP_2)
	v_add3_u32 v28, v27, v26, 0x7fff
	v_mov_b32_e32 v26, 0
	v_lshrrev_b32_e32 v28, 16, v28
	s_delay_alu instid0(VALU_DEP_2) | instskip(NEXT) | instid1(VALU_DEP_2)
	v_lshlrev_b64 v[25:26], 1, v[25:26]
	v_cndmask_b32_e64 v27, 0x7fc0, v28, s3
	s_waitcnt lgkmcnt(0)
	s_delay_alu instid0(VALU_DEP_2) | instskip(NEXT) | instid1(VALU_DEP_1)
	v_add_co_u32 v25, s3, s8, v25
	v_add_co_ci_u32_e64 v26, s3, s9, v26, s3
	global_store_b16 v[25:26], v27, off
.LBB159_34:
	s_or_b32 exec_lo, exec_lo, s5
	v_add3_u32 v25, v1, s7, 24
	s_delay_alu instid0(VALU_DEP_1) | instskip(NEXT) | instid1(VALU_DEP_1)
	v_cmp_gt_u32_e64 s3, s4, v25
	s_and_b32 exec_lo, exec_lo, s3
	s_cbranch_execz .LBB159_64
; %bb.35:
	v_mul_lo_u32 v25, v25, s6
	s_and_saveexec_b32 s5, vcc_lo
	s_cbranch_execnz .LBB159_71
; %bb.36:
	s_or_b32 exec_lo, exec_lo, s5
	s_and_saveexec_b32 s5, s0
	s_cbranch_execnz .LBB159_72
.LBB159_37:
	s_or_b32 exec_lo, exec_lo, s5
	s_and_saveexec_b32 s5, s1
	s_cbranch_execnz .LBB159_73
.LBB159_38:
	s_or_b32 exec_lo, exec_lo, s5
	s_and_saveexec_b32 s5, s2
	s_cbranch_execz .LBB159_40
.LBB159_39:
	v_bfe_u32 v23, v21, 16, 1
	v_add_nc_u32_e32 v22, v25, v4
	v_cmp_o_f32_e64 s3, v21, v21
	s_delay_alu instid0(VALU_DEP_3) | instskip(SKIP_1) | instid1(VALU_DEP_2)
	v_add3_u32 v24, v21, v23, 0x7fff
	v_mov_b32_e32 v23, 0
	v_lshrrev_b32_e32 v24, 16, v24
	s_delay_alu instid0(VALU_DEP_2) | instskip(NEXT) | instid1(VALU_DEP_2)
	v_lshlrev_b64 v[22:23], 1, v[22:23]
	v_cndmask_b32_e64 v24, 0x7fc0, v24, s3
	s_waitcnt lgkmcnt(0)
	s_delay_alu instid0(VALU_DEP_2) | instskip(NEXT) | instid1(VALU_DEP_1)
	v_add_co_u32 v21, s3, s8, v22
	v_add_co_ci_u32_e64 v22, s3, s9, v23, s3
	global_store_b16 v[21:22], v24, off
.LBB159_40:
	s_or_b32 exec_lo, exec_lo, s5
	v_add3_u32 v21, v1, s7, 32
	s_delay_alu instid0(VALU_DEP_1) | instskip(NEXT) | instid1(VALU_DEP_1)
	v_cmp_gt_u32_e64 s3, s4, v21
	s_and_b32 exec_lo, exec_lo, s3
	s_cbranch_execz .LBB159_64
; %bb.41:
	v_mul_lo_u32 v21, v21, s6
	s_and_saveexec_b32 s5, vcc_lo
	s_cbranch_execnz .LBB159_74
; %bb.42:
	s_or_b32 exec_lo, exec_lo, s5
	s_and_saveexec_b32 s5, s0
	s_cbranch_execnz .LBB159_75
.LBB159_43:
	s_or_b32 exec_lo, exec_lo, s5
	s_and_saveexec_b32 s5, s1
	s_cbranch_execnz .LBB159_76
.LBB159_44:
	s_or_b32 exec_lo, exec_lo, s5
	s_and_saveexec_b32 s5, s2
	s_cbranch_execz .LBB159_46
.LBB159_45:
	v_bfe_u32 v19, v17, 16, 1
	v_add_nc_u32_e32 v18, v21, v4
	v_cmp_o_f32_e64 s3, v17, v17
	s_delay_alu instid0(VALU_DEP_3) | instskip(SKIP_1) | instid1(VALU_DEP_2)
	v_add3_u32 v20, v17, v19, 0x7fff
	v_mov_b32_e32 v19, 0
	v_lshrrev_b32_e32 v20, 16, v20
	s_delay_alu instid0(VALU_DEP_2) | instskip(NEXT) | instid1(VALU_DEP_2)
	v_lshlrev_b64 v[18:19], 1, v[18:19]
	v_cndmask_b32_e64 v20, 0x7fc0, v20, s3
	s_waitcnt lgkmcnt(0)
	s_delay_alu instid0(VALU_DEP_2) | instskip(NEXT) | instid1(VALU_DEP_1)
	v_add_co_u32 v17, s3, s8, v18
	v_add_co_ci_u32_e64 v18, s3, s9, v19, s3
	global_store_b16 v[17:18], v20, off
.LBB159_46:
	s_or_b32 exec_lo, exec_lo, s5
	v_add3_u32 v17, v1, s7, 40
	s_delay_alu instid0(VALU_DEP_1) | instskip(NEXT) | instid1(VALU_DEP_1)
	v_cmp_gt_u32_e64 s3, s4, v17
	s_and_b32 exec_lo, exec_lo, s3
	s_cbranch_execz .LBB159_64
; %bb.47:
	v_mul_lo_u32 v17, v17, s6
	s_and_saveexec_b32 s5, vcc_lo
	s_cbranch_execnz .LBB159_77
; %bb.48:
	s_or_b32 exec_lo, exec_lo, s5
	s_and_saveexec_b32 s5, s0
	s_cbranch_execnz .LBB159_78
.LBB159_49:
	s_or_b32 exec_lo, exec_lo, s5
	s_and_saveexec_b32 s5, s1
	s_cbranch_execnz .LBB159_79
.LBB159_50:
	s_or_b32 exec_lo, exec_lo, s5
	s_and_saveexec_b32 s5, s2
	s_cbranch_execz .LBB159_52
.LBB159_51:
	v_bfe_u32 v15, v13, 16, 1
	v_add_nc_u32_e32 v14, v17, v4
	v_cmp_o_f32_e64 s3, v13, v13
	s_delay_alu instid0(VALU_DEP_3) | instskip(SKIP_1) | instid1(VALU_DEP_2)
	v_add3_u32 v16, v13, v15, 0x7fff
	v_mov_b32_e32 v15, 0
	v_lshrrev_b32_e32 v16, 16, v16
	s_delay_alu instid0(VALU_DEP_2) | instskip(NEXT) | instid1(VALU_DEP_2)
	v_lshlrev_b64 v[14:15], 1, v[14:15]
	v_cndmask_b32_e64 v16, 0x7fc0, v16, s3
	s_waitcnt lgkmcnt(0)
	s_delay_alu instid0(VALU_DEP_2) | instskip(NEXT) | instid1(VALU_DEP_1)
	v_add_co_u32 v13, s3, s8, v14
	v_add_co_ci_u32_e64 v14, s3, s9, v15, s3
	global_store_b16 v[13:14], v16, off
.LBB159_52:
	s_or_b32 exec_lo, exec_lo, s5
	v_add3_u32 v13, v1, s7, 48
	s_delay_alu instid0(VALU_DEP_1) | instskip(NEXT) | instid1(VALU_DEP_1)
	v_cmp_gt_u32_e64 s3, s4, v13
	s_and_b32 exec_lo, exec_lo, s3
	s_cbranch_execz .LBB159_64
; %bb.53:
	v_mul_lo_u32 v13, v13, s6
	s_and_saveexec_b32 s5, vcc_lo
	s_cbranch_execnz .LBB159_80
; %bb.54:
	s_or_b32 exec_lo, exec_lo, s5
	s_and_saveexec_b32 s5, s0
	s_cbranch_execnz .LBB159_81
.LBB159_55:
	s_or_b32 exec_lo, exec_lo, s5
	s_and_saveexec_b32 s5, s1
	s_cbranch_execnz .LBB159_82
.LBB159_56:
	s_or_b32 exec_lo, exec_lo, s5
	s_and_saveexec_b32 s5, s2
	s_cbranch_execz .LBB159_58
.LBB159_57:
	v_bfe_u32 v11, v9, 16, 1
	v_add_nc_u32_e32 v10, v13, v4
	v_cmp_o_f32_e64 s3, v9, v9
	s_delay_alu instid0(VALU_DEP_3) | instskip(SKIP_1) | instid1(VALU_DEP_2)
	v_add3_u32 v12, v9, v11, 0x7fff
	v_mov_b32_e32 v11, 0
	v_lshrrev_b32_e32 v12, 16, v12
	s_delay_alu instid0(VALU_DEP_2) | instskip(NEXT) | instid1(VALU_DEP_2)
	v_lshlrev_b64 v[10:11], 1, v[10:11]
	v_cndmask_b32_e64 v12, 0x7fc0, v12, s3
	s_waitcnt lgkmcnt(0)
	s_delay_alu instid0(VALU_DEP_2) | instskip(NEXT) | instid1(VALU_DEP_1)
	v_add_co_u32 v9, s3, s8, v10
	v_add_co_ci_u32_e64 v10, s3, s9, v11, s3
	global_store_b16 v[9:10], v12, off
.LBB159_58:
	s_or_b32 exec_lo, exec_lo, s5
	v_add3_u32 v1, v1, s7, 56
	s_delay_alu instid0(VALU_DEP_1) | instskip(NEXT) | instid1(VALU_DEP_1)
	v_cmp_gt_u32_e64 s3, s4, v1
	s_and_b32 exec_lo, exec_lo, s3
	s_cbranch_execz .LBB159_64
; %bb.59:
	v_mul_lo_u32 v1, v1, s6
	s_and_saveexec_b32 s3, vcc_lo
	s_cbranch_execnz .LBB159_83
; %bb.60:
	s_or_b32 exec_lo, exec_lo, s3
	s_and_saveexec_b32 s3, s0
	s_cbranch_execnz .LBB159_84
.LBB159_61:
	s_or_b32 exec_lo, exec_lo, s3
	s_and_saveexec_b32 s0, s1
	s_cbranch_execnz .LBB159_85
.LBB159_62:
	s_or_b32 exec_lo, exec_lo, s0
	s_delay_alu instid0(SALU_CYCLE_1)
	s_and_b32 exec_lo, exec_lo, s2
	s_cbranch_execz .LBB159_64
.LBB159_63:
	v_bfe_u32 v2, v5, 16, 1
	v_dual_mov_b32 v1, 0 :: v_dual_add_nc_u32 v0, v1, v4
	v_cmp_o_f32_e32 vcc_lo, v5, v5
	s_delay_alu instid0(VALU_DEP_3) | instskip(NEXT) | instid1(VALU_DEP_3)
	v_add3_u32 v2, v5, v2, 0x7fff
	v_lshlrev_b64 v[0:1], 1, v[0:1]
	s_delay_alu instid0(VALU_DEP_2) | instskip(NEXT) | instid1(VALU_DEP_1)
	v_lshrrev_b32_e32 v2, 16, v2
	v_cndmask_b32_e32 v2, 0x7fc0, v2, vcc_lo
	s_waitcnt lgkmcnt(0)
	s_delay_alu instid0(VALU_DEP_3) | instskip(NEXT) | instid1(VALU_DEP_4)
	v_add_co_u32 v0, vcc_lo, s8, v0
	v_add_co_ci_u32_e32 v1, vcc_lo, s9, v1, vcc_lo
	global_store_b16 v[0:1], v2, off
.LBB159_64:
	s_nop 0
	s_sendmsg sendmsg(MSG_DEALLOC_VGPRS)
	s_endpgm
.LBB159_65:
	v_bfe_u32 v26, v36, 16, 1
	s_delay_alu instid0(VALU_DEP_2) | instskip(SKIP_1) | instid1(VALU_DEP_3)
	v_dual_mov_b32 v38, 0 :: v_dual_add_nc_u32 v37, v25, v0
	v_cmp_o_f32_e64 s3, v36, v36
	v_add3_u32 v26, v36, v26, 0x7fff
	s_delay_alu instid0(VALU_DEP_3) | instskip(NEXT) | instid1(VALU_DEP_2)
	v_lshlrev_b64 v[37:38], 1, v[37:38]
	v_lshrrev_b32_e32 v26, 16, v26
	s_delay_alu instid0(VALU_DEP_1) | instskip(SKIP_1) | instid1(VALU_DEP_3)
	v_cndmask_b32_e64 v26, 0x7fc0, v26, s3
	s_waitcnt lgkmcnt(0)
	v_add_co_u32 v35, s3, s8, v37
	s_delay_alu instid0(VALU_DEP_1)
	v_add_co_ci_u32_e64 v36, s3, s9, v38, s3
	global_store_b16 v[35:36], v26, off
	s_or_b32 exec_lo, exec_lo, s5
	s_and_saveexec_b32 s5, s0
	s_cbranch_execz .LBB159_25
.LBB159_66:
	v_bfe_u32 v26, v34, 16, 1
	s_delay_alu instid0(VALU_DEP_2) | instskip(SKIP_1) | instid1(VALU_DEP_3)
	v_dual_mov_b32 v36, 0 :: v_dual_add_nc_u32 v35, v25, v2
	v_cmp_o_f32_e64 s3, v34, v34
	v_add3_u32 v26, v34, v26, 0x7fff
	s_delay_alu instid0(VALU_DEP_3) | instskip(NEXT) | instid1(VALU_DEP_2)
	v_lshlrev_b64 v[35:36], 1, v[35:36]
	v_lshrrev_b32_e32 v26, 16, v26
	s_delay_alu instid0(VALU_DEP_1) | instskip(SKIP_1) | instid1(VALU_DEP_3)
	v_cndmask_b32_e64 v26, 0x7fc0, v26, s3
	s_waitcnt lgkmcnt(0)
	v_add_co_u32 v34, s3, s8, v35
	s_delay_alu instid0(VALU_DEP_1)
	v_add_co_ci_u32_e64 v35, s3, s9, v36, s3
	global_store_b16 v[34:35], v26, off
	s_or_b32 exec_lo, exec_lo, s5
	s_and_saveexec_b32 s5, s1
	s_cbranch_execz .LBB159_26
.LBB159_67:
	v_bfe_u32 v26, v33, 16, 1
	v_dual_mov_b32 v35, 0 :: v_dual_add_nc_u32 v34, v25, v3
	v_cmp_o_f32_e64 s3, v33, v33
	s_delay_alu instid0(VALU_DEP_3) | instskip(NEXT) | instid1(VALU_DEP_3)
	v_add3_u32 v26, v33, v26, 0x7fff
	v_lshlrev_b64 v[34:35], 1, v[34:35]
	s_delay_alu instid0(VALU_DEP_2) | instskip(NEXT) | instid1(VALU_DEP_1)
	v_lshrrev_b32_e32 v26, 16, v26
	v_cndmask_b32_e64 v26, 0x7fc0, v26, s3
	s_waitcnt lgkmcnt(0)
	s_delay_alu instid0(VALU_DEP_3) | instskip(NEXT) | instid1(VALU_DEP_1)
	v_add_co_u32 v33, s3, s8, v34
	v_add_co_ci_u32_e64 v34, s3, s9, v35, s3
	global_store_b16 v[33:34], v26, off
	s_or_b32 exec_lo, exec_lo, s5
	s_and_saveexec_b32 s5, s2
	s_cbranch_execnz .LBB159_27
	s_branch .LBB159_28
.LBB159_68:
	v_bfe_u32 v26, v31, 16, 1
	s_delay_alu instid0(VALU_DEP_2) | instskip(SKIP_1) | instid1(VALU_DEP_3)
	v_dual_mov_b32 v33, 0 :: v_dual_add_nc_u32 v32, v25, v0
	v_cmp_o_f32_e64 s3, v31, v31
	v_add3_u32 v26, v31, v26, 0x7fff
	s_delay_alu instid0(VALU_DEP_3) | instskip(NEXT) | instid1(VALU_DEP_2)
	v_lshlrev_b64 v[32:33], 1, v[32:33]
	v_lshrrev_b32_e32 v26, 16, v26
	s_delay_alu instid0(VALU_DEP_1) | instskip(SKIP_1) | instid1(VALU_DEP_3)
	v_cndmask_b32_e64 v26, 0x7fc0, v26, s3
	s_waitcnt lgkmcnt(0)
	v_add_co_u32 v30, s3, s8, v32
	s_delay_alu instid0(VALU_DEP_1)
	v_add_co_ci_u32_e64 v31, s3, s9, v33, s3
	global_store_b16 v[30:31], v26, off
	s_or_b32 exec_lo, exec_lo, s5
	s_and_saveexec_b32 s5, s0
	s_cbranch_execz .LBB159_31
.LBB159_69:
	v_bfe_u32 v26, v29, 16, 1
	s_delay_alu instid0(VALU_DEP_2) | instskip(SKIP_1) | instid1(VALU_DEP_3)
	v_dual_mov_b32 v31, 0 :: v_dual_add_nc_u32 v30, v25, v2
	v_cmp_o_f32_e64 s3, v29, v29
	v_add3_u32 v26, v29, v26, 0x7fff
	s_delay_alu instid0(VALU_DEP_3) | instskip(NEXT) | instid1(VALU_DEP_2)
	v_lshlrev_b64 v[30:31], 1, v[30:31]
	v_lshrrev_b32_e32 v26, 16, v26
	s_delay_alu instid0(VALU_DEP_1) | instskip(SKIP_1) | instid1(VALU_DEP_3)
	v_cndmask_b32_e64 v26, 0x7fc0, v26, s3
	s_waitcnt lgkmcnt(0)
	v_add_co_u32 v29, s3, s8, v30
	s_delay_alu instid0(VALU_DEP_1)
	v_add_co_ci_u32_e64 v30, s3, s9, v31, s3
	global_store_b16 v[29:30], v26, off
	s_or_b32 exec_lo, exec_lo, s5
	s_and_saveexec_b32 s5, s1
	s_cbranch_execz .LBB159_32
.LBB159_70:
	v_bfe_u32 v26, v28, 16, 1
	v_dual_mov_b32 v30, 0 :: v_dual_add_nc_u32 v29, v25, v3
	v_cmp_o_f32_e64 s3, v28, v28
	s_delay_alu instid0(VALU_DEP_3) | instskip(NEXT) | instid1(VALU_DEP_3)
	v_add3_u32 v26, v28, v26, 0x7fff
	v_lshlrev_b64 v[29:30], 1, v[29:30]
	s_delay_alu instid0(VALU_DEP_2) | instskip(NEXT) | instid1(VALU_DEP_1)
	v_lshrrev_b32_e32 v26, 16, v26
	v_cndmask_b32_e64 v26, 0x7fc0, v26, s3
	s_waitcnt lgkmcnt(0)
	s_delay_alu instid0(VALU_DEP_3) | instskip(NEXT) | instid1(VALU_DEP_1)
	v_add_co_u32 v28, s3, s8, v29
	v_add_co_ci_u32_e64 v29, s3, s9, v30, s3
	global_store_b16 v[28:29], v26, off
	s_or_b32 exec_lo, exec_lo, s5
	s_and_saveexec_b32 s5, s2
	s_cbranch_execnz .LBB159_33
	s_branch .LBB159_34
.LBB159_71:
	v_bfe_u32 v27, v24, 16, 1
	s_delay_alu instid0(VALU_DEP_2) | instskip(SKIP_1) | instid1(VALU_DEP_3)
	v_add_nc_u32_e32 v26, v25, v0
	v_cmp_o_f32_e64 s3, v24, v24
	v_add3_u32 v28, v24, v27, 0x7fff
	v_mov_b32_e32 v27, 0
	s_delay_alu instid0(VALU_DEP_2) | instskip(NEXT) | instid1(VALU_DEP_2)
	v_lshrrev_b32_e32 v28, 16, v28
	v_lshlrev_b64 v[26:27], 1, v[26:27]
	s_delay_alu instid0(VALU_DEP_2) | instskip(SKIP_1) | instid1(VALU_DEP_2)
	v_cndmask_b32_e64 v24, 0x7fc0, v28, s3
	s_waitcnt lgkmcnt(0)
	v_add_co_u32 v26, s3, s8, v26
	s_delay_alu instid0(VALU_DEP_1)
	v_add_co_ci_u32_e64 v27, s3, s9, v27, s3
	global_store_b16 v[26:27], v24, off
	s_or_b32 exec_lo, exec_lo, s5
	s_and_saveexec_b32 s5, s0
	s_cbranch_execz .LBB159_37
.LBB159_72:
	v_bfe_u32 v24, v23, 16, 1
	s_delay_alu instid0(VALU_DEP_2) | instskip(SKIP_1) | instid1(VALU_DEP_3)
	v_dual_mov_b32 v27, 0 :: v_dual_add_nc_u32 v26, v25, v2
	v_cmp_o_f32_e64 s3, v23, v23
	v_add3_u32 v24, v23, v24, 0x7fff
	s_delay_alu instid0(VALU_DEP_3) | instskip(NEXT) | instid1(VALU_DEP_2)
	v_lshlrev_b64 v[26:27], 1, v[26:27]
	v_lshrrev_b32_e32 v24, 16, v24
	s_delay_alu instid0(VALU_DEP_1) | instskip(SKIP_1) | instid1(VALU_DEP_3)
	v_cndmask_b32_e64 v28, 0x7fc0, v24, s3
	s_waitcnt lgkmcnt(0)
	v_add_co_u32 v23, s3, s8, v26
	s_delay_alu instid0(VALU_DEP_1)
	v_add_co_ci_u32_e64 v24, s3, s9, v27, s3
	global_store_b16 v[23:24], v28, off
	s_or_b32 exec_lo, exec_lo, s5
	s_and_saveexec_b32 s5, s1
	s_cbranch_execz .LBB159_38
.LBB159_73:
	v_bfe_u32 v24, v22, 16, 1
	v_add_nc_u32_e32 v23, v25, v3
	v_cmp_o_f32_e64 s3, v22, v22
	s_delay_alu instid0(VALU_DEP_3) | instskip(SKIP_1) | instid1(VALU_DEP_2)
	v_add3_u32 v26, v22, v24, 0x7fff
	v_mov_b32_e32 v24, 0
	v_lshrrev_b32_e32 v26, 16, v26
	s_delay_alu instid0(VALU_DEP_2) | instskip(NEXT) | instid1(VALU_DEP_2)
	v_lshlrev_b64 v[23:24], 1, v[23:24]
	v_cndmask_b32_e64 v26, 0x7fc0, v26, s3
	s_waitcnt lgkmcnt(0)
	s_delay_alu instid0(VALU_DEP_2) | instskip(NEXT) | instid1(VALU_DEP_1)
	v_add_co_u32 v22, s3, s8, v23
	v_add_co_ci_u32_e64 v23, s3, s9, v24, s3
	global_store_b16 v[22:23], v26, off
	s_or_b32 exec_lo, exec_lo, s5
	s_and_saveexec_b32 s5, s2
	s_cbranch_execnz .LBB159_39
	s_branch .LBB159_40
.LBB159_74:
	v_bfe_u32 v23, v20, 16, 1
	s_delay_alu instid0(VALU_DEP_2) | instskip(SKIP_1) | instid1(VALU_DEP_3)
	v_add_nc_u32_e32 v22, v21, v0
	v_cmp_o_f32_e64 s3, v20, v20
	v_add3_u32 v24, v20, v23, 0x7fff
	v_mov_b32_e32 v23, 0
	s_delay_alu instid0(VALU_DEP_2) | instskip(NEXT) | instid1(VALU_DEP_2)
	v_lshrrev_b32_e32 v24, 16, v24
	v_lshlrev_b64 v[22:23], 1, v[22:23]
	s_delay_alu instid0(VALU_DEP_2) | instskip(SKIP_1) | instid1(VALU_DEP_2)
	v_cndmask_b32_e64 v20, 0x7fc0, v24, s3
	s_waitcnt lgkmcnt(0)
	v_add_co_u32 v22, s3, s8, v22
	s_delay_alu instid0(VALU_DEP_1)
	v_add_co_ci_u32_e64 v23, s3, s9, v23, s3
	global_store_b16 v[22:23], v20, off
	s_or_b32 exec_lo, exec_lo, s5
	s_and_saveexec_b32 s5, s0
	s_cbranch_execz .LBB159_43
.LBB159_75:
	v_bfe_u32 v20, v19, 16, 1
	s_delay_alu instid0(VALU_DEP_2) | instskip(SKIP_1) | instid1(VALU_DEP_3)
	v_dual_mov_b32 v23, 0 :: v_dual_add_nc_u32 v22, v21, v2
	v_cmp_o_f32_e64 s3, v19, v19
	v_add3_u32 v20, v19, v20, 0x7fff
	s_delay_alu instid0(VALU_DEP_3) | instskip(NEXT) | instid1(VALU_DEP_2)
	v_lshlrev_b64 v[22:23], 1, v[22:23]
	v_lshrrev_b32_e32 v20, 16, v20
	s_delay_alu instid0(VALU_DEP_1) | instskip(SKIP_1) | instid1(VALU_DEP_3)
	v_cndmask_b32_e64 v24, 0x7fc0, v20, s3
	s_waitcnt lgkmcnt(0)
	v_add_co_u32 v19, s3, s8, v22
	s_delay_alu instid0(VALU_DEP_1)
	v_add_co_ci_u32_e64 v20, s3, s9, v23, s3
	global_store_b16 v[19:20], v24, off
	s_or_b32 exec_lo, exec_lo, s5
	s_and_saveexec_b32 s5, s1
	s_cbranch_execz .LBB159_44
.LBB159_76:
	v_bfe_u32 v20, v18, 16, 1
	v_add_nc_u32_e32 v19, v21, v3
	v_cmp_o_f32_e64 s3, v18, v18
	s_delay_alu instid0(VALU_DEP_3) | instskip(SKIP_1) | instid1(VALU_DEP_2)
	v_add3_u32 v22, v18, v20, 0x7fff
	v_mov_b32_e32 v20, 0
	v_lshrrev_b32_e32 v22, 16, v22
	s_delay_alu instid0(VALU_DEP_2) | instskip(NEXT) | instid1(VALU_DEP_2)
	v_lshlrev_b64 v[19:20], 1, v[19:20]
	v_cndmask_b32_e64 v22, 0x7fc0, v22, s3
	s_waitcnt lgkmcnt(0)
	s_delay_alu instid0(VALU_DEP_2) | instskip(NEXT) | instid1(VALU_DEP_1)
	v_add_co_u32 v18, s3, s8, v19
	v_add_co_ci_u32_e64 v19, s3, s9, v20, s3
	global_store_b16 v[18:19], v22, off
	s_or_b32 exec_lo, exec_lo, s5
	s_and_saveexec_b32 s5, s2
	s_cbranch_execnz .LBB159_45
	s_branch .LBB159_46
.LBB159_77:
	v_bfe_u32 v19, v16, 16, 1
	s_delay_alu instid0(VALU_DEP_2) | instskip(SKIP_1) | instid1(VALU_DEP_3)
	v_add_nc_u32_e32 v18, v17, v0
	v_cmp_o_f32_e64 s3, v16, v16
	v_add3_u32 v20, v16, v19, 0x7fff
	v_mov_b32_e32 v19, 0
	s_delay_alu instid0(VALU_DEP_2) | instskip(NEXT) | instid1(VALU_DEP_2)
	v_lshrrev_b32_e32 v20, 16, v20
	v_lshlrev_b64 v[18:19], 1, v[18:19]
	s_delay_alu instid0(VALU_DEP_2) | instskip(SKIP_1) | instid1(VALU_DEP_2)
	v_cndmask_b32_e64 v16, 0x7fc0, v20, s3
	s_waitcnt lgkmcnt(0)
	v_add_co_u32 v18, s3, s8, v18
	s_delay_alu instid0(VALU_DEP_1)
	v_add_co_ci_u32_e64 v19, s3, s9, v19, s3
	global_store_b16 v[18:19], v16, off
	s_or_b32 exec_lo, exec_lo, s5
	s_and_saveexec_b32 s5, s0
	s_cbranch_execz .LBB159_49
.LBB159_78:
	v_bfe_u32 v16, v15, 16, 1
	s_delay_alu instid0(VALU_DEP_2) | instskip(SKIP_1) | instid1(VALU_DEP_3)
	v_dual_mov_b32 v19, 0 :: v_dual_add_nc_u32 v18, v17, v2
	v_cmp_o_f32_e64 s3, v15, v15
	v_add3_u32 v16, v15, v16, 0x7fff
	s_delay_alu instid0(VALU_DEP_3) | instskip(NEXT) | instid1(VALU_DEP_2)
	v_lshlrev_b64 v[18:19], 1, v[18:19]
	v_lshrrev_b32_e32 v16, 16, v16
	s_delay_alu instid0(VALU_DEP_1) | instskip(SKIP_1) | instid1(VALU_DEP_3)
	v_cndmask_b32_e64 v20, 0x7fc0, v16, s3
	s_waitcnt lgkmcnt(0)
	v_add_co_u32 v15, s3, s8, v18
	s_delay_alu instid0(VALU_DEP_1)
	v_add_co_ci_u32_e64 v16, s3, s9, v19, s3
	global_store_b16 v[15:16], v20, off
	s_or_b32 exec_lo, exec_lo, s5
	s_and_saveexec_b32 s5, s1
	s_cbranch_execz .LBB159_50
.LBB159_79:
	v_bfe_u32 v16, v14, 16, 1
	v_add_nc_u32_e32 v15, v17, v3
	v_cmp_o_f32_e64 s3, v14, v14
	s_delay_alu instid0(VALU_DEP_3) | instskip(SKIP_1) | instid1(VALU_DEP_2)
	v_add3_u32 v18, v14, v16, 0x7fff
	v_mov_b32_e32 v16, 0
	v_lshrrev_b32_e32 v18, 16, v18
	s_delay_alu instid0(VALU_DEP_2) | instskip(NEXT) | instid1(VALU_DEP_2)
	v_lshlrev_b64 v[15:16], 1, v[15:16]
	v_cndmask_b32_e64 v18, 0x7fc0, v18, s3
	s_waitcnt lgkmcnt(0)
	s_delay_alu instid0(VALU_DEP_2) | instskip(NEXT) | instid1(VALU_DEP_1)
	v_add_co_u32 v14, s3, s8, v15
	v_add_co_ci_u32_e64 v15, s3, s9, v16, s3
	global_store_b16 v[14:15], v18, off
	s_or_b32 exec_lo, exec_lo, s5
	s_and_saveexec_b32 s5, s2
	s_cbranch_execnz .LBB159_51
	s_branch .LBB159_52
.LBB159_80:
	v_bfe_u32 v15, v12, 16, 1
	s_delay_alu instid0(VALU_DEP_2) | instskip(SKIP_1) | instid1(VALU_DEP_3)
	v_add_nc_u32_e32 v14, v13, v0
	v_cmp_o_f32_e64 s3, v12, v12
	v_add3_u32 v16, v12, v15, 0x7fff
	v_mov_b32_e32 v15, 0
	s_delay_alu instid0(VALU_DEP_2) | instskip(NEXT) | instid1(VALU_DEP_2)
	v_lshrrev_b32_e32 v16, 16, v16
	v_lshlrev_b64 v[14:15], 1, v[14:15]
	s_delay_alu instid0(VALU_DEP_2) | instskip(SKIP_1) | instid1(VALU_DEP_2)
	v_cndmask_b32_e64 v12, 0x7fc0, v16, s3
	s_waitcnt lgkmcnt(0)
	v_add_co_u32 v14, s3, s8, v14
	s_delay_alu instid0(VALU_DEP_1)
	v_add_co_ci_u32_e64 v15, s3, s9, v15, s3
	global_store_b16 v[14:15], v12, off
	s_or_b32 exec_lo, exec_lo, s5
	s_and_saveexec_b32 s5, s0
	s_cbranch_execz .LBB159_55
.LBB159_81:
	v_bfe_u32 v12, v11, 16, 1
	s_delay_alu instid0(VALU_DEP_2) | instskip(SKIP_1) | instid1(VALU_DEP_3)
	v_dual_mov_b32 v15, 0 :: v_dual_add_nc_u32 v14, v13, v2
	v_cmp_o_f32_e64 s3, v11, v11
	v_add3_u32 v12, v11, v12, 0x7fff
	s_delay_alu instid0(VALU_DEP_3) | instskip(NEXT) | instid1(VALU_DEP_2)
	v_lshlrev_b64 v[14:15], 1, v[14:15]
	v_lshrrev_b32_e32 v12, 16, v12
	s_delay_alu instid0(VALU_DEP_1) | instskip(SKIP_1) | instid1(VALU_DEP_3)
	v_cndmask_b32_e64 v16, 0x7fc0, v12, s3
	s_waitcnt lgkmcnt(0)
	v_add_co_u32 v11, s3, s8, v14
	s_delay_alu instid0(VALU_DEP_1)
	v_add_co_ci_u32_e64 v12, s3, s9, v15, s3
	global_store_b16 v[11:12], v16, off
	s_or_b32 exec_lo, exec_lo, s5
	s_and_saveexec_b32 s5, s1
	s_cbranch_execz .LBB159_56
.LBB159_82:
	v_bfe_u32 v12, v10, 16, 1
	v_add_nc_u32_e32 v11, v13, v3
	v_cmp_o_f32_e64 s3, v10, v10
	s_delay_alu instid0(VALU_DEP_3) | instskip(SKIP_1) | instid1(VALU_DEP_2)
	v_add3_u32 v14, v10, v12, 0x7fff
	v_mov_b32_e32 v12, 0
	v_lshrrev_b32_e32 v14, 16, v14
	s_delay_alu instid0(VALU_DEP_2) | instskip(NEXT) | instid1(VALU_DEP_2)
	v_lshlrev_b64 v[11:12], 1, v[11:12]
	v_cndmask_b32_e64 v14, 0x7fc0, v14, s3
	s_waitcnt lgkmcnt(0)
	s_delay_alu instid0(VALU_DEP_2) | instskip(NEXT) | instid1(VALU_DEP_1)
	v_add_co_u32 v10, s3, s8, v11
	v_add_co_ci_u32_e64 v11, s3, s9, v12, s3
	global_store_b16 v[10:11], v14, off
	s_or_b32 exec_lo, exec_lo, s5
	s_and_saveexec_b32 s5, s2
	s_cbranch_execnz .LBB159_57
	s_branch .LBB159_58
.LBB159_83:
	v_bfe_u32 v10, v8, 16, 1
	s_delay_alu instid0(VALU_DEP_2) | instskip(SKIP_1) | instid1(VALU_DEP_3)
	v_add_nc_u32_e32 v9, v1, v0
	v_cmp_o_f32_e32 vcc_lo, v8, v8
	v_add3_u32 v0, v8, v10, 0x7fff
	v_mov_b32_e32 v10, 0
	s_delay_alu instid0(VALU_DEP_2) | instskip(NEXT) | instid1(VALU_DEP_2)
	v_lshrrev_b32_e32 v0, 16, v0
	v_lshlrev_b64 v[9:10], 1, v[9:10]
	s_delay_alu instid0(VALU_DEP_2) | instskip(SKIP_1) | instid1(VALU_DEP_2)
	v_cndmask_b32_e32 v0, 0x7fc0, v0, vcc_lo
	s_waitcnt lgkmcnt(0)
	v_add_co_u32 v8, vcc_lo, s8, v9
	s_delay_alu instid0(VALU_DEP_3)
	v_add_co_ci_u32_e32 v9, vcc_lo, s9, v10, vcc_lo
	global_store_b16 v[8:9], v0, off
	s_or_b32 exec_lo, exec_lo, s3
	s_and_saveexec_b32 s3, s0
	s_cbranch_execz .LBB159_61
.LBB159_84:
	v_bfe_u32 v0, v7, 16, 1
	s_delay_alu instid0(VALU_DEP_2) | instskip(SKIP_1) | instid1(VALU_DEP_3)
	v_dual_mov_b32 v9, 0 :: v_dual_add_nc_u32 v8, v1, v2
	v_cmp_o_f32_e32 vcc_lo, v7, v7
	v_add3_u32 v0, v7, v0, 0x7fff
	s_delay_alu instid0(VALU_DEP_3) | instskip(NEXT) | instid1(VALU_DEP_2)
	v_lshlrev_b64 v[8:9], 1, v[8:9]
	v_lshrrev_b32_e32 v0, 16, v0
	s_delay_alu instid0(VALU_DEP_1) | instskip(SKIP_1) | instid1(VALU_DEP_3)
	v_cndmask_b32_e32 v0, 0x7fc0, v0, vcc_lo
	s_waitcnt lgkmcnt(0)
	v_add_co_u32 v7, vcc_lo, s8, v8
	s_delay_alu instid0(VALU_DEP_4)
	v_add_co_ci_u32_e32 v8, vcc_lo, s9, v9, vcc_lo
	global_store_b16 v[7:8], v0, off
	s_or_b32 exec_lo, exec_lo, s3
	s_and_saveexec_b32 s0, s1
	s_cbranch_execz .LBB159_62
.LBB159_85:
	v_bfe_u32 v0, v6, 16, 1
	v_dual_mov_b32 v3, 0 :: v_dual_add_nc_u32 v2, v1, v3
	v_cmp_o_f32_e32 vcc_lo, v6, v6
	s_delay_alu instid0(VALU_DEP_3) | instskip(NEXT) | instid1(VALU_DEP_3)
	v_add3_u32 v0, v6, v0, 0x7fff
	v_lshlrev_b64 v[2:3], 1, v[2:3]
	s_delay_alu instid0(VALU_DEP_2) | instskip(NEXT) | instid1(VALU_DEP_1)
	v_lshrrev_b32_e32 v0, 16, v0
	v_cndmask_b32_e32 v0, 0x7fc0, v0, vcc_lo
	s_waitcnt lgkmcnt(0)
	s_delay_alu instid0(VALU_DEP_3) | instskip(NEXT) | instid1(VALU_DEP_4)
	v_add_co_u32 v2, vcc_lo, s8, v2
	v_add_co_ci_u32_e32 v3, vcc_lo, s9, v3, vcc_lo
	global_store_b16 v[2:3], v0, off
	s_or_b32 exec_lo, exec_lo, s0
	s_delay_alu instid0(SALU_CYCLE_1)
	s_and_b32 exec_lo, exec_lo, s2
	s_cbranch_execnz .LBB159_63
	s_branch .LBB159_64
	.section	.rodata,"a",@progbits
	.p2align	6, 0x0
	.amdhsa_kernel _ZL12mul_mat_q4_1IN3c108BFloat16ELb0EEvPKvS3_PT_iiiii
		.amdhsa_group_segment_fixed_size 30336
		.amdhsa_private_segment_fixed_size 248
		.amdhsa_kernarg_size 44
		.amdhsa_user_sgpr_count 14
		.amdhsa_user_sgpr_dispatch_ptr 0
		.amdhsa_user_sgpr_queue_ptr 0
		.amdhsa_user_sgpr_kernarg_segment_ptr 1
		.amdhsa_user_sgpr_dispatch_id 0
		.amdhsa_user_sgpr_private_segment_size 0
		.amdhsa_wavefront_size32 1
		.amdhsa_uses_dynamic_stack 0
		.amdhsa_enable_private_segment 1
		.amdhsa_system_sgpr_workgroup_id_x 1
		.amdhsa_system_sgpr_workgroup_id_y 1
		.amdhsa_system_sgpr_workgroup_id_z 0
		.amdhsa_system_sgpr_workgroup_info 0
		.amdhsa_system_vgpr_workitem_id 1
		.amdhsa_next_free_vgpr 256
		.amdhsa_next_free_sgpr 16
		.amdhsa_reserve_vcc 1
		.amdhsa_float_round_mode_32 0
		.amdhsa_float_round_mode_16_64 0
		.amdhsa_float_denorm_mode_32 3
		.amdhsa_float_denorm_mode_16_64 3
		.amdhsa_dx10_clamp 1
		.amdhsa_ieee_mode 1
		.amdhsa_fp16_overflow 0
		.amdhsa_workgroup_processor_mode 1
		.amdhsa_memory_ordered 1
		.amdhsa_forward_progress 0
		.amdhsa_shared_vgpr_count 0
		.amdhsa_exception_fp_ieee_invalid_op 0
		.amdhsa_exception_fp_denorm_src 0
		.amdhsa_exception_fp_ieee_div_zero 0
		.amdhsa_exception_fp_ieee_overflow 0
		.amdhsa_exception_fp_ieee_underflow 0
		.amdhsa_exception_fp_ieee_inexact 0
		.amdhsa_exception_int_div_zero 0
	.end_amdhsa_kernel
	.section	.text._ZL12mul_mat_q4_1IN3c108BFloat16ELb0EEvPKvS3_PT_iiiii,"axG",@progbits,_ZL12mul_mat_q4_1IN3c108BFloat16ELb0EEvPKvS3_PT_iiiii,comdat
.Lfunc_end159:
	.size	_ZL12mul_mat_q4_1IN3c108BFloat16ELb0EEvPKvS3_PT_iiiii, .Lfunc_end159-_ZL12mul_mat_q4_1IN3c108BFloat16ELb0EEvPKvS3_PT_iiiii
                                        ; -- End function
	.section	.AMDGPU.csdata,"",@progbits
; Kernel info:
; codeLenInByte = 33356
; NumSgprs: 18
; NumVgprs: 256
; ScratchSize: 248
; MemoryBound: 0
; FloatMode: 240
; IeeeMode: 1
; LDSByteSize: 30336 bytes/workgroup (compile time only)
; SGPRBlocks: 2
; VGPRBlocks: 31
; NumSGPRsForWavesPerEU: 18
; NumVGPRsForWavesPerEU: 256
; Occupancy: 5
; WaveLimiterHint : 0
; COMPUTE_PGM_RSRC2:SCRATCH_EN: 1
; COMPUTE_PGM_RSRC2:USER_SGPR: 14
; COMPUTE_PGM_RSRC2:TRAP_HANDLER: 0
; COMPUTE_PGM_RSRC2:TGID_X_EN: 1
; COMPUTE_PGM_RSRC2:TGID_Y_EN: 1
; COMPUTE_PGM_RSRC2:TGID_Z_EN: 0
; COMPUTE_PGM_RSRC2:TIDIG_COMP_CNT: 1
	.section	.text._ZL12mul_mat_q4_1IN3c108BFloat16ELb1EEvPKvS3_PT_iiiii,"axG",@progbits,_ZL12mul_mat_q4_1IN3c108BFloat16ELb1EEvPKvS3_PT_iiiii,comdat
	.globl	_ZL12mul_mat_q4_1IN3c108BFloat16ELb1EEvPKvS3_PT_iiiii ; -- Begin function _ZL12mul_mat_q4_1IN3c108BFloat16ELb1EEvPKvS3_PT_iiiii
	.p2align	8
	.type	_ZL12mul_mat_q4_1IN3c108BFloat16ELb1EEvPKvS3_PT_iiiii,@function
_ZL12mul_mat_q4_1IN3c108BFloat16ELb1EEvPKvS3_PT_iiiii: ; @_ZL12mul_mat_q4_1IN3c108BFloat16ELb1EEvPKvS3_PT_iiiii
; %bb.0:
	s_clause 0x1
	s_load_b128 s[4:7], s[0:1], 0x18
	s_load_b32 s10, s[0:1], 0x28
	v_bfe_u32 v2, v0, 10, 10
	v_and_b32_e32 v3, 0x3ff, v0
	s_lshl_b32 s11, s15, 6
	s_waitcnt lgkmcnt(0)
	s_cmp_gt_i32 s4, 31
	s_cbranch_scc1 .LBB160_2
; %bb.1:
	v_bfe_u32 v1, v0, 10, 10
	v_and_b32_e32 v0, 0x3ff, v0
	s_mov_b32 s2, 0
	s_mov_b32 s3, 0
	s_delay_alu instid0(VALU_DEP_2)
	v_add_nc_u32_e32 v4, s11, v1
	s_branch .LBB160_3
.LBB160_2:
	s_mov_b32 s2, -1
                                        ; implicit-def: $sgpr3
                                        ; implicit-def: $vgpr1
                                        ; implicit-def: $vgpr0
                                        ; implicit-def: $vgpr4
.LBB160_3:
	s_load_b64 s[8:9], s[0:1], 0x10
	v_dual_mov_b32 v21, s3 :: v_dual_mov_b32 v44, s3
	v_dual_mov_b32 v25, s3 :: v_dual_mov_b32 v66, s3
	;; [unrolled: 1-line block ×14, first 2 shown]
	v_mov_b32_e32 v32, s3
	v_mov_b32_e32 v36, s3
	;; [unrolled: 1-line block ×4, first 2 shown]
	s_and_not1_b32 vcc_lo, exec_lo, s2
	s_lshl_b32 s12, s14, 7
	s_cbranch_vccnz .LBB160_13
; %bb.4:
	s_load_b128 s[0:3], s[0:1], 0x0
	s_ashr_i32 s13, s4, 31
	s_ashr_i32 s14, s7, 31
	s_lshr_b32 s13, s13, 27
	v_dual_mov_b32 v64, 0 :: v_dual_lshlrev_b32 v17, 2, v3
	s_add_i32 s4, s4, s13
	s_lshr_b32 s13, s14, 27
	s_ashr_i32 s4, s4, 5
	s_add_i32 s7, s7, s13
	s_mul_i32 s13, s4, s12
	s_ashr_i32 s7, s7, 5
	s_mul_i32 s14, s13, 20
	s_mul_hi_i32 s13, s13, 20
	v_dual_mov_b32 v45, v2 :: v_dual_and_b32 v0, 12, v17
	v_dual_mov_b32 v41, 0 :: v_dual_add_nc_u32 v36, 8, v2
	v_dual_mov_b32 v54, 0 :: v_dual_add_nc_u32 v37, 16, v2
	s_waitcnt lgkmcnt(0)
	s_add_u32 s0, s0, s14
	s_addc_u32 s1, s1, s13
	s_not_b32 s13, s12
	scratch_store_b32 off, v0, off offset:80 ; 4-byte Folded Spill
	s_add_i32 s5, s13, s5
	v_lshrrev_b32_e32 v52, 2, v3
	v_min_i32_e32 v2, s5, v45
	v_dual_mov_b32 v51, v3 :: v_dual_add_nc_u32 v38, 24, v45
	v_min_i32_e32 v3, s5, v36
	v_min_i32_e32 v4, s5, v37
	s_delay_alu instid0(VALU_DEP_4) | instskip(NEXT) | instid1(VALU_DEP_4)
	v_mul_lo_u32 v0, v2, s4
	v_min_i32_e32 v5, s5, v38
	v_add_nc_u32_e32 v39, 32, v45
	v_add_nc_u32_e32 v40, 40, v45
	v_dual_mov_b32 v63, 0 :: v_dual_add_nc_u32 v42, 48, v45
	v_add_nc_u32_e32 v43, 56, v45
	s_delay_alu instid0(VALU_DEP_4)
	v_min_i32_e32 v6, s5, v39
	scratch_store_b32 off, v0, off offset:84 ; 4-byte Folded Spill
	v_mad_u64_u32 v[0:1], null, 0x84, v2, v[17:18]
	v_mul_lo_u32 v1, v3, s4
	v_min_i32_e32 v7, s5, v40
	v_min_i32_e32 v8, s5, v42
	;; [unrolled: 1-line block ×3, first 2 shown]
	v_add_nc_u32_e32 v10, 64, v45
	v_add_nc_u32_e32 v11, 0x48, v45
	;; [unrolled: 1-line block ×3, first 2 shown]
	s_add_i32 s13, s6, -1
	scratch_store_b32 off, v1, off offset:88 ; 4-byte Folded Spill
	v_mad_u64_u32 v[1:2], null, 0x84, v3, v[17:18]
	v_mul_lo_u32 v2, v4, s4
	v_min_i32_e32 v10, s5, v10
	v_min_i32_e32 v11, s5, v11
	;; [unrolled: 1-line block ×3, first 2 shown]
	v_add_nc_u32_e32 v28, s11, v45
	v_add_nc_u32_e32 v13, 0x58, v45
	v_mov_b32_e32 v67, 0
	v_mov_b32_e32 v59, 0
	scratch_store_b32 off, v2, off offset:92 ; 4-byte Folded Spill
	v_mad_u64_u32 v[2:3], null, 0x84, v4, v[17:18]
	v_mul_lo_u32 v3, v5, s4
	v_add_nc_u32_e32 v14, 16, v28
	v_add_nc_u32_e32 v24, 24, v28
	v_cvt_f64_u32_e32 v[15:16], v28
	v_min_i32_e32 v13, s5, v13
	v_add_nc_u32_e32 v32, 56, v28
	v_cvt_f64_u32_e32 v[22:23], v14
	v_cvt_f64_u32_e32 v[24:25], v24
	scratch_store_b32 off, v3, off offset:96 ; 4-byte Folded Spill
	v_mad_u64_u32 v[3:4], null, 0x84, v5, v[17:18]
	v_mul_lo_u32 v4, v6, s4
	v_mul_lo_u32 v29, v13, s4
	v_add_nc_u32_e32 v14, 40, v28
	v_add_nc_u32_e32 v34, 0x68, v45
	v_cvt_f64_u32_e32 v[32:33], v32
	v_add_nc_u32_e32 v35, 0x70, v45
	v_lshrrev_b32_e32 v46, 3, v51
	v_and_b32_e32 v50, 7, v51
	scratch_store_b32 off, v4, off offset:100 ; 4-byte Folded Spill
	v_mad_u64_u32 v[4:5], null, 0x84, v6, v[17:18]
	v_mul_lo_u32 v5, v7, s4
	v_min_i32_e32 v34, s5, v34
	v_min_i32_e32 v44, s5, v35
	v_dual_mov_b32 v62, 0 :: v_dual_add_nc_u32 v35, 0x78, v45
	v_mov_b32_e32 v72, 0
	v_mov_b32_e32 v66, 0
	scratch_store_b32 off, v5, off offset:104 ; 4-byte Folded Spill
	v_mad_u64_u32 v[5:6], null, 0x84, v7, v[17:18]
	v_mul_lo_u32 v6, v8, s4
	v_min_i32_e32 v47, s5, v35
	scratch_store_b32 off, v6, off offset:108 ; 4-byte Folded Spill
	v_mad_u64_u32 v[6:7], null, 0x84, v8, v[17:18]
	v_mul_lo_u32 v7, v9, s4
	scratch_store_b32 off, v7, off offset:112 ; 4-byte Folded Spill
	v_mad_u64_u32 v[7:8], null, 0x84, v9, v[17:18]
	v_mul_lo_u32 v8, v10, s4
	;; [unrolled: 3-line block ×3, first 2 shown]
	scratch_store_b32 off, v9, off offset:120 ; 4-byte Folded Spill
	v_mad_u64_u32 v[9:10], null, 0x84, v11, v[17:18]
	v_cvt_f64_i32_e32 v[18:19], s13
	v_mul_lo_u32 v10, v12, s4
	scratch_store_b32 off, v10, off offset:124 ; 4-byte Folded Spill
	v_add_nc_u32_e32 v10, 8, v28
	s_clause 0x2
	scratch_store_b32 off, v29, off offset:128
	scratch_store_b32 off, v28, off offset:240
	;; [unrolled: 1-line block ×3, first 2 shown]
	v_lshl_add_u32 v46, v45, 2, v46
	v_cvt_f64_u32_e32 v[20:21], v10
	s_delay_alu instid0(VALU_DEP_2)
	v_min_i32_e32 v48, s5, v46
	v_mad_u64_u32 v[10:11], null, 0x84, v12, v[17:18]
	v_add_nc_u32_e32 v11, 32, v28
	v_add_nc_u32_e32 v12, 0x60, v45
	v_min_f64 v[22:23], v[22:23], v[18:19]
	v_min_f64 v[24:25], v[24:25], v[18:19]
	s_delay_alu instid0(VALU_DEP_4) | instskip(SKIP_3) | instid1(VALU_DEP_3)
	v_cvt_f64_u32_e32 v[26:27], v11
	v_add_nc_u32_e32 v11, 48, v28
	v_cvt_f64_u32_e32 v[28:29], v14
	v_min_i32_e32 v14, s5, v12
	v_cvt_f64_u32_e32 v[30:31], v11
	v_mad_u64_u32 v[11:12], null, 0x84, v13, v[17:18]
	s_delay_alu instid0(VALU_DEP_3)
	v_mul_lo_u32 v12, v14, s4
	v_min_f64 v[20:21], v[20:21], v[18:19]
	scratch_store_b32 off, v12, off offset:132 ; 4-byte Folded Spill
	v_mad_u64_u32 v[12:13], null, 0x84, v14, v[17:18]
	v_mul_lo_u32 v13, v34, s4
	scratch_store_b32 off, v13, off offset:140 ; 4-byte Folded Spill
	v_mad_u64_u32 v[13:14], null, 0x84, v34, v[17:18]
	v_min_f64 v[34:35], v[15:16], v[18:19]
	v_mul_lo_u32 v14, v44, s4
	v_mul_lo_u32 v16, v47, s4
	v_cvt_i32_f64_e32 v22, v[22:23]
	v_cvt_i32_f64_e32 v23, v[24:25]
	v_lshl_add_u32 v24, v45, 3, v52
	v_min_f64 v[26:27], v[26:27], v[18:19]
	s_clause 0x1
	scratch_store_b32 off, v14, off offset:144
	scratch_store_b32 off, v16, off offset:148
	v_mad_u64_u32 v[14:15], null, 0x84, v44, v[17:18]
	v_add_nc_u32_e32 v15, 32, v46
	v_min_f64 v[28:29], v[28:29], v[18:19]
	v_min_f64 v[30:31], v[30:31], v[18:19]
	v_ashrrev_i32_e32 v44, 31, v48
	v_cvt_i32_f64_e32 v21, v[20:21]
	v_min_i32_e32 v49, s5, v15
	v_mad_u64_u32 v[15:16], null, 0x84, v47, v[17:18]
	v_add_nc_u32_e32 v16, 64, v46
	v_min_f64 v[18:19], v[32:33], v[18:19]
	s_delay_alu instid0(VALU_DEP_4)
	v_ashrrev_i32_e32 v47, 31, v49
	v_add_nc_u32_e32 v46, 0x60, v46
	v_lshrrev_b32_e32 v44, 30, v44
	v_min_i32_e32 v16, s5, v16
	v_and_b32_e32 v24, 63, v24
	v_lshrrev_b32_e32 v32, 30, v47
	v_lshlrev_b32_e32 v47, 2, v50
	v_min_i32_e32 v46, s5, v46
	v_ashrrev_i32_e32 v33, 31, v16
	v_mul_lo_u32 v20, v16, s4
	scratch_store_b32 off, v50, off offset:152 ; 4-byte Folded Spill
	v_mul_lo_u32 v50, v48, s4
	v_lshlrev_b32_e32 v25, 5, v16
	v_lshrrev_b32_e32 v33, 30, v33
	v_add_nc_u32_e32 v32, v49, v32
	v_cvt_i32_f64_e32 v34, v[34:35]
	v_lshlrev_b32_e32 v35, 5, v49
	scratch_store_b32 off, v20, off offset:164 ; 4-byte Folded Spill
	v_add_nc_u32_e32 v33, v16, v33
	v_mul_lo_u32 v16, v46, s4
	scratch_store_b32 off, v50, off offset:156 ; 4-byte Folded Spill
	v_mul_lo_u32 v50, v49, s4
	v_add_nc_u32_e32 v44, v48, v44
	v_cvt_i32_f64_e32 v26, v[26:27]
	v_and_b32_e32 v32, -4, v32
	v_and_b32_e32 v33, -4, v33
	v_lshlrev_b32_e32 v48, 5, v48
	scratch_store_b32 off, v16, off offset:168 ; 4-byte Folded Spill
	v_and_b32_e32 v44, -4, v44
	scratch_store_b32 off, v50, off offset:160 ; 4-byte Folded Spill
	v_ashrrev_i32_e32 v50, 31, v46
	v_cvt_i32_f64_e32 v27, v[28:29]
	v_cvt_i32_f64_e32 v28, v[30:31]
	v_lshlrev_b32_e32 v31, 5, v46
	v_add3_u32 v44, v44, v47, 0x6200
	v_lshrrev_b32_e32 v49, 30, v50
	v_add3_u32 v32, v32, v47, 0x6200
	v_cvt_i32_f64_e32 v30, v[18:19]
	v_and_b32_e32 v19, 31, v51
	v_add3_u32 v33, v33, v47, 0x6200
	v_add_nc_u32_e32 v20, v46, v49
	v_lshlrev_b32_e32 v49, 7, v45
	v_and_b32_e32 v17, 28, v17
	s_delay_alu instid0(VALU_DEP_3) | instskip(SKIP_1) | instid1(VALU_DEP_2)
	v_and_b32_e32 v16, -4, v20
	v_and_b32_e32 v20, 3, v51
	v_add3_u32 v29, v16, v47, 0x6200
	v_or_b32_e32 v16, s11, v24
	s_delay_alu instid0(VALU_DEP_3) | instskip(SKIP_1) | instid1(VALU_DEP_3)
	v_lshlrev_b32_e32 v18, 2, v20
	v_lshlrev_b32_e32 v47, 2, v19
	v_min_i32_e32 v46, s13, v16
	s_delay_alu instid0(VALU_DEP_3) | instskip(NEXT) | instid1(VALU_DEP_3)
	v_lshl_or_b32 v24, v24, 4, v18
	v_or_b32_e32 v50, v49, v47
	v_add_co_u32 v16, s5, s2, v17
	s_delay_alu instid0(VALU_DEP_4)
	v_mad_u64_u32 v[18:19], null, v46, s7, v[20:21]
	v_mul_lo_u32 v20, s7, v34
	v_add_nc_u32_e32 v19, 0x7280, v24
	v_mul_lo_u32 v21, s7, v21
	v_and_b32_e32 v24, 0xfc, v51
	v_add_co_ci_u32_e64 v17, null, s3, 0, s5
	scratch_store_b32 off, v19, off         ; 4-byte Folded Spill
	v_lshl_or_b32 v19, v36, 7, v47
	scratch_store_b32 off, v20, off offset:4 ; 4-byte Folded Spill
	v_add_nc_u32_e32 v20, 0x4200, v50
	v_mov_b32_e32 v36, 0
	v_dual_mov_b32 v46, 0 :: v_dual_add_nc_u32 v19, 0x4200, v19
	v_mov_b32_e32 v34, 0
	scratch_store_b32 off, v20, off offset:8 ; 4-byte Folded Spill
	v_lshl_or_b32 v20, v37, 7, v47
	v_mov_b32_e32 v37, 0
	s_mov_b32 s5, 0
	s_delay_alu instid0(VALU_DEP_2)
	v_add_nc_u32_e32 v20, 0x4200, v20
	scratch_store_b32 off, v21, off offset:12 ; 4-byte Folded Spill
	v_mul_lo_u32 v21, s7, v22
	scratch_store_b32 off, v19, off offset:16 ; 4-byte Folded Spill
	v_lshl_or_b32 v19, v38, 7, v47
	v_add_nc_u32_e32 v22, 32, v51
	s_delay_alu instid0(VALU_DEP_2)
	v_add_nc_u32_e32 v19, 0x4200, v19
	scratch_store_b32 off, v20, off offset:24 ; 4-byte Folded Spill
	v_mul_lo_u32 v20, s7, v23
	scratch_store_b32 off, v21, off offset:20 ; 4-byte Folded Spill
	v_mul_lo_u32 v21, s7, v26
	v_mul_u32_u24_e32 v26, 0x84, v51
	v_and_b32_e32 v23, 0x1fc, v22
	v_lshrrev_b32_e32 v22, 3, v22
	scratch_store_b32 off, v20, off offset:28 ; 4-byte Folded Spill
	v_lshl_or_b32 v20, v39, 7, v47
	scratch_store_b32 off, v22, off offset:208 ; 4-byte Folded Spill
	v_add_nc_u32_e32 v20, 0x4200, v20
	scratch_store_b32 off, v19, off offset:32 ; 4-byte Folded Spill
	v_lshl_or_b32 v19, v40, 7, v47
	s_delay_alu instid0(VALU_DEP_1)
	v_dual_mov_b32 v40, 0 :: v_dual_add_nc_u32 v19, 0x4200, v19
	s_clause 0x1
	scratch_store_b32 off, v20, off offset:40
	scratch_store_b32 off, v52, off offset:76
	v_mul_lo_u32 v20, s7, v27
	s_clause 0x1
	scratch_store_b32 off, v21, off offset:36
	scratch_store_b32 off, v19, off offset:48
	v_mul_lo_u32 v19, s7, v28
	v_lshl_or_b32 v21, v42, 7, v47
	v_mov_b32_e32 v28, 0
	v_dual_mov_b32 v42, 0 :: v_dual_mov_b32 v27, 0
	scratch_store_b32 off, v20, off offset:44 ; 4-byte Folded Spill
	v_mul_lo_u32 v20, s7, v30
	v_mov_b32_e32 v30, 0
	scratch_store_b32 off, v19, off offset:52 ; 4-byte Folded Spill
	v_add_nc_u32_e32 v19, 0x4200, v21
	v_add_nc_u32_e32 v21, 64, v51
	s_clause 0x1
	scratch_store_b32 off, v20, off offset:60
	scratch_store_b32 off, v19, off offset:56
	v_lshl_or_b32 v19, v43, 7, v47
	v_add_nc_u32_e32 v20, 0x60, v51
	v_and_b32_e32 v21, 0x1fc, v21
	v_mov_b32_e32 v43, 0
	s_delay_alu instid0(VALU_DEP_4) | instskip(NEXT) | instid1(VALU_DEP_4)
	v_add_nc_u32_e32 v19, 0x4200, v19
	v_and_b32_e32 v20, 0x1fc, v20
	scratch_store_b32 off, v19, off offset:64 ; 4-byte Folded Spill
	v_lshlrev_b32_e32 v19, 5, v51
	s_delay_alu instid0(VALU_DEP_1) | instskip(SKIP_3) | instid1(VALU_DEP_4)
	v_add_nc_u32_e32 v20, v19, v20
	v_add_nc_u32_e32 v21, v19, v21
	;; [unrolled: 1-line block ×3, first 2 shown]
	v_dual_mov_b32 v24, 0 :: v_dual_add_nc_u32 v19, v19, v24
	v_add_nc_u32_e32 v22, 0x6e00, v20
	scratch_store_b32 off, v26, off offset:172 ; 4-byte Folded Spill
	v_add_nc_u32_e32 v20, 0x6e10, v20
	v_mov_b32_e32 v26, 0
	scratch_store_b32 off, v22, off offset:176 ; 4-byte Folded Spill
	v_add_nc_u32_e32 v22, 0x6a00, v21
	scratch_store_b32 off, v22, off offset:180 ; 4-byte Folded Spill
	v_add_nc_u32_e32 v22, 0x6600, v23
	scratch_store_b32 off, v22, off offset:184 ; 4-byte Folded Spill
	v_add_nc_u32_e32 v22, 0x6200, v19
	v_add_nc_u32_e32 v19, 0x6210, v19
	scratch_store_b32 off, v22, off offset:188 ; 4-byte Folded Spill
	v_add_nc_u32_e32 v22, 0x4200, v49
	s_clause 0x1
	scratch_store_b32 off, v22, off offset:68
	scratch_store_b32 off, v45, off offset:232
	v_lshl_add_u32 v22, v45, 4, 0x7280
	s_clause 0x2
	scratch_store_b32 off, v22, off offset:72
	scratch_store_b32 off, v20, off offset:212
	;; [unrolled: 1-line block ×3, first 2 shown]
	v_mad_u32_u24 v20, 0x84, v51, 64
	scratch_store_b32 off, v19, off offset:228 ; 4-byte Folded Spill
	v_dual_mov_b32 v22, 0 :: v_dual_add_nc_u32 v19, v44, v48
	v_mov_b32_e32 v48, 0
	scratch_store_b32 off, v20, off offset:216 ; 4-byte Folded Spill
	v_add_nc_u32_e32 v20, 0x6a10, v21
	scratch_store_b32 off, v19, off offset:192 ; 4-byte Folded Spill
	v_dual_mov_b32 v32, 0 :: v_dual_add_nc_u32 v19, v32, v35
	v_mov_b32_e32 v35, 0
	scratch_store_b32 off, v20, off offset:220 ; 4-byte Folded Spill
	v_add_nc_u32_e32 v20, 0x6610, v23
	scratch_store_b32 off, v19, off offset:196 ; 4-byte Folded Spill
	v_add_nc_u32_e32 v19, v33, v25
	v_dual_mov_b32 v23, 0 :: v_dual_mov_b32 v44, 0
	scratch_store_b32 off, v20, off offset:224 ; 4-byte Folded Spill
	v_mov_b32_e32 v33, 0
	scratch_store_b32 off, v19, off offset:200 ; 4-byte Folded Spill
	v_add_nc_u32_e32 v19, v29, v31
	v_mov_b32_e32 v31, 0
	v_mov_b32_e32 v29, 0
	;; [unrolled: 1-line block ×4, first 2 shown]
	scratch_store_b32 off, v19, off offset:204 ; 4-byte Folded Spill
	s_branch .LBB160_6
.LBB160_5:                              ;   in Loop: Header=BB160_6 Depth=1
	s_add_i32 s5, s5, 8
	s_delay_alu instid0(SALU_CYCLE_1)
	s_cmp_ge_i32 s5, s4
	s_cbranch_scc1 .LBB160_12
.LBB160_6:                              ; =>This Loop Header: Depth=1
                                        ;     Child Loop BB160_7 Depth 2
                                        ;     Child Loop BB160_10 Depth 2
	s_clause 0x1
	scratch_load_b32 v38, off, off offset:76
	scratch_load_b32 v45, off, off offset:84
	s_mul_i32 s7, s5, 20
	s_mul_hi_u32 s13, s5, 20
	s_add_u32 s14, s0, s7
	s_addc_u32 s15, s1, s13
	v_add_nc_u32_e32 v114, s5, v18
	s_mov_b32 s7, -4
	s_waitcnt vmcnt(1)
	v_mad_u64_u32 v[19:20], null, v38, 20, s[14:15]
	scratch_load_b32 v38, off, off offset:80 ; 4-byte Folded Reload
	s_waitcnt vmcnt(0)
	v_add_co_u32 v19, vcc_lo, v19, v38
	v_add_co_ci_u32_e32 v20, vcc_lo, 0, v20, vcc_lo
	s_delay_alu instid0(VALU_DEP_2) | instskip(NEXT) | instid1(VALU_DEP_2)
	v_add_co_u32 v19, vcc_lo, v19, 4
	v_add_co_ci_u32_e32 v20, vcc_lo, 0, v20, vcc_lo
	s_delay_alu instid0(VALU_DEP_1)
	v_mad_i64_i32 v[38:39], null, v45, 20, v[19:20]
	scratch_load_b32 v45, off, off offset:88 ; 4-byte Folded Reload
	s_waitcnt vmcnt(0)
	v_mad_i64_i32 v[49:50], null, v45, 20, v[19:20]
	scratch_load_b32 v45, off, off offset:92 ; 4-byte Folded Reload
	s_waitcnt vmcnt(0)
	;; [unrolled: 3-line block ×7, first 2 shown]
	v_mad_i64_i32 v[73:74], null, v45, 20, v[19:20]
	s_clause 0x7
	global_load_b32 v47, v[38:39], off
	global_load_b32 v53, v[49:50], off
	;; [unrolled: 1-line block ×8, first 2 shown]
	scratch_load_b32 v45, off, off offset:116 ; 4-byte Folded Reload
	s_waitcnt vmcnt(0)
	v_mad_i64_i32 v[38:39], null, v45, 20, v[19:20]
	scratch_load_b32 v45, off, off offset:120 ; 4-byte Folded Reload
	s_waitcnt vmcnt(0)
	v_mad_i64_i32 v[49:50], null, v45, 20, v[19:20]
	;; [unrolled: 3-line block ×5, first 2 shown]
	scratch_load_b32 v45, off, off offset:152 ; 4-byte Folded Reload
	s_waitcnt vmcnt(0)
	v_mad_u64_u32 v[60:61], null, v45, 20, s[14:15]
	scratch_load_b32 v45, off, off offset:140 ; 4-byte Folded Reload
	s_waitcnt vmcnt(0)
	v_mad_i64_i32 v[68:69], null, v45, 20, v[19:20]
	scratch_load_b32 v45, off, off offset:144 ; 4-byte Folded Reload
	s_waitcnt vmcnt(0)
	v_mad_i64_i32 v[73:74], null, v45, 20, v[19:20]
	;; [unrolled: 3-line block ×7, first 2 shown]
	scratch_load_b32 v45, off, off offset:136 ; 4-byte Folded Reload
	s_clause 0x7
	global_load_b32 v112, v[38:39], off
	global_load_b32 v113, v[49:50], off
	;; [unrolled: 1-line block ×8, first 2 shown]
	scratch_load_b32 v38, off, off offset:4 ; 4-byte Folded Reload
	s_clause 0x3
	global_load_b32 v77, v[19:20], off
	global_load_b32 v78, v[78:79], off
	;; [unrolled: 1-line block ×4, first 2 shown]
	scratch_load_b32 v19, off, off offset:12 ; 4-byte Folded Reload
	s_waitcnt vmcnt(14)
	v_add_nc_u32_e32 v60, s5, v45
	scratch_load_b32 v45, off, off offset:28 ; 4-byte Folded Reload
	s_waitcnt vmcnt(6)
	v_add_nc_u32_e32 v38, v60, v38
	s_waitcnt vmcnt(1)
	v_add_nc_u32_e32 v49, v60, v19
	s_delay_alu instid0(VALU_DEP_2)
	v_mad_i64_i32 v[19:20], null, v38, 36, v[16:17]
	scratch_load_b32 v38, off, off offset:20 ; 4-byte Folded Reload
	s_waitcnt vmcnt(1)
	v_add_nc_u32_e32 v55, v60, v45
	scratch_load_b32 v45, off, off offset:36 ; 4-byte Folded Reload
	s_waitcnt vmcnt(1)
	v_add_nc_u32_e32 v51, v60, v38
	v_mad_i64_i32 v[38:39], null, v49, 36, v[16:17]
	s_delay_alu instid0(VALU_DEP_2)
	v_mad_i64_i32 v[49:50], null, v51, 36, v[16:17]
	v_mad_i64_i32 v[51:52], null, v55, 36, v[16:17]
	s_waitcnt vmcnt(0)
	v_add_nc_u32_e32 v57, v60, v45
	scratch_load_b32 v45, off, off offset:44 ; 4-byte Folded Reload
	v_mad_i64_i32 v[55:56], null, v57, 36, v[16:17]
	s_waitcnt vmcnt(0)
	v_add_nc_u32_e32 v61, v60, v45
	scratch_load_b32 v45, off, off offset:52 ; 4-byte Folded Reload
	v_mad_i64_i32 v[57:58], null, v61, 36, v[16:17]
	s_waitcnt vmcnt(0)
	v_add_nc_u32_e32 v68, v60, v45
	scratch_load_b32 v45, off, off offset:60 ; 4-byte Folded Reload
	s_waitcnt vmcnt(0)
	v_add_nc_u32_e32 v73, v60, v45
	v_mad_i64_i32 v[60:61], null, v68, 36, v[16:17]
	s_delay_alu instid0(VALU_DEP_2)
	v_mad_i64_i32 v[68:69], null, v73, 36, v[16:17]
	v_mad_u64_u32 v[73:74], null, v114, 36, s[2:3]
	s_clause 0x8
	global_load_b32 v19, v[19:20], off offset:4
	global_load_b32 v20, v[38:39], off offset:4
	;; [unrolled: 1-line block ×8, first 2 shown]
	global_load_b32 v55, v[73:74], off
	s_clause 0x6
	scratch_load_b32 v115, off, off offset:72
	scratch_load_b32 v116, off, off offset:68
	;; [unrolled: 1-line block ×7, first 2 shown]
	ds_store_b32 v0, v47
	ds_store_b32 v1, v53
	;; [unrolled: 1-line block ×16, first 2 shown]
	scratch_load_b32 v45, off, off offset:192 ; 4-byte Folded Reload
	s_waitcnt vmcnt(0)
	ds_store_b32 v45, v77
	scratch_load_b32 v45, off, off offset:196 ; 4-byte Folded Reload
	s_waitcnt vmcnt(0)
	ds_store_b32 v45, v78
	;; [unrolled: 3-line block ×12, first 2 shown]
	scratch_load_b32 v19, off, off          ; 4-byte Folded Reload
	s_waitcnt vmcnt(0)
	ds_store_b32 v19, v55
	s_waitcnt lgkmcnt(0)
	s_waitcnt_vscnt null, 0x0
	s_barrier
	buffer_gl0_inv
.LBB160_7:                              ;   Parent Loop BB160_6 Depth=1
                                        ; =>  This Inner Loop Header: Depth=2
	ds_load_b128 v[49:52], v116
	ds_load_b128 v[55:58], v116 offset:16
	ds_load_2addr_b32 v[19:20], v115 offset1:32
	ds_load_b32 v152, v118
	ds_load_2addr_b32 v[38:39], v117 offset1:1
	v_add_nc_u32_e32 v118, 4, v118
	s_add_i32 s7, s7, 4
	s_delay_alu instid0(SALU_CYCLE_1)
	s_cmp_lt_u32 s7, 12
	s_waitcnt lgkmcnt(4)
	v_bfe_i32 v47, v49, 0, 8
	s_waitcnt lgkmcnt(3)
	v_bfe_i32 v61, v55, 0, 8
	v_bfe_i32 v69, v50, 0, 8
	s_waitcnt lgkmcnt(0)
	v_bfe_u32 v155, v38, 20, 4
	v_and_b32_e32 v156, 15, v38
	v_bfe_u32 v157, v38, 8, 4
	v_bfe_u32 v159, v38, 16, 4
	;; [unrolled: 1-line block ×5, first 2 shown]
	v_lshrrev_b32_e32 v162, 28, v38
	v_bfe_u32 v158, v39, 20, 4
	v_and_b32_e32 v163, 15, v39
	v_bfe_u32 v164, v39, 8, 4
	v_bfe_u32 v165, v39, 16, 4
	;; [unrolled: 1-line block ×5, first 2 shown]
	v_lshrrev_b32_e32 v171, 28, v39
	ds_load_2addr_b32 v[38:39], v117 offset0:2 offset1:3
	v_bfe_i32 v74, v56, 0, 8
	v_mul_i32_i24_e32 v122, v156, v47
	v_bfe_i32 v53, v49, 8, 8
	v_bfe_i32 v78, v51, 0, 8
	v_mul_i32_i24_e32 v129, v163, v69
	v_mul_i32_i24_e32 v133, v168, v74
	v_mad_i32_i24 v122, v153, v61, v122
	v_bfe_i32 v60, v49, 16, 8
	v_ashrrev_i32_e32 v49, 24, v49
	v_mul_i32_i24_e32 v123, v157, v53
	v_bfe_i32 v105, v57, 0, 8
	v_add3_u32 v122, v122, v129, v133
	v_bfe_i32 v108, v52, 0, 8
	v_mul_i32_i24_e32 v124, v159, v60
	v_mul_i32_i24_e32 v125, v160, v49
	v_bfe_i32 v65, v55, 8, 8
	v_bfe_i32 v68, v55, 16, 8
	v_ashrrev_i32_e32 v55, 24, v55
	v_bfe_i32 v71, v50, 8, 8
	s_waitcnt lgkmcnt(0)
	v_and_b32_e32 v172, 15, v38
	v_bfe_u32 v177, v38, 4, 4
	v_and_b32_e32 v181, 15, v39
	v_mul_i32_i24_e32 v126, v161, v65
	v_mul_i32_i24_e32 v127, v155, v68
	;; [unrolled: 1-line block ×5, first 2 shown]
	v_bfe_i32 v73, v50, 16, 8
	v_ashrrev_i32_e32 v50, 24, v50
	v_add3_u32 v122, v122, v137, v123
	v_mul_i32_i24_e32 v128, v162, v55
	v_mul_i32_i24_e32 v130, v164, v71
	v_bfe_i32 v76, v56, 8, 8
	v_bfe_i32 v111, v58, 0, 8
	v_add3_u32 v122, v122, v124, v125
	v_mul_i32_i24_e32 v131, v165, v73
	v_mul_i32_i24_e32 v132, v167, v50
	v_bfe_u32 v185, v39, 4, 4
	v_bfe_i32 v77, v56, 16, 8
	v_add3_u32 v122, v122, v141, v144
	v_ashrrev_i32_e32 v56, 24, v56
	v_mul_i32_i24_e32 v134, v169, v76
	v_mul_i32_i24_e32 v148, v185, v111
	v_bfe_i32 v79, v51, 8, 8
	v_add3_u32 v122, v122, v126, v127
	v_bfe_i32 v98, v51, 16, 8
	v_mul_i32_i24_e32 v135, v158, v77
	v_mul_i32_i24_e32 v136, v171, v56
	v_bfe_u32 v173, v38, 8, 4
	v_add3_u32 v122, v122, v128, v130
	v_bfe_u32 v175, v38, 16, 4
	v_ashrrev_i32_e32 v51, 24, v51
	v_bfe_i32 v106, v57, 8, 8
	v_mul_i32_i24_e32 v138, v173, v79
	v_add3_u32 v122, v122, v131, v132
	v_mul_i32_i24_e32 v139, v175, v98
	v_bfe_u32 v176, v38, 24, 4
	v_bfe_u32 v178, v38, 12, 4
	v_bfe_i32 v107, v57, 16, 8
	v_add3_u32 v122, v122, v148, v134
	v_ashrrev_i32_e32 v57, 24, v57
	v_bfe_u32 v166, v38, 20, 4
	v_mul_i32_i24_e32 v140, v176, v51
	v_mul_i32_i24_e32 v142, v178, v106
	v_add3_u32 v122, v122, v135, v136
	v_lshrrev_b32_e32 v179, 28, v38
	v_bfe_i32 v109, v52, 8, 8
	v_bfe_i32 v110, v52, 16, 8
	v_mul_i32_i24_e32 v143, v166, v107
	v_add3_u32 v122, v122, v138, v139
	v_mul_i32_i24_e32 v38, v179, v57
	v_bfe_u32 v182, v39, 8, 4
	v_bfe_u32 v183, v39, 16, 4
	v_ashrrev_i32_e32 v52, 24, v52
	v_add3_u32 v122, v122, v140, v142
	v_bfe_i32 v112, v58, 8, 8
	v_mul_i32_i24_e32 v145, v182, v109
	v_mul_i32_i24_e32 v146, v183, v110
	v_bfe_u32 v184, v39, 24, 4
	v_bfe_u32 v186, v39, 12, 4
	v_add3_u32 v38, v122, v143, v38
	v_bfe_i32 v113, v58, 16, 8
	v_ashrrev_i32_e32 v58, 24, v58
	v_bfe_u32 v174, v39, 20, 4
	v_mul_i32_i24_e32 v147, v184, v52
	v_mul_i32_i24_e32 v149, v186, v112
	v_lshrrev_b32_e32 v188, 28, v39
	v_add3_u32 v38, v38, v145, v146
	v_mul_i32_i24_e32 v150, v174, v113
	s_delay_alu instid0(VALU_DEP_3) | instskip(NEXT) | instid1(VALU_DEP_3)
	v_mul_i32_i24_e32 v39, v188, v58
	v_add3_u32 v38, v38, v147, v149
	s_delay_alu instid0(VALU_DEP_1) | instskip(SKIP_1) | instid1(VALU_DEP_2)
	v_add3_u32 v38, v38, v150, v39
	v_pk_mul_f16 v39, v19, v152
	v_cvt_f32_i32_e32 v38, v38
	s_delay_alu instid0(VALU_DEP_1) | instskip(NEXT) | instid1(VALU_DEP_1)
	v_fma_mix_f32 v38, v39, v38, v39 op_sel:[0,0,1] op_sel_hi:[1,0,1]
	v_dual_add_f32 v41, v41, v38 :: v_dual_add_nc_u32 v38, 0x1080, v117
	ds_load_b32 v154, v119
	ds_load_2addr_b32 v[38:39], v38 offset1:1
	v_add_nc_u32_e32 v119, 4, v119
	s_waitcnt lgkmcnt(0)
	v_bfe_u32 v187, v38, 20, 4
	v_and_b32_e32 v189, 15, v38
	v_bfe_u32 v190, v38, 8, 4
	v_bfe_u32 v192, v38, 16, 4
	;; [unrolled: 1-line block ×5, first 2 shown]
	v_lshrrev_b32_e32 v195, 28, v38
	v_add_nc_u32_e32 v38, 0x1088, v117
	v_bfe_u32 v191, v39, 20, 4
	v_and_b32_e32 v196, 15, v39
	v_bfe_u32 v197, v39, 8, 4
	v_bfe_u32 v198, v39, 16, 4
	;; [unrolled: 1-line block ×5, first 2 shown]
	v_lshrrev_b32_e32 v203, 28, v39
	ds_load_2addr_b32 v[38:39], v38 offset1:1
	v_mul_i32_i24_e32 v122, v189, v47
	v_mul_i32_i24_e32 v129, v196, v69
	;; [unrolled: 1-line block ×5, first 2 shown]
	v_mad_i32_i24 v122, v170, v61, v122
	v_mul_i32_i24_e32 v125, v193, v49
	v_mul_i32_i24_e32 v126, v194, v65
	v_mul_i32_i24_e32 v127, v187, v68
	v_mul_i32_i24_e32 v128, v195, v55
	v_add3_u32 v122, v122, v129, v133
	v_mul_i32_i24_e32 v130, v197, v71
	v_mul_i32_i24_e32 v131, v198, v73
	;; [unrolled: 1-line block ×6, first 2 shown]
	s_waitcnt lgkmcnt(0)
	v_and_b32_e32 v205, 15, v38
	v_bfe_u32 v210, v38, 4, 4
	v_and_b32_e32 v213, 15, v39
	v_bfe_u32 v217, v39, 4, 4
	v_bfe_u32 v206, v38, 8, 4
	v_mul_i32_i24_e32 v137, v205, v78
	v_mul_i32_i24_e32 v141, v210, v105
	;; [unrolled: 1-line block ×4, first 2 shown]
	v_bfe_u32 v208, v38, 16, 4
	v_add3_u32 v122, v122, v137, v123
	v_mul_i32_i24_e32 v138, v206, v79
	v_bfe_u32 v209, v38, 24, 4
	v_bfe_u32 v211, v38, 12, 4
	v_mul_i32_i24_e32 v139, v208, v98
	v_add3_u32 v122, v122, v124, v125
	v_bfe_u32 v200, v38, 20, 4
	v_mul_i32_i24_e32 v140, v209, v51
	v_mul_i32_i24_e32 v142, v211, v106
	v_lshrrev_b32_e32 v212, 28, v38
	v_add3_u32 v122, v122, v141, v144
	v_mul_i32_i24_e32 v143, v200, v107
	v_bfe_u32 v214, v39, 8, 4
	v_bfe_u32 v215, v39, 16, 4
	v_mul_i32_i24_e32 v38, v212, v57
	v_add3_u32 v122, v122, v126, v127
	v_bfe_u32 v216, v39, 24, 4
	v_mul_i32_i24_e32 v145, v214, v109
	v_mul_i32_i24_e32 v146, v215, v110
	v_bfe_u32 v218, v39, 12, 4
	v_add3_u32 v122, v122, v128, v130
	v_bfe_u32 v207, v39, 20, 4
	v_mul_i32_i24_e32 v147, v216, v52
	v_lshrrev_b32_e32 v220, 28, v39
	v_mul_i32_i24_e32 v149, v218, v112
	v_add3_u32 v122, v122, v131, v132
	v_mul_i32_i24_e32 v150, v207, v113
	s_delay_alu instid0(VALU_DEP_4) | instskip(NEXT) | instid1(VALU_DEP_3)
	v_mul_i32_i24_e32 v39, v220, v58
	v_add3_u32 v122, v122, v148, v134
	s_delay_alu instid0(VALU_DEP_1) | instskip(NEXT) | instid1(VALU_DEP_1)
	v_add3_u32 v122, v122, v135, v136
	v_add3_u32 v122, v122, v138, v139
	s_delay_alu instid0(VALU_DEP_1) | instskip(NEXT) | instid1(VALU_DEP_1)
	v_add3_u32 v122, v122, v140, v142
	v_add3_u32 v38, v122, v143, v38
	s_delay_alu instid0(VALU_DEP_1) | instskip(NEXT) | instid1(VALU_DEP_1)
	v_add3_u32 v38, v38, v145, v146
	v_add3_u32 v38, v38, v147, v149
	s_delay_alu instid0(VALU_DEP_1) | instskip(SKIP_1) | instid1(VALU_DEP_2)
	v_add3_u32 v38, v38, v150, v39
	v_pk_mul_f16 v39, v19, v154
	v_cvt_f32_i32_e32 v38, v38
	s_delay_alu instid0(VALU_DEP_1) | instskip(NEXT) | instid1(VALU_DEP_1)
	v_fma_mix_f32 v38, v39, v38, v39 op_sel:[0,0,1] op_sel_hi:[1,0,1]
	v_add_f32_e32 v72, v72, v38
	v_add_nc_u32_e32 v38, 0x2100, v117
	ds_load_b32 v180, v120
	ds_load_2addr_b32 v[38:39], v38 offset1:1
	v_add_nc_u32_e32 v120, 4, v120
	s_waitcnt lgkmcnt(0)
	v_bfe_u32 v219, v38, 20, 4
	v_and_b32_e32 v221, 15, v38
	v_bfe_u32 v222, v38, 8, 4
	v_bfe_u32 v224, v38, 16, 4
	;; [unrolled: 1-line block ×5, first 2 shown]
	v_lshrrev_b32_e32 v227, 28, v38
	v_add_nc_u32_e32 v38, 0x2108, v117
	v_bfe_u32 v223, v39, 20, 4
	v_and_b32_e32 v228, 15, v39
	v_bfe_u32 v229, v39, 8, 4
	v_bfe_u32 v230, v39, 16, 4
	;; [unrolled: 1-line block ×5, first 2 shown]
	v_lshrrev_b32_e32 v235, 28, v39
	ds_load_2addr_b32 v[38:39], v38 offset1:1
	v_mul_i32_i24_e32 v122, v221, v47
	v_mul_i32_i24_e32 v129, v228, v69
	;; [unrolled: 1-line block ×5, first 2 shown]
	v_mad_i32_i24 v122, v204, v61, v122
	v_mul_i32_i24_e32 v125, v225, v49
	v_mul_i32_i24_e32 v126, v226, v65
	;; [unrolled: 1-line block ×4, first 2 shown]
	v_add3_u32 v122, v122, v129, v133
	v_mul_i32_i24_e32 v130, v229, v71
	v_mul_i32_i24_e32 v131, v230, v73
	;; [unrolled: 1-line block ×6, first 2 shown]
	s_waitcnt lgkmcnt(0)
	v_and_b32_e32 v236, 15, v38
	v_bfe_u32 v241, v38, 4, 4
	v_and_b32_e32 v244, 15, v39
	v_bfe_u32 v248, v39, 4, 4
	v_bfe_u32 v237, v38, 8, 4
	v_mul_i32_i24_e32 v137, v236, v78
	v_mul_i32_i24_e32 v141, v241, v105
	;; [unrolled: 1-line block ×4, first 2 shown]
	v_bfe_u32 v239, v38, 16, 4
	v_add3_u32 v122, v122, v137, v123
	v_mul_i32_i24_e32 v138, v237, v79
	v_bfe_u32 v240, v38, 24, 4
	v_bfe_u32 v242, v38, 12, 4
	v_mul_i32_i24_e32 v139, v239, v98
	v_add3_u32 v122, v122, v124, v125
	v_bfe_u32 v232, v38, 20, 4
	v_mul_i32_i24_e32 v140, v240, v51
	v_mul_i32_i24_e32 v142, v242, v106
	v_lshrrev_b32_e32 v243, 28, v38
	v_add3_u32 v122, v122, v141, v144
	v_mul_i32_i24_e32 v143, v232, v107
	v_bfe_u32 v245, v39, 8, 4
	v_bfe_u32 v246, v39, 16, 4
	v_mul_i32_i24_e32 v38, v243, v57
	v_add3_u32 v122, v122, v126, v127
	v_bfe_u32 v247, v39, 24, 4
	v_mul_i32_i24_e32 v145, v245, v109
	v_mul_i32_i24_e32 v146, v246, v110
	v_bfe_u32 v249, v39, 12, 4
	v_add3_u32 v122, v122, v128, v130
	v_bfe_u32 v238, v39, 20, 4
	v_mul_i32_i24_e32 v147, v247, v52
	v_lshrrev_b32_e32 v250, 28, v39
	v_mul_i32_i24_e32 v149, v249, v112
	v_add3_u32 v122, v122, v131, v132
	v_mul_i32_i24_e32 v150, v238, v113
	s_delay_alu instid0(VALU_DEP_4) | instskip(NEXT) | instid1(VALU_DEP_3)
	v_mul_i32_i24_e32 v39, v250, v58
	v_add3_u32 v122, v122, v148, v134
	s_delay_alu instid0(VALU_DEP_1) | instskip(NEXT) | instid1(VALU_DEP_1)
	v_add3_u32 v122, v122, v135, v136
	v_add3_u32 v122, v122, v138, v139
	s_delay_alu instid0(VALU_DEP_1) | instskip(NEXT) | instid1(VALU_DEP_1)
	v_add3_u32 v122, v122, v140, v142
	;; [unrolled: 3-line block ×3, first 2 shown]
	v_add3_u32 v38, v38, v147, v149
	s_delay_alu instid0(VALU_DEP_1) | instskip(SKIP_1) | instid1(VALU_DEP_2)
	v_add3_u32 v38, v38, v150, v39
	v_pk_mul_f16 v39, v19, v180
	v_cvt_f32_i32_e32 v38, v38
	s_delay_alu instid0(VALU_DEP_1) | instskip(NEXT) | instid1(VALU_DEP_1)
	v_fma_mix_f32 v38, v39, v38, v39 op_sel:[0,0,1] op_sel_hi:[1,0,1]
	v_dual_add_f32 v67, v67, v38 :: v_dual_add_nc_u32 v38, 0x3180, v117
	ds_load_b32 v122, v121
	ds_load_2addr_b32 v[38:39], v38 offset1:1
	v_add_nc_u32_e32 v121, 4, v121
	s_waitcnt lgkmcnt(1)
	v_pk_mul_f16 v19, v19, v122
	s_waitcnt lgkmcnt(0)
	v_bfe_u32 v124, v38, 20, 4
	v_and_b32_e32 v251, 15, v38
	v_bfe_u32 v252, v38, 8, 4
	v_bfe_u32 v253, v38, 16, 4
	;; [unrolled: 1-line block ×5, first 2 shown]
	v_lshrrev_b32_e32 v128, 28, v38
	v_add_nc_u32_e32 v38, 0x3188, v117
	v_bfe_u32 v125, v39, 20, 4
	v_and_b32_e32 v129, 15, v39
	v_bfe_u32 v130, v39, 8, 4
	v_bfe_u32 v131, v39, 16, 4
	;; [unrolled: 1-line block ×5, first 2 shown]
	v_lshrrev_b32_e32 v136, 28, v39
	ds_load_2addr_b32 v[38:39], v38 offset1:1
	v_mul_i32_i24_e32 v47, v251, v47
	v_mul_i32_i24_e32 v69, v129, v69
	;; [unrolled: 1-line block ×5, first 2 shown]
	v_mad_i32_i24 v47, v123, v61, v47
	v_mul_i32_i24_e32 v49, v126, v49
	v_mul_i32_i24_e32 v65, v127, v65
	;; [unrolled: 1-line block ×4, first 2 shown]
	v_add3_u32 v47, v47, v69, v74
	v_mul_i32_i24_e32 v71, v130, v71
	v_mul_i32_i24_e32 v73, v131, v73
	;; [unrolled: 1-line block ×6, first 2 shown]
	v_add_nc_u32_e32 v117, 16, v117
	s_waitcnt lgkmcnt(0)
	v_and_b32_e32 v137, 15, v38
	v_bfe_u32 v142, v38, 4, 4
	v_lshrrev_b32_e32 v144, 28, v38
	v_and_b32_e32 v145, 15, v39
	v_bfe_u32 v133, v38, 20, 4
	v_mul_i32_i24_e32 v78, v137, v78
	v_bfe_u32 v138, v38, 8, 4
	v_bfe_u32 v140, v38, 16, 4
	;; [unrolled: 1-line block ×3, first 2 shown]
	v_mul_i32_i24_e32 v105, v142, v105
	v_add3_u32 v47, v47, v78, v53
	v_bfe_u32 v143, v38, 12, 4
	v_mul_i32_i24_e32 v38, v144, v57
	v_mul_i32_i24_e32 v57, v145, v108
	v_bfe_u32 v146, v39, 8, 4
	v_add3_u32 v47, v47, v60, v49
	v_bfe_u32 v147, v39, 16, 4
	v_bfe_u32 v149, v39, 4, 4
	v_mul_i32_i24_e32 v79, v138, v79
	v_mul_i32_i24_e32 v108, v146, v109
	v_add3_u32 v47, v47, v105, v57
	v_mul_i32_i24_e32 v109, v147, v110
	v_mul_i32_i24_e32 v110, v149, v111
	;; [unrolled: 1-line block ×4, first 2 shown]
	v_add3_u32 v47, v47, v65, v68
	v_mul_i32_i24_e32 v106, v143, v106
	v_mul_i32_i24_e32 v107, v133, v107
	v_bfe_u32 v148, v39, 24, 4
	v_bfe_u32 v150, v39, 12, 4
	v_add3_u32 v47, v47, v55, v71
	v_bfe_u32 v139, v39, 20, 4
	v_lshrrev_b32_e32 v151, 28, v39
	v_mul_i32_i24_e32 v52, v148, v52
	v_mul_i32_i24_e32 v111, v150, v112
	v_add3_u32 v47, v47, v73, v50
	v_mul_i32_i24_e32 v112, v139, v113
	v_mul_i32_i24_e32 v39, v151, v58
	s_delay_alu instid0(VALU_DEP_3) | instskip(NEXT) | instid1(VALU_DEP_1)
	v_add3_u32 v47, v47, v110, v76
	v_add3_u32 v47, v47, v77, v56
	s_delay_alu instid0(VALU_DEP_1) | instskip(NEXT) | instid1(VALU_DEP_1)
	v_add3_u32 v47, v47, v79, v98
	v_add3_u32 v47, v47, v51, v106
	s_delay_alu instid0(VALU_DEP_1) | instskip(NEXT) | instid1(VALU_DEP_1)
	v_add3_u32 v38, v47, v107, v38
	v_add3_u32 v38, v38, v108, v109
	s_delay_alu instid0(VALU_DEP_1) | instskip(SKIP_3) | instid1(VALU_DEP_1)
	v_add3_u32 v38, v38, v52, v111
	ds_load_b128 v[49:52], v116 offset:1024
	ds_load_b128 v[55:58], v116 offset:1040
	v_add3_u32 v38, v38, v112, v39
	v_cvt_f32_i32_e32 v38, v38
	s_delay_alu instid0(VALU_DEP_1) | instskip(NEXT) | instid1(VALU_DEP_1)
	v_fma_mix_f32 v19, v19, v38, v19 op_sel:[0,0,1] op_sel_hi:[1,0,1]
	v_add_f32_e32 v66, v66, v19
	s_waitcnt lgkmcnt(1)
	v_bfe_i32 v19, v49, 0, 8
	v_bfe_i32 v38, v49, 8, 8
	;; [unrolled: 1-line block ×3, first 2 shown]
	v_ashrrev_i32_e32 v47, 24, v49
	s_waitcnt lgkmcnt(0)
	v_bfe_i32 v49, v55, 0, 8
	v_mul_i32_i24_e32 v111, v19, v156
	v_bfe_i32 v61, v50, 0, 8
	v_mul_i32_i24_e32 v112, v38, v157
	v_mul_i32_i24_e32 v113, v39, v159
	v_bfe_i32 v53, v55, 8, 8
	v_mad_i32_i24 v111, v49, v153, v111
	v_bfe_i32 v60, v55, 16, 8
	v_mul_i32_i24_e32 v254, v47, v160
	v_mul_i32_i24_e32 v100, v61, v163
	v_ashrrev_i32_e32 v55, 24, v55
	v_add3_u32 v111, v111, v112, v113
	v_bfe_i32 v69, v56, 0, 8
	v_mul_i32_i24_e32 v255, v53, v161
	v_mul_i32_i24_e32 v97, v60, v155
	v_bfe_i32 v65, v50, 8, 8
	v_add3_u32 v100, v111, v254, v100
	v_bfe_i32 v68, v50, 16, 8
	v_mul_i32_i24_e32 v99, v55, v162
	v_mul_i32_i24_e32 v70, v69, v168
	v_ashrrev_i32_e32 v50, 24, v50
	v_add3_u32 v97, v100, v255, v97
	v_bfe_i32 v74, v51, 0, 8
	v_mul_i32_i24_e32 v101, v65, v164
	v_mul_i32_i24_e32 v102, v68, v165
	v_bfe_i32 v71, v56, 8, 8
	v_add3_u32 v70, v97, v99, v70
	;; [unrolled: 10-line block ×6, first 2 shown]
	v_ashrrev_i32_e32 v58, 24, v58
	v_mul_i32_i24_e32 v93, v52, v184
	v_mul_i32_i24_e32 v95, v109, v186
	;; [unrolled: 1-line block ×3, first 2 shown]
	v_add3_u32 v45, v45, v91, v92
	v_mul_i32_i24_e32 v103, v58, v188
	v_pk_mul_f16 v70, v152, v20
	v_mul_i32_i24_e32 v75, v39, v192
	v_mul_i32_i24_e32 v80, v47, v193
	v_add3_u32 v45, v45, v93, v95
	v_mul_i32_i24_e32 v84, v61, v196
	v_mul_i32_i24_e32 v81, v53, v194
	v_mul_i32_i24_e32 v82, v60, v187
	v_mul_i32_i24_e32 v83, v55, v195
	v_add3_u32 v45, v45, v96, v103
	v_mul_i32_i24_e32 v88, v69, v201
	v_mul_i32_i24_e32 v85, v65, v197
	;; [unrolled: 1-line block ×4, first 2 shown]
	v_cvt_f32_i32_e32 v45, v45
	v_mul_i32_i24_e32 v92, v74, v205
	v_mul_i32_i24_e32 v89, v71, v202
	;; [unrolled: 1-line block ×4, first 2 shown]
	v_fma_mix_f32 v45, v70, v45, v70 op_sel:[0,0,1] op_sel_hi:[1,0,1]
	v_mul_i32_i24_e32 v70, v38, v190
	v_mul_i32_i24_e32 v96, v78, v210
	;; [unrolled: 1-line block ×4, first 2 shown]
	v_add_f32_e32 v64, v64, v45
	v_mul_i32_i24_e32 v45, v19, v189
	v_mul_i32_i24_e32 v95, v51, v209
	;; [unrolled: 1-line block ×5, first 2 shown]
	v_mad_i32_i24 v45, v49, v170, v45
	v_mul_i32_i24_e32 v100, v57, v212
	v_mul_i32_i24_e32 v112, v108, v217
	;; [unrolled: 1-line block ×4, first 2 shown]
	v_add3_u32 v45, v45, v70, v75
	v_mul_i32_i24_e32 v111, v52, v216
	v_mul_i32_i24_e32 v113, v109, v218
	;; [unrolled: 1-line block ×4, first 2 shown]
	v_add3_u32 v45, v45, v80, v84
	v_pk_mul_f16 v70, v154, v20
	v_mul_i32_i24_e32 v75, v39, v224
	v_mul_i32_i24_e32 v80, v47, v225
	;; [unrolled: 1-line block ×3, first 2 shown]
	v_add3_u32 v45, v45, v81, v82
	v_mul_i32_i24_e32 v81, v53, v226
	v_mul_i32_i24_e32 v82, v60, v219
	;; [unrolled: 1-line block ×3, first 2 shown]
	s_delay_alu instid0(VALU_DEP_4) | instskip(SKIP_3) | instid1(VALU_DEP_4)
	v_add3_u32 v45, v45, v83, v88
	v_mul_i32_i24_e32 v83, v55, v227
	v_mul_i32_i24_e32 v88, v69, v233
	v_mul_i32_i24_e32 v55, v55, v128
	v_add3_u32 v45, v45, v85, v86
	v_mul_i32_i24_e32 v85, v65, v229
	v_mul_i32_i24_e32 v86, v68, v230
	s_delay_alu instid0(VALU_DEP_3) | instskip(SKIP_3) | instid1(VALU_DEP_4)
	v_add3_u32 v45, v45, v87, v92
	v_mul_i32_i24_e32 v87, v50, v231
	v_mul_i32_i24_e32 v92, v74, v236
	v_mul_i32_i24_e32 v50, v50, v132
	v_add3_u32 v45, v45, v89, v90
	v_mul_i32_i24_e32 v89, v71, v234
	v_mul_i32_i24_e32 v90, v73, v223
	s_delay_alu instid0(VALU_DEP_3) | instskip(SKIP_3) | instid1(VALU_DEP_4)
	;; [unrolled: 8-line block ×5, first 2 shown]
	v_add3_u32 v45, v45, v111, v113
	v_mul_i32_i24_e32 v111, v52, v247
	v_mul_i32_i24_e32 v113, v109, v249
	;; [unrolled: 1-line block ×3, first 2 shown]
	v_add3_u32 v45, v45, v254, v255
	v_mul_i32_i24_e32 v254, v110, v238
	v_mul_i32_i24_e32 v255, v58, v250
	;; [unrolled: 1-line block ×3, first 2 shown]
	s_delay_alu instid0(VALU_DEP_4) | instskip(NEXT) | instid1(VALU_DEP_1)
	v_cvt_f32_i32_e32 v45, v45
	v_fma_mix_f32 v45, v70, v45, v70 op_sel:[0,0,1] op_sel_hi:[1,0,1]
	v_mul_i32_i24_e32 v70, v38, v222
	v_mul_i32_i24_e32 v38, v38, v252
	s_delay_alu instid0(VALU_DEP_3) | instskip(SKIP_2) | instid1(VALU_DEP_2)
	v_add_f32_e32 v63, v63, v45
	v_mul_i32_i24_e32 v45, v19, v221
	v_mul_i32_i24_e32 v19, v19, v251
	v_mad_i32_i24 v45, v49, v204, v45
	s_delay_alu instid0(VALU_DEP_2) | instskip(NEXT) | instid1(VALU_DEP_2)
	v_mad_i32_i24 v19, v49, v123, v19
	v_add3_u32 v45, v45, v70, v75
	v_pk_mul_f16 v70, v180, v20
	s_delay_alu instid0(VALU_DEP_3)
	v_add3_u32 v19, v19, v38, v39
	v_mul_i32_i24_e32 v75, v78, v142
	v_mul_i32_i24_e32 v78, v105, v145
	v_add3_u32 v45, v45, v80, v84
	v_mul_i32_i24_e32 v80, v107, v147
	v_pk_mul_f16 v20, v122, v20
	s_delay_alu instid0(VALU_DEP_3) | instskip(SKIP_2) | instid1(VALU_DEP_3)
	v_add3_u32 v45, v45, v81, v82
	v_mul_i32_i24_e32 v81, v108, v149
	v_mul_i32_i24_e32 v82, v109, v150
	v_add3_u32 v45, v45, v83, v88
	v_mul_i32_i24_e32 v83, v110, v139
	s_delay_alu instid0(VALU_DEP_2) | instskip(NEXT) | instid1(VALU_DEP_1)
	v_add3_u32 v45, v45, v85, v86
	v_add3_u32 v45, v45, v87, v92
	s_delay_alu instid0(VALU_DEP_1) | instskip(NEXT) | instid1(VALU_DEP_1)
	v_add3_u32 v45, v45, v89, v90
	v_add3_u32 v45, v45, v91, v96
	s_delay_alu instid0(VALU_DEP_1) | instskip(NEXT) | instid1(VALU_DEP_1)
	;; [unrolled: 3-line block ×5, first 2 shown]
	v_add3_u32 v45, v45, v254, v255
	v_cvt_f32_i32_e32 v45, v45
	s_delay_alu instid0(VALU_DEP_1)
	v_fma_mix_f32 v45, v70, v45, v70 op_sel:[0,0,1] op_sel_hi:[1,0,1]
	v_mul_i32_i24_e32 v70, v73, v125
	v_mul_i32_i24_e32 v73, v76, v138
	;; [unrolled: 1-line block ×4, first 2 shown]
	v_add_f32_e32 v62, v62, v45
	v_mul_i32_i24_e32 v45, v47, v126
	v_mul_i32_i24_e32 v47, v53, v127
	;; [unrolled: 1-line block ×8, first 2 shown]
	v_add3_u32 v19, v19, v45, v60
	v_mul_i32_i24_e32 v71, v74, v137
	v_mul_i32_i24_e32 v74, v77, v140
	;; [unrolled: 1-line block ×3, first 2 shown]
	s_delay_alu instid0(VALU_DEP_4) | instskip(NEXT) | instid1(VALU_DEP_1)
	v_add3_u32 v19, v19, v47, v53
	v_add3_u32 v19, v19, v55, v68
	s_delay_alu instid0(VALU_DEP_1) | instskip(NEXT) | instid1(VALU_DEP_1)
	v_add3_u32 v19, v19, v61, v65
	v_add3_u32 v19, v19, v50, v71
	s_delay_alu instid0(VALU_DEP_1) | instskip(NEXT) | instid1(VALU_DEP_1)
	;; [unrolled: 3-line block ×6, first 2 shown]
	v_add3_u32 v19, v19, v83, v58
	v_cvt_f32_i32_e32 v19, v19
	s_delay_alu instid0(VALU_DEP_1) | instskip(NEXT) | instid1(VALU_DEP_1)
	v_fma_mix_f32 v19, v20, v19, v20 op_sel:[0,0,1] op_sel_hi:[1,0,1]
	v_add_f32_e32 v59, v59, v19
	ds_load_b128 v[49:52], v116 offset:2048
	ds_load_b128 v[55:58], v116 offset:2064
	ds_load_2addr_b32 v[19:20], v115 offset0:64 offset1:96
	s_waitcnt lgkmcnt(2)
	v_bfe_i32 v38, v49, 0, 8
	v_bfe_i32 v39, v49, 8, 8
	;; [unrolled: 1-line block ×3, first 2 shown]
	v_ashrrev_i32_e32 v47, 24, v49
	s_waitcnt lgkmcnt(1)
	v_bfe_i32 v49, v55, 0, 8
	v_mul_i32_i24_e32 v85, v38, v156
	v_bfe_i32 v61, v50, 0, 8
	v_mul_i32_i24_e32 v86, v39, v157
	v_mul_i32_i24_e32 v87, v45, v159
	v_bfe_i32 v53, v55, 8, 8
	v_mad_i32_i24 v85, v49, v153, v85
	v_bfe_i32 v60, v55, 16, 8
	v_mul_i32_i24_e32 v88, v47, v160
	v_mul_i32_i24_e32 v92, v61, v163
	v_ashrrev_i32_e32 v55, 24, v55
	v_add3_u32 v85, v85, v86, v87
	v_bfe_i32 v69, v56, 0, 8
	v_mul_i32_i24_e32 v89, v53, v161
	v_mul_i32_i24_e32 v90, v60, v155
	v_bfe_i32 v65, v50, 8, 8
	v_add3_u32 v85, v85, v88, v92
	v_bfe_i32 v68, v50, 16, 8
	v_mul_i32_i24_e32 v91, v55, v162
	v_mul_i32_i24_e32 v96, v69, v168
	v_ashrrev_i32_e32 v50, 24, v50
	v_add3_u32 v85, v85, v89, v90
	v_bfe_i32 v73, v51, 0, 8
	v_mul_i32_i24_e32 v93, v65, v164
	v_mul_i32_i24_e32 v94, v68, v165
	v_bfe_i32 v70, v56, 8, 8
	v_add3_u32 v85, v85, v91, v96
	;; [unrolled: 10-line block ×6, first 2 shown]
	v_ashrrev_i32_e32 v58, 24, v58
	v_mul_i32_i24_e32 v112, v52, v184
	v_mul_i32_i24_e32 v254, v83, v186
	;; [unrolled: 1-line block ×3, first 2 shown]
	v_add3_u32 v85, v85, v110, v111
	v_mul_i32_i24_e32 v104, v58, v188
	s_waitcnt lgkmcnt(0)
	v_pk_mul_f16 v86, v152, v19
	v_mul_i32_i24_e32 v87, v45, v192
	v_mul_i32_i24_e32 v88, v47, v193
	v_add3_u32 v85, v85, v112, v254
	v_mul_i32_i24_e32 v92, v61, v196
	v_mul_i32_i24_e32 v89, v53, v194
	;; [unrolled: 1-line block ×4, first 2 shown]
	v_add3_u32 v85, v85, v255, v104
	v_mul_i32_i24_e32 v96, v69, v201
	v_mul_i32_i24_e32 v93, v65, v197
	;; [unrolled: 1-line block ×4, first 2 shown]
	v_cvt_f32_i32_e32 v85, v85
	v_mul_i32_i24_e32 v100, v73, v205
	v_mul_i32_i24_e32 v97, v70, v202
	;; [unrolled: 1-line block ×4, first 2 shown]
	v_fma_mix_f32 v85, v86, v85, v86 op_sel:[0,0,1] op_sel_hi:[1,0,1]
	v_mul_i32_i24_e32 v86, v39, v190
	v_mul_i32_i24_e32 v104, v76, v210
	;; [unrolled: 1-line block ×4, first 2 shown]
	v_add_f32_e32 v54, v54, v85
	v_mul_i32_i24_e32 v85, v38, v189
	v_mul_i32_i24_e32 v103, v51, v209
	v_mul_i32_i24_e32 v108, v79, v213
	v_mul_i32_i24_e32 v105, v77, v211
	v_mul_i32_i24_e32 v106, v78, v200
	v_mad_i32_i24 v85, v49, v170, v85
	v_mul_i32_i24_e32 v107, v57, v212
	v_mul_i32_i24_e32 v112, v82, v217
	;; [unrolled: 1-line block ×4, first 2 shown]
	v_add3_u32 v85, v85, v86, v87
	v_mul_i32_i24_e32 v111, v52, v216
	v_mul_i32_i24_e32 v113, v83, v218
	;; [unrolled: 1-line block ×4, first 2 shown]
	v_add3_u32 v85, v85, v88, v92
	v_pk_mul_f16 v86, v154, v19
	v_mul_i32_i24_e32 v87, v45, v224
	v_mul_i32_i24_e32 v88, v47, v225
	v_mul_i32_i24_e32 v92, v61, v228
	v_add3_u32 v85, v85, v89, v90
	v_mul_i32_i24_e32 v89, v53, v226
	v_mul_i32_i24_e32 v90, v60, v219
	v_mul_i32_i24_e32 v45, v45, v253
	v_mul_i32_i24_e32 v47, v47, v126
	v_add3_u32 v85, v85, v91, v96
	v_mul_i32_i24_e32 v91, v55, v227
	;; [unrolled: 5-line block ×13, first 2 shown]
	v_mul_i32_i24_e32 v255, v58, v250
	v_mul_i32_i24_e32 v81, v81, v147
	;; [unrolled: 1-line block ×3, first 2 shown]
	v_cvt_f32_i32_e32 v85, v85
	v_mul_i32_i24_e32 v83, v83, v150
	v_mul_i32_i24_e32 v84, v84, v139
	;; [unrolled: 1-line block ×3, first 2 shown]
	s_delay_alu instid0(VALU_DEP_4) | instskip(SKIP_2) | instid1(VALU_DEP_3)
	v_fma_mix_f32 v85, v86, v85, v86 op_sel:[0,0,1] op_sel_hi:[1,0,1]
	v_mul_i32_i24_e32 v86, v39, v222
	v_mul_i32_i24_e32 v39, v39, v252
	v_add_f32_e32 v48, v48, v85
	v_mul_i32_i24_e32 v85, v38, v221
	s_delay_alu instid0(VALU_DEP_1) | instskip(NEXT) | instid1(VALU_DEP_1)
	v_mad_i32_i24 v85, v49, v204, v85
	v_add3_u32 v85, v85, v86, v87
	v_pk_mul_f16 v86, v180, v19
	v_pk_mul_f16 v19, v122, v19
	s_delay_alu instid0(VALU_DEP_3) | instskip(NEXT) | instid1(VALU_DEP_1)
	v_add3_u32 v85, v85, v88, v92
	v_add3_u32 v85, v85, v89, v90
	s_delay_alu instid0(VALU_DEP_1) | instskip(NEXT) | instid1(VALU_DEP_1)
	v_add3_u32 v85, v85, v91, v96
	v_add3_u32 v85, v85, v93, v94
	s_delay_alu instid0(VALU_DEP_1) | instskip(NEXT) | instid1(VALU_DEP_1)
	;; [unrolled: 3-line block ×7, first 2 shown]
	v_cvt_f32_i32_e32 v85, v85
	v_fma_mix_f32 v85, v86, v85, v86 op_sel:[0,0,1] op_sel_hi:[1,0,1]
	s_delay_alu instid0(VALU_DEP_1) | instskip(SKIP_1) | instid1(VALU_DEP_1)
	v_add_f32_e32 v46, v46, v85
	v_mul_i32_i24_e32 v38, v38, v251
	v_mad_i32_i24 v38, v49, v123, v38
	s_delay_alu instid0(VALU_DEP_1) | instskip(NEXT) | instid1(VALU_DEP_1)
	v_add3_u32 v38, v38, v39, v45
	v_add3_u32 v38, v38, v47, v61
	s_delay_alu instid0(VALU_DEP_1) | instskip(NEXT) | instid1(VALU_DEP_1)
	v_add3_u32 v38, v38, v53, v60
	v_add3_u32 v38, v38, v55, v69
	;; [unrolled: 3-line block ×7, first 2 shown]
	s_delay_alu instid0(VALU_DEP_1) | instskip(SKIP_3) | instid1(VALU_DEP_1)
	v_add3_u32 v38, v38, v84, v58
	ds_load_b128 v[49:52], v116 offset:3072
	ds_load_b128 v[55:58], v116 offset:3088
	v_cvt_f32_i32_e32 v38, v38
	v_fma_mix_f32 v19, v19, v38, v19 op_sel:[0,0,1] op_sel_hi:[1,0,1]
	s_delay_alu instid0(VALU_DEP_1)
	v_add_f32_e32 v44, v44, v19
	s_waitcnt lgkmcnt(1)
	v_bfe_i32 v19, v49, 0, 8
	v_bfe_i32 v38, v49, 8, 8
	;; [unrolled: 1-line block ×3, first 2 shown]
	s_waitcnt lgkmcnt(0)
	v_bfe_i32 v47, v55, 0, 8
	v_ashrrev_i32_e32 v45, 24, v49
	v_mul_i32_i24_e32 v84, v19, v156
	v_bfe_i32 v60, v50, 0, 8
	v_mul_i32_i24_e32 v85, v38, v157
	v_mul_i32_i24_e32 v86, v39, v159
	v_bfe_i32 v49, v55, 8, 8
	v_mad_i32_i24 v84, v47, v153, v84
	v_bfe_i32 v53, v55, 16, 8
	v_mul_i32_i24_e32 v87, v45, v160
	v_mul_i32_i24_e32 v91, v60, v163
	v_ashrrev_i32_e32 v55, 24, v55
	v_add3_u32 v84, v84, v85, v86
	v_bfe_i32 v68, v56, 0, 8
	v_mul_i32_i24_e32 v88, v49, v161
	v_mul_i32_i24_e32 v89, v53, v155
	v_bfe_i32 v61, v50, 8, 8
	v_add3_u32 v84, v84, v87, v91
	v_bfe_i32 v65, v50, 16, 8
	v_mul_i32_i24_e32 v90, v55, v162
	v_mul_i32_i24_e32 v95, v68, v168
	v_ashrrev_i32_e32 v50, 24, v50
	v_add3_u32 v84, v84, v88, v89
	v_bfe_i32 v71, v51, 0, 8
	v_mul_i32_i24_e32 v92, v61, v164
	v_mul_i32_i24_e32 v93, v65, v165
	v_bfe_i32 v69, v56, 8, 8
	v_add3_u32 v84, v84, v90, v95
	;; [unrolled: 10-line block ×6, first 2 shown]
	v_ashrrev_i32_e32 v58, 24, v58
	v_mul_i32_i24_e32 v110, v52, v184
	v_mul_i32_i24_e32 v112, v82, v186
	;; [unrolled: 1-line block ×3, first 2 shown]
	v_add3_u32 v84, v84, v108, v109
	v_mul_i32_i24_e32 v254, v58, v188
	v_pk_mul_f16 v85, v152, v20
	v_mul_i32_i24_e32 v86, v39, v192
	v_mul_i32_i24_e32 v87, v45, v193
	v_add3_u32 v84, v84, v110, v112
	v_mul_i32_i24_e32 v91, v60, v196
	v_mul_i32_i24_e32 v88, v49, v194
	;; [unrolled: 1-line block ×4, first 2 shown]
	v_add3_u32 v84, v84, v113, v254
	v_mul_i32_i24_e32 v95, v68, v201
	v_mul_i32_i24_e32 v92, v61, v197
	;; [unrolled: 1-line block ×4, first 2 shown]
	v_cvt_f32_i32_e32 v84, v84
	v_mul_i32_i24_e32 v99, v71, v205
	v_mul_i32_i24_e32 v96, v69, v202
	;; [unrolled: 1-line block ×4, first 2 shown]
	v_fma_mix_f32 v84, v85, v84, v85 op_sel:[0,0,1] op_sel_hi:[1,0,1]
	v_mul_i32_i24_e32 v85, v38, v190
	v_mul_i32_i24_e32 v103, v75, v210
	;; [unrolled: 1-line block ×4, first 2 shown]
	v_add_f32_e32 v43, v43, v84
	v_mul_i32_i24_e32 v84, v19, v189
	v_mul_i32_i24_e32 v102, v51, v209
	;; [unrolled: 1-line block ×5, first 2 shown]
	v_mad_i32_i24 v84, v47, v170, v84
	v_mul_i32_i24_e32 v106, v57, v212
	v_mul_i32_i24_e32 v111, v81, v217
	;; [unrolled: 1-line block ×4, first 2 shown]
	v_add3_u32 v84, v84, v85, v86
	v_mul_i32_i24_e32 v110, v52, v216
	v_mul_i32_i24_e32 v112, v82, v218
	;; [unrolled: 1-line block ×4, first 2 shown]
	v_add3_u32 v84, v84, v87, v91
	v_pk_mul_f16 v85, v154, v20
	v_mul_i32_i24_e32 v86, v39, v224
	v_mul_i32_i24_e32 v87, v45, v225
	v_mul_i32_i24_e32 v91, v60, v228
	v_add3_u32 v84, v84, v88, v89
	v_mul_i32_i24_e32 v88, v49, v226
	v_mul_i32_i24_e32 v89, v53, v219
	v_mul_i32_i24_e32 v39, v39, v253
	v_mul_i32_i24_e32 v45, v45, v126
	v_add3_u32 v84, v84, v90, v95
	v_mul_i32_i24_e32 v90, v55, v227
	;; [unrolled: 5-line block ×13, first 2 shown]
	v_mul_i32_i24_e32 v254, v58, v250
	v_mul_i32_i24_e32 v82, v82, v150
	;; [unrolled: 1-line block ×3, first 2 shown]
	v_cvt_f32_i32_e32 v84, v84
	v_mul_i32_i24_e32 v58, v58, v151
	s_delay_alu instid0(VALU_DEP_2) | instskip(SKIP_2) | instid1(VALU_DEP_3)
	v_fma_mix_f32 v84, v85, v84, v85 op_sel:[0,0,1] op_sel_hi:[1,0,1]
	v_mul_i32_i24_e32 v85, v38, v222
	v_mul_i32_i24_e32 v38, v38, v252
	v_add_f32_e32 v42, v42, v84
	v_mul_i32_i24_e32 v84, v19, v221
	v_mul_i32_i24_e32 v19, v19, v251
	v_mul_i32_i24_e32 v60, v60, v129
	s_delay_alu instid0(VALU_DEP_3) | instskip(NEXT) | instid1(VALU_DEP_3)
	v_mad_i32_i24 v84, v47, v204, v84
	v_mad_i32_i24 v19, v47, v123, v19
	s_delay_alu instid0(VALU_DEP_2) | instskip(NEXT) | instid1(VALU_DEP_2)
	v_add3_u32 v84, v84, v85, v86
	v_add3_u32 v19, v19, v38, v39
	v_pk_mul_f16 v85, v180, v20
	v_pk_mul_f16 v20, v122, v20
	s_delay_alu instid0(VALU_DEP_4) | instskip(NEXT) | instid1(VALU_DEP_4)
	v_add3_u32 v84, v84, v87, v91
	v_add3_u32 v19, v19, v45, v60
	s_delay_alu instid0(VALU_DEP_2) | instskip(NEXT) | instid1(VALU_DEP_2)
	v_add3_u32 v84, v84, v88, v89
	v_add3_u32 v19, v19, v49, v53
	s_delay_alu instid0(VALU_DEP_2) | instskip(NEXT) | instid1(VALU_DEP_2)
	;; [unrolled: 3-line block ×7, first 2 shown]
	v_add3_u32 v84, v84, v100, v101
	v_add3_u32 v19, v19, v73, v74
	s_delay_alu instid0(VALU_DEP_2) | instskip(NEXT) | instid1(VALU_DEP_1)
	v_add3_u32 v84, v84, v102, v107
	v_add3_u32 v84, v84, v104, v105
	s_delay_alu instid0(VALU_DEP_1) | instskip(NEXT) | instid1(VALU_DEP_1)
	v_add3_u32 v84, v84, v106, v111
	v_add3_u32 v84, v84, v108, v109
	s_delay_alu instid0(VALU_DEP_1) | instskip(NEXT) | instid1(VALU_DEP_1)
	v_add3_u32 v84, v84, v110, v112
	v_add3_u32 v84, v84, v113, v254
	s_delay_alu instid0(VALU_DEP_1) | instskip(NEXT) | instid1(VALU_DEP_1)
	v_cvt_f32_i32_e32 v84, v84
	v_fma_mix_f32 v84, v85, v84, v85 op_sel:[0,0,1] op_sel_hi:[1,0,1]
	s_delay_alu instid0(VALU_DEP_1) | instskip(SKIP_1) | instid1(VALU_DEP_1)
	v_add_f32_e32 v40, v40, v84
	v_mul_i32_i24_e32 v78, v78, v145
	v_add3_u32 v19, v19, v51, v78
	s_delay_alu instid0(VALU_DEP_1) | instskip(NEXT) | instid1(VALU_DEP_1)
	v_add3_u32 v19, v19, v76, v77
	v_add3_u32 v19, v19, v57, v81
	s_delay_alu instid0(VALU_DEP_1) | instskip(NEXT) | instid1(VALU_DEP_1)
	v_add3_u32 v19, v19, v79, v80
	;; [unrolled: 3-line block ×3, first 2 shown]
	v_cvt_f32_i32_e32 v19, v19
	s_delay_alu instid0(VALU_DEP_1) | instskip(NEXT) | instid1(VALU_DEP_1)
	v_fma_mix_f32 v19, v20, v19, v20 op_sel:[0,0,1] op_sel_hi:[1,0,1]
	v_add_f32_e32 v37, v37, v19
	ds_load_b128 v[49:52], v116 offset:4096
	ds_load_b128 v[55:58], v116 offset:4112
	ds_load_2addr_b32 v[19:20], v115 offset0:128 offset1:160
	s_waitcnt lgkmcnt(2)
	v_bfe_i32 v38, v49, 0, 8
	v_bfe_i32 v39, v49, 8, 8
	v_bfe_i32 v45, v49, 16, 8
	v_ashrrev_i32_e32 v47, 24, v49
	s_waitcnt lgkmcnt(1)
	v_bfe_i32 v49, v55, 0, 8
	v_mul_i32_i24_e32 v85, v38, v156
	v_bfe_i32 v61, v50, 0, 8
	v_mul_i32_i24_e32 v86, v39, v157
	v_mul_i32_i24_e32 v87, v45, v159
	v_bfe_i32 v53, v55, 8, 8
	v_mad_i32_i24 v85, v49, v153, v85
	v_bfe_i32 v60, v55, 16, 8
	v_mul_i32_i24_e32 v88, v47, v160
	v_mul_i32_i24_e32 v92, v61, v163
	v_ashrrev_i32_e32 v55, 24, v55
	v_add3_u32 v85, v85, v86, v87
	v_bfe_i32 v69, v56, 0, 8
	v_mul_i32_i24_e32 v89, v53, v161
	v_mul_i32_i24_e32 v90, v60, v155
	v_bfe_i32 v65, v50, 8, 8
	v_add3_u32 v85, v85, v88, v92
	v_bfe_i32 v68, v50, 16, 8
	v_mul_i32_i24_e32 v91, v55, v162
	v_mul_i32_i24_e32 v96, v69, v168
	v_ashrrev_i32_e32 v50, 24, v50
	v_add3_u32 v85, v85, v89, v90
	v_bfe_i32 v73, v51, 0, 8
	v_mul_i32_i24_e32 v93, v65, v164
	v_mul_i32_i24_e32 v94, v68, v165
	v_bfe_i32 v70, v56, 8, 8
	v_add3_u32 v85, v85, v91, v96
	v_bfe_i32 v71, v56, 16, 8
	v_mul_i32_i24_e32 v95, v50, v167
	v_mul_i32_i24_e32 v100, v73, v172
	v_ashrrev_i32_e32 v56, 24, v56
	v_add3_u32 v85, v85, v93, v94
	v_bfe_i32 v76, v57, 0, 8
	v_mul_i32_i24_e32 v97, v70, v169
	v_mul_i32_i24_e32 v98, v71, v158
	v_bfe_i32 v74, v51, 8, 8
	v_add3_u32 v85, v85, v95, v100
	v_bfe_i32 v75, v51, 16, 8
	v_mul_i32_i24_e32 v99, v56, v171
	v_mul_i32_i24_e32 v104, v76, v177
	v_ashrrev_i32_e32 v51, 24, v51
	v_add3_u32 v85, v85, v97, v98
	v_bfe_i32 v79, v52, 0, 8
	v_mul_i32_i24_e32 v101, v74, v173
	v_mul_i32_i24_e32 v102, v75, v175
	v_bfe_i32 v77, v57, 8, 8
	v_add3_u32 v85, v85, v99, v104
	v_bfe_i32 v78, v57, 16, 8
	v_mul_i32_i24_e32 v103, v51, v176
	v_mul_i32_i24_e32 v108, v79, v181
	v_ashrrev_i32_e32 v57, 24, v57
	v_add3_u32 v85, v85, v101, v102
	v_bfe_i32 v82, v58, 0, 8
	v_mul_i32_i24_e32 v105, v77, v178
	v_mul_i32_i24_e32 v106, v78, v166
	v_bfe_i32 v80, v52, 8, 8
	v_add3_u32 v85, v85, v103, v108
	v_bfe_i32 v81, v52, 16, 8
	v_mul_i32_i24_e32 v107, v57, v179
	v_mul_i32_i24_e32 v112, v82, v185
	v_ashrrev_i32_e32 v52, 24, v52
	v_add3_u32 v85, v85, v105, v106
	v_bfe_i32 v83, v58, 8, 8
	v_mul_i32_i24_e32 v109, v80, v182
	v_mul_i32_i24_e32 v110, v81, v183
	v_bfe_i32 v84, v58, 16, 8
	v_add3_u32 v85, v85, v107, v112
	v_ashrrev_i32_e32 v58, 24, v58
	v_mul_i32_i24_e32 v111, v52, v184
	v_mul_i32_i24_e32 v113, v83, v186
	;; [unrolled: 1-line block ×3, first 2 shown]
	v_add3_u32 v85, v85, v109, v110
	v_mul_i32_i24_e32 v255, v58, v188
	s_waitcnt lgkmcnt(0)
	v_pk_mul_f16 v86, v152, v19
	v_mul_i32_i24_e32 v87, v45, v192
	v_mul_i32_i24_e32 v88, v47, v193
	v_add3_u32 v85, v85, v111, v113
	v_mul_i32_i24_e32 v92, v61, v196
	v_mul_i32_i24_e32 v89, v53, v194
	;; [unrolled: 1-line block ×4, first 2 shown]
	v_add3_u32 v85, v85, v254, v255
	v_mul_i32_i24_e32 v96, v69, v201
	v_mul_i32_i24_e32 v93, v65, v197
	;; [unrolled: 1-line block ×4, first 2 shown]
	v_cvt_f32_i32_e32 v85, v85
	v_mul_i32_i24_e32 v100, v73, v205
	v_mul_i32_i24_e32 v97, v70, v202
	;; [unrolled: 1-line block ×4, first 2 shown]
	v_fma_mix_f32 v85, v86, v85, v86 op_sel:[0,0,1] op_sel_hi:[1,0,1]
	v_mul_i32_i24_e32 v86, v39, v190
	v_mul_i32_i24_e32 v104, v76, v210
	;; [unrolled: 1-line block ×4, first 2 shown]
	v_add_f32_e32 v36, v36, v85
	v_mul_i32_i24_e32 v85, v38, v189
	v_mul_i32_i24_e32 v103, v51, v209
	;; [unrolled: 1-line block ×5, first 2 shown]
	v_mad_i32_i24 v85, v49, v170, v85
	v_mul_i32_i24_e32 v107, v57, v212
	v_mul_i32_i24_e32 v112, v82, v217
	;; [unrolled: 1-line block ×4, first 2 shown]
	v_add3_u32 v85, v85, v86, v87
	v_mul_i32_i24_e32 v111, v52, v216
	v_mul_i32_i24_e32 v113, v83, v218
	;; [unrolled: 1-line block ×4, first 2 shown]
	v_add3_u32 v85, v85, v88, v92
	v_pk_mul_f16 v86, v154, v19
	v_mul_i32_i24_e32 v87, v45, v224
	v_mul_i32_i24_e32 v45, v45, v253
	v_mul_i32_i24_e32 v88, v47, v225
	v_add3_u32 v85, v85, v89, v90
	v_mul_i32_i24_e32 v47, v47, v126
	v_mul_i32_i24_e32 v89, v53, v226
	v_mul_i32_i24_e32 v90, v60, v219
	v_mul_i32_i24_e32 v53, v53, v127
	v_add3_u32 v85, v85, v91, v96
	v_mul_i32_i24_e32 v60, v60, v124
	;; [unrolled: 5-line block ×13, first 2 shown]
	v_mul_i32_i24_e32 v254, v84, v238
	v_mul_i32_i24_e32 v255, v58, v250
	;; [unrolled: 1-line block ×3, first 2 shown]
	v_cvt_f32_i32_e32 v85, v85
	v_mul_i32_i24_e32 v58, v58, v151
	s_delay_alu instid0(VALU_DEP_2) | instskip(SKIP_2) | instid1(VALU_DEP_3)
	v_fma_mix_f32 v85, v86, v85, v86 op_sel:[0,0,1] op_sel_hi:[1,0,1]
	v_mul_i32_i24_e32 v86, v39, v222
	v_mul_i32_i24_e32 v39, v39, v252
	v_add_f32_e32 v35, v35, v85
	v_mul_i32_i24_e32 v85, v38, v221
	v_mul_i32_i24_e32 v38, v38, v251
	;; [unrolled: 1-line block ×4, first 2 shown]
	s_delay_alu instid0(VALU_DEP_4) | instskip(NEXT) | instid1(VALU_DEP_4)
	v_mad_i32_i24 v85, v49, v204, v85
	v_mad_i32_i24 v38, v49, v123, v38
	s_delay_alu instid0(VALU_DEP_2) | instskip(NEXT) | instid1(VALU_DEP_2)
	v_add3_u32 v85, v85, v86, v87
	v_add3_u32 v38, v38, v39, v45
	v_pk_mul_f16 v86, v180, v19
	v_pk_mul_f16 v19, v122, v19
	s_delay_alu instid0(VALU_DEP_4) | instskip(NEXT) | instid1(VALU_DEP_4)
	v_add3_u32 v85, v85, v88, v92
	v_add3_u32 v38, v38, v47, v61
	s_delay_alu instid0(VALU_DEP_2) | instskip(NEXT) | instid1(VALU_DEP_2)
	v_add3_u32 v85, v85, v89, v90
	v_add3_u32 v38, v38, v53, v60
	s_delay_alu instid0(VALU_DEP_2) | instskip(NEXT) | instid1(VALU_DEP_2)
	;; [unrolled: 3-line block ×13, first 2 shown]
	v_add3_u32 v85, v85, v254, v255
	v_add3_u32 v38, v38, v84, v58
	ds_load_b128 v[49:52], v116 offset:5120
	ds_load_b128 v[55:58], v116 offset:5136
	v_cvt_f32_i32_e32 v85, v85
	v_cvt_f32_i32_e32 v38, v38
	s_delay_alu instid0(VALU_DEP_2) | instskip(NEXT) | instid1(VALU_DEP_2)
	v_fma_mix_f32 v85, v86, v85, v86 op_sel:[0,0,1] op_sel_hi:[1,0,1]
	v_fma_mix_f32 v19, v19, v38, v19 op_sel:[0,0,1] op_sel_hi:[1,0,1]
	s_delay_alu instid0(VALU_DEP_1)
	v_dual_add_f32 v34, v34, v85 :: v_dual_add_f32 v33, v33, v19
	s_waitcnt lgkmcnt(1)
	v_bfe_i32 v19, v49, 0, 8
	v_bfe_i32 v38, v49, 8, 8
	;; [unrolled: 1-line block ×3, first 2 shown]
	s_waitcnt lgkmcnt(0)
	v_bfe_i32 v47, v55, 0, 8
	v_ashrrev_i32_e32 v45, 24, v49
	v_mul_i32_i24_e32 v84, v19, v156
	v_bfe_i32 v60, v50, 0, 8
	v_mul_i32_i24_e32 v85, v38, v157
	v_mul_i32_i24_e32 v86, v39, v159
	v_bfe_i32 v49, v55, 8, 8
	v_mad_i32_i24 v84, v47, v153, v84
	v_bfe_i32 v53, v55, 16, 8
	v_mul_i32_i24_e32 v87, v45, v160
	v_mul_i32_i24_e32 v91, v60, v163
	v_ashrrev_i32_e32 v55, 24, v55
	v_add3_u32 v84, v84, v85, v86
	v_bfe_i32 v68, v56, 0, 8
	v_mul_i32_i24_e32 v88, v49, v161
	v_mul_i32_i24_e32 v89, v53, v155
	v_bfe_i32 v61, v50, 8, 8
	v_add3_u32 v84, v84, v87, v91
	v_bfe_i32 v65, v50, 16, 8
	v_mul_i32_i24_e32 v90, v55, v162
	v_mul_i32_i24_e32 v95, v68, v168
	v_ashrrev_i32_e32 v50, 24, v50
	v_add3_u32 v84, v84, v88, v89
	v_bfe_i32 v71, v51, 0, 8
	v_mul_i32_i24_e32 v92, v61, v164
	v_mul_i32_i24_e32 v93, v65, v165
	v_bfe_i32 v69, v56, 8, 8
	v_add3_u32 v84, v84, v90, v95
	;; [unrolled: 10-line block ×6, first 2 shown]
	v_ashrrev_i32_e32 v58, 24, v58
	v_mul_i32_i24_e32 v110, v52, v184
	v_mul_i32_i24_e32 v112, v82, v186
	;; [unrolled: 1-line block ×3, first 2 shown]
	v_add3_u32 v84, v84, v108, v109
	v_mul_i32_i24_e32 v254, v58, v188
	v_pk_mul_f16 v85, v152, v20
	v_mul_i32_i24_e32 v86, v39, v192
	v_mul_i32_i24_e32 v87, v45, v193
	v_add3_u32 v84, v84, v110, v112
	v_mul_i32_i24_e32 v91, v60, v196
	v_mul_i32_i24_e32 v88, v49, v194
	v_mul_i32_i24_e32 v89, v53, v187
	v_mul_i32_i24_e32 v90, v55, v195
	v_add3_u32 v84, v84, v113, v254
	v_mul_i32_i24_e32 v95, v68, v201
	v_mul_i32_i24_e32 v92, v61, v197
	v_mul_i32_i24_e32 v93, v65, v198
	v_mul_i32_i24_e32 v94, v50, v199
	v_cvt_f32_i32_e32 v84, v84
	v_mul_i32_i24_e32 v99, v71, v205
	v_mul_i32_i24_e32 v96, v69, v202
	;; [unrolled: 1-line block ×4, first 2 shown]
	v_fma_mix_f32 v84, v85, v84, v85 op_sel:[0,0,1] op_sel_hi:[1,0,1]
	v_mul_i32_i24_e32 v85, v38, v190
	v_mul_i32_i24_e32 v103, v75, v210
	;; [unrolled: 1-line block ×4, first 2 shown]
	v_add_f32_e32 v32, v32, v84
	v_mul_i32_i24_e32 v84, v19, v189
	v_mul_i32_i24_e32 v102, v51, v209
	;; [unrolled: 1-line block ×5, first 2 shown]
	v_mad_i32_i24 v84, v47, v170, v84
	v_mul_i32_i24_e32 v106, v57, v212
	v_mul_i32_i24_e32 v111, v81, v217
	;; [unrolled: 1-line block ×4, first 2 shown]
	v_add3_u32 v84, v84, v85, v86
	v_mul_i32_i24_e32 v110, v52, v216
	v_mul_i32_i24_e32 v112, v82, v218
	;; [unrolled: 1-line block ×4, first 2 shown]
	v_add3_u32 v84, v84, v87, v91
	v_pk_mul_f16 v85, v154, v20
	v_mul_i32_i24_e32 v86, v39, v224
	v_mul_i32_i24_e32 v39, v39, v253
	v_mul_i32_i24_e32 v87, v45, v225
	v_add3_u32 v84, v84, v88, v89
	v_mul_i32_i24_e32 v91, v60, v228
	v_mul_i32_i24_e32 v45, v45, v126
	v_mul_i32_i24_e32 v60, v60, v129
	v_mul_i32_i24_e32 v88, v49, v226
	v_add3_u32 v84, v84, v90, v95
	v_mul_i32_i24_e32 v89, v53, v219
	;; [unrolled: 5-line block ×13, first 2 shown]
	v_mul_i32_i24_e32 v113, v83, v238
	v_mul_i32_i24_e32 v254, v58, v250
	;; [unrolled: 1-line block ×3, first 2 shown]
	v_cvt_f32_i32_e32 v84, v84
	v_mul_i32_i24_e32 v58, v58, v151
	s_delay_alu instid0(VALU_DEP_2) | instskip(SKIP_2) | instid1(VALU_DEP_3)
	v_fma_mix_f32 v84, v85, v84, v85 op_sel:[0,0,1] op_sel_hi:[1,0,1]
	v_mul_i32_i24_e32 v85, v38, v222
	v_mul_i32_i24_e32 v38, v38, v252
	v_add_f32_e32 v31, v31, v84
	v_mul_i32_i24_e32 v84, v19, v221
	v_mul_i32_i24_e32 v19, v19, v251
	;; [unrolled: 1-line block ×4, first 2 shown]
	s_delay_alu instid0(VALU_DEP_4) | instskip(NEXT) | instid1(VALU_DEP_4)
	v_mad_i32_i24 v84, v47, v204, v84
	v_mad_i32_i24 v19, v47, v123, v19
	s_delay_alu instid0(VALU_DEP_2) | instskip(NEXT) | instid1(VALU_DEP_2)
	v_add3_u32 v84, v84, v85, v86
	v_add3_u32 v19, v19, v38, v39
	v_pk_mul_f16 v85, v180, v20
	v_pk_mul_f16 v20, v122, v20
	s_delay_alu instid0(VALU_DEP_4) | instskip(NEXT) | instid1(VALU_DEP_4)
	v_add3_u32 v84, v84, v87, v91
	v_add3_u32 v19, v19, v45, v60
	s_delay_alu instid0(VALU_DEP_2) | instskip(NEXT) | instid1(VALU_DEP_2)
	v_add3_u32 v84, v84, v88, v89
	v_add3_u32 v19, v19, v49, v53
	s_delay_alu instid0(VALU_DEP_2) | instskip(NEXT) | instid1(VALU_DEP_2)
	;; [unrolled: 3-line block ×14, first 2 shown]
	v_cvt_f32_i32_e32 v84, v84
	v_cvt_f32_i32_e32 v19, v19
	s_delay_alu instid0(VALU_DEP_2) | instskip(NEXT) | instid1(VALU_DEP_2)
	v_fma_mix_f32 v84, v85, v84, v85 op_sel:[0,0,1] op_sel_hi:[1,0,1]
	v_fma_mix_f32 v19, v20, v19, v20 op_sel:[0,0,1] op_sel_hi:[1,0,1]
	s_delay_alu instid0(VALU_DEP_1)
	v_dual_add_f32 v30, v30, v84 :: v_dual_add_f32 v29, v29, v19
	ds_load_b128 v[49:52], v116 offset:6144
	ds_load_b128 v[55:58], v116 offset:6160
	ds_load_2addr_b32 v[19:20], v115 offset0:192 offset1:224
	v_add_nc_u32_e32 v115, 4, v115
	s_waitcnt lgkmcnt(2)
	v_bfe_i32 v38, v49, 0, 8
	v_bfe_i32 v39, v49, 8, 8
	;; [unrolled: 1-line block ×3, first 2 shown]
	v_ashrrev_i32_e32 v47, 24, v49
	s_waitcnt lgkmcnt(1)
	v_bfe_i32 v49, v55, 0, 8
	v_mul_i32_i24_e32 v85, v38, v156
	v_bfe_i32 v61, v50, 0, 8
	v_mul_i32_i24_e32 v86, v39, v157
	v_mul_i32_i24_e32 v87, v45, v159
	v_bfe_i32 v53, v55, 8, 8
	v_mad_i32_i24 v85, v49, v153, v85
	v_bfe_i32 v60, v55, 16, 8
	v_mul_i32_i24_e32 v88, v47, v160
	v_mul_i32_i24_e32 v92, v61, v163
	v_ashrrev_i32_e32 v55, 24, v55
	v_add3_u32 v85, v85, v86, v87
	v_bfe_i32 v69, v56, 0, 8
	v_mul_i32_i24_e32 v89, v53, v161
	v_mul_i32_i24_e32 v90, v60, v155
	v_bfe_i32 v65, v50, 8, 8
	v_add3_u32 v85, v85, v88, v92
	v_bfe_i32 v68, v50, 16, 8
	v_mul_i32_i24_e32 v91, v55, v162
	v_mul_i32_i24_e32 v96, v69, v168
	v_ashrrev_i32_e32 v50, 24, v50
	v_add3_u32 v85, v85, v89, v90
	v_bfe_i32 v73, v51, 0, 8
	v_mul_i32_i24_e32 v93, v65, v164
	v_mul_i32_i24_e32 v94, v68, v165
	v_bfe_i32 v70, v56, 8, 8
	v_add3_u32 v85, v85, v91, v96
	;; [unrolled: 10-line block ×6, first 2 shown]
	v_ashrrev_i32_e32 v58, 24, v58
	v_mul_i32_i24_e32 v111, v52, v184
	v_mul_i32_i24_e32 v113, v83, v186
	;; [unrolled: 1-line block ×3, first 2 shown]
	v_add3_u32 v85, v85, v109, v110
	v_mul_i32_i24_e32 v255, v58, v188
	s_waitcnt lgkmcnt(0)
	v_pk_mul_f16 v86, v152, v19
	v_mul_i32_i24_e32 v87, v45, v192
	v_mul_i32_i24_e32 v88, v47, v193
	v_add3_u32 v85, v85, v111, v113
	v_mul_i32_i24_e32 v92, v61, v196
	v_mul_i32_i24_e32 v89, v53, v194
	;; [unrolled: 1-line block ×4, first 2 shown]
	v_add3_u32 v85, v85, v254, v255
	v_mul_i32_i24_e32 v96, v69, v201
	v_mul_i32_i24_e32 v93, v65, v197
	;; [unrolled: 1-line block ×4, first 2 shown]
	v_cvt_f32_i32_e32 v85, v85
	v_mul_i32_i24_e32 v100, v73, v205
	v_mul_i32_i24_e32 v97, v70, v202
	;; [unrolled: 1-line block ×4, first 2 shown]
	v_fma_mix_f32 v85, v86, v85, v86 op_sel:[0,0,1] op_sel_hi:[1,0,1]
	v_mul_i32_i24_e32 v86, v39, v190
	v_mul_i32_i24_e32 v104, v76, v210
	;; [unrolled: 1-line block ×4, first 2 shown]
	v_add_f32_e32 v28, v28, v85
	v_mul_i32_i24_e32 v85, v38, v189
	v_mul_i32_i24_e32 v103, v51, v209
	;; [unrolled: 1-line block ×5, first 2 shown]
	v_mad_i32_i24 v85, v49, v170, v85
	v_mul_i32_i24_e32 v107, v57, v212
	v_mul_i32_i24_e32 v112, v82, v217
	;; [unrolled: 1-line block ×4, first 2 shown]
	v_add3_u32 v85, v85, v86, v87
	v_mul_i32_i24_e32 v111, v52, v216
	v_mul_i32_i24_e32 v113, v83, v218
	;; [unrolled: 1-line block ×4, first 2 shown]
	v_add3_u32 v85, v85, v88, v92
	v_pk_mul_f16 v86, v154, v19
	v_mul_i32_i24_e32 v87, v45, v224
	v_mul_i32_i24_e32 v45, v45, v253
	v_mul_i32_i24_e32 v88, v47, v225
	v_add3_u32 v85, v85, v89, v90
	v_mul_i32_i24_e32 v92, v61, v228
	v_mul_i32_i24_e32 v47, v47, v126
	v_mul_i32_i24_e32 v61, v61, v129
	v_mul_i32_i24_e32 v89, v53, v226
	v_add3_u32 v85, v85, v91, v96
	v_mul_i32_i24_e32 v90, v60, v219
	;; [unrolled: 5-line block ×13, first 2 shown]
	v_mul_i32_i24_e32 v254, v84, v238
	v_mul_i32_i24_e32 v255, v58, v250
	v_mul_i32_i24_e32 v84, v84, v139
	v_cvt_f32_i32_e32 v85, v85
	v_mul_i32_i24_e32 v58, v58, v151
	s_delay_alu instid0(VALU_DEP_2) | instskip(SKIP_2) | instid1(VALU_DEP_3)
	v_fma_mix_f32 v85, v86, v85, v86 op_sel:[0,0,1] op_sel_hi:[1,0,1]
	v_mul_i32_i24_e32 v86, v39, v222
	v_mul_i32_i24_e32 v39, v39, v252
	v_add_f32_e32 v27, v27, v85
	v_mul_i32_i24_e32 v85, v38, v221
	v_mul_i32_i24_e32 v38, v38, v251
	;; [unrolled: 1-line block ×4, first 2 shown]
	s_delay_alu instid0(VALU_DEP_4) | instskip(NEXT) | instid1(VALU_DEP_4)
	v_mad_i32_i24 v85, v49, v204, v85
	v_mad_i32_i24 v38, v49, v123, v38
	s_delay_alu instid0(VALU_DEP_2) | instskip(NEXT) | instid1(VALU_DEP_2)
	v_add3_u32 v85, v85, v86, v87
	v_add3_u32 v38, v38, v39, v45
	v_pk_mul_f16 v86, v180, v19
	v_pk_mul_f16 v19, v122, v19
	s_delay_alu instid0(VALU_DEP_4) | instskip(NEXT) | instid1(VALU_DEP_4)
	v_add3_u32 v85, v85, v88, v92
	v_add3_u32 v38, v38, v47, v61
	s_delay_alu instid0(VALU_DEP_2) | instskip(NEXT) | instid1(VALU_DEP_2)
	v_add3_u32 v85, v85, v89, v90
	v_add3_u32 v38, v38, v53, v60
	s_delay_alu instid0(VALU_DEP_2) | instskip(NEXT) | instid1(VALU_DEP_2)
	;; [unrolled: 3-line block ×11, first 2 shown]
	v_add3_u32 v85, v85, v109, v110
	v_add3_u32 v38, v38, v80, v81
	s_delay_alu instid0(VALU_DEP_2)
	v_add3_u32 v85, v85, v111, v113
	ds_load_b128 v[76:79], v116 offset:7168
	ds_load_b128 v[110:113], v116 offset:7184
	v_add3_u32 v38, v38, v52, v83
	v_add_nc_u32_e32 v116, 32, v116
	v_add3_u32 v85, v85, v254, v255
	s_delay_alu instid0(VALU_DEP_3) | instskip(NEXT) | instid1(VALU_DEP_2)
	v_add3_u32 v38, v38, v84, v58
	v_cvt_f32_i32_e32 v85, v85
	s_delay_alu instid0(VALU_DEP_2) | instskip(NEXT) | instid1(VALU_DEP_2)
	v_cvt_f32_i32_e32 v38, v38
	v_fma_mix_f32 v85, v86, v85, v86 op_sel:[0,0,1] op_sel_hi:[1,0,1]
	s_delay_alu instid0(VALU_DEP_2) | instskip(SKIP_3) | instid1(VALU_DEP_3)
	v_fma_mix_f32 v19, v19, v38, v19 op_sel:[0,0,1] op_sel_hi:[1,0,1]
	s_waitcnt lgkmcnt(1)
	v_bfe_i32 v45, v76, 0, 8
	v_bfe_i32 v70, v76, 8, 8
	v_add_f32_e32 v25, v25, v19
	v_bfe_i32 v75, v76, 16, 8
	v_ashrrev_i32_e32 v254, 24, v76
	s_waitcnt lgkmcnt(0)
	v_bfe_i32 v19, v110, 0, 8
	v_mul_i32_i24_e32 v76, v45, v156
	v_bfe_i32 v105, v77, 0, 8
	v_bfe_i32 v106, v77, 8, 8
	;; [unrolled: 1-line block ×3, first 2 shown]
	v_ashrrev_i32_e32 v108, 24, v77
	v_bfe_i32 v50, v78, 0, 8
	v_bfe_i32 v51, v78, 8, 8
	;; [unrolled: 1-line block ×3, first 2 shown]
	v_ashrrev_i32_e32 v53, 24, v78
	v_mul_i32_i24_e32 v77, v70, v157
	v_mul_i32_i24_e32 v78, v75, v159
	v_mad_i32_i24 v76, v19, v153, v76
	v_bfe_i32 v255, v110, 8, 8
	v_bfe_i32 v39, v110, 16, 8
	;; [unrolled: 1-line block ×5, first 2 shown]
	v_ashrrev_i32_e32 v68, 24, v79
	v_mul_i32_i24_e32 v79, v254, v160
	v_mul_i32_i24_e32 v83, v105, v163
	v_add3_u32 v76, v76, v77, v78
	v_ashrrev_i32_e32 v98, 24, v110
	v_bfe_i32 v109, v111, 0, 8
	v_mul_i32_i24_e32 v80, v255, v161
	v_mul_i32_i24_e32 v81, v39, v155
	v_add3_u32 v76, v76, v79, v83
	v_mul_i32_i24_e32 v82, v98, v162
	v_mul_i32_i24_e32 v87, v109, v168
	v_add_f32_e32 v26, v26, v85
	v_mul_i32_i24_e32 v84, v106, v164
	v_add3_u32 v76, v76, v80, v81
	v_mul_i32_i24_e32 v85, v107, v165
	v_bfe_i32 v38, v111, 8, 8
	v_bfe_i32 v47, v111, 16, 8
	v_mul_i32_i24_e32 v86, v108, v167
	v_add3_u32 v76, v76, v82, v87
	v_mul_i32_i24_e32 v91, v50, v172
	v_ashrrev_i32_e32 v49, 24, v111
	v_bfe_i32 v55, v112, 0, 8
	v_mul_i32_i24_e32 v88, v38, v169
	v_add3_u32 v76, v76, v84, v85
	v_mul_i32_i24_e32 v89, v47, v158
	v_mul_i32_i24_e32 v90, v49, v171
	v_mul_i32_i24_e32 v95, v55, v177
	v_mul_i32_i24_e32 v92, v51, v173
	v_add3_u32 v76, v76, v86, v91
	v_mul_i32_i24_e32 v93, v52, v175
	v_bfe_i32 v56, v112, 8, 8
	v_bfe_i32 v57, v112, 16, 8
	v_mul_i32_i24_e32 v94, v53, v176
	v_add3_u32 v76, v76, v88, v89
	v_mul_i32_i24_e32 v100, v60, v181
	v_ashrrev_i32_e32 v58, 24, v112
	v_bfe_i32 v69, v113, 0, 8
	v_mul_i32_i24_e32 v96, v56, v178
	v_add3_u32 v76, v76, v90, v95
	v_mul_i32_i24_e32 v97, v57, v166
	v_mul_i32_i24_e32 v99, v58, v179
	;; [unrolled: 1-line block ×3, first 2 shown]
	v_bfe_i32 v71, v113, 8, 8
	v_add3_u32 v76, v76, v92, v93
	v_mul_i32_i24_e32 v101, v61, v182
	v_mul_i32_i24_e32 v102, v65, v183
	v_bfe_i32 v73, v113, 16, 8
	v_ashrrev_i32_e32 v74, 24, v113
	v_add3_u32 v76, v76, v94, v100
	v_mul_i32_i24_e32 v103, v68, v184
	v_mul_i32_i24_e32 v110, v71, v186
	;; [unrolled: 1-line block ×4, first 2 shown]
	v_add3_u32 v76, v76, v96, v97
	v_pk_mul_f16 v77, v152, v20
	v_mul_i32_i24_e32 v78, v75, v192
	v_mul_i32_i24_e32 v79, v254, v193
	v_mul_i32_i24_e32 v83, v105, v196
	v_add3_u32 v76, v76, v99, v104
	v_mul_i32_i24_e32 v80, v255, v194
	v_mul_i32_i24_e32 v81, v39, v187
	v_mul_i32_i24_e32 v82, v98, v195
	v_mul_i32_i24_e32 v87, v109, v201
	v_add3_u32 v76, v76, v101, v102
	v_mul_i32_i24_e32 v84, v106, v197
	;; [unrolled: 5-line block ×4, first 2 shown]
	v_mul_i32_i24_e32 v93, v52, v208
	v_mul_i32_i24_e32 v94, v53, v209
	;; [unrolled: 1-line block ×3, first 2 shown]
	v_cvt_f32_i32_e32 v76, v76
	v_mul_i32_i24_e32 v96, v56, v211
	v_mul_i32_i24_e32 v97, v57, v200
	;; [unrolled: 1-line block ×4, first 2 shown]
	v_fma_mix_f32 v76, v77, v76, v77 op_sel:[0,0,1] op_sel_hi:[1,0,1]
	v_mul_i32_i24_e32 v77, v70, v190
	v_mul_i32_i24_e32 v101, v61, v214
	v_mul_i32_i24_e32 v102, v65, v215
	v_mul_i32_i24_e32 v103, v68, v216
	v_add_f32_e32 v24, v24, v76
	v_mul_i32_i24_e32 v76, v45, v189
	v_mul_i32_i24_e32 v110, v71, v218
	;; [unrolled: 1-line block ×5, first 2 shown]
	v_mad_i32_i24 v76, v19, v170, v76
	v_mul_i32_i24_e32 v153, v70, v252
	s_delay_alu instid0(VALU_DEP_2)
	v_add3_u32 v76, v76, v77, v78
	v_pk_mul_f16 v77, v154, v20
	v_mul_i32_i24_e32 v78, v75, v224
	v_mul_i32_i24_e32 v154, v75, v253
	;; [unrolled: 1-line block ×3, first 2 shown]
	v_add3_u32 v76, v76, v79, v83
	v_mul_i32_i24_e32 v79, v254, v225
	v_mul_i32_i24_e32 v83, v105, v228
	s_delay_alu instid0(VALU_DEP_3) | instskip(SKIP_3) | instid1(VALU_DEP_4)
	v_add3_u32 v76, v76, v80, v81
	v_mul_i32_i24_e32 v80, v255, v226
	v_mul_i32_i24_e32 v81, v39, v219
	;; [unrolled: 1-line block ×3, first 2 shown]
	v_add3_u32 v76, v76, v82, v87
	v_mul_i32_i24_e32 v82, v98, v227
	v_mul_i32_i24_e32 v87, v109, v233
	s_delay_alu instid0(VALU_DEP_3) | instskip(SKIP_2) | instid1(VALU_DEP_3)
	v_add3_u32 v76, v76, v84, v85
	v_mul_i32_i24_e32 v84, v106, v229
	v_mul_i32_i24_e32 v85, v107, v230
	v_add3_u32 v76, v76, v86, v91
	v_mul_i32_i24_e32 v86, v108, v231
	v_mul_i32_i24_e32 v91, v50, v236
	v_mul_i32_i24_e32 v50, v50, v137
	s_delay_alu instid0(VALU_DEP_4)
	v_add3_u32 v76, v76, v88, v89
	v_mul_i32_i24_e32 v88, v38, v234
	v_mul_i32_i24_e32 v89, v47, v223
	v_mul_i32_i24_e32 v38, v38, v135
	v_mul_i32_i24_e32 v47, v47, v125
	v_add3_u32 v76, v76, v90, v95
	v_mul_i32_i24_e32 v90, v49, v235
	v_mul_i32_i24_e32 v95, v55, v241
	v_mul_i32_i24_e32 v49, v49, v136
	v_mul_i32_i24_e32 v55, v55, v142
	;; [unrolled: 5-line block ×9, first 2 shown]
	v_cvt_f32_i32_e32 v76, v76
	s_delay_alu instid0(VALU_DEP_1) | instskip(SKIP_2) | instid1(VALU_DEP_3)
	v_fma_mix_f32 v76, v77, v76, v77 op_sel:[0,0,1] op_sel_hi:[1,0,1]
	v_mul_i32_i24_e32 v77, v70, v222
	v_mul_i32_i24_e32 v70, v255, v127
	v_add_f32_e32 v23, v23, v76
	v_mul_i32_i24_e32 v76, v45, v221
	v_mul_i32_i24_e32 v45, v254, v126
	s_delay_alu instid0(VALU_DEP_2) | instskip(SKIP_1) | instid1(VALU_DEP_2)
	v_mad_i32_i24 v76, v19, v204, v76
	v_mad_i32_i24 v19, v19, v123, v152
	v_add3_u32 v76, v76, v77, v78
	v_pk_mul_f16 v77, v180, v20
	s_delay_alu instid0(VALU_DEP_3) | instskip(SKIP_4) | instid1(VALU_DEP_2)
	v_add3_u32 v19, v19, v153, v154
	v_mul_i32_i24_e32 v78, v107, v131
	v_pk_mul_f16 v20, v122, v20
	v_add3_u32 v76, v76, v79, v83
	v_mul_i32_i24_e32 v79, v108, v132
	v_add3_u32 v76, v76, v80, v81
	v_mul_i32_i24_e32 v80, v109, v134
	s_delay_alu instid0(VALU_DEP_2) | instskip(NEXT) | instid1(VALU_DEP_1)
	v_add3_u32 v76, v76, v82, v87
	v_add3_u32 v76, v76, v84, v85
	s_delay_alu instid0(VALU_DEP_1) | instskip(NEXT) | instid1(VALU_DEP_1)
	v_add3_u32 v76, v76, v86, v91
	v_add3_u32 v76, v76, v88, v89
	s_delay_alu instid0(VALU_DEP_1) | instskip(NEXT) | instid1(VALU_DEP_1)
	v_add3_u32 v76, v76, v90, v95
	v_add3_u32 v76, v76, v92, v93
	s_delay_alu instid0(VALU_DEP_1) | instskip(NEXT) | instid1(VALU_DEP_1)
	v_add3_u32 v76, v76, v94, v100
	v_add3_u32 v76, v76, v96, v97
	s_delay_alu instid0(VALU_DEP_1) | instskip(NEXT) | instid1(VALU_DEP_1)
	v_add3_u32 v76, v76, v99, v104
	v_add3_u32 v76, v76, v101, v102
	s_delay_alu instid0(VALU_DEP_1) | instskip(NEXT) | instid1(VALU_DEP_1)
	v_add3_u32 v76, v76, v103, v110
	v_add3_u32 v76, v76, v111, v112
	s_delay_alu instid0(VALU_DEP_1) | instskip(NEXT) | instid1(VALU_DEP_1)
	v_cvt_f32_i32_e32 v76, v76
	v_fma_mix_f32 v76, v77, v76, v77 op_sel:[0,0,1] op_sel_hi:[1,0,1]
	v_mul_i32_i24_e32 v77, v106, v130
	s_delay_alu instid0(VALU_DEP_2) | instskip(SKIP_1) | instid1(VALU_DEP_1)
	v_add_f32_e32 v22, v22, v76
	v_mul_i32_i24_e32 v76, v105, v129
	v_add3_u32 v19, v19, v45, v76
	s_delay_alu instid0(VALU_DEP_1) | instskip(NEXT) | instid1(VALU_DEP_1)
	v_add3_u32 v19, v19, v70, v39
	v_add3_u32 v19, v19, v75, v80
	s_delay_alu instid0(VALU_DEP_1) | instskip(NEXT) | instid1(VALU_DEP_1)
	v_add3_u32 v19, v19, v77, v78
	;; [unrolled: 3-line block ×7, first 2 shown]
	v_cvt_f32_i32_e32 v19, v19
	s_delay_alu instid0(VALU_DEP_1) | instskip(NEXT) | instid1(VALU_DEP_1)
	v_fma_mix_f32 v19, v20, v19, v20 op_sel:[0,0,1] op_sel_hi:[1,0,1]
	v_add_f32_e32 v21, v21, v19
	s_cbranch_scc1 .LBB160_7
; %bb.8:                                ;   in Loop: Header=BB160_6 Depth=1
	s_or_b32 s7, s5, 4
	s_delay_alu instid0(SALU_CYCLE_1)
	s_cmp_ge_i32 s7, s4
	s_barrier
	buffer_gl0_inv
	s_cbranch_scc1 .LBB160_5
; %bb.9:                                ;   in Loop: Header=BB160_6 Depth=1
	scratch_load_b32 v19, off, off offset:208 ; 4-byte Folded Reload
	s_mov_b32 s7, 12
	s_waitcnt vmcnt(0)
	v_add_nc_u32_e32 v45, s5, v19
	scratch_load_b32 v19, off, off offset:4 ; 4-byte Folded Reload
	s_waitcnt vmcnt(0)
	v_add_nc_u32_e32 v38, v45, v19
	scratch_load_b32 v19, off, off offset:12 ; 4-byte Folded Reload
	;; [unrolled: 3-line block ×4, first 2 shown]
	v_mad_i64_i32 v[49:50], null, v51, 36, v[16:17]
	s_waitcnt vmcnt(0)
	v_add_nc_u32_e32 v53, v45, v19
	v_mad_i64_i32 v[19:20], null, v38, 36, v[16:17]
	v_mad_i64_i32 v[38:39], null, v47, 36, v[16:17]
	scratch_load_b32 v47, off, off offset:36 ; 4-byte Folded Reload
	v_mad_i64_i32 v[51:52], null, v53, 36, v[16:17]
	scratch_load_b32 v53, off, off offset:44 ; 4-byte Folded Reload
	s_waitcnt vmcnt(1)
	v_add_nc_u32_e32 v47, v45, v47
	s_waitcnt vmcnt(0)
	v_add_nc_u32_e32 v53, v45, v53
	s_delay_alu instid0(VALU_DEP_2)
	v_mad_i64_i32 v[55:56], null, v47, 36, v[16:17]
	scratch_load_b32 v47, off, off offset:52 ; 4-byte Folded Reload
	v_mad_i64_i32 v[57:58], null, v53, 36, v[16:17]
	scratch_load_b32 v53, off, off offset:60 ; 4-byte Folded Reload
	s_waitcnt vmcnt(1)
	v_add_nc_u32_e32 v47, v45, v47
	s_waitcnt vmcnt(0)
	v_add_nc_u32_e32 v45, v45, v53
	v_add_nc_u32_e32 v53, 4, v114
	s_delay_alu instid0(VALU_DEP_3) | instskip(NEXT) | instid1(VALU_DEP_3)
	v_mad_i64_i32 v[60:61], null, v47, 36, v[16:17]
	v_mad_i64_i32 v[68:69], null, v45, 36, v[16:17]
	s_delay_alu instid0(VALU_DEP_3)
	v_mad_u64_u32 v[73:74], null, v53, 36, s[2:3]
	s_clause 0x8
	global_load_b32 v19, v[19:20], off offset:4
	global_load_b32 v20, v[38:39], off offset:4
	;; [unrolled: 1-line block ×8, first 2 shown]
	global_load_b32 v51, v[73:74], off
	s_clause 0x7
	scratch_load_b32 v114, off, off offset:72
	scratch_load_b32 v115, off, off offset:68
	;; [unrolled: 1-line block ×8, first 2 shown]
	s_waitcnt vmcnt(0)
	ds_store_b32 v52, v19
	scratch_load_b32 v19, off, off offset:16 ; 4-byte Folded Reload
	s_waitcnt vmcnt(0)
	ds_store_b32 v19, v20
	scratch_load_b32 v19, off, off offset:24 ; 4-byte Folded Reload
	;; [unrolled: 3-line block ×7, first 2 shown]
	s_waitcnt vmcnt(0)
	ds_store_b32 v19, v50
	scratch_load_b32 v19, off, off          ; 4-byte Folded Reload
	s_waitcnt vmcnt(0)
	ds_store_b32 v19, v51
	s_waitcnt lgkmcnt(0)
	s_barrier
	buffer_gl0_inv
.LBB160_10:                             ;   Parent Loop BB160_6 Depth=1
                                        ; =>  This Inner Loop Header: Depth=2
	ds_load_b128 v[49:52], v115
	ds_load_b128 v[55:58], v115 offset:16
	ds_load_2addr_b32 v[19:20], v114 offset1:32
	ds_load_b32 v151, v116
	ds_load_2addr_b32 v[38:39], v119 offset1:1
	v_add_nc_u32_e32 v116, 4, v116
	s_add_i32 s7, s7, 4
	s_delay_alu instid0(SALU_CYCLE_1)
	s_cmp_lt_u32 s7, 28
	s_waitcnt lgkmcnt(4)
	v_bfe_i32 v45, v49, 0, 8
	s_waitcnt lgkmcnt(3)
	v_bfe_i32 v60, v55, 0, 8
	v_bfe_i32 v68, v50, 0, 8
	s_waitcnt lgkmcnt(0)
	v_bfe_u32 v154, v38, 20, 4
	v_and_b32_e32 v155, 15, v38
	v_bfe_u32 v156, v38, 8, 4
	v_bfe_u32 v158, v38, 16, 4
	;; [unrolled: 1-line block ×5, first 2 shown]
	v_lshrrev_b32_e32 v161, 28, v38
	v_bfe_u32 v157, v39, 20, 4
	v_and_b32_e32 v162, 15, v39
	v_bfe_u32 v163, v39, 8, 4
	v_bfe_u32 v164, v39, 16, 4
	;; [unrolled: 1-line block ×5, first 2 shown]
	v_lshrrev_b32_e32 v170, 28, v39
	ds_load_2addr_b32 v[38:39], v119 offset0:2 offset1:3
	v_bfe_i32 v71, v56, 0, 8
	v_mul_i32_i24_e32 v87, v155, v45
	v_bfe_i32 v47, v49, 8, 8
	v_bfe_i32 v75, v51, 0, 8
	v_mul_i32_i24_e32 v94, v162, v68
	v_mul_i32_i24_e32 v98, v167, v71
	v_mad_i32_i24 v87, v152, v60, v87
	v_bfe_i32 v53, v49, 16, 8
	v_ashrrev_i32_e32 v49, 24, v49
	v_mul_i32_i24_e32 v88, v156, v47
	v_bfe_i32 v78, v57, 0, 8
	v_add3_u32 v87, v87, v94, v98
	v_bfe_i32 v81, v52, 0, 8
	v_mul_i32_i24_e32 v89, v158, v53
	v_mul_i32_i24_e32 v90, v159, v49
	v_bfe_i32 v61, v55, 8, 8
	v_bfe_i32 v65, v55, 16, 8
	v_ashrrev_i32_e32 v55, 24, v55
	v_bfe_i32 v69, v50, 8, 8
	s_waitcnt lgkmcnt(0)
	v_and_b32_e32 v171, 15, v38
	v_bfe_u32 v176, v38, 4, 4
	v_and_b32_e32 v180, 15, v39
	v_mul_i32_i24_e32 v91, v160, v61
	v_mul_i32_i24_e32 v92, v154, v65
	;; [unrolled: 1-line block ×5, first 2 shown]
	v_bfe_i32 v70, v50, 16, 8
	v_ashrrev_i32_e32 v50, 24, v50
	v_add3_u32 v87, v87, v102, v88
	v_mul_i32_i24_e32 v93, v161, v55
	v_mul_i32_i24_e32 v95, v163, v69
	v_bfe_i32 v73, v56, 8, 8
	v_bfe_i32 v84, v58, 0, 8
	v_add3_u32 v87, v87, v89, v90
	v_mul_i32_i24_e32 v96, v164, v70
	v_mul_i32_i24_e32 v97, v166, v50
	v_bfe_u32 v184, v39, 4, 4
	v_bfe_i32 v74, v56, 16, 8
	v_add3_u32 v87, v87, v106, v109
	v_ashrrev_i32_e32 v56, 24, v56
	v_mul_i32_i24_e32 v99, v168, v73
	v_mul_i32_i24_e32 v113, v184, v84
	v_bfe_i32 v76, v51, 8, 8
	v_add3_u32 v87, v87, v91, v92
	v_bfe_i32 v77, v51, 16, 8
	v_mul_i32_i24_e32 v100, v157, v74
	v_mul_i32_i24_e32 v101, v170, v56
	v_bfe_u32 v172, v38, 8, 4
	v_add3_u32 v87, v87, v93, v95
	v_bfe_u32 v174, v38, 16, 4
	v_ashrrev_i32_e32 v51, 24, v51
	v_bfe_i32 v79, v57, 8, 8
	v_mul_i32_i24_e32 v103, v172, v76
	v_add3_u32 v87, v87, v96, v97
	v_mul_i32_i24_e32 v104, v174, v77
	v_bfe_u32 v175, v38, 24, 4
	v_bfe_u32 v177, v38, 12, 4
	v_bfe_i32 v80, v57, 16, 8
	v_add3_u32 v87, v87, v113, v99
	v_ashrrev_i32_e32 v57, 24, v57
	v_bfe_u32 v165, v38, 20, 4
	v_mul_i32_i24_e32 v105, v175, v51
	v_mul_i32_i24_e32 v107, v177, v79
	v_add3_u32 v87, v87, v100, v101
	v_lshrrev_b32_e32 v178, 28, v38
	v_bfe_i32 v82, v52, 8, 8
	v_bfe_i32 v83, v52, 16, 8
	v_mul_i32_i24_e32 v108, v165, v80
	v_add3_u32 v87, v87, v103, v104
	v_mul_i32_i24_e32 v38, v178, v57
	v_bfe_u32 v181, v39, 8, 4
	v_bfe_u32 v182, v39, 16, 4
	v_ashrrev_i32_e32 v52, 24, v52
	v_add3_u32 v87, v87, v105, v107
	v_bfe_i32 v85, v58, 8, 8
	v_mul_i32_i24_e32 v110, v181, v82
	v_mul_i32_i24_e32 v111, v182, v83
	v_bfe_u32 v183, v39, 24, 4
	v_bfe_u32 v185, v39, 12, 4
	v_add3_u32 v38, v87, v108, v38
	v_bfe_i32 v86, v58, 16, 8
	v_ashrrev_i32_e32 v58, 24, v58
	v_bfe_u32 v173, v39, 20, 4
	v_mul_i32_i24_e32 v112, v183, v52
	v_mul_i32_i24_e32 v121, v185, v85
	v_lshrrev_b32_e32 v187, 28, v39
	v_add3_u32 v38, v38, v110, v111
	v_mul_i32_i24_e32 v122, v173, v86
	s_delay_alu instid0(VALU_DEP_3) | instskip(NEXT) | instid1(VALU_DEP_3)
	v_mul_i32_i24_e32 v39, v187, v58
	v_add3_u32 v38, v38, v112, v121
	s_delay_alu instid0(VALU_DEP_1) | instskip(SKIP_1) | instid1(VALU_DEP_2)
	v_add3_u32 v38, v38, v122, v39
	v_pk_mul_f16 v39, v19, v151
	v_cvt_f32_i32_e32 v38, v38
	s_delay_alu instid0(VALU_DEP_1) | instskip(NEXT) | instid1(VALU_DEP_1)
	v_fma_mix_f32 v38, v39, v38, v39 op_sel:[0,0,1] op_sel_hi:[1,0,1]
	v_dual_add_f32 v41, v41, v38 :: v_dual_add_nc_u32 v38, 0x1080, v119
	ds_load_b32 v153, v117
	ds_load_2addr_b32 v[38:39], v38 offset1:1
	v_add_nc_u32_e32 v117, 4, v117
	s_waitcnt lgkmcnt(0)
	v_bfe_u32 v186, v38, 20, 4
	v_and_b32_e32 v188, 15, v38
	v_bfe_u32 v189, v38, 8, 4
	v_bfe_u32 v191, v38, 16, 4
	;; [unrolled: 1-line block ×5, first 2 shown]
	v_lshrrev_b32_e32 v194, 28, v38
	v_add_nc_u32_e32 v38, 0x1088, v119
	v_bfe_u32 v190, v39, 20, 4
	v_and_b32_e32 v195, 15, v39
	v_bfe_u32 v196, v39, 8, 4
	v_bfe_u32 v197, v39, 16, 4
	;; [unrolled: 1-line block ×5, first 2 shown]
	v_lshrrev_b32_e32 v202, 28, v39
	ds_load_2addr_b32 v[38:39], v38 offset1:1
	v_mul_i32_i24_e32 v87, v188, v45
	v_mul_i32_i24_e32 v94, v195, v68
	;; [unrolled: 1-line block ×5, first 2 shown]
	v_mad_i32_i24 v87, v169, v60, v87
	v_mul_i32_i24_e32 v90, v192, v49
	v_mul_i32_i24_e32 v91, v193, v61
	v_mul_i32_i24_e32 v92, v186, v65
	v_mul_i32_i24_e32 v93, v194, v55
	v_add3_u32 v87, v87, v94, v98
	v_mul_i32_i24_e32 v95, v196, v69
	v_mul_i32_i24_e32 v96, v197, v70
	;; [unrolled: 1-line block ×6, first 2 shown]
	s_waitcnt lgkmcnt(0)
	v_and_b32_e32 v204, 15, v38
	v_bfe_u32 v209, v38, 4, 4
	v_and_b32_e32 v212, 15, v39
	v_bfe_u32 v216, v39, 4, 4
	v_bfe_u32 v205, v38, 8, 4
	v_mul_i32_i24_e32 v102, v204, v75
	v_mul_i32_i24_e32 v106, v209, v78
	;; [unrolled: 1-line block ×4, first 2 shown]
	v_bfe_u32 v207, v38, 16, 4
	v_add3_u32 v87, v87, v102, v88
	v_mul_i32_i24_e32 v103, v205, v76
	v_bfe_u32 v208, v38, 24, 4
	v_bfe_u32 v210, v38, 12, 4
	v_mul_i32_i24_e32 v104, v207, v77
	v_add3_u32 v87, v87, v89, v90
	v_bfe_u32 v199, v38, 20, 4
	v_mul_i32_i24_e32 v105, v208, v51
	v_mul_i32_i24_e32 v107, v210, v79
	v_lshrrev_b32_e32 v211, 28, v38
	v_add3_u32 v87, v87, v106, v109
	v_mul_i32_i24_e32 v108, v199, v80
	v_bfe_u32 v213, v39, 8, 4
	v_bfe_u32 v214, v39, 16, 4
	v_mul_i32_i24_e32 v38, v211, v57
	v_add3_u32 v87, v87, v91, v92
	v_bfe_u32 v215, v39, 24, 4
	v_mul_i32_i24_e32 v110, v213, v82
	v_mul_i32_i24_e32 v111, v214, v83
	v_bfe_u32 v217, v39, 12, 4
	v_add3_u32 v87, v87, v93, v95
	v_bfe_u32 v206, v39, 20, 4
	v_mul_i32_i24_e32 v112, v215, v52
	v_lshrrev_b32_e32 v219, 28, v39
	v_mul_i32_i24_e32 v121, v217, v85
	v_add3_u32 v87, v87, v96, v97
	v_mul_i32_i24_e32 v122, v206, v86
	s_delay_alu instid0(VALU_DEP_4) | instskip(NEXT) | instid1(VALU_DEP_3)
	v_mul_i32_i24_e32 v39, v219, v58
	v_add3_u32 v87, v87, v113, v99
	s_delay_alu instid0(VALU_DEP_1) | instskip(NEXT) | instid1(VALU_DEP_1)
	v_add3_u32 v87, v87, v100, v101
	v_add3_u32 v87, v87, v103, v104
	s_delay_alu instid0(VALU_DEP_1) | instskip(NEXT) | instid1(VALU_DEP_1)
	v_add3_u32 v87, v87, v105, v107
	;; [unrolled: 3-line block ×3, first 2 shown]
	v_add3_u32 v38, v38, v112, v121
	s_delay_alu instid0(VALU_DEP_1) | instskip(SKIP_1) | instid1(VALU_DEP_2)
	v_add3_u32 v38, v38, v122, v39
	v_pk_mul_f16 v39, v19, v153
	v_cvt_f32_i32_e32 v38, v38
	s_delay_alu instid0(VALU_DEP_1) | instskip(NEXT) | instid1(VALU_DEP_1)
	v_fma_mix_f32 v38, v39, v38, v39 op_sel:[0,0,1] op_sel_hi:[1,0,1]
	v_add_f32_e32 v72, v72, v38
	v_add_nc_u32_e32 v38, 0x2100, v119
	ds_load_b32 v179, v118
	ds_load_2addr_b32 v[38:39], v38 offset1:1
	v_add_nc_u32_e32 v118, 4, v118
	s_waitcnt lgkmcnt(0)
	v_bfe_u32 v218, v38, 20, 4
	v_and_b32_e32 v220, 15, v38
	v_bfe_u32 v221, v38, 8, 4
	v_bfe_u32 v223, v38, 16, 4
	;; [unrolled: 1-line block ×5, first 2 shown]
	v_lshrrev_b32_e32 v226, 28, v38
	v_add_nc_u32_e32 v38, 0x2108, v119
	v_bfe_u32 v222, v39, 20, 4
	v_and_b32_e32 v227, 15, v39
	v_bfe_u32 v228, v39, 8, 4
	v_bfe_u32 v229, v39, 16, 4
	;; [unrolled: 1-line block ×5, first 2 shown]
	v_lshrrev_b32_e32 v234, 28, v39
	ds_load_2addr_b32 v[38:39], v38 offset1:1
	v_mul_i32_i24_e32 v87, v220, v45
	v_mul_i32_i24_e32 v94, v227, v68
	;; [unrolled: 1-line block ×5, first 2 shown]
	v_mad_i32_i24 v87, v203, v60, v87
	v_mul_i32_i24_e32 v90, v224, v49
	v_mul_i32_i24_e32 v91, v225, v61
	;; [unrolled: 1-line block ×4, first 2 shown]
	v_add3_u32 v87, v87, v94, v98
	v_mul_i32_i24_e32 v95, v228, v69
	v_mul_i32_i24_e32 v96, v229, v70
	;; [unrolled: 1-line block ×6, first 2 shown]
	s_waitcnt lgkmcnt(0)
	v_and_b32_e32 v235, 15, v38
	v_bfe_u32 v240, v38, 4, 4
	v_and_b32_e32 v243, 15, v39
	v_bfe_u32 v247, v39, 4, 4
	v_bfe_u32 v236, v38, 8, 4
	v_mul_i32_i24_e32 v102, v235, v75
	v_mul_i32_i24_e32 v106, v240, v78
	;; [unrolled: 1-line block ×4, first 2 shown]
	v_bfe_u32 v238, v38, 16, 4
	v_add3_u32 v87, v87, v102, v88
	v_mul_i32_i24_e32 v103, v236, v76
	v_bfe_u32 v239, v38, 24, 4
	v_bfe_u32 v241, v38, 12, 4
	v_mul_i32_i24_e32 v104, v238, v77
	v_add3_u32 v87, v87, v89, v90
	v_bfe_u32 v231, v38, 20, 4
	v_mul_i32_i24_e32 v105, v239, v51
	v_mul_i32_i24_e32 v107, v241, v79
	v_lshrrev_b32_e32 v242, 28, v38
	v_add3_u32 v87, v87, v106, v109
	v_mul_i32_i24_e32 v108, v231, v80
	v_bfe_u32 v244, v39, 8, 4
	v_bfe_u32 v245, v39, 16, 4
	v_mul_i32_i24_e32 v38, v242, v57
	v_add3_u32 v87, v87, v91, v92
	v_bfe_u32 v246, v39, 24, 4
	v_mul_i32_i24_e32 v110, v244, v82
	v_mul_i32_i24_e32 v111, v245, v83
	v_bfe_u32 v248, v39, 12, 4
	v_add3_u32 v87, v87, v93, v95
	v_bfe_u32 v237, v39, 20, 4
	v_mul_i32_i24_e32 v112, v246, v52
	v_lshrrev_b32_e32 v249, 28, v39
	v_mul_i32_i24_e32 v121, v248, v85
	v_add3_u32 v87, v87, v96, v97
	v_mul_i32_i24_e32 v122, v237, v86
	s_delay_alu instid0(VALU_DEP_4) | instskip(NEXT) | instid1(VALU_DEP_3)
	v_mul_i32_i24_e32 v39, v249, v58
	v_add3_u32 v87, v87, v113, v99
	s_delay_alu instid0(VALU_DEP_1) | instskip(NEXT) | instid1(VALU_DEP_1)
	v_add3_u32 v87, v87, v100, v101
	v_add3_u32 v87, v87, v103, v104
	s_delay_alu instid0(VALU_DEP_1) | instskip(NEXT) | instid1(VALU_DEP_1)
	v_add3_u32 v87, v87, v105, v107
	;; [unrolled: 3-line block ×3, first 2 shown]
	v_add3_u32 v38, v38, v112, v121
	s_delay_alu instid0(VALU_DEP_1) | instskip(SKIP_1) | instid1(VALU_DEP_2)
	v_add3_u32 v38, v38, v122, v39
	v_pk_mul_f16 v39, v19, v179
	v_cvt_f32_i32_e32 v38, v38
	s_delay_alu instid0(VALU_DEP_1) | instskip(NEXT) | instid1(VALU_DEP_1)
	v_fma_mix_f32 v38, v39, v38, v39 op_sel:[0,0,1] op_sel_hi:[1,0,1]
	v_dual_add_f32 v67, v67, v38 :: v_dual_add_nc_u32 v38, 0x3180, v119
	ds_load_b32 v121, v120
	ds_load_2addr_b32 v[38:39], v38 offset1:1
	v_add_nc_u32_e32 v120, 4, v120
	s_waitcnt lgkmcnt(1)
	v_pk_mul_f16 v19, v19, v121
	s_waitcnt lgkmcnt(0)
	v_bfe_u32 v123, v38, 20, 4
	v_and_b32_e32 v250, 15, v38
	v_bfe_u32 v251, v38, 8, 4
	v_bfe_u32 v252, v38, 16, 4
	;; [unrolled: 1-line block ×5, first 2 shown]
	v_lshrrev_b32_e32 v127, 28, v38
	v_add_nc_u32_e32 v38, 0x3188, v119
	v_bfe_u32 v124, v39, 20, 4
	v_and_b32_e32 v128, 15, v39
	v_bfe_u32 v129, v39, 8, 4
	v_bfe_u32 v130, v39, 16, 4
	;; [unrolled: 1-line block ×5, first 2 shown]
	v_lshrrev_b32_e32 v135, 28, v39
	ds_load_2addr_b32 v[38:39], v38 offset1:1
	v_mul_i32_i24_e32 v45, v250, v45
	v_mul_i32_i24_e32 v68, v128, v68
	;; [unrolled: 1-line block ×5, first 2 shown]
	v_mad_i32_i24 v45, v122, v60, v45
	v_mul_i32_i24_e32 v49, v125, v49
	v_mul_i32_i24_e32 v61, v126, v61
	;; [unrolled: 1-line block ×4, first 2 shown]
	v_add3_u32 v45, v45, v68, v71
	v_mul_i32_i24_e32 v69, v129, v69
	v_mul_i32_i24_e32 v70, v130, v70
	;; [unrolled: 1-line block ×6, first 2 shown]
	v_add_nc_u32_e32 v119, 16, v119
	s_waitcnt lgkmcnt(0)
	v_and_b32_e32 v136, 15, v38
	v_bfe_u32 v141, v38, 4, 4
	v_lshrrev_b32_e32 v143, 28, v38
	v_and_b32_e32 v144, 15, v39
	v_bfe_u32 v132, v38, 20, 4
	v_mul_i32_i24_e32 v75, v136, v75
	v_bfe_u32 v137, v38, 8, 4
	v_bfe_u32 v139, v38, 16, 4
	;; [unrolled: 1-line block ×3, first 2 shown]
	v_mul_i32_i24_e32 v78, v141, v78
	v_add3_u32 v45, v45, v75, v47
	v_bfe_u32 v142, v38, 12, 4
	v_mul_i32_i24_e32 v38, v143, v57
	v_mul_i32_i24_e32 v57, v144, v81
	v_bfe_u32 v145, v39, 8, 4
	v_add3_u32 v45, v45, v53, v49
	v_bfe_u32 v146, v39, 16, 4
	v_bfe_u32 v148, v39, 4, 4
	v_mul_i32_i24_e32 v76, v137, v76
	v_mul_i32_i24_e32 v81, v145, v82
	v_add3_u32 v45, v45, v78, v57
	v_mul_i32_i24_e32 v82, v146, v83
	v_mul_i32_i24_e32 v83, v148, v84
	;; [unrolled: 1-line block ×4, first 2 shown]
	v_add3_u32 v45, v45, v61, v65
	v_mul_i32_i24_e32 v79, v142, v79
	v_mul_i32_i24_e32 v80, v132, v80
	v_bfe_u32 v147, v39, 24, 4
	v_bfe_u32 v149, v39, 12, 4
	v_add3_u32 v45, v45, v55, v69
	v_bfe_u32 v138, v39, 20, 4
	v_lshrrev_b32_e32 v150, 28, v39
	v_mul_i32_i24_e32 v52, v147, v52
	v_mul_i32_i24_e32 v84, v149, v85
	v_add3_u32 v45, v45, v70, v50
	v_mul_i32_i24_e32 v85, v138, v86
	v_mul_i32_i24_e32 v39, v150, v58
	s_delay_alu instid0(VALU_DEP_3) | instskip(NEXT) | instid1(VALU_DEP_1)
	v_add3_u32 v45, v45, v83, v73
	v_add3_u32 v45, v45, v74, v56
	s_delay_alu instid0(VALU_DEP_1) | instskip(NEXT) | instid1(VALU_DEP_1)
	v_add3_u32 v45, v45, v76, v77
	v_add3_u32 v45, v45, v51, v79
	s_delay_alu instid0(VALU_DEP_1) | instskip(NEXT) | instid1(VALU_DEP_1)
	v_add3_u32 v38, v45, v80, v38
	v_add3_u32 v38, v38, v81, v82
	s_delay_alu instid0(VALU_DEP_1) | instskip(SKIP_3) | instid1(VALU_DEP_1)
	v_add3_u32 v38, v38, v52, v84
	ds_load_b128 v[49:52], v115 offset:1024
	ds_load_b128 v[55:58], v115 offset:1040
	v_add3_u32 v38, v38, v85, v39
	v_cvt_f32_i32_e32 v38, v38
	s_delay_alu instid0(VALU_DEP_1) | instskip(NEXT) | instid1(VALU_DEP_1)
	v_fma_mix_f32 v19, v19, v38, v19 op_sel:[0,0,1] op_sel_hi:[1,0,1]
	v_add_f32_e32 v66, v66, v19
	s_waitcnt lgkmcnt(1)
	v_bfe_i32 v19, v49, 0, 8
	v_bfe_i32 v38, v49, 8, 8
	v_bfe_i32 v39, v49, 16, 8
	s_waitcnt lgkmcnt(0)
	v_bfe_i32 v47, v55, 0, 8
	v_ashrrev_i32_e32 v45, 24, v49
	v_mul_i32_i24_e32 v84, v19, v155
	v_bfe_i32 v60, v50, 0, 8
	v_mul_i32_i24_e32 v85, v38, v156
	v_mul_i32_i24_e32 v86, v39, v158
	v_bfe_i32 v49, v55, 8, 8
	v_mad_i32_i24 v84, v47, v152, v84
	v_bfe_i32 v53, v55, 16, 8
	v_mul_i32_i24_e32 v87, v45, v159
	v_mul_i32_i24_e32 v91, v60, v162
	v_ashrrev_i32_e32 v55, 24, v55
	v_add3_u32 v84, v84, v85, v86
	v_bfe_i32 v68, v56, 0, 8
	v_mul_i32_i24_e32 v88, v49, v160
	v_mul_i32_i24_e32 v89, v53, v154
	v_bfe_i32 v61, v50, 8, 8
	v_add3_u32 v84, v84, v87, v91
	v_bfe_i32 v65, v50, 16, 8
	v_mul_i32_i24_e32 v90, v55, v161
	v_mul_i32_i24_e32 v95, v68, v167
	v_ashrrev_i32_e32 v50, 24, v50
	v_add3_u32 v84, v84, v88, v89
	v_bfe_i32 v71, v51, 0, 8
	v_mul_i32_i24_e32 v92, v61, v163
	v_mul_i32_i24_e32 v93, v65, v164
	v_bfe_i32 v69, v56, 8, 8
	v_add3_u32 v84, v84, v90, v95
	;; [unrolled: 10-line block ×6, first 2 shown]
	v_ashrrev_i32_e32 v58, 24, v58
	v_mul_i32_i24_e32 v110, v52, v183
	v_mul_i32_i24_e32 v112, v82, v185
	;; [unrolled: 1-line block ×3, first 2 shown]
	v_add3_u32 v84, v84, v108, v109
	v_mul_i32_i24_e32 v253, v58, v187
	v_pk_mul_f16 v85, v151, v20
	v_mul_i32_i24_e32 v86, v39, v191
	v_mul_i32_i24_e32 v87, v45, v192
	v_add3_u32 v84, v84, v110, v112
	v_mul_i32_i24_e32 v91, v60, v195
	v_mul_i32_i24_e32 v88, v49, v193
	;; [unrolled: 1-line block ×4, first 2 shown]
	v_add3_u32 v84, v84, v113, v253
	v_mul_i32_i24_e32 v95, v68, v200
	v_mul_i32_i24_e32 v92, v61, v196
	;; [unrolled: 1-line block ×4, first 2 shown]
	v_cvt_f32_i32_e32 v84, v84
	v_mul_i32_i24_e32 v99, v71, v204
	v_mul_i32_i24_e32 v96, v69, v201
	;; [unrolled: 1-line block ×4, first 2 shown]
	v_fma_mix_f32 v84, v85, v84, v85 op_sel:[0,0,1] op_sel_hi:[1,0,1]
	v_mul_i32_i24_e32 v85, v38, v189
	v_mul_i32_i24_e32 v103, v75, v209
	v_mul_i32_i24_e32 v100, v73, v205
	v_mul_i32_i24_e32 v101, v74, v207
	v_add_f32_e32 v64, v64, v84
	v_mul_i32_i24_e32 v84, v19, v188
	v_mul_i32_i24_e32 v102, v51, v208
	;; [unrolled: 1-line block ×5, first 2 shown]
	v_mad_i32_i24 v84, v47, v169, v84
	v_mul_i32_i24_e32 v106, v57, v211
	v_mul_i32_i24_e32 v111, v81, v216
	;; [unrolled: 1-line block ×4, first 2 shown]
	v_add3_u32 v84, v84, v85, v86
	v_mul_i32_i24_e32 v110, v52, v215
	v_mul_i32_i24_e32 v112, v82, v217
	;; [unrolled: 1-line block ×4, first 2 shown]
	v_add3_u32 v84, v84, v87, v91
	v_pk_mul_f16 v85, v153, v20
	v_mul_i32_i24_e32 v86, v39, v223
	v_mul_i32_i24_e32 v39, v39, v252
	v_mul_i32_i24_e32 v87, v45, v224
	v_add3_u32 v84, v84, v88, v89
	v_mul_i32_i24_e32 v91, v60, v227
	v_mul_i32_i24_e32 v45, v45, v125
	v_mul_i32_i24_e32 v60, v60, v128
	v_mul_i32_i24_e32 v88, v49, v225
	v_add3_u32 v84, v84, v90, v95
	v_mul_i32_i24_e32 v89, v53, v218
	;; [unrolled: 5-line block ×13, first 2 shown]
	v_mul_i32_i24_e32 v52, v52, v147
	v_mul_i32_i24_e32 v82, v82, v149
	;; [unrolled: 1-line block ×3, first 2 shown]
	v_cvt_f32_i32_e32 v84, v84
	v_mul_i32_i24_e32 v253, v58, v249
	v_mul_i32_i24_e32 v83, v83, v138
	;; [unrolled: 1-line block ×3, first 2 shown]
	s_delay_alu instid0(VALU_DEP_4) | instskip(SKIP_2) | instid1(VALU_DEP_3)
	v_fma_mix_f32 v84, v85, v84, v85 op_sel:[0,0,1] op_sel_hi:[1,0,1]
	v_mul_i32_i24_e32 v85, v38, v221
	v_mul_i32_i24_e32 v38, v38, v251
	v_add_f32_e32 v63, v63, v84
	v_mul_i32_i24_e32 v84, v19, v220
	v_mul_i32_i24_e32 v19, v19, v250
	s_delay_alu instid0(VALU_DEP_2) | instskip(NEXT) | instid1(VALU_DEP_2)
	v_mad_i32_i24 v84, v47, v203, v84
	v_mad_i32_i24 v19, v47, v122, v19
	s_delay_alu instid0(VALU_DEP_2) | instskip(NEXT) | instid1(VALU_DEP_2)
	v_add3_u32 v84, v84, v85, v86
	v_add3_u32 v19, v19, v38, v39
	v_pk_mul_f16 v85, v179, v20
	v_pk_mul_f16 v20, v121, v20
	s_delay_alu instid0(VALU_DEP_4) | instskip(NEXT) | instid1(VALU_DEP_4)
	v_add3_u32 v84, v84, v87, v91
	v_add3_u32 v19, v19, v45, v60
	s_delay_alu instid0(VALU_DEP_2) | instskip(NEXT) | instid1(VALU_DEP_2)
	v_add3_u32 v84, v84, v88, v89
	v_add3_u32 v19, v19, v49, v53
	s_delay_alu instid0(VALU_DEP_2) | instskip(NEXT) | instid1(VALU_DEP_2)
	;; [unrolled: 3-line block ×14, first 2 shown]
	v_cvt_f32_i32_e32 v84, v84
	v_cvt_f32_i32_e32 v19, v19
	s_delay_alu instid0(VALU_DEP_2) | instskip(NEXT) | instid1(VALU_DEP_2)
	v_fma_mix_f32 v84, v85, v84, v85 op_sel:[0,0,1] op_sel_hi:[1,0,1]
	v_fma_mix_f32 v19, v20, v19, v20 op_sel:[0,0,1] op_sel_hi:[1,0,1]
	s_delay_alu instid0(VALU_DEP_1)
	v_dual_add_f32 v62, v62, v84 :: v_dual_add_f32 v59, v59, v19
	ds_load_b128 v[49:52], v115 offset:2048
	ds_load_b128 v[55:58], v115 offset:2064
	ds_load_2addr_b32 v[19:20], v114 offset0:64 offset1:96
	s_waitcnt lgkmcnt(2)
	v_bfe_i32 v38, v49, 0, 8
	v_bfe_i32 v39, v49, 8, 8
	;; [unrolled: 1-line block ×3, first 2 shown]
	v_ashrrev_i32_e32 v47, 24, v49
	s_waitcnt lgkmcnt(1)
	v_bfe_i32 v49, v55, 0, 8
	v_mul_i32_i24_e32 v85, v38, v155
	v_bfe_i32 v61, v50, 0, 8
	v_mul_i32_i24_e32 v86, v39, v156
	v_mul_i32_i24_e32 v87, v45, v158
	v_bfe_i32 v53, v55, 8, 8
	v_mad_i32_i24 v85, v49, v152, v85
	v_bfe_i32 v60, v55, 16, 8
	v_mul_i32_i24_e32 v88, v47, v159
	v_mul_i32_i24_e32 v92, v61, v162
	v_ashrrev_i32_e32 v55, 24, v55
	v_add3_u32 v85, v85, v86, v87
	v_bfe_i32 v69, v56, 0, 8
	v_mul_i32_i24_e32 v89, v53, v160
	v_mul_i32_i24_e32 v90, v60, v154
	v_bfe_i32 v65, v50, 8, 8
	v_add3_u32 v85, v85, v88, v92
	v_bfe_i32 v68, v50, 16, 8
	v_mul_i32_i24_e32 v91, v55, v161
	v_mul_i32_i24_e32 v96, v69, v167
	v_ashrrev_i32_e32 v50, 24, v50
	v_add3_u32 v85, v85, v89, v90
	v_bfe_i32 v73, v51, 0, 8
	v_mul_i32_i24_e32 v93, v65, v163
	v_mul_i32_i24_e32 v94, v68, v164
	v_bfe_i32 v70, v56, 8, 8
	v_add3_u32 v85, v85, v91, v96
	v_bfe_i32 v71, v56, 16, 8
	v_mul_i32_i24_e32 v95, v50, v166
	v_mul_i32_i24_e32 v100, v73, v171
	v_ashrrev_i32_e32 v56, 24, v56
	v_add3_u32 v85, v85, v93, v94
	v_bfe_i32 v76, v57, 0, 8
	v_mul_i32_i24_e32 v97, v70, v168
	v_mul_i32_i24_e32 v98, v71, v157
	v_bfe_i32 v74, v51, 8, 8
	v_add3_u32 v85, v85, v95, v100
	v_bfe_i32 v75, v51, 16, 8
	v_mul_i32_i24_e32 v99, v56, v170
	v_mul_i32_i24_e32 v104, v76, v176
	v_ashrrev_i32_e32 v51, 24, v51
	v_add3_u32 v85, v85, v97, v98
	v_bfe_i32 v79, v52, 0, 8
	v_mul_i32_i24_e32 v101, v74, v172
	v_mul_i32_i24_e32 v102, v75, v174
	v_bfe_i32 v77, v57, 8, 8
	v_add3_u32 v85, v85, v99, v104
	v_bfe_i32 v78, v57, 16, 8
	v_mul_i32_i24_e32 v103, v51, v175
	v_mul_i32_i24_e32 v108, v79, v180
	v_ashrrev_i32_e32 v57, 24, v57
	v_add3_u32 v85, v85, v101, v102
	v_bfe_i32 v82, v58, 0, 8
	v_mul_i32_i24_e32 v105, v77, v177
	v_mul_i32_i24_e32 v106, v78, v165
	v_bfe_i32 v80, v52, 8, 8
	v_add3_u32 v85, v85, v103, v108
	v_bfe_i32 v81, v52, 16, 8
	v_mul_i32_i24_e32 v107, v57, v178
	v_mul_i32_i24_e32 v112, v82, v184
	v_ashrrev_i32_e32 v52, 24, v52
	v_add3_u32 v85, v85, v105, v106
	v_bfe_i32 v83, v58, 8, 8
	v_mul_i32_i24_e32 v109, v80, v181
	v_mul_i32_i24_e32 v110, v81, v182
	v_bfe_i32 v84, v58, 16, 8
	v_add3_u32 v85, v85, v107, v112
	v_ashrrev_i32_e32 v58, 24, v58
	v_mul_i32_i24_e32 v111, v52, v183
	v_mul_i32_i24_e32 v113, v83, v185
	v_mul_i32_i24_e32 v253, v84, v173
	v_add3_u32 v85, v85, v109, v110
	v_mul_i32_i24_e32 v254, v58, v187
	s_waitcnt lgkmcnt(0)
	v_pk_mul_f16 v86, v151, v19
	v_mul_i32_i24_e32 v87, v45, v191
	v_mul_i32_i24_e32 v88, v47, v192
	v_add3_u32 v85, v85, v111, v113
	v_mul_i32_i24_e32 v92, v61, v195
	v_mul_i32_i24_e32 v89, v53, v193
	;; [unrolled: 1-line block ×4, first 2 shown]
	v_add3_u32 v85, v85, v253, v254
	v_mul_i32_i24_e32 v96, v69, v200
	v_mul_i32_i24_e32 v93, v65, v196
	;; [unrolled: 1-line block ×4, first 2 shown]
	v_cvt_f32_i32_e32 v85, v85
	v_mul_i32_i24_e32 v100, v73, v204
	v_mul_i32_i24_e32 v97, v70, v201
	;; [unrolled: 1-line block ×4, first 2 shown]
	v_fma_mix_f32 v85, v86, v85, v86 op_sel:[0,0,1] op_sel_hi:[1,0,1]
	v_mul_i32_i24_e32 v86, v39, v189
	v_mul_i32_i24_e32 v104, v76, v209
	;; [unrolled: 1-line block ×4, first 2 shown]
	v_add_f32_e32 v54, v54, v85
	v_mul_i32_i24_e32 v85, v38, v188
	v_mul_i32_i24_e32 v103, v51, v208
	;; [unrolled: 1-line block ×5, first 2 shown]
	v_mad_i32_i24 v85, v49, v169, v85
	v_mul_i32_i24_e32 v107, v57, v211
	v_mul_i32_i24_e32 v112, v82, v216
	;; [unrolled: 1-line block ×4, first 2 shown]
	v_add3_u32 v85, v85, v86, v87
	v_mul_i32_i24_e32 v111, v52, v215
	v_mul_i32_i24_e32 v113, v83, v217
	;; [unrolled: 1-line block ×4, first 2 shown]
	v_add3_u32 v85, v85, v88, v92
	v_pk_mul_f16 v86, v153, v19
	v_mul_i32_i24_e32 v87, v45, v223
	v_mul_i32_i24_e32 v45, v45, v252
	v_mul_i32_i24_e32 v88, v47, v224
	v_add3_u32 v85, v85, v89, v90
	v_mul_i32_i24_e32 v92, v61, v227
	v_mul_i32_i24_e32 v47, v47, v125
	v_mul_i32_i24_e32 v61, v61, v128
	v_mul_i32_i24_e32 v89, v53, v225
	v_add3_u32 v85, v85, v91, v96
	v_mul_i32_i24_e32 v90, v60, v218
	;; [unrolled: 5-line block ×13, first 2 shown]
	v_mul_i32_i24_e32 v253, v84, v237
	v_mul_i32_i24_e32 v254, v58, v249
	;; [unrolled: 1-line block ×3, first 2 shown]
	v_cvt_f32_i32_e32 v85, v85
	v_mul_i32_i24_e32 v58, v58, v150
	s_delay_alu instid0(VALU_DEP_2) | instskip(SKIP_2) | instid1(VALU_DEP_3)
	v_fma_mix_f32 v85, v86, v85, v86 op_sel:[0,0,1] op_sel_hi:[1,0,1]
	v_mul_i32_i24_e32 v86, v39, v221
	v_mul_i32_i24_e32 v39, v39, v251
	v_add_f32_e32 v48, v48, v85
	v_mul_i32_i24_e32 v85, v38, v220
	v_mul_i32_i24_e32 v38, v38, v250
	;; [unrolled: 1-line block ×4, first 2 shown]
	s_delay_alu instid0(VALU_DEP_4) | instskip(NEXT) | instid1(VALU_DEP_4)
	v_mad_i32_i24 v85, v49, v203, v85
	v_mad_i32_i24 v38, v49, v122, v38
	s_delay_alu instid0(VALU_DEP_2) | instskip(NEXT) | instid1(VALU_DEP_2)
	v_add3_u32 v85, v85, v86, v87
	v_add3_u32 v38, v38, v39, v45
	v_pk_mul_f16 v86, v179, v19
	v_pk_mul_f16 v19, v121, v19
	s_delay_alu instid0(VALU_DEP_4) | instskip(NEXT) | instid1(VALU_DEP_4)
	v_add3_u32 v85, v85, v88, v92
	v_add3_u32 v38, v38, v47, v61
	s_delay_alu instid0(VALU_DEP_2) | instskip(NEXT) | instid1(VALU_DEP_2)
	v_add3_u32 v85, v85, v89, v90
	v_add3_u32 v38, v38, v53, v60
	s_delay_alu instid0(VALU_DEP_2) | instskip(NEXT) | instid1(VALU_DEP_2)
	;; [unrolled: 3-line block ×13, first 2 shown]
	v_add3_u32 v85, v85, v253, v254
	v_add3_u32 v38, v38, v84, v58
	ds_load_b128 v[49:52], v115 offset:3072
	ds_load_b128 v[55:58], v115 offset:3088
	v_cvt_f32_i32_e32 v85, v85
	v_cvt_f32_i32_e32 v38, v38
	s_delay_alu instid0(VALU_DEP_2) | instskip(NEXT) | instid1(VALU_DEP_2)
	v_fma_mix_f32 v85, v86, v85, v86 op_sel:[0,0,1] op_sel_hi:[1,0,1]
	v_fma_mix_f32 v19, v19, v38, v19 op_sel:[0,0,1] op_sel_hi:[1,0,1]
	s_delay_alu instid0(VALU_DEP_2) | instskip(NEXT) | instid1(VALU_DEP_2)
	v_add_f32_e32 v46, v46, v85
	v_add_f32_e32 v44, v44, v19
	s_waitcnt lgkmcnt(1)
	v_bfe_i32 v19, v49, 0, 8
	v_bfe_i32 v38, v49, 8, 8
	;; [unrolled: 1-line block ×3, first 2 shown]
	s_waitcnt lgkmcnt(0)
	v_bfe_i32 v47, v55, 0, 8
	v_ashrrev_i32_e32 v45, 24, v49
	v_mul_i32_i24_e32 v84, v19, v155
	v_bfe_i32 v60, v50, 0, 8
	v_mul_i32_i24_e32 v85, v38, v156
	v_mul_i32_i24_e32 v86, v39, v158
	v_bfe_i32 v49, v55, 8, 8
	v_mad_i32_i24 v84, v47, v152, v84
	v_bfe_i32 v53, v55, 16, 8
	v_mul_i32_i24_e32 v87, v45, v159
	v_mul_i32_i24_e32 v91, v60, v162
	v_ashrrev_i32_e32 v55, 24, v55
	v_add3_u32 v84, v84, v85, v86
	v_bfe_i32 v68, v56, 0, 8
	v_mul_i32_i24_e32 v88, v49, v160
	v_mul_i32_i24_e32 v89, v53, v154
	v_bfe_i32 v61, v50, 8, 8
	v_add3_u32 v84, v84, v87, v91
	v_bfe_i32 v65, v50, 16, 8
	v_mul_i32_i24_e32 v90, v55, v161
	v_mul_i32_i24_e32 v95, v68, v167
	v_ashrrev_i32_e32 v50, 24, v50
	v_add3_u32 v84, v84, v88, v89
	v_bfe_i32 v71, v51, 0, 8
	v_mul_i32_i24_e32 v92, v61, v163
	v_mul_i32_i24_e32 v93, v65, v164
	v_bfe_i32 v69, v56, 8, 8
	v_add3_u32 v84, v84, v90, v95
	;; [unrolled: 10-line block ×6, first 2 shown]
	v_ashrrev_i32_e32 v58, 24, v58
	v_mul_i32_i24_e32 v110, v52, v183
	v_mul_i32_i24_e32 v112, v82, v185
	;; [unrolled: 1-line block ×3, first 2 shown]
	v_add3_u32 v84, v84, v108, v109
	v_mul_i32_i24_e32 v253, v58, v187
	v_pk_mul_f16 v85, v151, v20
	v_mul_i32_i24_e32 v86, v39, v191
	v_mul_i32_i24_e32 v87, v45, v192
	v_add3_u32 v84, v84, v110, v112
	v_mul_i32_i24_e32 v91, v60, v195
	v_mul_i32_i24_e32 v88, v49, v193
	;; [unrolled: 1-line block ×4, first 2 shown]
	v_add3_u32 v84, v84, v113, v253
	v_mul_i32_i24_e32 v95, v68, v200
	v_mul_i32_i24_e32 v92, v61, v196
	;; [unrolled: 1-line block ×4, first 2 shown]
	v_cvt_f32_i32_e32 v84, v84
	v_mul_i32_i24_e32 v99, v71, v204
	v_mul_i32_i24_e32 v96, v69, v201
	;; [unrolled: 1-line block ×4, first 2 shown]
	v_fma_mix_f32 v84, v85, v84, v85 op_sel:[0,0,1] op_sel_hi:[1,0,1]
	v_mul_i32_i24_e32 v85, v38, v189
	v_mul_i32_i24_e32 v103, v75, v209
	;; [unrolled: 1-line block ×4, first 2 shown]
	v_add_f32_e32 v43, v43, v84
	v_mul_i32_i24_e32 v84, v19, v188
	v_mul_i32_i24_e32 v102, v51, v208
	;; [unrolled: 1-line block ×5, first 2 shown]
	v_mad_i32_i24 v84, v47, v169, v84
	v_mul_i32_i24_e32 v106, v57, v211
	v_mul_i32_i24_e32 v111, v81, v216
	;; [unrolled: 1-line block ×4, first 2 shown]
	v_add3_u32 v84, v84, v85, v86
	v_mul_i32_i24_e32 v110, v52, v215
	v_mul_i32_i24_e32 v112, v82, v217
	;; [unrolled: 1-line block ×4, first 2 shown]
	v_add3_u32 v84, v84, v87, v91
	v_pk_mul_f16 v85, v153, v20
	v_mul_i32_i24_e32 v86, v39, v223
	v_mul_i32_i24_e32 v39, v39, v252
	v_mul_i32_i24_e32 v87, v45, v224
	v_add3_u32 v84, v84, v88, v89
	v_mul_i32_i24_e32 v91, v60, v227
	v_mul_i32_i24_e32 v45, v45, v125
	v_mul_i32_i24_e32 v60, v60, v128
	v_mul_i32_i24_e32 v88, v49, v225
	v_add3_u32 v84, v84, v90, v95
	v_mul_i32_i24_e32 v89, v53, v218
	;; [unrolled: 5-line block ×13, first 2 shown]
	v_mul_i32_i24_e32 v52, v52, v147
	v_mul_i32_i24_e32 v82, v82, v149
	;; [unrolled: 1-line block ×3, first 2 shown]
	v_cvt_f32_i32_e32 v84, v84
	v_mul_i32_i24_e32 v253, v58, v249
	v_mul_i32_i24_e32 v83, v83, v138
	;; [unrolled: 1-line block ×3, first 2 shown]
	s_delay_alu instid0(VALU_DEP_4) | instskip(SKIP_2) | instid1(VALU_DEP_3)
	v_fma_mix_f32 v84, v85, v84, v85 op_sel:[0,0,1] op_sel_hi:[1,0,1]
	v_mul_i32_i24_e32 v85, v38, v221
	v_mul_i32_i24_e32 v38, v38, v251
	v_add_f32_e32 v42, v42, v84
	v_mul_i32_i24_e32 v84, v19, v220
	v_mul_i32_i24_e32 v19, v19, v250
	s_delay_alu instid0(VALU_DEP_2) | instskip(NEXT) | instid1(VALU_DEP_2)
	v_mad_i32_i24 v84, v47, v203, v84
	v_mad_i32_i24 v19, v47, v122, v19
	s_delay_alu instid0(VALU_DEP_2) | instskip(NEXT) | instid1(VALU_DEP_2)
	v_add3_u32 v84, v84, v85, v86
	v_add3_u32 v19, v19, v38, v39
	v_pk_mul_f16 v85, v179, v20
	v_pk_mul_f16 v20, v121, v20
	s_delay_alu instid0(VALU_DEP_4) | instskip(NEXT) | instid1(VALU_DEP_4)
	v_add3_u32 v84, v84, v87, v91
	v_add3_u32 v19, v19, v45, v60
	s_delay_alu instid0(VALU_DEP_2) | instskip(NEXT) | instid1(VALU_DEP_2)
	v_add3_u32 v84, v84, v88, v89
	v_add3_u32 v19, v19, v49, v53
	s_delay_alu instid0(VALU_DEP_2) | instskip(NEXT) | instid1(VALU_DEP_2)
	;; [unrolled: 3-line block ×14, first 2 shown]
	v_cvt_f32_i32_e32 v84, v84
	v_cvt_f32_i32_e32 v19, v19
	s_delay_alu instid0(VALU_DEP_2) | instskip(NEXT) | instid1(VALU_DEP_2)
	v_fma_mix_f32 v84, v85, v84, v85 op_sel:[0,0,1] op_sel_hi:[1,0,1]
	v_fma_mix_f32 v19, v20, v19, v20 op_sel:[0,0,1] op_sel_hi:[1,0,1]
	s_delay_alu instid0(VALU_DEP_1)
	v_dual_add_f32 v40, v40, v84 :: v_dual_add_f32 v37, v37, v19
	ds_load_b128 v[49:52], v115 offset:4096
	ds_load_b128 v[55:58], v115 offset:4112
	ds_load_2addr_b32 v[19:20], v114 offset0:128 offset1:160
	s_waitcnt lgkmcnt(2)
	v_bfe_i32 v38, v49, 0, 8
	v_bfe_i32 v39, v49, 8, 8
	;; [unrolled: 1-line block ×3, first 2 shown]
	v_ashrrev_i32_e32 v47, 24, v49
	s_waitcnt lgkmcnt(1)
	v_bfe_i32 v49, v55, 0, 8
	v_mul_i32_i24_e32 v85, v38, v155
	v_bfe_i32 v61, v50, 0, 8
	v_mul_i32_i24_e32 v86, v39, v156
	v_mul_i32_i24_e32 v87, v45, v158
	v_bfe_i32 v53, v55, 8, 8
	v_mad_i32_i24 v85, v49, v152, v85
	v_bfe_i32 v60, v55, 16, 8
	v_mul_i32_i24_e32 v88, v47, v159
	v_mul_i32_i24_e32 v92, v61, v162
	v_ashrrev_i32_e32 v55, 24, v55
	v_add3_u32 v85, v85, v86, v87
	v_bfe_i32 v69, v56, 0, 8
	v_mul_i32_i24_e32 v89, v53, v160
	v_mul_i32_i24_e32 v90, v60, v154
	v_bfe_i32 v65, v50, 8, 8
	v_add3_u32 v85, v85, v88, v92
	v_bfe_i32 v68, v50, 16, 8
	v_mul_i32_i24_e32 v91, v55, v161
	v_mul_i32_i24_e32 v96, v69, v167
	v_ashrrev_i32_e32 v50, 24, v50
	v_add3_u32 v85, v85, v89, v90
	v_bfe_i32 v73, v51, 0, 8
	v_mul_i32_i24_e32 v93, v65, v163
	v_mul_i32_i24_e32 v94, v68, v164
	v_bfe_i32 v70, v56, 8, 8
	v_add3_u32 v85, v85, v91, v96
	;; [unrolled: 10-line block ×6, first 2 shown]
	v_ashrrev_i32_e32 v58, 24, v58
	v_mul_i32_i24_e32 v111, v52, v183
	v_mul_i32_i24_e32 v113, v83, v185
	v_mul_i32_i24_e32 v253, v84, v173
	v_add3_u32 v85, v85, v109, v110
	v_mul_i32_i24_e32 v254, v58, v187
	s_waitcnt lgkmcnt(0)
	v_pk_mul_f16 v86, v151, v19
	v_mul_i32_i24_e32 v87, v45, v191
	v_mul_i32_i24_e32 v88, v47, v192
	v_add3_u32 v85, v85, v111, v113
	v_mul_i32_i24_e32 v92, v61, v195
	v_mul_i32_i24_e32 v89, v53, v193
	;; [unrolled: 1-line block ×4, first 2 shown]
	v_add3_u32 v85, v85, v253, v254
	v_mul_i32_i24_e32 v96, v69, v200
	v_mul_i32_i24_e32 v93, v65, v196
	;; [unrolled: 1-line block ×4, first 2 shown]
	v_cvt_f32_i32_e32 v85, v85
	v_mul_i32_i24_e32 v100, v73, v204
	v_mul_i32_i24_e32 v97, v70, v201
	;; [unrolled: 1-line block ×4, first 2 shown]
	v_fma_mix_f32 v85, v86, v85, v86 op_sel:[0,0,1] op_sel_hi:[1,0,1]
	v_mul_i32_i24_e32 v86, v39, v189
	v_mul_i32_i24_e32 v104, v76, v209
	;; [unrolled: 1-line block ×4, first 2 shown]
	v_add_f32_e32 v36, v36, v85
	v_mul_i32_i24_e32 v85, v38, v188
	v_mul_i32_i24_e32 v103, v51, v208
	;; [unrolled: 1-line block ×5, first 2 shown]
	v_mad_i32_i24 v85, v49, v169, v85
	v_mul_i32_i24_e32 v107, v57, v211
	v_mul_i32_i24_e32 v112, v82, v216
	;; [unrolled: 1-line block ×4, first 2 shown]
	v_add3_u32 v85, v85, v86, v87
	v_mul_i32_i24_e32 v111, v52, v215
	v_mul_i32_i24_e32 v113, v83, v217
	;; [unrolled: 1-line block ×4, first 2 shown]
	v_add3_u32 v85, v85, v88, v92
	v_pk_mul_f16 v86, v153, v19
	v_mul_i32_i24_e32 v87, v45, v223
	v_mul_i32_i24_e32 v45, v45, v252
	v_mul_i32_i24_e32 v88, v47, v224
	v_add3_u32 v85, v85, v89, v90
	v_mul_i32_i24_e32 v92, v61, v227
	v_mul_i32_i24_e32 v47, v47, v125
	v_mul_i32_i24_e32 v61, v61, v128
	v_mul_i32_i24_e32 v89, v53, v225
	v_add3_u32 v85, v85, v91, v96
	v_mul_i32_i24_e32 v90, v60, v218
	;; [unrolled: 5-line block ×13, first 2 shown]
	v_mul_i32_i24_e32 v52, v52, v147
	v_mul_i32_i24_e32 v83, v83, v149
	;; [unrolled: 1-line block ×3, first 2 shown]
	v_cvt_f32_i32_e32 v85, v85
	v_mul_i32_i24_e32 v254, v58, v249
	v_mul_i32_i24_e32 v84, v84, v138
	;; [unrolled: 1-line block ×3, first 2 shown]
	s_delay_alu instid0(VALU_DEP_4) | instskip(SKIP_2) | instid1(VALU_DEP_3)
	v_fma_mix_f32 v85, v86, v85, v86 op_sel:[0,0,1] op_sel_hi:[1,0,1]
	v_mul_i32_i24_e32 v86, v39, v221
	v_mul_i32_i24_e32 v39, v39, v251
	v_add_f32_e32 v35, v35, v85
	v_mul_i32_i24_e32 v85, v38, v220
	v_mul_i32_i24_e32 v38, v38, v250
	s_delay_alu instid0(VALU_DEP_2) | instskip(NEXT) | instid1(VALU_DEP_2)
	v_mad_i32_i24 v85, v49, v203, v85
	v_mad_i32_i24 v38, v49, v122, v38
	s_delay_alu instid0(VALU_DEP_2) | instskip(NEXT) | instid1(VALU_DEP_2)
	v_add3_u32 v85, v85, v86, v87
	v_add3_u32 v38, v38, v39, v45
	v_pk_mul_f16 v86, v179, v19
	v_pk_mul_f16 v19, v121, v19
	s_delay_alu instid0(VALU_DEP_4) | instskip(NEXT) | instid1(VALU_DEP_4)
	v_add3_u32 v85, v85, v88, v92
	v_add3_u32 v38, v38, v47, v61
	s_delay_alu instid0(VALU_DEP_2) | instskip(NEXT) | instid1(VALU_DEP_2)
	v_add3_u32 v85, v85, v89, v90
	v_add3_u32 v38, v38, v53, v60
	s_delay_alu instid0(VALU_DEP_2) | instskip(NEXT) | instid1(VALU_DEP_2)
	;; [unrolled: 3-line block ×13, first 2 shown]
	v_add3_u32 v85, v85, v253, v254
	v_add3_u32 v38, v38, v84, v58
	ds_load_b128 v[49:52], v115 offset:5120
	ds_load_b128 v[55:58], v115 offset:5136
	v_cvt_f32_i32_e32 v85, v85
	v_cvt_f32_i32_e32 v38, v38
	s_delay_alu instid0(VALU_DEP_2) | instskip(NEXT) | instid1(VALU_DEP_2)
	v_fma_mix_f32 v85, v86, v85, v86 op_sel:[0,0,1] op_sel_hi:[1,0,1]
	v_fma_mix_f32 v19, v19, v38, v19 op_sel:[0,0,1] op_sel_hi:[1,0,1]
	s_delay_alu instid0(VALU_DEP_1)
	v_dual_add_f32 v34, v34, v85 :: v_dual_add_f32 v33, v33, v19
	s_waitcnt lgkmcnt(1)
	v_bfe_i32 v19, v49, 0, 8
	v_bfe_i32 v38, v49, 8, 8
	;; [unrolled: 1-line block ×3, first 2 shown]
	s_waitcnt lgkmcnt(0)
	v_bfe_i32 v47, v55, 0, 8
	v_ashrrev_i32_e32 v45, 24, v49
	v_mul_i32_i24_e32 v84, v19, v155
	v_bfe_i32 v60, v50, 0, 8
	v_mul_i32_i24_e32 v85, v38, v156
	v_mul_i32_i24_e32 v86, v39, v158
	v_bfe_i32 v49, v55, 8, 8
	v_mad_i32_i24 v84, v47, v152, v84
	v_bfe_i32 v53, v55, 16, 8
	v_mul_i32_i24_e32 v87, v45, v159
	v_mul_i32_i24_e32 v91, v60, v162
	v_ashrrev_i32_e32 v55, 24, v55
	v_add3_u32 v84, v84, v85, v86
	v_bfe_i32 v68, v56, 0, 8
	v_mul_i32_i24_e32 v88, v49, v160
	v_mul_i32_i24_e32 v89, v53, v154
	v_bfe_i32 v61, v50, 8, 8
	v_add3_u32 v84, v84, v87, v91
	v_bfe_i32 v65, v50, 16, 8
	v_mul_i32_i24_e32 v90, v55, v161
	v_mul_i32_i24_e32 v95, v68, v167
	v_ashrrev_i32_e32 v50, 24, v50
	v_add3_u32 v84, v84, v88, v89
	v_bfe_i32 v71, v51, 0, 8
	v_mul_i32_i24_e32 v92, v61, v163
	v_mul_i32_i24_e32 v93, v65, v164
	v_bfe_i32 v69, v56, 8, 8
	v_add3_u32 v84, v84, v90, v95
	;; [unrolled: 10-line block ×6, first 2 shown]
	v_ashrrev_i32_e32 v58, 24, v58
	v_mul_i32_i24_e32 v110, v52, v183
	v_mul_i32_i24_e32 v112, v82, v185
	;; [unrolled: 1-line block ×3, first 2 shown]
	v_add3_u32 v84, v84, v108, v109
	v_mul_i32_i24_e32 v253, v58, v187
	v_pk_mul_f16 v85, v151, v20
	v_mul_i32_i24_e32 v86, v39, v191
	v_mul_i32_i24_e32 v87, v45, v192
	v_add3_u32 v84, v84, v110, v112
	v_mul_i32_i24_e32 v91, v60, v195
	v_mul_i32_i24_e32 v88, v49, v193
	;; [unrolled: 1-line block ×4, first 2 shown]
	v_add3_u32 v84, v84, v113, v253
	v_mul_i32_i24_e32 v95, v68, v200
	v_mul_i32_i24_e32 v92, v61, v196
	;; [unrolled: 1-line block ×4, first 2 shown]
	v_cvt_f32_i32_e32 v84, v84
	v_mul_i32_i24_e32 v99, v71, v204
	v_mul_i32_i24_e32 v96, v69, v201
	;; [unrolled: 1-line block ×4, first 2 shown]
	v_fma_mix_f32 v84, v85, v84, v85 op_sel:[0,0,1] op_sel_hi:[1,0,1]
	v_mul_i32_i24_e32 v85, v38, v189
	v_mul_i32_i24_e32 v103, v75, v209
	;; [unrolled: 1-line block ×4, first 2 shown]
	v_add_f32_e32 v32, v32, v84
	v_mul_i32_i24_e32 v84, v19, v188
	v_mul_i32_i24_e32 v102, v51, v208
	;; [unrolled: 1-line block ×5, first 2 shown]
	v_mad_i32_i24 v84, v47, v169, v84
	v_mul_i32_i24_e32 v106, v57, v211
	v_mul_i32_i24_e32 v111, v81, v216
	;; [unrolled: 1-line block ×4, first 2 shown]
	v_add3_u32 v84, v84, v85, v86
	v_mul_i32_i24_e32 v110, v52, v215
	v_mul_i32_i24_e32 v112, v82, v217
	;; [unrolled: 1-line block ×4, first 2 shown]
	v_add3_u32 v84, v84, v87, v91
	v_pk_mul_f16 v85, v153, v20
	v_mul_i32_i24_e32 v86, v39, v223
	v_mul_i32_i24_e32 v39, v39, v252
	v_mul_i32_i24_e32 v87, v45, v224
	v_add3_u32 v84, v84, v88, v89
	v_mul_i32_i24_e32 v91, v60, v227
	v_mul_i32_i24_e32 v45, v45, v125
	v_mul_i32_i24_e32 v60, v60, v128
	v_mul_i32_i24_e32 v88, v49, v225
	v_add3_u32 v84, v84, v90, v95
	v_mul_i32_i24_e32 v89, v53, v218
	;; [unrolled: 5-line block ×13, first 2 shown]
	v_mul_i32_i24_e32 v52, v52, v147
	v_mul_i32_i24_e32 v82, v82, v149
	;; [unrolled: 1-line block ×3, first 2 shown]
	v_cvt_f32_i32_e32 v84, v84
	v_mul_i32_i24_e32 v253, v58, v249
	v_mul_i32_i24_e32 v83, v83, v138
	;; [unrolled: 1-line block ×3, first 2 shown]
	s_delay_alu instid0(VALU_DEP_4) | instskip(SKIP_2) | instid1(VALU_DEP_3)
	v_fma_mix_f32 v84, v85, v84, v85 op_sel:[0,0,1] op_sel_hi:[1,0,1]
	v_mul_i32_i24_e32 v85, v38, v221
	v_mul_i32_i24_e32 v38, v38, v251
	v_add_f32_e32 v31, v31, v84
	v_mul_i32_i24_e32 v84, v19, v220
	v_mul_i32_i24_e32 v19, v19, v250
	s_delay_alu instid0(VALU_DEP_2) | instskip(NEXT) | instid1(VALU_DEP_2)
	v_mad_i32_i24 v84, v47, v203, v84
	v_mad_i32_i24 v19, v47, v122, v19
	s_delay_alu instid0(VALU_DEP_2) | instskip(NEXT) | instid1(VALU_DEP_2)
	v_add3_u32 v84, v84, v85, v86
	v_add3_u32 v19, v19, v38, v39
	v_pk_mul_f16 v85, v179, v20
	v_pk_mul_f16 v20, v121, v20
	s_delay_alu instid0(VALU_DEP_4) | instskip(NEXT) | instid1(VALU_DEP_4)
	v_add3_u32 v84, v84, v87, v91
	v_add3_u32 v19, v19, v45, v60
	s_delay_alu instid0(VALU_DEP_2) | instskip(NEXT) | instid1(VALU_DEP_2)
	v_add3_u32 v84, v84, v88, v89
	v_add3_u32 v19, v19, v49, v53
	s_delay_alu instid0(VALU_DEP_2) | instskip(NEXT) | instid1(VALU_DEP_2)
	;; [unrolled: 3-line block ×14, first 2 shown]
	v_cvt_f32_i32_e32 v84, v84
	v_cvt_f32_i32_e32 v19, v19
	s_delay_alu instid0(VALU_DEP_2) | instskip(NEXT) | instid1(VALU_DEP_2)
	v_fma_mix_f32 v84, v85, v84, v85 op_sel:[0,0,1] op_sel_hi:[1,0,1]
	v_fma_mix_f32 v19, v20, v19, v20 op_sel:[0,0,1] op_sel_hi:[1,0,1]
	s_delay_alu instid0(VALU_DEP_1)
	v_dual_add_f32 v30, v30, v84 :: v_dual_add_f32 v29, v29, v19
	ds_load_b128 v[49:52], v115 offset:6144
	ds_load_b128 v[55:58], v115 offset:6160
	ds_load_2addr_b32 v[19:20], v114 offset0:192 offset1:224
	v_add_nc_u32_e32 v114, 4, v114
	s_waitcnt lgkmcnt(2)
	v_bfe_i32 v38, v49, 0, 8
	v_bfe_i32 v39, v49, 8, 8
	;; [unrolled: 1-line block ×3, first 2 shown]
	v_ashrrev_i32_e32 v47, 24, v49
	s_waitcnt lgkmcnt(1)
	v_bfe_i32 v49, v55, 0, 8
	v_mul_i32_i24_e32 v85, v38, v155
	v_bfe_i32 v61, v50, 0, 8
	v_mul_i32_i24_e32 v86, v39, v156
	v_mul_i32_i24_e32 v87, v45, v158
	v_bfe_i32 v53, v55, 8, 8
	v_mad_i32_i24 v85, v49, v152, v85
	v_bfe_i32 v60, v55, 16, 8
	v_mul_i32_i24_e32 v88, v47, v159
	v_mul_i32_i24_e32 v92, v61, v162
	v_ashrrev_i32_e32 v55, 24, v55
	v_add3_u32 v85, v85, v86, v87
	v_bfe_i32 v69, v56, 0, 8
	v_mul_i32_i24_e32 v89, v53, v160
	v_mul_i32_i24_e32 v90, v60, v154
	v_bfe_i32 v65, v50, 8, 8
	v_add3_u32 v85, v85, v88, v92
	v_bfe_i32 v68, v50, 16, 8
	v_mul_i32_i24_e32 v91, v55, v161
	v_mul_i32_i24_e32 v96, v69, v167
	v_ashrrev_i32_e32 v50, 24, v50
	v_add3_u32 v85, v85, v89, v90
	v_bfe_i32 v73, v51, 0, 8
	v_mul_i32_i24_e32 v93, v65, v163
	v_mul_i32_i24_e32 v94, v68, v164
	v_bfe_i32 v70, v56, 8, 8
	v_add3_u32 v85, v85, v91, v96
	;; [unrolled: 10-line block ×6, first 2 shown]
	v_ashrrev_i32_e32 v58, 24, v58
	v_mul_i32_i24_e32 v111, v52, v183
	v_mul_i32_i24_e32 v113, v83, v185
	;; [unrolled: 1-line block ×3, first 2 shown]
	v_add3_u32 v85, v85, v109, v110
	v_mul_i32_i24_e32 v254, v58, v187
	s_waitcnt lgkmcnt(0)
	v_pk_mul_f16 v86, v151, v19
	v_mul_i32_i24_e32 v87, v45, v191
	v_mul_i32_i24_e32 v88, v47, v192
	v_add3_u32 v85, v85, v111, v113
	v_mul_i32_i24_e32 v92, v61, v195
	v_mul_i32_i24_e32 v89, v53, v193
	;; [unrolled: 1-line block ×4, first 2 shown]
	v_add3_u32 v85, v85, v253, v254
	v_mul_i32_i24_e32 v96, v69, v200
	v_mul_i32_i24_e32 v93, v65, v196
	;; [unrolled: 1-line block ×4, first 2 shown]
	v_cvt_f32_i32_e32 v85, v85
	v_mul_i32_i24_e32 v100, v73, v204
	v_mul_i32_i24_e32 v97, v70, v201
	;; [unrolled: 1-line block ×4, first 2 shown]
	v_fma_mix_f32 v85, v86, v85, v86 op_sel:[0,0,1] op_sel_hi:[1,0,1]
	v_mul_i32_i24_e32 v86, v39, v189
	v_mul_i32_i24_e32 v104, v76, v209
	;; [unrolled: 1-line block ×4, first 2 shown]
	v_add_f32_e32 v28, v28, v85
	v_mul_i32_i24_e32 v85, v38, v188
	v_mul_i32_i24_e32 v103, v51, v208
	;; [unrolled: 1-line block ×5, first 2 shown]
	v_mad_i32_i24 v85, v49, v169, v85
	v_mul_i32_i24_e32 v107, v57, v211
	v_mul_i32_i24_e32 v112, v82, v216
	;; [unrolled: 1-line block ×4, first 2 shown]
	v_add3_u32 v85, v85, v86, v87
	v_mul_i32_i24_e32 v111, v52, v215
	v_mul_i32_i24_e32 v113, v83, v217
	;; [unrolled: 1-line block ×4, first 2 shown]
	v_add3_u32 v85, v85, v88, v92
	v_pk_mul_f16 v86, v153, v19
	v_mul_i32_i24_e32 v87, v45, v223
	v_mul_i32_i24_e32 v45, v45, v252
	v_mul_i32_i24_e32 v88, v47, v224
	v_add3_u32 v85, v85, v89, v90
	v_mul_i32_i24_e32 v92, v61, v227
	v_mul_i32_i24_e32 v47, v47, v125
	v_mul_i32_i24_e32 v61, v61, v128
	v_mul_i32_i24_e32 v89, v53, v225
	v_add3_u32 v85, v85, v91, v96
	v_mul_i32_i24_e32 v90, v60, v218
	v_mul_i32_i24_e32 v53, v53, v126
	v_mul_i32_i24_e32 v60, v60, v123
	v_mul_i32_i24_e32 v91, v55, v226
	v_add3_u32 v85, v85, v93, v94
	v_mul_i32_i24_e32 v96, v69, v232
	v_mul_i32_i24_e32 v55, v55, v127
	v_mul_i32_i24_e32 v69, v69, v133
	v_mul_i32_i24_e32 v93, v65, v228
	v_add3_u32 v85, v85, v95, v100
	v_mul_i32_i24_e32 v94, v68, v229
	v_mul_i32_i24_e32 v65, v65, v129
	v_mul_i32_i24_e32 v68, v68, v130
	v_mul_i32_i24_e32 v95, v50, v230
	v_add3_u32 v85, v85, v97, v98
	v_mul_i32_i24_e32 v100, v73, v235
	v_mul_i32_i24_e32 v50, v50, v131
	v_mul_i32_i24_e32 v73, v73, v136
	v_mul_i32_i24_e32 v97, v70, v233
	v_add3_u32 v85, v85, v99, v104
	v_mul_i32_i24_e32 v98, v71, v222
	v_mul_i32_i24_e32 v70, v70, v134
	v_mul_i32_i24_e32 v71, v71, v124
	v_mul_i32_i24_e32 v99, v56, v234
	v_add3_u32 v85, v85, v101, v102
	v_mul_i32_i24_e32 v104, v76, v240
	v_mul_i32_i24_e32 v56, v56, v135
	v_mul_i32_i24_e32 v76, v76, v141
	v_mul_i32_i24_e32 v101, v74, v236
	v_add3_u32 v85, v85, v103, v108
	v_mul_i32_i24_e32 v102, v75, v238
	v_mul_i32_i24_e32 v74, v74, v137
	v_mul_i32_i24_e32 v75, v75, v139
	v_mul_i32_i24_e32 v103, v51, v239
	v_add3_u32 v85, v85, v105, v106
	v_mul_i32_i24_e32 v108, v79, v243
	v_mul_i32_i24_e32 v51, v51, v140
	v_mul_i32_i24_e32 v79, v79, v144
	v_mul_i32_i24_e32 v105, v77, v241
	v_add3_u32 v85, v85, v107, v112
	v_mul_i32_i24_e32 v106, v78, v231
	v_mul_i32_i24_e32 v77, v77, v142
	v_mul_i32_i24_e32 v78, v78, v132
	v_mul_i32_i24_e32 v107, v57, v242
	v_add3_u32 v85, v85, v109, v110
	v_mul_i32_i24_e32 v112, v82, v247
	v_mul_i32_i24_e32 v57, v57, v143
	v_mul_i32_i24_e32 v82, v82, v148
	v_mul_i32_i24_e32 v109, v80, v244
	v_add3_u32 v85, v85, v111, v113
	v_mul_i32_i24_e32 v110, v81, v245
	v_mul_i32_i24_e32 v80, v80, v145
	v_mul_i32_i24_e32 v81, v81, v146
	v_mul_i32_i24_e32 v111, v52, v246
	v_add3_u32 v85, v85, v253, v254
	v_mul_i32_i24_e32 v113, v83, v248
	v_mul_i32_i24_e32 v52, v52, v147
	v_mul_i32_i24_e32 v83, v83, v149
	;; [unrolled: 1-line block ×3, first 2 shown]
	v_cvt_f32_i32_e32 v85, v85
	v_mul_i32_i24_e32 v254, v58, v249
	v_mul_i32_i24_e32 v84, v84, v138
	;; [unrolled: 1-line block ×3, first 2 shown]
	s_delay_alu instid0(VALU_DEP_4) | instskip(SKIP_2) | instid1(VALU_DEP_3)
	v_fma_mix_f32 v85, v86, v85, v86 op_sel:[0,0,1] op_sel_hi:[1,0,1]
	v_mul_i32_i24_e32 v86, v39, v221
	v_mul_i32_i24_e32 v39, v39, v251
	v_add_f32_e32 v27, v27, v85
	v_mul_i32_i24_e32 v85, v38, v220
	v_mul_i32_i24_e32 v38, v38, v250
	s_delay_alu instid0(VALU_DEP_2) | instskip(NEXT) | instid1(VALU_DEP_2)
	v_mad_i32_i24 v85, v49, v203, v85
	v_mad_i32_i24 v38, v49, v122, v38
	s_delay_alu instid0(VALU_DEP_2) | instskip(NEXT) | instid1(VALU_DEP_2)
	v_add3_u32 v85, v85, v86, v87
	v_add3_u32 v38, v38, v39, v45
	v_pk_mul_f16 v86, v179, v19
	v_pk_mul_f16 v19, v121, v19
	s_delay_alu instid0(VALU_DEP_4) | instskip(NEXT) | instid1(VALU_DEP_4)
	v_add3_u32 v85, v85, v88, v92
	v_add3_u32 v38, v38, v47, v61
	s_delay_alu instid0(VALU_DEP_2) | instskip(NEXT) | instid1(VALU_DEP_2)
	v_add3_u32 v85, v85, v89, v90
	v_add3_u32 v38, v38, v53, v60
	s_delay_alu instid0(VALU_DEP_2) | instskip(NEXT) | instid1(VALU_DEP_2)
	;; [unrolled: 3-line block ×11, first 2 shown]
	v_add3_u32 v85, v85, v109, v110
	v_add3_u32 v38, v38, v80, v81
	s_delay_alu instid0(VALU_DEP_2)
	v_add3_u32 v85, v85, v111, v113
	ds_load_b128 v[76:79], v115 offset:7168
	ds_load_b128 v[108:111], v115 offset:7184
	v_add_nc_u32_e32 v115, 32, v115
	v_add3_u32 v38, v38, v52, v83
	v_add3_u32 v85, v85, v253, v254
	s_delay_alu instid0(VALU_DEP_2) | instskip(NEXT) | instid1(VALU_DEP_2)
	v_add3_u32 v38, v38, v84, v58
	v_cvt_f32_i32_e32 v85, v85
	s_delay_alu instid0(VALU_DEP_2) | instskip(NEXT) | instid1(VALU_DEP_2)
	v_cvt_f32_i32_e32 v38, v38
	v_fma_mix_f32 v85, v86, v85, v86 op_sel:[0,0,1] op_sel_hi:[1,0,1]
	s_delay_alu instid0(VALU_DEP_2)
	v_fma_mix_f32 v19, v19, v38, v19 op_sel:[0,0,1] op_sel_hi:[1,0,1]
	s_waitcnt lgkmcnt(1)
	v_bfe_i32 v45, v76, 0, 8
	v_bfe_i32 v70, v76, 8, 8
	;; [unrolled: 1-line block ×3, first 2 shown]
	v_add_f32_e32 v25, v25, v19
	v_ashrrev_i32_e32 v253, 24, v76
	s_waitcnt lgkmcnt(0)
	v_bfe_i32 v19, v108, 0, 8
	v_mul_i32_i24_e32 v76, v45, v155
	v_bfe_i32 v38, v77, 0, 8
	v_bfe_i32 v47, v77, 8, 8
	v_bfe_i32 v49, v77, 16, 8
	v_ashrrev_i32_e32 v105, 24, v77
	v_bfe_i32 v50, v78, 0, 8
	v_bfe_i32 v51, v78, 8, 8
	;; [unrolled: 1-line block ×3, first 2 shown]
	v_ashrrev_i32_e32 v53, 24, v78
	v_mul_i32_i24_e32 v77, v70, v156
	v_mul_i32_i24_e32 v78, v75, v158
	v_mad_i32_i24 v76, v19, v152, v76
	v_bfe_i32 v39, v108, 8, 8
	v_bfe_i32 v98, v108, 16, 8
	;; [unrolled: 1-line block ×5, first 2 shown]
	v_ashrrev_i32_e32 v68, 24, v79
	v_mul_i32_i24_e32 v79, v253, v159
	v_mul_i32_i24_e32 v83, v38, v162
	v_add3_u32 v76, v76, v77, v78
	v_ashrrev_i32_e32 v254, 24, v108
	v_bfe_i32 v106, v109, 0, 8
	v_mul_i32_i24_e32 v80, v39, v160
	v_mul_i32_i24_e32 v81, v98, v154
	v_add3_u32 v76, v76, v79, v83
	v_mul_i32_i24_e32 v82, v254, v161
	v_mul_i32_i24_e32 v87, v106, v167
	v_add_f32_e32 v26, v26, v85
	v_mul_i32_i24_e32 v84, v47, v163
	v_add3_u32 v76, v76, v80, v81
	v_mul_i32_i24_e32 v85, v49, v164
	v_bfe_i32 v107, v109, 8, 8
	v_bfe_i32 v108, v109, 16, 8
	v_mul_i32_i24_e32 v86, v105, v166
	v_add3_u32 v76, v76, v82, v87
	v_mul_i32_i24_e32 v91, v50, v171
	v_ashrrev_i32_e32 v109, 24, v109
	v_bfe_i32 v55, v110, 0, 8
	v_mul_i32_i24_e32 v88, v107, v168
	v_add3_u32 v76, v76, v84, v85
	v_mul_i32_i24_e32 v89, v108, v157
	v_mul_i32_i24_e32 v90, v109, v170
	v_mul_i32_i24_e32 v95, v55, v176
	v_mul_i32_i24_e32 v92, v51, v172
	v_add3_u32 v76, v76, v86, v91
	v_mul_i32_i24_e32 v93, v52, v174
	v_bfe_i32 v56, v110, 8, 8
	v_bfe_i32 v57, v110, 16, 8
	v_mul_i32_i24_e32 v94, v53, v175
	v_add3_u32 v76, v76, v88, v89
	v_mul_i32_i24_e32 v100, v60, v180
	v_ashrrev_i32_e32 v58, 24, v110
	v_bfe_i32 v69, v111, 0, 8
	v_mul_i32_i24_e32 v96, v56, v177
	v_add3_u32 v76, v76, v90, v95
	v_mul_i32_i24_e32 v97, v57, v165
	v_mul_i32_i24_e32 v99, v58, v178
	;; [unrolled: 1-line block ×3, first 2 shown]
	v_bfe_i32 v71, v111, 8, 8
	v_add3_u32 v76, v76, v92, v93
	v_mul_i32_i24_e32 v101, v61, v181
	v_mul_i32_i24_e32 v102, v65, v182
	v_bfe_i32 v73, v111, 16, 8
	v_ashrrev_i32_e32 v74, 24, v111
	v_add3_u32 v76, v76, v94, v100
	v_mul_i32_i24_e32 v103, v68, v183
	v_mul_i32_i24_e32 v110, v71, v185
	;; [unrolled: 1-line block ×4, first 2 shown]
	v_add3_u32 v76, v76, v96, v97
	v_pk_mul_f16 v77, v151, v20
	v_mul_i32_i24_e32 v78, v75, v191
	v_mul_i32_i24_e32 v79, v253, v192
	v_mul_i32_i24_e32 v83, v38, v195
	v_add3_u32 v76, v76, v99, v104
	v_mul_i32_i24_e32 v80, v39, v193
	v_mul_i32_i24_e32 v81, v98, v186
	v_mul_i32_i24_e32 v82, v254, v194
	v_mul_i32_i24_e32 v87, v106, v200
	v_add3_u32 v76, v76, v101, v102
	v_mul_i32_i24_e32 v84, v47, v196
	;; [unrolled: 5-line block ×4, first 2 shown]
	v_mul_i32_i24_e32 v93, v52, v207
	v_mul_i32_i24_e32 v94, v53, v208
	;; [unrolled: 1-line block ×3, first 2 shown]
	v_cvt_f32_i32_e32 v76, v76
	v_mul_i32_i24_e32 v96, v56, v210
	v_mul_i32_i24_e32 v97, v57, v199
	;; [unrolled: 1-line block ×4, first 2 shown]
	v_fma_mix_f32 v76, v77, v76, v77 op_sel:[0,0,1] op_sel_hi:[1,0,1]
	v_mul_i32_i24_e32 v77, v70, v189
	v_mul_i32_i24_e32 v101, v61, v213
	v_mul_i32_i24_e32 v102, v65, v214
	v_mul_i32_i24_e32 v103, v68, v215
	v_add_f32_e32 v24, v24, v76
	v_mul_i32_i24_e32 v76, v45, v188
	v_mul_i32_i24_e32 v110, v71, v217
	;; [unrolled: 1-line block ×5, first 2 shown]
	v_mad_i32_i24 v76, v19, v169, v76
	v_mul_i32_i24_e32 v152, v70, v251
	s_delay_alu instid0(VALU_DEP_2)
	v_add3_u32 v76, v76, v77, v78
	v_pk_mul_f16 v77, v153, v20
	v_mul_i32_i24_e32 v78, v75, v223
	v_mul_i32_i24_e32 v153, v75, v252
	;; [unrolled: 1-line block ×3, first 2 shown]
	v_add3_u32 v76, v76, v79, v83
	v_mul_i32_i24_e32 v79, v253, v224
	v_mul_i32_i24_e32 v83, v38, v227
	;; [unrolled: 1-line block ×3, first 2 shown]
	s_delay_alu instid0(VALU_DEP_4) | instskip(SKIP_3) | instid1(VALU_DEP_4)
	v_add3_u32 v76, v76, v80, v81
	v_mul_i32_i24_e32 v80, v39, v225
	v_mul_i32_i24_e32 v81, v98, v218
	;; [unrolled: 1-line block ×3, first 2 shown]
	v_add3_u32 v76, v76, v82, v87
	v_mul_i32_i24_e32 v82, v254, v226
	v_mul_i32_i24_e32 v87, v106, v232
	s_delay_alu instid0(VALU_DEP_3)
	v_add3_u32 v76, v76, v84, v85
	v_mul_i32_i24_e32 v84, v47, v228
	v_mul_i32_i24_e32 v85, v49, v229
	;; [unrolled: 1-line block ×4, first 2 shown]
	v_add3_u32 v76, v76, v86, v91
	v_mul_i32_i24_e32 v86, v105, v230
	v_mul_i32_i24_e32 v91, v50, v235
	;; [unrolled: 1-line block ×3, first 2 shown]
	s_delay_alu instid0(VALU_DEP_4) | instskip(SKIP_2) | instid1(VALU_DEP_3)
	v_add3_u32 v76, v76, v88, v89
	v_mul_i32_i24_e32 v88, v107, v233
	v_mul_i32_i24_e32 v89, v108, v222
	v_add3_u32 v76, v76, v90, v95
	v_mul_i32_i24_e32 v90, v109, v234
	v_mul_i32_i24_e32 v95, v55, v240
	;; [unrolled: 1-line block ×3, first 2 shown]
	s_delay_alu instid0(VALU_DEP_4)
	v_add3_u32 v76, v76, v92, v93
	v_mul_i32_i24_e32 v92, v51, v236
	v_mul_i32_i24_e32 v93, v52, v238
	v_mul_i32_i24_e32 v51, v51, v137
	v_mul_i32_i24_e32 v52, v52, v139
	v_add3_u32 v76, v76, v94, v100
	v_mul_i32_i24_e32 v94, v53, v239
	v_mul_i32_i24_e32 v100, v60, v243
	v_mul_i32_i24_e32 v53, v53, v140
	v_mul_i32_i24_e32 v60, v60, v144
	;; [unrolled: 5-line block ×7, first 2 shown]
	v_cvt_f32_i32_e32 v76, v76
	s_delay_alu instid0(VALU_DEP_1) | instskip(SKIP_2) | instid1(VALU_DEP_3)
	v_fma_mix_f32 v76, v77, v76, v77 op_sel:[0,0,1] op_sel_hi:[1,0,1]
	v_mul_i32_i24_e32 v77, v70, v221
	v_mul_i32_i24_e32 v70, v98, v123
	v_add_f32_e32 v23, v23, v76
	v_mul_i32_i24_e32 v76, v45, v220
	v_mul_i32_i24_e32 v45, v253, v125
	s_delay_alu instid0(VALU_DEP_2) | instskip(SKIP_1) | instid1(VALU_DEP_2)
	v_mad_i32_i24 v76, v19, v203, v76
	v_mad_i32_i24 v19, v19, v122, v151
	v_add3_u32 v76, v76, v77, v78
	s_delay_alu instid0(VALU_DEP_2)
	v_add3_u32 v19, v19, v152, v153
	v_pk_mul_f16 v77, v179, v20
	v_mul_i32_i24_e32 v78, v107, v134
	v_pk_mul_f16 v20, v121, v20
	v_add3_u32 v76, v76, v79, v83
	v_add3_u32 v19, v19, v45, v38
	v_mul_i32_i24_e32 v79, v108, v124
	s_delay_alu instid0(VALU_DEP_3) | instskip(NEXT) | instid1(VALU_DEP_3)
	v_add3_u32 v76, v76, v80, v81
	v_add3_u32 v19, v19, v39, v70
	v_mul_i32_i24_e32 v80, v109, v135
	s_delay_alu instid0(VALU_DEP_3) | instskip(NEXT) | instid1(VALU_DEP_1)
	v_add3_u32 v76, v76, v82, v87
	v_add3_u32 v76, v76, v84, v85
	s_delay_alu instid0(VALU_DEP_1) | instskip(NEXT) | instid1(VALU_DEP_1)
	v_add3_u32 v76, v76, v86, v91
	v_add3_u32 v76, v76, v88, v89
	s_delay_alu instid0(VALU_DEP_1) | instskip(NEXT) | instid1(VALU_DEP_1)
	v_add3_u32 v76, v76, v90, v95
	v_add3_u32 v76, v76, v92, v93
	s_delay_alu instid0(VALU_DEP_1) | instskip(NEXT) | instid1(VALU_DEP_1)
	v_add3_u32 v76, v76, v94, v100
	v_add3_u32 v76, v76, v96, v97
	s_delay_alu instid0(VALU_DEP_1) | instskip(NEXT) | instid1(VALU_DEP_1)
	v_add3_u32 v76, v76, v99, v104
	v_add3_u32 v76, v76, v101, v102
	s_delay_alu instid0(VALU_DEP_1) | instskip(NEXT) | instid1(VALU_DEP_1)
	v_add3_u32 v76, v76, v103, v110
	v_add3_u32 v76, v76, v111, v112
	s_delay_alu instid0(VALU_DEP_1) | instskip(NEXT) | instid1(VALU_DEP_1)
	v_cvt_f32_i32_e32 v76, v76
	v_fma_mix_f32 v76, v77, v76, v77 op_sel:[0,0,1] op_sel_hi:[1,0,1]
	v_mul_i32_i24_e32 v77, v106, v133
	s_delay_alu instid0(VALU_DEP_2) | instskip(NEXT) | instid1(VALU_DEP_2)
	v_add_f32_e32 v22, v22, v76
	v_add3_u32 v19, v19, v75, v77
	v_mul_i32_i24_e32 v76, v105, v131
	s_delay_alu instid0(VALU_DEP_2) | instskip(NEXT) | instid1(VALU_DEP_1)
	v_add3_u32 v19, v19, v47, v49
	v_add3_u32 v19, v19, v76, v50
	s_delay_alu instid0(VALU_DEP_1) | instskip(NEXT) | instid1(VALU_DEP_1)
	v_add3_u32 v19, v19, v78, v79
	v_add3_u32 v19, v19, v80, v55
	s_delay_alu instid0(VALU_DEP_1) | instskip(NEXT) | instid1(VALU_DEP_1)
	;; [unrolled: 3-line block ×5, first 2 shown]
	v_add3_u32 v19, v19, v73, v74
	v_cvt_f32_i32_e32 v19, v19
	s_delay_alu instid0(VALU_DEP_1) | instskip(NEXT) | instid1(VALU_DEP_1)
	v_fma_mix_f32 v19, v20, v19, v20 op_sel:[0,0,1] op_sel_hi:[1,0,1]
	v_add_f32_e32 v21, v21, v19
	s_cbranch_scc1 .LBB160_10
; %bb.11:                               ;   in Loop: Header=BB160_6 Depth=1
	s_barrier
	buffer_gl0_inv
	s_branch .LBB160_5
.LBB160_12:
	s_clause 0x2
	scratch_load_b32 v1, off, off offset:232
	scratch_load_b32 v0, off, off offset:236
	scratch_load_b32 v4, off, off offset:240
.LBB160_13:
	s_mov_b32 s0, exec_lo
	s_waitcnt vmcnt(0)
	v_cmpx_gt_u32_e64 s6, v4
	s_cbranch_execz .LBB160_64
; %bb.14:
	v_add_nc_u32_e32 v0, s12, v0
	v_mul_lo_u32 v5, v4, s10
	s_delay_alu instid0(VALU_DEP_2)
	v_cmp_gt_u32_e32 vcc_lo, s10, v0
	s_and_saveexec_b32 s1, vcc_lo
	s_cbranch_execz .LBB160_16
; %bb.15:
	v_bfe_u32 v3, v41, 16, 1
	s_delay_alu instid0(VALU_DEP_3) | instskip(SKIP_1) | instid1(VALU_DEP_3)
	v_add_nc_u32_e32 v2, v0, v5
	v_cmp_o_f32_e64 s0, v41, v41
	v_add3_u32 v4, v41, v3, 0x7fff
	v_mov_b32_e32 v3, 0
	s_delay_alu instid0(VALU_DEP_2) | instskip(NEXT) | instid1(VALU_DEP_2)
	v_lshrrev_b32_e32 v4, 16, v4
	v_lshlrev_b64 v[2:3], 1, v[2:3]
	s_delay_alu instid0(VALU_DEP_2) | instskip(SKIP_1) | instid1(VALU_DEP_2)
	v_cndmask_b32_e64 v4, 0x7fc0, v4, s0
	s_waitcnt lgkmcnt(0)
	v_add_co_u32 v2, s0, s8, v2
	s_delay_alu instid0(VALU_DEP_1)
	v_add_co_ci_u32_e64 v3, s0, s9, v3, s0
	global_store_b16 v[2:3], v4, off
.LBB160_16:
	s_or_b32 exec_lo, exec_lo, s1
	v_add_nc_u32_e32 v2, 32, v0
	s_delay_alu instid0(VALU_DEP_1) | instskip(NEXT) | instid1(VALU_DEP_1)
	v_cmp_gt_u32_e64 s0, s10, v2
	s_and_saveexec_b32 s2, s0
	s_cbranch_execz .LBB160_18
; %bb.17:
	v_bfe_u32 v4, v72, 16, 1
	v_add_nc_u32_e32 v3, v2, v5
	v_cmp_o_f32_e64 s1, v72, v72
	s_delay_alu instid0(VALU_DEP_3) | instskip(SKIP_1) | instid1(VALU_DEP_2)
	v_add3_u32 v6, v72, v4, 0x7fff
	v_mov_b32_e32 v4, 0
	v_lshrrev_b32_e32 v6, 16, v6
	s_delay_alu instid0(VALU_DEP_2) | instskip(NEXT) | instid1(VALU_DEP_2)
	v_lshlrev_b64 v[3:4], 1, v[3:4]
	v_cndmask_b32_e64 v6, 0x7fc0, v6, s1
	s_waitcnt lgkmcnt(0)
	s_delay_alu instid0(VALU_DEP_2) | instskip(NEXT) | instid1(VALU_DEP_1)
	v_add_co_u32 v3, s1, s8, v3
	v_add_co_ci_u32_e64 v4, s1, s9, v4, s1
	global_store_b16 v[3:4], v6, off
.LBB160_18:
	s_or_b32 exec_lo, exec_lo, s2
	v_add_nc_u32_e32 v3, 64, v0
	s_delay_alu instid0(VALU_DEP_1) | instskip(NEXT) | instid1(VALU_DEP_1)
	v_cmp_gt_u32_e64 s1, s10, v3
	s_and_saveexec_b32 s3, s1
	s_cbranch_execz .LBB160_20
; %bb.19:
	v_bfe_u32 v4, v67, 16, 1
	v_dual_mov_b32 v7, 0 :: v_dual_add_nc_u32 v6, v3, v5
	v_cmp_o_f32_e64 s2, v67, v67
	s_delay_alu instid0(VALU_DEP_3) | instskip(NEXT) | instid1(VALU_DEP_3)
	v_add3_u32 v4, v67, v4, 0x7fff
	v_lshlrev_b64 v[6:7], 1, v[6:7]
	s_delay_alu instid0(VALU_DEP_2) | instskip(NEXT) | instid1(VALU_DEP_1)
	v_lshrrev_b32_e32 v4, 16, v4
	v_cndmask_b32_e64 v4, 0x7fc0, v4, s2
	s_waitcnt lgkmcnt(0)
	s_delay_alu instid0(VALU_DEP_3) | instskip(NEXT) | instid1(VALU_DEP_1)
	v_add_co_u32 v6, s2, s8, v6
	v_add_co_ci_u32_e64 v7, s2, s9, v7, s2
	global_store_b16 v[6:7], v4, off
.LBB160_20:
	s_or_b32 exec_lo, exec_lo, s3
	v_add_nc_u32_e32 v4, 0x60, v0
	s_delay_alu instid0(VALU_DEP_1) | instskip(NEXT) | instid1(VALU_DEP_1)
	v_cmp_gt_u32_e64 s2, s10, v4
	s_and_saveexec_b32 s4, s2
	s_cbranch_execz .LBB160_22
; %bb.21:
	v_bfe_u32 v6, v66, 16, 1
	v_add_nc_u32_e32 v5, v4, v5
	v_cmp_o_f32_e64 s3, v66, v66
	s_delay_alu instid0(VALU_DEP_3) | instskip(SKIP_1) | instid1(VALU_DEP_2)
	v_add3_u32 v7, v66, v6, 0x7fff
	v_mov_b32_e32 v6, 0
	v_lshrrev_b32_e32 v7, 16, v7
	s_delay_alu instid0(VALU_DEP_2) | instskip(NEXT) | instid1(VALU_DEP_2)
	v_lshlrev_b64 v[5:6], 1, v[5:6]
	v_cndmask_b32_e64 v7, 0x7fc0, v7, s3
	s_waitcnt lgkmcnt(0)
	s_delay_alu instid0(VALU_DEP_2) | instskip(NEXT) | instid1(VALU_DEP_1)
	v_add_co_u32 v5, s3, s8, v5
	v_add_co_ci_u32_e64 v6, s3, s9, v6, s3
	global_store_b16 v[5:6], v7, off
.LBB160_22:
	s_or_b32 exec_lo, exec_lo, s4
	v_add3_u32 v5, v1, s11, 8
	s_delay_alu instid0(VALU_DEP_1) | instskip(NEXT) | instid1(VALU_DEP_1)
	v_cmp_gt_u32_e64 s3, s6, v5
	s_and_b32 exec_lo, exec_lo, s3
	s_cbranch_execz .LBB160_64
; %bb.23:
	v_mul_lo_u32 v5, v5, s10
	s_and_saveexec_b32 s4, vcc_lo
	s_cbranch_execnz .LBB160_65
; %bb.24:
	s_or_b32 exec_lo, exec_lo, s4
	s_and_saveexec_b32 s4, s0
	s_cbranch_execnz .LBB160_66
.LBB160_25:
	s_or_b32 exec_lo, exec_lo, s4
	s_and_saveexec_b32 s4, s1
	s_cbranch_execnz .LBB160_67
.LBB160_26:
	s_or_b32 exec_lo, exec_lo, s4
	s_and_saveexec_b32 s4, s2
	s_cbranch_execz .LBB160_28
.LBB160_27:
	v_bfe_u32 v6, v59, 16, 1
	v_add_nc_u32_e32 v5, v5, v4
	v_cmp_o_f32_e64 s3, v59, v59
	s_delay_alu instid0(VALU_DEP_3) | instskip(SKIP_1) | instid1(VALU_DEP_2)
	v_add3_u32 v7, v59, v6, 0x7fff
	v_mov_b32_e32 v6, 0
	v_lshrrev_b32_e32 v7, 16, v7
	s_delay_alu instid0(VALU_DEP_2) | instskip(NEXT) | instid1(VALU_DEP_2)
	v_lshlrev_b64 v[5:6], 1, v[5:6]
	v_cndmask_b32_e64 v7, 0x7fc0, v7, s3
	s_waitcnt lgkmcnt(0)
	s_delay_alu instid0(VALU_DEP_2) | instskip(NEXT) | instid1(VALU_DEP_1)
	v_add_co_u32 v5, s3, s8, v5
	v_add_co_ci_u32_e64 v6, s3, s9, v6, s3
	global_store_b16 v[5:6], v7, off
.LBB160_28:
	s_or_b32 exec_lo, exec_lo, s4
	v_add3_u32 v5, v1, s11, 16
	s_delay_alu instid0(VALU_DEP_1) | instskip(NEXT) | instid1(VALU_DEP_1)
	v_cmp_gt_u32_e64 s3, s6, v5
	s_and_b32 exec_lo, exec_lo, s3
	s_cbranch_execz .LBB160_64
; %bb.29:
	v_mul_lo_u32 v5, v5, s10
	s_and_saveexec_b32 s4, vcc_lo
	s_cbranch_execnz .LBB160_68
; %bb.30:
	s_or_b32 exec_lo, exec_lo, s4
	s_and_saveexec_b32 s4, s0
	s_cbranch_execnz .LBB160_69
.LBB160_31:
	s_or_b32 exec_lo, exec_lo, s4
	s_and_saveexec_b32 s4, s1
	s_cbranch_execnz .LBB160_70
.LBB160_32:
	s_or_b32 exec_lo, exec_lo, s4
	s_and_saveexec_b32 s4, s2
	s_cbranch_execz .LBB160_34
.LBB160_33:
	v_bfe_u32 v6, v44, 16, 1
	v_add_nc_u32_e32 v5, v5, v4
	v_cmp_o_f32_e64 s3, v44, v44
	s_delay_alu instid0(VALU_DEP_3) | instskip(SKIP_1) | instid1(VALU_DEP_2)
	v_add3_u32 v7, v44, v6, 0x7fff
	v_mov_b32_e32 v6, 0
	v_lshrrev_b32_e32 v7, 16, v7
	s_delay_alu instid0(VALU_DEP_2) | instskip(NEXT) | instid1(VALU_DEP_2)
	v_lshlrev_b64 v[5:6], 1, v[5:6]
	v_cndmask_b32_e64 v7, 0x7fc0, v7, s3
	s_waitcnt lgkmcnt(0)
	s_delay_alu instid0(VALU_DEP_2) | instskip(NEXT) | instid1(VALU_DEP_1)
	v_add_co_u32 v5, s3, s8, v5
	v_add_co_ci_u32_e64 v6, s3, s9, v6, s3
	global_store_b16 v[5:6], v7, off
.LBB160_34:
	s_or_b32 exec_lo, exec_lo, s4
	v_add3_u32 v5, v1, s11, 24
	s_delay_alu instid0(VALU_DEP_1) | instskip(NEXT) | instid1(VALU_DEP_1)
	v_cmp_gt_u32_e64 s3, s6, v5
	s_and_b32 exec_lo, exec_lo, s3
	s_cbranch_execz .LBB160_64
; %bb.35:
	v_mul_lo_u32 v5, v5, s10
	s_and_saveexec_b32 s4, vcc_lo
	s_cbranch_execnz .LBB160_71
; %bb.36:
	s_or_b32 exec_lo, exec_lo, s4
	s_and_saveexec_b32 s4, s0
	s_cbranch_execnz .LBB160_72
.LBB160_37:
	s_or_b32 exec_lo, exec_lo, s4
	s_and_saveexec_b32 s4, s1
	s_cbranch_execnz .LBB160_73
.LBB160_38:
	s_or_b32 exec_lo, exec_lo, s4
	s_and_saveexec_b32 s4, s2
	s_cbranch_execz .LBB160_40
.LBB160_39:
	v_bfe_u32 v6, v37, 16, 1
	v_add_nc_u32_e32 v5, v5, v4
	v_cmp_o_f32_e64 s3, v37, v37
	s_delay_alu instid0(VALU_DEP_3) | instskip(SKIP_1) | instid1(VALU_DEP_2)
	v_add3_u32 v7, v37, v6, 0x7fff
	v_mov_b32_e32 v6, 0
	v_lshrrev_b32_e32 v7, 16, v7
	s_delay_alu instid0(VALU_DEP_2) | instskip(NEXT) | instid1(VALU_DEP_2)
	v_lshlrev_b64 v[5:6], 1, v[5:6]
	v_cndmask_b32_e64 v7, 0x7fc0, v7, s3
	s_waitcnt lgkmcnt(0)
	s_delay_alu instid0(VALU_DEP_2) | instskip(NEXT) | instid1(VALU_DEP_1)
	v_add_co_u32 v5, s3, s8, v5
	v_add_co_ci_u32_e64 v6, s3, s9, v6, s3
	global_store_b16 v[5:6], v7, off
.LBB160_40:
	s_or_b32 exec_lo, exec_lo, s4
	v_add3_u32 v5, v1, s11, 32
	s_delay_alu instid0(VALU_DEP_1) | instskip(NEXT) | instid1(VALU_DEP_1)
	v_cmp_gt_u32_e64 s3, s6, v5
	s_and_b32 exec_lo, exec_lo, s3
	s_cbranch_execz .LBB160_64
; %bb.41:
	v_mul_lo_u32 v5, v5, s10
	s_and_saveexec_b32 s4, vcc_lo
	s_cbranch_execnz .LBB160_74
; %bb.42:
	s_or_b32 exec_lo, exec_lo, s4
	s_and_saveexec_b32 s4, s0
	s_cbranch_execnz .LBB160_75
.LBB160_43:
	s_or_b32 exec_lo, exec_lo, s4
	s_and_saveexec_b32 s4, s1
	s_cbranch_execnz .LBB160_76
.LBB160_44:
	s_or_b32 exec_lo, exec_lo, s4
	s_and_saveexec_b32 s4, s2
	s_cbranch_execz .LBB160_46
.LBB160_45:
	v_bfe_u32 v6, v33, 16, 1
	v_add_nc_u32_e32 v5, v5, v4
	v_cmp_o_f32_e64 s3, v33, v33
	s_delay_alu instid0(VALU_DEP_3) | instskip(SKIP_1) | instid1(VALU_DEP_2)
	v_add3_u32 v7, v33, v6, 0x7fff
	v_mov_b32_e32 v6, 0
	v_lshrrev_b32_e32 v7, 16, v7
	s_delay_alu instid0(VALU_DEP_2) | instskip(NEXT) | instid1(VALU_DEP_2)
	v_lshlrev_b64 v[5:6], 1, v[5:6]
	v_cndmask_b32_e64 v7, 0x7fc0, v7, s3
	s_waitcnt lgkmcnt(0)
	s_delay_alu instid0(VALU_DEP_2) | instskip(NEXT) | instid1(VALU_DEP_1)
	v_add_co_u32 v5, s3, s8, v5
	v_add_co_ci_u32_e64 v6, s3, s9, v6, s3
	global_store_b16 v[5:6], v7, off
.LBB160_46:
	s_or_b32 exec_lo, exec_lo, s4
	v_add3_u32 v5, v1, s11, 40
	s_delay_alu instid0(VALU_DEP_1) | instskip(NEXT) | instid1(VALU_DEP_1)
	v_cmp_gt_u32_e64 s3, s6, v5
	s_and_b32 exec_lo, exec_lo, s3
	s_cbranch_execz .LBB160_64
; %bb.47:
	v_mul_lo_u32 v5, v5, s10
	s_and_saveexec_b32 s4, vcc_lo
	s_cbranch_execnz .LBB160_77
; %bb.48:
	s_or_b32 exec_lo, exec_lo, s4
	s_and_saveexec_b32 s4, s0
	s_cbranch_execnz .LBB160_78
.LBB160_49:
	s_or_b32 exec_lo, exec_lo, s4
	s_and_saveexec_b32 s4, s1
	s_cbranch_execnz .LBB160_79
.LBB160_50:
	s_or_b32 exec_lo, exec_lo, s4
	s_and_saveexec_b32 s4, s2
	s_cbranch_execz .LBB160_52
.LBB160_51:
	v_bfe_u32 v6, v29, 16, 1
	v_add_nc_u32_e32 v5, v5, v4
	v_cmp_o_f32_e64 s3, v29, v29
	s_delay_alu instid0(VALU_DEP_3) | instskip(SKIP_1) | instid1(VALU_DEP_2)
	v_add3_u32 v7, v29, v6, 0x7fff
	v_mov_b32_e32 v6, 0
	v_lshrrev_b32_e32 v7, 16, v7
	s_delay_alu instid0(VALU_DEP_2) | instskip(NEXT) | instid1(VALU_DEP_2)
	v_lshlrev_b64 v[5:6], 1, v[5:6]
	v_cndmask_b32_e64 v7, 0x7fc0, v7, s3
	s_waitcnt lgkmcnt(0)
	s_delay_alu instid0(VALU_DEP_2) | instskip(NEXT) | instid1(VALU_DEP_1)
	v_add_co_u32 v5, s3, s8, v5
	v_add_co_ci_u32_e64 v6, s3, s9, v6, s3
	global_store_b16 v[5:6], v7, off
.LBB160_52:
	s_or_b32 exec_lo, exec_lo, s4
	v_add3_u32 v5, v1, s11, 48
	s_delay_alu instid0(VALU_DEP_1) | instskip(NEXT) | instid1(VALU_DEP_1)
	v_cmp_gt_u32_e64 s3, s6, v5
	s_and_b32 exec_lo, exec_lo, s3
	s_cbranch_execz .LBB160_64
; %bb.53:
	v_mul_lo_u32 v5, v5, s10
	s_and_saveexec_b32 s4, vcc_lo
	s_cbranch_execnz .LBB160_80
; %bb.54:
	s_or_b32 exec_lo, exec_lo, s4
	s_and_saveexec_b32 s4, s0
	s_cbranch_execnz .LBB160_81
.LBB160_55:
	s_or_b32 exec_lo, exec_lo, s4
	s_and_saveexec_b32 s4, s1
	s_cbranch_execnz .LBB160_82
.LBB160_56:
	s_or_b32 exec_lo, exec_lo, s4
	s_and_saveexec_b32 s4, s2
	s_cbranch_execz .LBB160_58
.LBB160_57:
	v_bfe_u32 v6, v25, 16, 1
	v_add_nc_u32_e32 v5, v5, v4
	v_cmp_o_f32_e64 s3, v25, v25
	s_delay_alu instid0(VALU_DEP_3) | instskip(SKIP_1) | instid1(VALU_DEP_2)
	v_add3_u32 v7, v25, v6, 0x7fff
	v_mov_b32_e32 v6, 0
	v_lshrrev_b32_e32 v7, 16, v7
	s_delay_alu instid0(VALU_DEP_2) | instskip(NEXT) | instid1(VALU_DEP_2)
	v_lshlrev_b64 v[5:6], 1, v[5:6]
	v_cndmask_b32_e64 v7, 0x7fc0, v7, s3
	s_waitcnt lgkmcnt(0)
	s_delay_alu instid0(VALU_DEP_2) | instskip(NEXT) | instid1(VALU_DEP_1)
	v_add_co_u32 v5, s3, s8, v5
	v_add_co_ci_u32_e64 v6, s3, s9, v6, s3
	global_store_b16 v[5:6], v7, off
.LBB160_58:
	s_or_b32 exec_lo, exec_lo, s4
	v_add3_u32 v1, v1, s11, 56
	s_delay_alu instid0(VALU_DEP_1) | instskip(NEXT) | instid1(VALU_DEP_1)
	v_cmp_gt_u32_e64 s3, s6, v1
	s_and_b32 exec_lo, exec_lo, s3
	s_cbranch_execz .LBB160_64
; %bb.59:
	v_mul_lo_u32 v1, v1, s10
	s_and_saveexec_b32 s3, vcc_lo
	s_cbranch_execnz .LBB160_83
; %bb.60:
	s_or_b32 exec_lo, exec_lo, s3
	s_and_saveexec_b32 s3, s0
	s_cbranch_execnz .LBB160_84
.LBB160_61:
	s_or_b32 exec_lo, exec_lo, s3
	s_and_saveexec_b32 s0, s1
	s_cbranch_execnz .LBB160_85
.LBB160_62:
	s_or_b32 exec_lo, exec_lo, s0
	s_delay_alu instid0(SALU_CYCLE_1)
	s_and_b32 exec_lo, exec_lo, s2
	s_cbranch_execz .LBB160_64
.LBB160_63:
	v_bfe_u32 v2, v21, 16, 1
	v_dual_mov_b32 v1, 0 :: v_dual_add_nc_u32 v0, v1, v4
	v_cmp_o_f32_e32 vcc_lo, v21, v21
	s_delay_alu instid0(VALU_DEP_3) | instskip(NEXT) | instid1(VALU_DEP_3)
	v_add3_u32 v2, v21, v2, 0x7fff
	v_lshlrev_b64 v[0:1], 1, v[0:1]
	s_delay_alu instid0(VALU_DEP_2) | instskip(NEXT) | instid1(VALU_DEP_1)
	v_lshrrev_b32_e32 v2, 16, v2
	v_cndmask_b32_e32 v2, 0x7fc0, v2, vcc_lo
	s_waitcnt lgkmcnt(0)
	s_delay_alu instid0(VALU_DEP_3) | instskip(NEXT) | instid1(VALU_DEP_4)
	v_add_co_u32 v0, vcc_lo, s8, v0
	v_add_co_ci_u32_e32 v1, vcc_lo, s9, v1, vcc_lo
	global_store_b16 v[0:1], v2, off
.LBB160_64:
	s_nop 0
	s_sendmsg sendmsg(MSG_DEALLOC_VGPRS)
	s_endpgm
.LBB160_65:
	v_bfe_u32 v7, v64, 16, 1
	s_delay_alu instid0(VALU_DEP_2) | instskip(SKIP_1) | instid1(VALU_DEP_3)
	v_add_nc_u32_e32 v6, v5, v0
	v_cmp_o_f32_e64 s3, v64, v64
	v_add3_u32 v8, v64, v7, 0x7fff
	v_mov_b32_e32 v7, 0
	s_delay_alu instid0(VALU_DEP_2) | instskip(NEXT) | instid1(VALU_DEP_2)
	v_lshrrev_b32_e32 v8, 16, v8
	v_lshlrev_b64 v[6:7], 1, v[6:7]
	s_delay_alu instid0(VALU_DEP_2) | instskip(SKIP_1) | instid1(VALU_DEP_2)
	v_cndmask_b32_e64 v8, 0x7fc0, v8, s3
	s_waitcnt lgkmcnt(0)
	v_add_co_u32 v6, s3, s8, v6
	s_delay_alu instid0(VALU_DEP_1)
	v_add_co_ci_u32_e64 v7, s3, s9, v7, s3
	global_store_b16 v[6:7], v8, off
	s_or_b32 exec_lo, exec_lo, s4
	s_and_saveexec_b32 s4, s0
	s_cbranch_execz .LBB160_25
.LBB160_66:
	v_bfe_u32 v7, v63, 16, 1
	s_delay_alu instid0(VALU_DEP_2) | instskip(SKIP_1) | instid1(VALU_DEP_3)
	v_add_nc_u32_e32 v6, v5, v2
	v_cmp_o_f32_e64 s3, v63, v63
	v_add3_u32 v8, v63, v7, 0x7fff
	v_mov_b32_e32 v7, 0
	s_delay_alu instid0(VALU_DEP_2) | instskip(NEXT) | instid1(VALU_DEP_2)
	v_lshrrev_b32_e32 v8, 16, v8
	v_lshlrev_b64 v[6:7], 1, v[6:7]
	s_delay_alu instid0(VALU_DEP_2) | instskip(SKIP_1) | instid1(VALU_DEP_2)
	v_cndmask_b32_e64 v8, 0x7fc0, v8, s3
	s_waitcnt lgkmcnt(0)
	v_add_co_u32 v6, s3, s8, v6
	s_delay_alu instid0(VALU_DEP_1)
	v_add_co_ci_u32_e64 v7, s3, s9, v7, s3
	global_store_b16 v[6:7], v8, off
	s_or_b32 exec_lo, exec_lo, s4
	s_and_saveexec_b32 s4, s1
	s_cbranch_execz .LBB160_26
.LBB160_67:
	v_bfe_u32 v7, v62, 16, 1
	v_add_nc_u32_e32 v6, v5, v3
	v_cmp_o_f32_e64 s3, v62, v62
	s_delay_alu instid0(VALU_DEP_3) | instskip(SKIP_1) | instid1(VALU_DEP_2)
	v_add3_u32 v8, v62, v7, 0x7fff
	v_mov_b32_e32 v7, 0
	v_lshrrev_b32_e32 v8, 16, v8
	s_delay_alu instid0(VALU_DEP_2) | instskip(NEXT) | instid1(VALU_DEP_2)
	v_lshlrev_b64 v[6:7], 1, v[6:7]
	v_cndmask_b32_e64 v8, 0x7fc0, v8, s3
	s_waitcnt lgkmcnt(0)
	s_delay_alu instid0(VALU_DEP_2) | instskip(NEXT) | instid1(VALU_DEP_1)
	v_add_co_u32 v6, s3, s8, v6
	v_add_co_ci_u32_e64 v7, s3, s9, v7, s3
	global_store_b16 v[6:7], v8, off
	s_or_b32 exec_lo, exec_lo, s4
	s_and_saveexec_b32 s4, s2
	s_cbranch_execnz .LBB160_27
	s_branch .LBB160_28
.LBB160_68:
	v_bfe_u32 v7, v54, 16, 1
	s_delay_alu instid0(VALU_DEP_2) | instskip(SKIP_1) | instid1(VALU_DEP_3)
	v_add_nc_u32_e32 v6, v5, v0
	v_cmp_o_f32_e64 s3, v54, v54
	v_add3_u32 v8, v54, v7, 0x7fff
	v_mov_b32_e32 v7, 0
	s_delay_alu instid0(VALU_DEP_2) | instskip(NEXT) | instid1(VALU_DEP_2)
	v_lshrrev_b32_e32 v8, 16, v8
	v_lshlrev_b64 v[6:7], 1, v[6:7]
	s_delay_alu instid0(VALU_DEP_2) | instskip(SKIP_1) | instid1(VALU_DEP_2)
	v_cndmask_b32_e64 v8, 0x7fc0, v8, s3
	s_waitcnt lgkmcnt(0)
	v_add_co_u32 v6, s3, s8, v6
	s_delay_alu instid0(VALU_DEP_1)
	v_add_co_ci_u32_e64 v7, s3, s9, v7, s3
	global_store_b16 v[6:7], v8, off
	s_or_b32 exec_lo, exec_lo, s4
	s_and_saveexec_b32 s4, s0
	s_cbranch_execz .LBB160_31
.LBB160_69:
	v_bfe_u32 v7, v48, 16, 1
	s_delay_alu instid0(VALU_DEP_2) | instskip(SKIP_1) | instid1(VALU_DEP_3)
	v_add_nc_u32_e32 v6, v5, v2
	v_cmp_o_f32_e64 s3, v48, v48
	v_add3_u32 v8, v48, v7, 0x7fff
	v_mov_b32_e32 v7, 0
	s_delay_alu instid0(VALU_DEP_2) | instskip(NEXT) | instid1(VALU_DEP_2)
	v_lshrrev_b32_e32 v8, 16, v8
	v_lshlrev_b64 v[6:7], 1, v[6:7]
	s_delay_alu instid0(VALU_DEP_2) | instskip(SKIP_1) | instid1(VALU_DEP_2)
	v_cndmask_b32_e64 v8, 0x7fc0, v8, s3
	s_waitcnt lgkmcnt(0)
	v_add_co_u32 v6, s3, s8, v6
	s_delay_alu instid0(VALU_DEP_1)
	v_add_co_ci_u32_e64 v7, s3, s9, v7, s3
	global_store_b16 v[6:7], v8, off
	s_or_b32 exec_lo, exec_lo, s4
	s_and_saveexec_b32 s4, s1
	s_cbranch_execz .LBB160_32
.LBB160_70:
	v_bfe_u32 v7, v46, 16, 1
	v_add_nc_u32_e32 v6, v5, v3
	v_cmp_o_f32_e64 s3, v46, v46
	s_delay_alu instid0(VALU_DEP_3) | instskip(SKIP_1) | instid1(VALU_DEP_2)
	v_add3_u32 v8, v46, v7, 0x7fff
	v_mov_b32_e32 v7, 0
	v_lshrrev_b32_e32 v8, 16, v8
	s_delay_alu instid0(VALU_DEP_2) | instskip(NEXT) | instid1(VALU_DEP_2)
	v_lshlrev_b64 v[6:7], 1, v[6:7]
	v_cndmask_b32_e64 v8, 0x7fc0, v8, s3
	s_waitcnt lgkmcnt(0)
	s_delay_alu instid0(VALU_DEP_2) | instskip(NEXT) | instid1(VALU_DEP_1)
	v_add_co_u32 v6, s3, s8, v6
	v_add_co_ci_u32_e64 v7, s3, s9, v7, s3
	global_store_b16 v[6:7], v8, off
	s_or_b32 exec_lo, exec_lo, s4
	s_and_saveexec_b32 s4, s2
	s_cbranch_execnz .LBB160_33
	s_branch .LBB160_34
.LBB160_71:
	v_bfe_u32 v7, v43, 16, 1
	s_delay_alu instid0(VALU_DEP_2) | instskip(SKIP_1) | instid1(VALU_DEP_3)
	v_add_nc_u32_e32 v6, v5, v0
	v_cmp_o_f32_e64 s3, v43, v43
	v_add3_u32 v8, v43, v7, 0x7fff
	v_mov_b32_e32 v7, 0
	s_delay_alu instid0(VALU_DEP_2) | instskip(NEXT) | instid1(VALU_DEP_2)
	v_lshrrev_b32_e32 v8, 16, v8
	v_lshlrev_b64 v[6:7], 1, v[6:7]
	s_delay_alu instid0(VALU_DEP_2) | instskip(SKIP_1) | instid1(VALU_DEP_2)
	v_cndmask_b32_e64 v8, 0x7fc0, v8, s3
	s_waitcnt lgkmcnt(0)
	v_add_co_u32 v6, s3, s8, v6
	s_delay_alu instid0(VALU_DEP_1)
	v_add_co_ci_u32_e64 v7, s3, s9, v7, s3
	global_store_b16 v[6:7], v8, off
	s_or_b32 exec_lo, exec_lo, s4
	s_and_saveexec_b32 s4, s0
	s_cbranch_execz .LBB160_37
.LBB160_72:
	v_bfe_u32 v7, v42, 16, 1
	s_delay_alu instid0(VALU_DEP_2) | instskip(SKIP_1) | instid1(VALU_DEP_3)
	v_add_nc_u32_e32 v6, v5, v2
	v_cmp_o_f32_e64 s3, v42, v42
	v_add3_u32 v8, v42, v7, 0x7fff
	v_mov_b32_e32 v7, 0
	s_delay_alu instid0(VALU_DEP_2) | instskip(NEXT) | instid1(VALU_DEP_2)
	v_lshrrev_b32_e32 v8, 16, v8
	v_lshlrev_b64 v[6:7], 1, v[6:7]
	s_delay_alu instid0(VALU_DEP_2) | instskip(SKIP_1) | instid1(VALU_DEP_2)
	v_cndmask_b32_e64 v8, 0x7fc0, v8, s3
	s_waitcnt lgkmcnt(0)
	v_add_co_u32 v6, s3, s8, v6
	s_delay_alu instid0(VALU_DEP_1)
	v_add_co_ci_u32_e64 v7, s3, s9, v7, s3
	global_store_b16 v[6:7], v8, off
	s_or_b32 exec_lo, exec_lo, s4
	s_and_saveexec_b32 s4, s1
	s_cbranch_execz .LBB160_38
.LBB160_73:
	v_bfe_u32 v7, v40, 16, 1
	v_add_nc_u32_e32 v6, v5, v3
	v_cmp_o_f32_e64 s3, v40, v40
	s_delay_alu instid0(VALU_DEP_3) | instskip(SKIP_1) | instid1(VALU_DEP_2)
	v_add3_u32 v8, v40, v7, 0x7fff
	v_mov_b32_e32 v7, 0
	v_lshrrev_b32_e32 v8, 16, v8
	s_delay_alu instid0(VALU_DEP_2) | instskip(NEXT) | instid1(VALU_DEP_2)
	v_lshlrev_b64 v[6:7], 1, v[6:7]
	v_cndmask_b32_e64 v8, 0x7fc0, v8, s3
	s_waitcnt lgkmcnt(0)
	s_delay_alu instid0(VALU_DEP_2) | instskip(NEXT) | instid1(VALU_DEP_1)
	v_add_co_u32 v6, s3, s8, v6
	v_add_co_ci_u32_e64 v7, s3, s9, v7, s3
	global_store_b16 v[6:7], v8, off
	s_or_b32 exec_lo, exec_lo, s4
	s_and_saveexec_b32 s4, s2
	s_cbranch_execnz .LBB160_39
	s_branch .LBB160_40
.LBB160_74:
	v_bfe_u32 v7, v36, 16, 1
	s_delay_alu instid0(VALU_DEP_2) | instskip(SKIP_1) | instid1(VALU_DEP_3)
	v_add_nc_u32_e32 v6, v5, v0
	v_cmp_o_f32_e64 s3, v36, v36
	v_add3_u32 v8, v36, v7, 0x7fff
	v_mov_b32_e32 v7, 0
	s_delay_alu instid0(VALU_DEP_2) | instskip(NEXT) | instid1(VALU_DEP_2)
	v_lshrrev_b32_e32 v8, 16, v8
	v_lshlrev_b64 v[6:7], 1, v[6:7]
	s_delay_alu instid0(VALU_DEP_2) | instskip(SKIP_1) | instid1(VALU_DEP_2)
	v_cndmask_b32_e64 v8, 0x7fc0, v8, s3
	s_waitcnt lgkmcnt(0)
	v_add_co_u32 v6, s3, s8, v6
	s_delay_alu instid0(VALU_DEP_1)
	v_add_co_ci_u32_e64 v7, s3, s9, v7, s3
	global_store_b16 v[6:7], v8, off
	s_or_b32 exec_lo, exec_lo, s4
	s_and_saveexec_b32 s4, s0
	s_cbranch_execz .LBB160_43
.LBB160_75:
	v_bfe_u32 v7, v35, 16, 1
	s_delay_alu instid0(VALU_DEP_2) | instskip(SKIP_1) | instid1(VALU_DEP_3)
	v_add_nc_u32_e32 v6, v5, v2
	v_cmp_o_f32_e64 s3, v35, v35
	v_add3_u32 v8, v35, v7, 0x7fff
	v_mov_b32_e32 v7, 0
	s_delay_alu instid0(VALU_DEP_2) | instskip(NEXT) | instid1(VALU_DEP_2)
	v_lshrrev_b32_e32 v8, 16, v8
	v_lshlrev_b64 v[6:7], 1, v[6:7]
	s_delay_alu instid0(VALU_DEP_2) | instskip(SKIP_1) | instid1(VALU_DEP_2)
	v_cndmask_b32_e64 v8, 0x7fc0, v8, s3
	s_waitcnt lgkmcnt(0)
	v_add_co_u32 v6, s3, s8, v6
	s_delay_alu instid0(VALU_DEP_1)
	v_add_co_ci_u32_e64 v7, s3, s9, v7, s3
	global_store_b16 v[6:7], v8, off
	s_or_b32 exec_lo, exec_lo, s4
	s_and_saveexec_b32 s4, s1
	s_cbranch_execz .LBB160_44
.LBB160_76:
	v_bfe_u32 v7, v34, 16, 1
	v_add_nc_u32_e32 v6, v5, v3
	v_cmp_o_f32_e64 s3, v34, v34
	s_delay_alu instid0(VALU_DEP_3) | instskip(SKIP_1) | instid1(VALU_DEP_2)
	v_add3_u32 v8, v34, v7, 0x7fff
	v_mov_b32_e32 v7, 0
	v_lshrrev_b32_e32 v8, 16, v8
	s_delay_alu instid0(VALU_DEP_2) | instskip(NEXT) | instid1(VALU_DEP_2)
	v_lshlrev_b64 v[6:7], 1, v[6:7]
	v_cndmask_b32_e64 v8, 0x7fc0, v8, s3
	s_waitcnt lgkmcnt(0)
	s_delay_alu instid0(VALU_DEP_2) | instskip(NEXT) | instid1(VALU_DEP_1)
	v_add_co_u32 v6, s3, s8, v6
	v_add_co_ci_u32_e64 v7, s3, s9, v7, s3
	global_store_b16 v[6:7], v8, off
	s_or_b32 exec_lo, exec_lo, s4
	s_and_saveexec_b32 s4, s2
	s_cbranch_execnz .LBB160_45
	s_branch .LBB160_46
.LBB160_77:
	v_bfe_u32 v7, v32, 16, 1
	s_delay_alu instid0(VALU_DEP_2) | instskip(SKIP_1) | instid1(VALU_DEP_3)
	v_add_nc_u32_e32 v6, v5, v0
	v_cmp_o_f32_e64 s3, v32, v32
	v_add3_u32 v8, v32, v7, 0x7fff
	v_mov_b32_e32 v7, 0
	s_delay_alu instid0(VALU_DEP_2) | instskip(NEXT) | instid1(VALU_DEP_2)
	v_lshrrev_b32_e32 v8, 16, v8
	v_lshlrev_b64 v[6:7], 1, v[6:7]
	s_delay_alu instid0(VALU_DEP_2) | instskip(SKIP_1) | instid1(VALU_DEP_2)
	v_cndmask_b32_e64 v8, 0x7fc0, v8, s3
	s_waitcnt lgkmcnt(0)
	v_add_co_u32 v6, s3, s8, v6
	s_delay_alu instid0(VALU_DEP_1)
	v_add_co_ci_u32_e64 v7, s3, s9, v7, s3
	global_store_b16 v[6:7], v8, off
	s_or_b32 exec_lo, exec_lo, s4
	s_and_saveexec_b32 s4, s0
	s_cbranch_execz .LBB160_49
.LBB160_78:
	v_bfe_u32 v7, v31, 16, 1
	s_delay_alu instid0(VALU_DEP_2) | instskip(SKIP_1) | instid1(VALU_DEP_3)
	v_add_nc_u32_e32 v6, v5, v2
	v_cmp_o_f32_e64 s3, v31, v31
	v_add3_u32 v8, v31, v7, 0x7fff
	v_mov_b32_e32 v7, 0
	s_delay_alu instid0(VALU_DEP_2) | instskip(NEXT) | instid1(VALU_DEP_2)
	v_lshrrev_b32_e32 v8, 16, v8
	v_lshlrev_b64 v[6:7], 1, v[6:7]
	s_delay_alu instid0(VALU_DEP_2) | instskip(SKIP_1) | instid1(VALU_DEP_2)
	v_cndmask_b32_e64 v8, 0x7fc0, v8, s3
	s_waitcnt lgkmcnt(0)
	v_add_co_u32 v6, s3, s8, v6
	s_delay_alu instid0(VALU_DEP_1)
	v_add_co_ci_u32_e64 v7, s3, s9, v7, s3
	global_store_b16 v[6:7], v8, off
	s_or_b32 exec_lo, exec_lo, s4
	s_and_saveexec_b32 s4, s1
	s_cbranch_execz .LBB160_50
.LBB160_79:
	v_bfe_u32 v7, v30, 16, 1
	v_add_nc_u32_e32 v6, v5, v3
	v_cmp_o_f32_e64 s3, v30, v30
	s_delay_alu instid0(VALU_DEP_3) | instskip(SKIP_1) | instid1(VALU_DEP_2)
	v_add3_u32 v8, v30, v7, 0x7fff
	v_mov_b32_e32 v7, 0
	v_lshrrev_b32_e32 v8, 16, v8
	s_delay_alu instid0(VALU_DEP_2) | instskip(NEXT) | instid1(VALU_DEP_2)
	v_lshlrev_b64 v[6:7], 1, v[6:7]
	v_cndmask_b32_e64 v8, 0x7fc0, v8, s3
	s_waitcnt lgkmcnt(0)
	s_delay_alu instid0(VALU_DEP_2) | instskip(NEXT) | instid1(VALU_DEP_1)
	v_add_co_u32 v6, s3, s8, v6
	v_add_co_ci_u32_e64 v7, s3, s9, v7, s3
	global_store_b16 v[6:7], v8, off
	s_or_b32 exec_lo, exec_lo, s4
	s_and_saveexec_b32 s4, s2
	s_cbranch_execnz .LBB160_51
	s_branch .LBB160_52
.LBB160_80:
	v_bfe_u32 v7, v28, 16, 1
	s_delay_alu instid0(VALU_DEP_2) | instskip(SKIP_1) | instid1(VALU_DEP_3)
	v_add_nc_u32_e32 v6, v5, v0
	v_cmp_o_f32_e64 s3, v28, v28
	v_add3_u32 v8, v28, v7, 0x7fff
	v_mov_b32_e32 v7, 0
	s_delay_alu instid0(VALU_DEP_2) | instskip(NEXT) | instid1(VALU_DEP_2)
	v_lshrrev_b32_e32 v8, 16, v8
	v_lshlrev_b64 v[6:7], 1, v[6:7]
	s_delay_alu instid0(VALU_DEP_2) | instskip(SKIP_1) | instid1(VALU_DEP_2)
	v_cndmask_b32_e64 v8, 0x7fc0, v8, s3
	s_waitcnt lgkmcnt(0)
	v_add_co_u32 v6, s3, s8, v6
	s_delay_alu instid0(VALU_DEP_1)
	v_add_co_ci_u32_e64 v7, s3, s9, v7, s3
	global_store_b16 v[6:7], v8, off
	s_or_b32 exec_lo, exec_lo, s4
	s_and_saveexec_b32 s4, s0
	s_cbranch_execz .LBB160_55
.LBB160_81:
	v_bfe_u32 v7, v27, 16, 1
	s_delay_alu instid0(VALU_DEP_2) | instskip(SKIP_1) | instid1(VALU_DEP_3)
	v_add_nc_u32_e32 v6, v5, v2
	v_cmp_o_f32_e64 s3, v27, v27
	v_add3_u32 v8, v27, v7, 0x7fff
	v_mov_b32_e32 v7, 0
	s_delay_alu instid0(VALU_DEP_2) | instskip(NEXT) | instid1(VALU_DEP_2)
	v_lshrrev_b32_e32 v8, 16, v8
	v_lshlrev_b64 v[6:7], 1, v[6:7]
	s_delay_alu instid0(VALU_DEP_2) | instskip(SKIP_1) | instid1(VALU_DEP_2)
	v_cndmask_b32_e64 v8, 0x7fc0, v8, s3
	s_waitcnt lgkmcnt(0)
	v_add_co_u32 v6, s3, s8, v6
	s_delay_alu instid0(VALU_DEP_1)
	v_add_co_ci_u32_e64 v7, s3, s9, v7, s3
	global_store_b16 v[6:7], v8, off
	s_or_b32 exec_lo, exec_lo, s4
	s_and_saveexec_b32 s4, s1
	s_cbranch_execz .LBB160_56
.LBB160_82:
	v_bfe_u32 v7, v26, 16, 1
	v_add_nc_u32_e32 v6, v5, v3
	v_cmp_o_f32_e64 s3, v26, v26
	s_delay_alu instid0(VALU_DEP_3) | instskip(SKIP_1) | instid1(VALU_DEP_2)
	v_add3_u32 v8, v26, v7, 0x7fff
	v_mov_b32_e32 v7, 0
	v_lshrrev_b32_e32 v8, 16, v8
	s_delay_alu instid0(VALU_DEP_2) | instskip(NEXT) | instid1(VALU_DEP_2)
	v_lshlrev_b64 v[6:7], 1, v[6:7]
	v_cndmask_b32_e64 v8, 0x7fc0, v8, s3
	s_waitcnt lgkmcnt(0)
	s_delay_alu instid0(VALU_DEP_2) | instskip(NEXT) | instid1(VALU_DEP_1)
	v_add_co_u32 v6, s3, s8, v6
	v_add_co_ci_u32_e64 v7, s3, s9, v7, s3
	global_store_b16 v[6:7], v8, off
	s_or_b32 exec_lo, exec_lo, s4
	s_and_saveexec_b32 s4, s2
	s_cbranch_execnz .LBB160_57
	s_branch .LBB160_58
.LBB160_83:
	v_bfe_u32 v6, v24, 16, 1
	s_delay_alu instid0(VALU_DEP_2) | instskip(SKIP_1) | instid1(VALU_DEP_3)
	v_add_nc_u32_e32 v5, v1, v0
	v_cmp_o_f32_e32 vcc_lo, v24, v24
	v_add3_u32 v0, v24, v6, 0x7fff
	v_mov_b32_e32 v6, 0
	s_delay_alu instid0(VALU_DEP_2) | instskip(NEXT) | instid1(VALU_DEP_2)
	v_lshrrev_b32_e32 v0, 16, v0
	v_lshlrev_b64 v[5:6], 1, v[5:6]
	s_delay_alu instid0(VALU_DEP_2) | instskip(SKIP_1) | instid1(VALU_DEP_2)
	v_cndmask_b32_e32 v0, 0x7fc0, v0, vcc_lo
	s_waitcnt lgkmcnt(0)
	v_add_co_u32 v5, vcc_lo, s8, v5
	s_delay_alu instid0(VALU_DEP_3)
	v_add_co_ci_u32_e32 v6, vcc_lo, s9, v6, vcc_lo
	global_store_b16 v[5:6], v0, off
	s_or_b32 exec_lo, exec_lo, s3
	s_and_saveexec_b32 s3, s0
	s_cbranch_execz .LBB160_61
.LBB160_84:
	v_bfe_u32 v0, v23, 16, 1
	s_delay_alu instid0(VALU_DEP_2) | instskip(SKIP_1) | instid1(VALU_DEP_3)
	v_dual_mov_b32 v6, 0 :: v_dual_add_nc_u32 v5, v1, v2
	v_cmp_o_f32_e32 vcc_lo, v23, v23
	v_add3_u32 v0, v23, v0, 0x7fff
	s_delay_alu instid0(VALU_DEP_3) | instskip(NEXT) | instid1(VALU_DEP_2)
	v_lshlrev_b64 v[5:6], 1, v[5:6]
	v_lshrrev_b32_e32 v0, 16, v0
	s_delay_alu instid0(VALU_DEP_1) | instskip(SKIP_1) | instid1(VALU_DEP_3)
	v_cndmask_b32_e32 v0, 0x7fc0, v0, vcc_lo
	s_waitcnt lgkmcnt(0)
	v_add_co_u32 v5, vcc_lo, s8, v5
	s_delay_alu instid0(VALU_DEP_4)
	v_add_co_ci_u32_e32 v6, vcc_lo, s9, v6, vcc_lo
	global_store_b16 v[5:6], v0, off
	s_or_b32 exec_lo, exec_lo, s3
	s_and_saveexec_b32 s0, s1
	s_cbranch_execz .LBB160_62
.LBB160_85:
	v_bfe_u32 v0, v22, 16, 1
	v_dual_mov_b32 v3, 0 :: v_dual_add_nc_u32 v2, v1, v3
	v_cmp_o_f32_e32 vcc_lo, v22, v22
	s_delay_alu instid0(VALU_DEP_3) | instskip(NEXT) | instid1(VALU_DEP_3)
	v_add3_u32 v0, v22, v0, 0x7fff
	v_lshlrev_b64 v[2:3], 1, v[2:3]
	s_delay_alu instid0(VALU_DEP_2) | instskip(NEXT) | instid1(VALU_DEP_1)
	v_lshrrev_b32_e32 v0, 16, v0
	v_cndmask_b32_e32 v0, 0x7fc0, v0, vcc_lo
	s_waitcnt lgkmcnt(0)
	s_delay_alu instid0(VALU_DEP_3) | instskip(NEXT) | instid1(VALU_DEP_4)
	v_add_co_u32 v2, vcc_lo, s8, v2
	v_add_co_ci_u32_e32 v3, vcc_lo, s9, v3, vcc_lo
	global_store_b16 v[2:3], v0, off
	s_or_b32 exec_lo, exec_lo, s0
	s_delay_alu instid0(SALU_CYCLE_1)
	s_and_b32 exec_lo, exec_lo, s2
	s_cbranch_execnz .LBB160_63
	s_branch .LBB160_64
	.section	.rodata,"a",@progbits
	.p2align	6, 0x0
	.amdhsa_kernel _ZL12mul_mat_q4_1IN3c108BFloat16ELb1EEvPKvS3_PT_iiiii
		.amdhsa_group_segment_fixed_size 30336
		.amdhsa_private_segment_fixed_size 248
		.amdhsa_kernarg_size 44
		.amdhsa_user_sgpr_count 14
		.amdhsa_user_sgpr_dispatch_ptr 0
		.amdhsa_user_sgpr_queue_ptr 0
		.amdhsa_user_sgpr_kernarg_segment_ptr 1
		.amdhsa_user_sgpr_dispatch_id 0
		.amdhsa_user_sgpr_private_segment_size 0
		.amdhsa_wavefront_size32 1
		.amdhsa_uses_dynamic_stack 0
		.amdhsa_enable_private_segment 1
		.amdhsa_system_sgpr_workgroup_id_x 1
		.amdhsa_system_sgpr_workgroup_id_y 1
		.amdhsa_system_sgpr_workgroup_id_z 0
		.amdhsa_system_sgpr_workgroup_info 0
		.amdhsa_system_vgpr_workitem_id 1
		.amdhsa_next_free_vgpr 256
		.amdhsa_next_free_sgpr 16
		.amdhsa_reserve_vcc 1
		.amdhsa_float_round_mode_32 0
		.amdhsa_float_round_mode_16_64 0
		.amdhsa_float_denorm_mode_32 3
		.amdhsa_float_denorm_mode_16_64 3
		.amdhsa_dx10_clamp 1
		.amdhsa_ieee_mode 1
		.amdhsa_fp16_overflow 0
		.amdhsa_workgroup_processor_mode 1
		.amdhsa_memory_ordered 1
		.amdhsa_forward_progress 0
		.amdhsa_shared_vgpr_count 0
		.amdhsa_exception_fp_ieee_invalid_op 0
		.amdhsa_exception_fp_denorm_src 0
		.amdhsa_exception_fp_ieee_div_zero 0
		.amdhsa_exception_fp_ieee_overflow 0
		.amdhsa_exception_fp_ieee_underflow 0
		.amdhsa_exception_fp_ieee_inexact 0
		.amdhsa_exception_int_div_zero 0
	.end_amdhsa_kernel
	.section	.text._ZL12mul_mat_q4_1IN3c108BFloat16ELb1EEvPKvS3_PT_iiiii,"axG",@progbits,_ZL12mul_mat_q4_1IN3c108BFloat16ELb1EEvPKvS3_PT_iiiii,comdat
.Lfunc_end160:
	.size	_ZL12mul_mat_q4_1IN3c108BFloat16ELb1EEvPKvS3_PT_iiiii, .Lfunc_end160-_ZL12mul_mat_q4_1IN3c108BFloat16ELb1EEvPKvS3_PT_iiiii
                                        ; -- End function
	.section	.AMDGPU.csdata,"",@progbits
; Kernel info:
; codeLenInByte = 33976
; NumSgprs: 18
; NumVgprs: 256
; ScratchSize: 248
; MemoryBound: 0
; FloatMode: 240
; IeeeMode: 1
; LDSByteSize: 30336 bytes/workgroup (compile time only)
; SGPRBlocks: 2
; VGPRBlocks: 31
; NumSGPRsForWavesPerEU: 18
; NumVGPRsForWavesPerEU: 256
; Occupancy: 5
; WaveLimiterHint : 0
; COMPUTE_PGM_RSRC2:SCRATCH_EN: 1
; COMPUTE_PGM_RSRC2:USER_SGPR: 14
; COMPUTE_PGM_RSRC2:TRAP_HANDLER: 0
; COMPUTE_PGM_RSRC2:TGID_X_EN: 1
; COMPUTE_PGM_RSRC2:TGID_Y_EN: 1
; COMPUTE_PGM_RSRC2:TGID_Z_EN: 0
; COMPUTE_PGM_RSRC2:TIDIG_COMP_CNT: 1
	.section	.text._ZL12mul_mat_q5_0IN3c108BFloat16ELb0EEvPKvS3_PT_iiiii,"axG",@progbits,_ZL12mul_mat_q5_0IN3c108BFloat16ELb0EEvPKvS3_PT_iiiii,comdat
	.globl	_ZL12mul_mat_q5_0IN3c108BFloat16ELb0EEvPKvS3_PT_iiiii ; -- Begin function _ZL12mul_mat_q5_0IN3c108BFloat16ELb0EEvPKvS3_PT_iiiii
	.p2align	8
	.type	_ZL12mul_mat_q5_0IN3c108BFloat16ELb0EEvPKvS3_PT_iiiii,@function
_ZL12mul_mat_q5_0IN3c108BFloat16ELb0EEvPKvS3_PT_iiiii: ; @_ZL12mul_mat_q5_0IN3c108BFloat16ELb0EEvPKvS3_PT_iiiii
; %bb.0:
	s_clause 0x1
	s_load_b32 s11, s[0:1], 0x18
	s_load_b128 s[4:7], s[0:1], 0x20
	v_bfe_u32 v29, v0, 10, 10
	v_and_b32_e32 v30, 0x3ff, v0
	s_waitcnt lgkmcnt(0)
	s_lshl_b32 s7, s15, 6
	s_cmp_gt_i32 s11, 31
	s_cbranch_scc1 .LBB161_2
; %bb.1:
	v_bfe_u32 v1, v0, 10, 10
	v_and_b32_e32 v0, 0x3ff, v0
	s_mov_b32 s2, 0
	s_mov_b32 s3, 0
	s_delay_alu instid0(VALU_DEP_2)
	v_add_nc_u32_e32 v34, s7, v1
	s_branch .LBB161_3
.LBB161_2:
	s_mov_b32 s2, -1
                                        ; implicit-def: $sgpr3
                                        ; implicit-def: $vgpr1
                                        ; implicit-def: $vgpr0
                                        ; implicit-def: $vgpr34
.LBB161_3:
	s_load_b64 s[8:9], s[0:1], 0x10
	v_dual_mov_b32 v9, s3 :: v_dual_mov_b32 v36, s3
	v_dual_mov_b32 v13, s3 :: v_dual_mov_b32 v10, s3
	;; [unrolled: 1-line block ×16, first 2 shown]
	s_and_not1_b32 vcc_lo, exec_lo, s2
	s_lshl_b32 s10, s14, 7
	s_cbranch_vccnz .LBB161_13
; %bb.4:
	s_load_b128 s[0:3], s[0:1], 0x0
	s_ashr_i32 s12, s11, 31
	s_ashr_i32 s13, s5, 31
	s_lshr_b32 s12, s12, 27
	s_lshr_b32 s13, s13, 27
	s_add_i32 s14, s11, s12
	v_dual_mov_b32 v39, 0 :: v_dual_add_nc_u32 v34, s7, v29
	s_add_i32 s11, s5, s13
	s_ashr_i32 s5, s14, 5
	s_ashr_i32 s13, s11, 5
	s_mul_i32 s12, s5, s10
	v_dual_mov_b32 v35, 0 :: v_dual_add_nc_u32 v2, 8, v34
	v_dual_mov_b32 v27, 0 :: v_dual_add_nc_u32 v8, 24, v34
	v_add_nc_u32_e32 v10, 32, v34
	s_mul_hi_i32 s15, s12, 22
	s_mul_i32 s12, s12, 22
	v_add_nc_u32_e32 v14, 48, v34
	s_waitcnt lgkmcnt(0)
	s_add_u32 s11, s0, s12
	s_addc_u32 s12, s1, s15
	s_add_i32 s0, s4, -1
	v_cvt_f64_u32_e32 v[0:1], v34
	v_cvt_f64_u32_e32 v[2:3], v2
	v_cvt_f64_i32_e32 v[6:7], s0
	v_cvt_f64_u32_e32 v[8:9], v8
	v_cvt_f64_u32_e32 v[10:11], v10
	;; [unrolled: 1-line block ×3, first 2 shown]
	v_add_nc_u32_e32 v12, 40, v34
	v_dual_mov_b32 v33, 0 :: v_dual_add_nc_u32 v4, 16, v34
	v_add_nc_u32_e32 v16, 56, v34
	v_dual_mov_b32 v40, 0 :: v_dual_lshlrev_b32 v19, 3, v30
	s_delay_alu instid0(VALU_DEP_4) | instskip(NEXT) | instid1(VALU_DEP_4)
	v_cvt_f64_u32_e32 v[12:13], v12
	v_cvt_f64_u32_e32 v[4:5], v4
	v_lshrrev_b32_e32 v45, 3, v30
	v_lshrrev_b32_e32 v43, 2, v30
	v_mad_u32_u24 v49, 0x104, v29, v19
	v_dual_mov_b32 v37, 0 :: v_dual_and_b32 v18, 3, v30
	s_delay_alu instid0(VALU_DEP_4)
	v_lshl_add_u32 v19, v29, 2, v45
	v_dual_mov_b32 v41, 0 :: v_dual_and_b32 v44, 7, v30
	v_dual_mov_b32 v31, 0 :: v_dual_and_b32 v20, 31, v30
	v_lshlrev_b32_e32 v22, 7, v29
	v_lshl_add_u32 v24, v29, 3, v43
	v_add_nc_u32_e32 v25, 32, v19
	v_dual_mov_b32 v28, 0 :: v_dual_lshlrev_b32 v21, 2, v30
	v_lshlrev_b32_e32 v47, 2, v18
	v_lshlrev_b32_e32 v23, 2, v44
	v_and_b32_e32 v24, 63, v24
	v_mul_lo_u32 v48, s5, v29
	v_and_b32_e32 v21, 28, v21
	v_mul_lo_u32 v71, s5, v19
	v_add_nc_u32_e32 v26, 64, v19
	s_lshl_b32 s1, s5, 3
	s_and_not1_b32 s14, s14, 31
	v_add_nc_u32_e32 v51, 0x820, v49
	v_add_nc_u32_e32 v52, 0x1040, v49
	v_min_f64 v[0:1], v[0:1], v[6:7]
	v_min_f64 v[2:3], v[2:3], v[6:7]
	;; [unrolled: 1-line block ×5, first 2 shown]
	v_add_nc_u32_e32 v50, s1, v48
	v_add_nc_u32_e32 v83, s14, v71
	v_dual_mov_b32 v46, 0 :: v_dual_add_nc_u32 v53, 0x1860, v49
	v_add_nc_u32_e32 v54, 0x2080, v49
	v_min_f64 v[12:13], v[12:13], v[6:7]
	v_min_f64 v[4:5], v[4:5], v[6:7]
	v_add_nc_u32_e32 v85, s14, v83
	v_dual_mov_b32 v42, 0 :: v_dual_add_nc_u32 v57, 0x28a0, v49
	v_add_nc_u32_e32 v58, 0x30c0, v49
	v_dual_mov_b32 v32, 0 :: v_dual_add_nc_u32 v59, 0x38e0, v49
	v_add_nc_u32_e32 v61, 0x4100, v49
	v_add_nc_u32_e32 v62, 0x4920, v49
	;; [unrolled: 1-line block ×9, first 2 shown]
	v_mul_u32_u24_e32 v101, 0x104, v30
	v_lshl_add_u32 v108, v29, 4, 0xb280
	v_mov_b32_e32 v36, 0
	v_mov_b32_e32 v38, 0
	v_cvt_i32_f64_e32 v0, v[0:1]
	v_cvt_i32_f64_e32 v1, v[2:3]
	;; [unrolled: 1-line block ×5, first 2 shown]
	v_lshlrev_b32_e32 v14, 5, v26
	v_cvt_i32_f64_e32 v9, v[12:13]
	v_cvt_i32_f64_e32 v2, v[4:5]
	v_and_b32_e32 v4, 0xffc, v25
	v_lshlrev_b32_e32 v13, 5, v25
	v_mov_b32_e32 v25, 0
	v_lshl_or_b32 v20, v20, 2, v22
	v_and_b32_e32 v5, 0xffc, v26
	v_dual_mov_b32 v26, 0 :: v_dual_add_nc_u32 v107, 0x8200, v22
	s_delay_alu instid0(VALU_DEP_3)
	v_dual_mov_b32 v22, 0 :: v_dual_add_nc_u32 v73, 0x8200, v20
	v_add_nc_u32_e32 v75, 0x8600, v20
	v_add_nc_u32_e32 v76, 0x8a00, v20
	;; [unrolled: 1-line block ×7, first 2 shown]
	v_mov_b32_e32 v20, 0
	v_mul_lo_u32 v90, s13, v0
	v_mul_lo_u32 v91, s13, v1
	v_add_nc_u32_e32 v0, 0x60, v30
	v_add_nc_u32_e32 v1, 64, v30
	v_mul_lo_u32 v97, s13, v11
	v_mov_b32_e32 v11, 0
	v_cvt_f64_u32_e32 v[16:17], v16
	v_mul_lo_u32 v93, s13, v3
	v_mul_lo_u32 v94, s13, v8
	v_lshlrev_b32_e32 v3, 5, v30
	v_mul_lo_u32 v95, s13, v9
	v_mul_lo_u32 v92, s13, v2
	v_add_nc_u32_e32 v2, 32, v30
	v_and_b32_e32 v0, 0x1fc, v0
	v_and_b32_e32 v1, 0x1fc, v1
	v_dual_mov_b32 v9, 0 :: v_dual_and_b32 v8, 0xfc, v30
	s_delay_alu instid0(VALU_DEP_4) | instskip(NEXT) | instid1(VALU_DEP_4)
	v_lshrrev_b32_e32 v102, 3, v2
	v_add_nc_u32_e32 v0, v3, v0
	s_delay_alu instid0(VALU_DEP_4) | instskip(NEXT) | instid1(VALU_DEP_2)
	v_add_nc_u32_e32 v1, v3, v1
	v_add_nc_u32_e32 v103, 0xae00, v0
	s_delay_alu instid0(VALU_DEP_2)
	v_add_nc_u32_e32 v104, 0xaa00, v1
	v_add_nc_u32_e32 v109, 0xae10, v0
	;; [unrolled: 1-line block ×3, first 2 shown]
	v_min_f64 v[6:7], v[16:17], v[6:7]
	v_and_b32_e32 v16, 0x7fc, v19
	v_lshlrev_b32_e32 v17, 5, v19
	v_add_nc_u32_e32 v19, 0x60, v19
	s_delay_alu instid0(VALU_DEP_3) | instskip(SKIP_1) | instid1(VALU_DEP_3)
	v_add3_u32 v10, v16, v23, 0xa200
	v_lshl_or_b32 v16, v24, 4, v47
	v_lshlrev_b32_e32 v15, 5, v19
	s_delay_alu instid0(VALU_DEP_3) | instskip(NEXT) | instid1(VALU_DEP_3)
	v_add_nc_u32_e32 v114, v10, v17
	v_dual_mov_b32 v16, 0 :: v_dual_add_nc_u32 v87, 0xb280, v16
	v_dual_mov_b32 v10, 0 :: v_dual_mov_b32 v17, 0
	v_cvt_i32_f64_e32 v12, v[6:7]
	v_or_b32_e32 v7, s7, v24
	v_and_b32_e32 v6, 0xffc, v19
	v_add3_u32 v19, v4, v23, 0xa200
	v_add_co_u32 v4, s15, s2, v21
	s_delay_alu instid0(VALU_DEP_4)
	v_min_i32_e32 v21, s0, v7
	v_add3_u32 v24, v5, v23, 0xa200
	v_add3_u32 v23, v6, v23, 0xa200
	s_movk_i32 s0, 0x80
	v_add_co_ci_u32_e64 v5, null, s3, 0, s15
	v_mad_u64_u32 v[6:7], null, v21, s13, v[18:19]
	v_mov_b32_e32 v21, 0
	v_add_nc_u32_e32 v55, s1, v50
	v_dual_mov_b32 v18, 0 :: v_dual_and_b32 v7, 0x1fc, v2
	v_mad_u32_u24 v113, 0x104, v30, s0
	v_add_nc_u32_e32 v115, v19, v13
	s_delay_alu instid0(VALU_DEP_4) | instskip(NEXT) | instid1(VALU_DEP_4)
	v_add_nc_u32_e32 v56, s1, v55
	v_add_nc_u32_e32 v7, v3, v7
	;; [unrolled: 1-line block ×10, first 2 shown]
	v_dual_mov_b32 v24, 0 :: v_dual_add_nc_u32 v65, s1, v60
	v_mov_b32_e32 v23, 0
	v_mov_b32_e32 v19, 0
	s_delay_alu instid0(VALU_DEP_3) | instskip(SKIP_3) | instid1(VALU_DEP_4)
	v_dual_mov_b32 v15, 0 :: v_dual_add_nc_u32 v70, s1, v65
	v_dual_mov_b32 v14, 0 :: v_dual_mov_b32 v13, 0
	v_mul_lo_u32 v99, s13, v12
	v_mov_b32_e32 v12, 0
	v_add_nc_u32_e32 v72, s1, v70
	s_mov_b32 s13, 0
	s_delay_alu instid0(VALU_DEP_1) | instskip(NEXT) | instid1(VALU_DEP_1)
	v_add_nc_u32_e32 v74, s1, v72
	v_add_nc_u32_e32 v79, s1, v74
	s_delay_alu instid0(VALU_DEP_1) | instskip(NEXT) | instid1(VALU_DEP_1)
	v_add_nc_u32_e32 v80, s1, v79
	v_add_nc_u32_e32 v81, s1, v80
	;; [unrolled: 3-line block ×4, first 2 shown]
	s_branch .LBB161_6
.LBB161_5:                              ;   in Loop: Header=BB161_6 Depth=1
	s_add_i32 s13, s13, 8
	s_delay_alu instid0(SALU_CYCLE_1)
	s_cmp_ge_i32 s13, s5
	s_cbranch_scc1 .LBB161_12
.LBB161_6:                              ; =>This Loop Header: Depth=1
                                        ;     Child Loop BB161_7 Depth 2
                                        ;     Child Loop BB161_10 Depth 2
	s_mul_i32 s0, s13, 22
	s_mul_hi_u32 s1, s13, 22
	s_add_u32 s0, s11, s0
	s_addc_u32 s1, s12, s1
	s_delay_alu instid0(SALU_CYCLE_1) | instskip(NEXT) | instid1(VALU_DEP_1)
	v_mad_u64_u32 v[0:1], null, v43, 22, s[0:1]
	v_mad_u64_u32 v[2:3], null, v48, 22, v[0:1]
	;; [unrolled: 1-line block ×5, first 2 shown]
	s_delay_alu instid0(VALU_DEP_4)
	v_add_co_u32 v122, vcc_lo, v2, v47
	v_add_co_ci_u32_e32 v123, vcc_lo, 0, v3, vcc_lo
	v_add_co_u32 v124, vcc_lo, v118, v47
	v_add_co_ci_u32_e32 v125, vcc_lo, 0, v119, vcc_lo
	;; [unrolled: 2-line block ×4, first 2 shown]
	s_clause 0x7
	global_load_b32 v127, v[126:127], off offset:6
	global_load_b32 v128, v[120:121], off offset:2
	;; [unrolled: 1-line block ×8, first 2 shown]
	v_mad_u64_u32 v[2:3], null, v60, 22, v[0:1]
	v_mad_u64_u32 v[7:8], null, v65, 22, v[0:1]
	;; [unrolled: 1-line block ×4, first 2 shown]
	s_delay_alu instid0(VALU_DEP_4)
	v_add_co_u32 v135, vcc_lo, v2, v47
	v_add_co_ci_u32_e32 v136, vcc_lo, 0, v3, vcc_lo
	v_add_co_u32 v137, vcc_lo, v7, v47
	v_add_co_ci_u32_e32 v138, vcc_lo, 0, v8, vcc_lo
	s_clause 0x5
	global_load_b32 v123, v[120:121], off offset:2
	global_load_b32 v125, v[118:119], off offset:2
	;; [unrolled: 1-line block ×6, first 2 shown]
	v_add_co_u32 v2, vcc_lo, v118, v47
	v_add_co_ci_u32_e32 v3, vcc_lo, 0, v119, vcc_lo
	v_add_co_u32 v7, vcc_lo, v120, v47
	v_add_co_ci_u32_e32 v8, vcc_lo, 0, v121, vcc_lo
	s_clause 0x1
	global_load_b32 v124, v[2:3], off offset:6
	global_load_b32 v7, v[7:8], off offset:6
	v_mad_u64_u32 v[135:136], null, v74, 22, v[0:1]
	v_mad_u64_u32 v[118:119], null, v80, 22, v[0:1]
	v_mad_u64_u32 v[137:138], null, v81, 22, v[0:1]
	v_mad_u64_u32 v[120:121], null, v79, 22, v[0:1]
	s_delay_alu instid0(VALU_DEP_4)
	v_add_co_u32 v139, vcc_lo, v135, v47
	v_add_co_ci_u32_e32 v140, vcc_lo, 0, v136, vcc_lo
	v_add_co_u32 v141, vcc_lo, v118, v47
	v_add_co_ci_u32_e32 v142, vcc_lo, 0, v119, vcc_lo
	;; [unrolled: 2-line block ×4, first 2 shown]
	s_clause 0x7
	global_load_b32 v2, v[2:3], off offset:6
	global_load_b32 v3, v[137:138], off offset:2
	;; [unrolled: 1-line block ×8, first 2 shown]
	s_waitcnt vmcnt(23)
	v_and_b32_e32 v138, 0xf0f0f0f, v127
	s_waitcnt vmcnt(22)
	v_ashrrev_i32_e32 v128, v47, v128
	s_waitcnt vmcnt(21)
	v_and_b32_e32 v137, 0xf0f0f0f, v129
	s_waitcnt vmcnt(20)
	v_ashrrev_i32_e32 v130, v47, v130
	;; [unrolled: 4-line block ×3, first 2 shown]
	v_lshlrev_b32_e32 v165, 4, v128
	s_waitcnt vmcnt(16)
	v_ashrrev_i32_e32 v134, v47, v134
	v_lshlrev_b32_e32 v158, 4, v130
	v_lshlrev_b32_e32 v159, 11, v130
	v_lshrrev_b32_e32 v155, 12, v132
	v_lshrrev_b32_e32 v156, 5, v132
	v_lshlrev_b32_e32 v144, 4, v134
	v_lshrrev_b32_e32 v148, 12, v134
	v_lshrrev_b32_e32 v149, 5, v134
	v_lshlrev_b32_e32 v150, 2, v134
	v_lshlrev_b32_e32 v157, 2, v132
	;; [unrolled: 1-line block ×4, first 2 shown]
	v_lshrrev_b32_e32 v162, 12, v130
	v_lshrrev_b32_e32 v163, 5, v130
	s_waitcnt vmcnt(13)
	v_ashrrev_i32_e32 v142, v47, v145
	s_waitcnt vmcnt(12)
	v_ashrrev_i32_e32 v139, v47, v146
	s_waitcnt vmcnt(11)
	v_and_b32_e32 v140, 0xf0f0f0f, v147
	v_lshrrev_b32_e32 v141, 4, v147
	v_lshlrev_b32_e32 v145, 11, v134
	v_lshlrev_b32_e32 v146, 18, v134
	;; [unrolled: 1-line block ×7, first 2 shown]
	v_and_b32_e32 v135, 0xf0f0f0f, v133
	v_lshrrev_b32_e32 v131, 4, v131
	v_lshrrev_b32_e32 v129, 4, v129
	v_lshlrev_b32_e32 v151, 4, v132
	v_lshlrev_b32_e32 v152, 11, v132
	;; [unrolled: 1-line block ×6, first 2 shown]
	v_and_b32_e32 v144, 16, v144
	v_and_b32_e32 v145, 0x1000, v145
	;; [unrolled: 1-line block ×21, first 2 shown]
	v_lshrrev_b32_e32 v133, 4, v133
	v_lshlrev_b32_e32 v134, 9, v134
	v_and_b32_e32 v131, 0xf0f0f0f, v131
	v_and_b32_e32 v129, 0xf0f0f0f, v129
	;; [unrolled: 1-line block ×8, first 2 shown]
	v_or3_b32 v144, v144, v135, v145
	v_or3_b32 v135, v135, v146, v147
	;; [unrolled: 1-line block ×9, first 2 shown]
	v_and_b32_e32 v133, 0xf0f0f0f, v133
	v_and_b32_e32 v134, 0x10000000, v134
	v_or3_b32 v146, v151, v136, v152
	v_or3_b32 v136, v136, v153, v154
	;; [unrolled: 1-line block ×3, first 2 shown]
	v_lshrrev_b32_e32 v132, 16, v137
	v_or3_b32 v129, v149, v130, v129
	v_lshrrev_b32_e32 v130, 16, v138
	v_lshrrev_b32_e32 v176, 12, v139
	v_lshrrev_b32_e32 v177, 5, v139
	v_lshlrev_b32_e32 v178, 2, v139
	v_lshlrev_b32_e32 v179, 4, v142
	;; [unrolled: 1-line block ×5, first 2 shown]
	v_lshrrev_b32_e32 v135, 16, v135
	v_or3_b32 v133, v145, v134, v133
	v_lshrrev_b32_e32 v134, 16, v136
	v_and_b32_e32 v136, 0x1f00, v146
	v_lshlrev_b16 v145, 8, v146
	v_lshlrev_b16 v146, 8, v148
	;; [unrolled: 1-line block ×3, first 2 shown]
	v_and_b32_e32 v157, 0x1f00, v132
	v_lshlrev_b16 v132, 8, v132
	v_and_b32_e32 v160, 0x1f00, v130
	v_lshlrev_b16 v130, 8, v130
	v_lshrrev_b32_e32 v169, 12, v128
	v_lshrrev_b32_e32 v170, 5, v128
	v_lshlrev_b32_e32 v171, 2, v128
	v_lshlrev_b32_e32 v172, 4, v139
	;; [unrolled: 1-line block ×5, first 2 shown]
	s_waitcnt vmcnt(10)
	v_and_b32_e32 v143, 0xf0f0f0f, v126
	v_lshlrev_b32_e32 v139, 9, v139
	v_and_b32_e32 v176, 16, v176
	v_and_b32_e32 v177, 0x1000, v177
	;; [unrolled: 1-line block ×8, first 2 shown]
	v_lshlrev_b16 v144, 8, v144
	v_and_b32_e32 v138, 0x1f00, v150
	v_and_b32_e32 v150, 0x1f00, v135
	v_lshlrev_b16 v135, 8, v135
	v_add_nc_u16 v146, v146, 0xf000
	v_add_nc_u16 v147, v147, 0xf000
	;; [unrolled: 1-line block ×4, first 2 shown]
	v_lshrrev_b32_e32 v127, 4, v127
	v_lshlrev_b32_e32 v128, 9, v128
	v_and_b32_e32 v169, 16, v169
	v_and_b32_e32 v170, 0x1000, v170
	;; [unrolled: 1-line block ×9, first 2 shown]
	v_or3_b32 v153, v177, v176, v178
	v_or3_b32 v154, v179, v143, v180
	;; [unrolled: 1-line block ×3, first 2 shown]
	v_and_b32_e32 v137, 0x1f00, v148
	v_add_nc_u16 v144, v144, 0xf000
	v_add_nc_u16 v135, v135, 0xf000
	v_lshrrev_b16 v146, 8, v146
	v_lshrrev_b16 v147, 8, v147
	;; [unrolled: 1-line block ×4, first 2 shown]
	v_and_b32_e32 v127, 0xf0f0f0f, v127
	v_and_b32_e32 v128, 0x10000000, v128
	v_or3_b32 v151, v170, v169, v171
	v_or3_b32 v152, v172, v140, v173
	;; [unrolled: 1-line block ×4, first 2 shown]
	v_lshrrev_b32_e32 v141, 16, v143
	v_lshrrev_b16 v144, 8, v144
	v_lshrrev_b16 v135, 8, v135
	v_or_b32_e32 v137, v137, v146
	v_or_b32_e32 v138, v138, v147
	;; [unrolled: 1-line block ×4, first 2 shown]
	v_or3_b32 v127, v151, v128, v127
	v_lshrrev_b32_e32 v128, 16, v140
	v_lshlrev_b16 v148, 8, v152
	v_and_b32_e32 v153, 0x1f00, v134
	v_lshlrev_b16 v134, 8, v134
	v_and_b32_e32 v140, 0x1f00, v152
	v_lshlrev_b16 v149, 8, v154
	v_lshrrev_b32_e32 v151, 16, v133
	v_and_b32_e32 v152, 0x1f00, v133
	v_lshlrev_b16 v133, 8, v133
	v_lshlrev_b16 v166, 8, v141
	v_or_b32_e32 v144, v155, v144
	v_or_b32_e32 v135, v150, v135
	v_add_nc_u16 v137, v137, 0xf000
	v_add_nc_u16 v138, v138, 0xf000
	;; [unrolled: 1-line block ×4, first 2 shown]
	v_and_b32_e32 v143, 0x1f00, v154
	v_add_nc_u16 v145, v145, 0xf000
	v_lshrrev_b32_e32 v154, 16, v131
	v_and_b32_e32 v156, 0x1f00, v131
	v_lshlrev_b16 v131, 8, v131
	v_lshrrev_b32_e32 v158, 16, v129
	v_and_b32_e32 v159, 0x1f00, v129
	v_lshlrev_b16 v129, 8, v129
	;; [unrolled: 3-line block ×3, first 2 shown]
	v_add_nc_u16 v148, v148, 0xf000
	v_and_b32_e32 v163, 0x1f00, v128
	v_lshlrev_b16 v128, 8, v128
	v_lshrrev_b32_e32 v164, 16, v139
	v_and_b32_e32 v165, 0x1f00, v139
	v_lshlrev_b16 v139, 8, v139
	v_add_nc_u16 v134, v134, 0xf000
	v_add_nc_u16 v149, v149, 0xf000
	v_add_nc_i16 v133, v133, 0xf000 clamp
	v_and_b32_e32 v167, 0xffffff00, v151
	v_lshlrev_b16 v151, 8, v151
	v_add_nc_u16 v166, v166, 0xf000
	v_add_nc_u16 v144, v144, 0xf000
	;; [unrolled: 1-line block ×3, first 2 shown]
	v_and_b32_e32 v137, 0xffff, v137
	v_and_b32_e32 v138, 0xffff, v138
	v_lshlrev_b32_e32 v132, 16, v132
	v_lshlrev_b32_e32 v130, 16, v130
	v_lshrrev_b16 v145, 8, v145
	v_add_nc_i16 v131, v131, 0xf000 clamp
	v_and_b32_e32 v168, 0xffffff00, v154
	v_lshlrev_b16 v154, 8, v154
	v_add_nc_i16 v129, v129, 0xf000 clamp
	v_and_b32_e32 v169, 0xffffff00, v158
	v_lshlrev_b16 v158, 8, v158
	;; [unrolled: 3-line block ×3, first 2 shown]
	v_lshrrev_b16 v148, 8, v148
	v_add_nc_u16 v128, v128, 0xf000
	v_add_nc_i16 v139, v139, 0xf000 clamp
	v_and_b32_e32 v171, 0xffffff00, v164
	v_lshlrev_b16 v164, 8, v164
	v_lshrrev_b16 v134, 8, v134
	v_lshrrev_b16 v149, 8, v149
	;; [unrolled: 1-line block ×3, first 2 shown]
	v_add_nc_i16 v155, v167, 0xf000 clamp
	v_add_nc_i16 v151, v151, 0xf000 clamp
	v_and_b32_e32 v144, 0xffff, v144
	v_lshlrev_b32_e32 v135, 16, v135
	v_or_b32_e32 v132, v137, v132
	v_or_b32_e32 v130, v138, v130
	v_and_b32_e32 v137, 0x1f00, v141
	v_lshrrev_b16 v138, 8, v166
	v_or_b32_e32 v136, v136, v145
	v_lshrrev_b16 v131, 8, v131
	v_add_nc_i16 v145, v168, 0xf000 clamp
	v_add_nc_i16 v154, v154, 0xf000 clamp
	v_lshrrev_b16 v129, 8, v129
	v_add_nc_i16 v146, v169, 0xf000 clamp
	v_add_nc_i16 v158, v158, 0xf000 clamp
	;; [unrolled: 3-line block ×3, first 2 shown]
	v_or_b32_e32 v140, v140, v148
	v_lshrrev_b16 v128, 8, v128
	v_lshrrev_b16 v139, 8, v139
	v_add_nc_i16 v148, v171, 0xf000 clamp
	v_add_nc_i16 v164, v164, 0xf000 clamp
	v_or_b32_e32 v134, v153, v134
	v_or_b32_e32 v133, v152, v133
	v_and_b32_e32 v150, 0xffffff00, v155
	v_lshrrev_b16 v151, 8, v151
	v_or_b32_e32 v135, v144, v135
	v_or_b32_e32 v141, v143, v149
	v_lshrrev_b32_e32 v143, 12, v142
	v_lshrrev_b32_e32 v144, 5, v142
	v_or_b32_e32 v137, v137, v138
	v_lshlrev_b32_e32 v138, 2, v142
	v_or_b32_e32 v131, v156, v131
	v_and_b32_e32 v145, 0xffffff00, v145
	v_lshrrev_b16 v152, 8, v154
	v_or_b32_e32 v129, v159, v129
	v_and_b32_e32 v146, 0xffffff00, v146
	v_lshrrev_b16 v153, 8, v158
	;; [unrolled: 3-line block ×3, first 2 shown]
	v_add_nc_u16 v136, v136, 0xf000
	v_or_b32_e32 v128, v163, v128
	v_or_b32_e32 v139, v165, v139
	v_and_b32_e32 v148, 0xffffff00, v148
	v_lshrrev_b16 v155, 8, v164
	v_add_nc_u16 v134, v134, 0xf000
	v_add_nc_u16 v133, v133, 0xf000
	v_or_b32_e32 v150, v151, v150
	v_lshrrev_b32_e32 v126, 4, v126
	v_and_b32_e32 v143, 16, v143
	v_and_b32_e32 v144, 0x1000, v144
	v_lshlrev_b32_e32 v142, 9, v142
	v_and_b32_e32 v138, 0x100000, v138
	v_add_nc_u16 v131, v131, 0xf000
	v_or_b32_e32 v145, v152, v145
	v_add_nc_u16 v129, v129, 0xf000
	v_or_b32_e32 v146, v153, v146
	;; [unrolled: 2-line block ×3, first 2 shown]
	v_add_nc_u16 v140, v140, 0xf000
	v_and_b32_e32 v136, 0xffff, v136
	v_add_nc_u16 v128, v128, 0xf000
	v_add_nc_u16 v139, v139, 0xf000
	v_or_b32_e32 v148, v155, v148
	v_lshlrev_b32_e32 v134, 16, v134
	v_and_b32_e32 v133, 0xffff, v133
	v_lshlrev_b32_e32 v150, 16, v150
	v_and_b32_e32 v126, 0xf0f0f0f, v126
	v_and_b32_e32 v142, 0x10000000, v142
	v_or3_b32 v138, v144, v143, v138
	v_and_b32_e32 v131, 0xffff, v131
	v_lshlrev_b32_e32 v145, 16, v145
	v_and_b32_e32 v129, 0xffff, v129
	v_lshlrev_b32_e32 v146, 16, v146
	;; [unrolled: 2-line block ×4, first 2 shown]
	v_or_b32_e32 v134, v136, v134
	v_and_b32_e32 v136, 0xffff, v139
	v_lshlrev_b32_e32 v139, 16, v148
	v_or_b32_e32 v133, v133, v150
	v_or3_b32 v126, v138, v142, v126
	v_ashrrev_i32_e32 v125, v47, v125
	v_or_b32_e32 v131, v131, v145
	v_or_b32_e32 v129, v129, v146
	;; [unrolled: 1-line block ×5, first 2 shown]
	ds_store_2addr_b32 v49, v135, v133 offset1:1
	ds_store_2addr_b32 v51, v134, v131 offset1:1
	;; [unrolled: 1-line block ×5, first 2 shown]
	v_lshlrev_b16 v127, 8, v126
	v_lshrrev_b32_e32 v128, 16, v126
	v_lshlrev_b32_e32 v130, 4, v125
	v_lshlrev_b32_e32 v131, 11, v125
	;; [unrolled: 1-line block ×4, first 2 shown]
	v_add_nc_i16 v127, v127, 0xf000 clamp
	v_and_b32_e32 v129, 0xffffff00, v128
	s_waitcnt vmcnt(9)
	v_and_b32_e32 v134, 0xf0f0f0f, v124
	v_and_b32_e32 v130, 16, v130
	;; [unrolled: 1-line block ×6, first 2 shown]
	v_lshlrev_b16 v128, 8, v128
	v_lshrrev_b16 v127, 8, v127
	v_add_nc_i16 v129, v129, 0xf000 clamp
	v_or3_b32 v130, v130, v134, v131
	v_or3_b32 v131, v134, v132, v133
	v_lshrrev_b32_e32 v132, 12, v125
	v_lshrrev_b32_e32 v133, 5, v125
	v_lshlrev_b32_e32 v134, 2, v125
	v_add_nc_i16 v128, v128, 0xf000 clamp
	v_or_b32_e32 v126, v126, v127
	v_and_b32_e32 v127, 0xffffff00, v129
	v_lshlrev_b16 v129, 8, v130
	v_lshrrev_b32_e32 v124, 4, v124
	v_and_b32_e32 v132, 16, v132
	v_and_b32_e32 v133, 0x1000, v133
	v_lshlrev_b32_e32 v125, 9, v125
	v_and_b32_e32 v134, 0x100000, v134
	v_lshrrev_b32_e32 v131, 16, v131
	v_lshrrev_b16 v128, 8, v128
	v_add_nc_u16 v129, v129, 0xf000
	v_and_b32_e32 v124, 0xf0f0f0f, v124
	v_and_b32_e32 v125, 0x10000000, v125
	v_or3_b32 v132, v133, v132, v134
	v_lshlrev_b16 v135, 8, v131
	v_and_b32_e32 v130, 0x1f00, v130
	v_lshrrev_b16 v129, 8, v129
	v_add_nc_u16 v126, v126, 0xf000
	v_or_b32_e32 v127, v128, v127
	v_or3_b32 v124, v132, v125, v124
	v_add_nc_u16 v133, v135, 0xf000
	v_or_b32_e32 v128, v130, v129
	v_and_b32_e32 v126, 0xffff, v126
	v_lshlrev_b32_e32 v127, 16, v127
	v_lshlrev_b16 v130, 8, v124
	v_and_b32_e32 v125, 0x1f00, v131
	v_lshrrev_b16 v129, 8, v133
	v_add_nc_u16 v141, v141, 0xf000
	v_or_b32_e32 v138, v126, v127
	v_add_nc_i16 v126, v130, 0xf000 clamp
	v_add_nc_u16 v137, v137, 0xf000
	v_or_b32_e32 v125, v125, v129
	v_lshrrev_b32_e32 v129, 16, v124
	v_and_b32_e32 v124, 0x1f00, v124
	v_lshrrev_b16 v126, 8, v126
	v_ashrrev_i32_e32 v140, v47, v123
	v_add_nc_u16 v125, v125, 0xf000
	v_and_b32_e32 v127, 0xffffff00, v129
	v_and_b32_e32 v139, 0xffff, v141
	v_lshlrev_b32_e32 v137, 16, v137
	v_add_nc_u16 v128, v128, 0xf000
	v_or_b32_e32 v142, v124, v126
	v_lshlrev_b32_e32 v124, 4, v140
	v_lshlrev_b32_e32 v126, 11, v140
	;; [unrolled: 1-line block ×3, first 2 shown]
	v_add_nc_i16 v123, v127, 0xf000 clamp
	v_lshlrev_b16 v125, 8, v129
	v_or_b32_e32 v137, v139, v137
	v_and_b32_e32 v139, 0xffff, v128
	s_waitcnt vmcnt(8)
	v_and_b32_e32 v144, 0xf0f0f0f, v7
	v_and_b32_e32 v124, 16, v124
	;; [unrolled: 1-line block ×3, first 2 shown]
	v_lshlrev_b32_e32 v128, 18, v140
	v_and_b32_e32 v143, 0xffffff00, v123
	v_add_nc_i16 v123, v125, 0xf000 clamp
	v_mad_u64_u32 v[125:126], null, v82, 22, v[0:1]
	v_lshlrev_b32_e32 v129, 25, v140
	v_or3_b32 v146, v124, v144, v127
	v_and_b32_e32 v147, 0x100000, v128
	v_mad_u64_u32 v[127:128], null, v86, 22, v[0:1]
	v_lshrrev_b16 v145, 8, v123
	v_mad_u64_u32 v[123:124], null, v89, 22, v[0:1]
	v_and_b32_e32 v148, 0x10000000, v129
	v_add_co_u32 v129, vcc_lo, v125, v47
	v_add_co_ci_u32_e32 v130, vcc_lo, 0, v126, vcc_lo
	v_mad_u64_u32 v[131:132], null, v84, 22, v[0:1]
	v_add_co_u32 v133, vcc_lo, v127, v47
	v_add_co_ci_u32_e32 v134, vcc_lo, 0, v128, vcc_lo
	v_add_co_u32 v0, vcc_lo, v123, v47
	v_add_co_ci_u32_e32 v1, vcc_lo, 0, v124, vcc_lo
	;; [unrolled: 2-line block ×3, first 2 shown]
	s_clause 0x7
	global_load_b32 v0, v[0:1], off offset:6
	global_load_b32 v1, v[123:124], off offset:2
	;; [unrolled: 1-line block ×8, first 2 shown]
	v_lshlrev_b16 v125, 8, v146
	v_or3_b32 v128, v144, v147, v148
	v_lshrrev_b32_e32 v131, 12, v140
	v_lshrrev_b32_e32 v132, 5, v140
	v_lshlrev_b32_e32 v134, 2, v140
	v_add_nc_u16 v125, v125, 0xf000
	v_lshrrev_b32_e32 v128, 16, v128
	v_add_nc_u16 v126, v142, 0xf000
	v_or_b32_e32 v127, v145, v143
	v_and_b32_e32 v130, 0x1f00, v146
	v_lshrrev_b16 v125, 8, v125
	v_lshlrev_b16 v133, 8, v128
	v_lshrrev_b32_e32 v7, 4, v7
	v_and_b32_e32 v131, 16, v131
	v_and_b32_e32 v132, 0x1000, v132
	v_lshlrev_b32_e32 v135, 9, v140
	v_and_b32_e32 v134, 0x100000, v134
	v_and_b32_e32 v126, 0xffff, v126
	v_lshlrev_b32_e32 v127, 16, v127
	v_or_b32_e32 v125, v130, v125
	v_add_nc_u16 v130, v133, 0xf000
	v_and_b32_e32 v7, 0xf0f0f0f, v7
	v_and_b32_e32 v133, 0x10000000, v135
	v_or3_b32 v131, v132, v131, v134
	v_or_b32_e32 v129, v139, v141
	v_and_b32_e32 v128, 0x1f00, v128
	v_lshrrev_b16 v130, 8, v130
	v_or_b32_e32 v126, v126, v127
	v_or3_b32 v7, v131, v133, v7
	s_waitcnt vmcnt(8)
	v_ashrrev_i32_e32 v122, v47, v122
	ds_store_2addr_b32 v57, v137, v138 offset1:1
	v_or_b32_e32 v127, v128, v130
	ds_store_2addr_b32 v58, v129, v126 offset1:1
	v_lshlrev_b16 v126, 8, v7
	v_lshlrev_b32_e32 v130, 18, v122
	v_lshlrev_b32_e32 v131, 25, v122
	v_lshrrev_b32_e32 v128, 16, v7
	v_lshlrev_b32_e32 v129, 4, v122
	v_add_nc_i16 v126, v126, 0xf000 clamp
	v_lshlrev_b32_e32 v132, 11, v122
	v_and_b32_e32 v133, 0xf0f0f0f, v121
	v_and_b32_e32 v130, 0x100000, v130
	;; [unrolled: 1-line block ×7, first 2 shown]
	v_lshlrev_b16 v128, 8, v128
	v_lshrrev_b16 v126, 8, v126
	v_or3_b32 v130, v133, v130, v131
	v_or3_b32 v129, v129, v133, v132
	v_add_nc_i16 v131, v134, 0xf000 clamp
	v_add_nc_i16 v128, v128, 0xf000 clamp
	v_or_b32_e32 v7, v7, v126
	v_lshrrev_b32_e32 v126, 16, v130
	v_lshlrev_b16 v130, 8, v129
	v_and_b32_e32 v131, 0xffffff00, v131
	v_lshrrev_b16 v128, 8, v128
	v_lshrrev_b32_e32 v133, 5, v122
	v_lshlrev_b16 v132, 8, v126
	v_add_nc_u16 v130, v130, 0xf000
	v_lshlrev_b32_e32 v134, 2, v122
	v_or_b32_e32 v128, v128, v131
	v_and_b32_e32 v129, 0x1f00, v129
	v_add_nc_u16 v131, v132, 0xf000
	v_lshrrev_b32_e32 v132, 12, v122
	v_lshrrev_b16 v130, 8, v130
	v_and_b32_e32 v126, 0x1f00, v126
	v_lshrrev_b32_e32 v121, 4, v121
	v_lshrrev_b16 v131, 8, v131
	v_and_b32_e32 v132, 16, v132
	v_and_b32_e32 v133, 0x1000, v133
	v_lshlrev_b32_e32 v122, 9, v122
	v_and_b32_e32 v134, 0x100000, v134
	v_add_nc_u16 v125, v125, 0xf000
	v_add_nc_u16 v127, v127, 0xf000
	;; [unrolled: 1-line block ×3, first 2 shown]
	v_or_b32_e32 v129, v129, v130
	v_or_b32_e32 v126, v126, v131
	v_and_b32_e32 v121, 0xf0f0f0f, v121
	v_and_b32_e32 v122, 0x10000000, v122
	v_or3_b32 v130, v133, v132, v134
	v_and_b32_e32 v125, 0xffff, v125
	v_lshlrev_b32_e32 v127, 16, v127
	v_add_nc_u16 v129, v129, 0xf000
	v_add_nc_u16 v126, v126, 0xf000
	v_and_b32_e32 v7, 0xffff, v7
	v_lshlrev_b32_e32 v128, 16, v128
	v_or3_b32 v121, v130, v122, v121
	v_ashrrev_i32_e32 v120, v47, v120
	v_and_b32_e32 v122, 0xffff, v129
	v_lshlrev_b32_e32 v126, 16, v126
	v_or_b32_e32 v125, v125, v127
	v_or_b32_e32 v127, v7, v128
	v_lshlrev_b16 v7, 8, v121
	v_lshrrev_b32_e32 v128, 16, v121
	v_lshlrev_b32_e32 v129, 4, v120
	v_lshlrev_b32_e32 v130, 11, v120
	v_or_b32_e32 v122, v122, v126
	v_add_nc_i16 v7, v7, 0xf000 clamp
	v_and_b32_e32 v126, 0xffffff00, v128
	v_lshlrev_b32_e32 v131, 18, v120
	v_lshlrev_b32_e32 v132, 25, v120
	v_and_b32_e32 v133, 0xf0f0f0f, v119
	v_and_b32_e32 v129, 16, v129
	;; [unrolled: 1-line block ×6, first 2 shown]
	v_lshrrev_b16 v7, 8, v7
	v_add_nc_i16 v126, v126, 0xf000 clamp
	v_or3_b32 v129, v129, v133, v130
	v_lshlrev_b16 v128, 8, v128
	v_or3_b32 v130, v133, v131, v132
	v_or_b32_e32 v7, v121, v7
	v_and_b32_e32 v121, 0xffffff00, v126
	v_lshlrev_b16 v126, 8, v129
	v_lshrrev_b32_e32 v131, 12, v120
	v_lshrrev_b32_e32 v132, 5, v120
	v_lshlrev_b32_e32 v133, 2, v120
	v_add_nc_i16 v128, v128, 0xf000 clamp
	v_add_nc_u16 v126, v126, 0xf000
	v_lshrrev_b32_e32 v119, 4, v119
	v_and_b32_e32 v131, 16, v131
	v_and_b32_e32 v132, 0x1000, v132
	v_lshlrev_b32_e32 v120, 9, v120
	v_and_b32_e32 v133, 0x100000, v133
	v_lshrrev_b16 v128, 8, v128
	v_lshrrev_b32_e32 v130, 16, v130
	v_and_b32_e32 v129, 0x1f00, v129
	v_lshrrev_b16 v126, 8, v126
	v_and_b32_e32 v119, 0xf0f0f0f, v119
	v_and_b32_e32 v120, 0x10000000, v120
	v_or3_b32 v131, v132, v131, v133
	v_add_nc_u16 v7, v7, 0xf000
	v_lshlrev_b16 v132, 8, v130
	v_or_b32_e32 v121, v128, v121
	v_or_b32_e32 v126, v129, v126
	v_or3_b32 v119, v131, v120, v119
	v_and_b32_e32 v7, 0xffff, v7
	v_add_nc_u16 v120, v132, 0xf000
	v_lshlrev_b32_e32 v121, 16, v121
	v_add_nc_u16 v126, v126, 0xf000
	v_lshlrev_b16 v128, 8, v119
	v_ashrrev_i32_e32 v118, v47, v118
	v_and_b32_e32 v129, 0x1f00, v130
	v_lshrrev_b16 v120, 8, v120
	v_or_b32_e32 v121, v7, v121
	v_and_b32_e32 v7, 0xffff, v126
	v_add_nc_i16 v126, v128, 0xf000 clamp
	v_lshrrev_b32_e32 v128, 16, v119
	v_lshlrev_b32_e32 v130, 18, v118
	v_lshlrev_b32_e32 v131, 25, v118
	v_or_b32_e32 v120, v129, v120
	v_and_b32_e32 v134, 0xf0f0f0f, v8
	v_and_b32_e32 v129, 0xffffff00, v128
	v_lshlrev_b16 v128, 8, v128
	v_and_b32_e32 v130, 0x100000, v130
	v_and_b32_e32 v131, 0x10000000, v131
	v_lshlrev_b32_e32 v132, 4, v118
	v_lshlrev_b32_e32 v133, 11, v118
	v_add_nc_i16 v129, v129, 0xf000 clamp
	v_add_nc_i16 v128, v128, 0xf000 clamp
	v_or3_b32 v130, v134, v130, v131
	v_and_b32_e32 v119, 0x1f00, v119
	v_lshrrev_b16 v126, 8, v126
	v_and_b32_e32 v132, 16, v132
	v_and_b32_e32 v133, 0x1000, v133
	;; [unrolled: 1-line block ×3, first 2 shown]
	v_lshrrev_b16 v128, 8, v128
	v_lshrrev_b32_e32 v130, 16, v130
	v_or_b32_e32 v119, v119, v126
	v_or3_b32 v126, v132, v134, v133
	v_add_nc_u16 v120, v120, 0xf000
	v_or_b32_e32 v128, v128, v129
	v_lshlrev_b16 v129, 8, v130
	v_add_nc_u16 v119, v119, 0xf000
	v_lshlrev_b16 v131, 8, v126
	v_lshlrev_b32_e32 v120, 16, v120
	v_lshlrev_b32_e32 v128, 16, v128
	v_add_nc_u16 v129, v129, 0xf000
	v_and_b32_e32 v119, 0xffff, v119
	v_add_nc_u16 v131, v131, 0xf000
	v_or_b32_e32 v120, v7, v120
	v_and_b32_e32 v7, 0x1f00, v130
	v_lshrrev_b16 v129, 8, v129
	v_and_b32_e32 v126, 0x1f00, v126
	v_lshrrev_b16 v131, 8, v131
	v_or_b32_e32 v119, v119, v128
	v_lshrrev_b32_e32 v128, 12, v118
	v_lshrrev_b32_e32 v130, 5, v118
	v_or_b32_e32 v7, v7, v129
	v_lshlrev_b32_e32 v129, 2, v118
	v_or_b32_e32 v126, v126, v131
	v_lshrrev_b32_e32 v8, 4, v8
	v_and_b32_e32 v128, 16, v128
	v_and_b32_e32 v130, 0x1000, v130
	;; [unrolled: 1-line block ×3, first 2 shown]
	v_add_nc_u16 v7, v7, 0xf000
	v_lshlrev_b32_e32 v118, 9, v118
	v_add_nc_u16 v126, v126, 0xf000
	v_and_b32_e32 v131, 0xf0f0f0f, v8
	v_or3_b32 v128, v130, v128, v129
	v_lshlrev_b32_e32 v129, 16, v7
	v_mad_u64_u32 v[7:8], null, v44, 22, s[0:1]
	v_and_b32_e32 v118, 0x10000000, v118
	v_and_b32_e32 v126, 0xffff, v126
	ds_store_2addr_b32 v59, v125, v127 offset1:1
	ds_store_2addr_b32 v61, v122, v121 offset1:1
	;; [unrolled: 1-line block ×3, first 2 shown]
	v_ashrrev_i32_e32 v3, v47, v3
	s_mov_b32 s0, -4
	v_or3_b32 v130, v128, v118, v131
	v_mad_u64_u32 v[118:119], null, v71, 22, v[7:8]
	v_mad_u64_u32 v[120:121], null, v83, 22, v[7:8]
	v_or_b32_e32 v137, v126, v129
	v_mad_u64_u32 v[125:126], null, v85, 22, v[7:8]
	v_add_nc_u32_e32 v131, s13, v45
	v_mad_u64_u32 v[127:128], null, v88, 22, v[7:8]
	s_clause 0x3
	global_load_u16 v141, v[118:119], off
	global_load_u16 v142, v[120:121], off
	;; [unrolled: 1-line block ×4, first 2 shown]
	v_add_nc_u32_e32 v122, v131, v90
	v_add_nc_u32_e32 v118, s13, v6
	v_add_nc_u32_e32 v121, v131, v91
	v_add_nc_u32_e32 v125, v131, v92
	v_add_nc_u32_e32 v127, v131, v93
	v_add_nc_u32_e32 v129, v131, v94
	v_lshrrev_b32_e32 v138, 16, v130
	v_and_b32_e32 v139, 0x1f00, v130
	v_lshlrev_b16 v140, 8, v130
	v_mad_i64_i32 v[7:8], null, v122, 36, v[4:5]
	v_mad_i64_i32 v[119:120], null, v121, 36, v[4:5]
	;; [unrolled: 1-line block ×5, first 2 shown]
	v_mad_u64_u32 v[129:130], null, v118, 36, s[2:3]
	v_add_nc_u32_e32 v133, v131, v95
	v_add_nc_u32_e32 v135, v131, v97
	;; [unrolled: 1-line block ×3, first 2 shown]
	s_delay_alu instid0(VALU_DEP_3) | instskip(NEXT) | instid1(VALU_DEP_3)
	v_mad_i64_i32 v[131:132], null, v133, 36, v[4:5]
	v_mad_i64_i32 v[133:134], null, v135, 36, v[4:5]
	s_delay_alu instid0(VALU_DEP_3)
	v_mad_i64_i32 v[135:136], null, v145, 36, v[4:5]
	s_clause 0x8
	global_load_b32 v129, v[129:130], off
	global_load_b32 v7, v[7:8], off offset:4
	global_load_b32 v8, v[119:120], off offset:4
	;; [unrolled: 1-line block ×8, first 2 shown]
	v_lshlrev_b32_e32 v131, 4, v3
	v_lshlrev_b32_e32 v132, 11, v3
	;; [unrolled: 1-line block ×4, first 2 shown]
	v_add_nc_i16 v127, v140, 0xf000 clamp
	v_and_b32_e32 v135, 0xf0f0f0f, v2
	v_and_b32_e32 v131, 16, v131
	;; [unrolled: 1-line block ×5, first 2 shown]
	v_lshrrev_b16 v127, 8, v127
	v_lshlrev_b32_e32 v136, 2, v3
	v_or3_b32 v131, v131, v135, v132
	v_and_b32_e32 v128, 0xffffff00, v138
	v_or3_b32 v132, v135, v133, v134
	v_lshrrev_b32_e32 v134, 12, v3
	v_lshrrev_b32_e32 v135, 5, v3
	v_lshlrev_b16 v130, 8, v138
	v_or_b32_e32 v127, v139, v127
	v_lshlrev_b16 v133, 8, v131
	v_lshrrev_b32_e32 v132, 16, v132
	v_lshrrev_b32_e32 v2, 4, v2
	v_and_b32_e32 v134, 16, v134
	v_and_b32_e32 v135, 0x1000, v135
	v_lshlrev_b32_e32 v3, 9, v3
	v_and_b32_e32 v136, 0x100000, v136
	v_add_nc_i16 v128, v128, 0xf000 clamp
	v_add_nc_i16 v130, v130, 0xf000 clamp
	v_add_nc_u16 v133, v133, 0xf000
	v_and_b32_e32 v2, 0xf0f0f0f, v2
	v_and_b32_e32 v3, 0x10000000, v3
	v_or3_b32 v134, v135, v134, v136
	v_add_nc_u16 v127, v127, 0xf000
	v_lshlrev_b16 v135, 8, v132
	v_and_b32_e32 v128, 0xffffff00, v128
	v_lshrrev_b16 v130, 8, v130
	v_and_b32_e32 v131, 0x1f00, v131
	v_lshrrev_b16 v133, 8, v133
	v_or3_b32 v2, v134, v3, v2
	v_and_b32_e32 v3, 0xffff, v127
	v_add_nc_u16 v127, v135, 0xf000
	v_or_b32_e32 v128, v130, v128
	v_or_b32_e32 v130, v131, v133
	v_and_b32_e32 v132, 0x1f00, v132
	v_lshlrev_b16 v131, 8, v2
	v_lshrrev_b16 v127, 8, v127
	v_lshlrev_b32_e32 v128, 16, v128
	v_add_nc_u16 v130, v130, 0xf000
	s_delay_alu instid0(VALU_DEP_3) | instskip(NEXT) | instid1(VALU_DEP_3)
	v_or_b32_e32 v127, v132, v127
	v_or_b32_e32 v3, v3, v128
	s_delay_alu instid0(VALU_DEP_3)
	v_and_b32_e32 v128, 0xffff, v130
	v_add_nc_i16 v130, v131, 0xf000 clamp
	v_lshrrev_b32_e32 v131, 16, v2
	v_and_b32_e32 v2, 0x1f00, v2
	v_add_nc_u16 v127, v127, 0xf000
	ds_store_2addr_b32 v63, v137, v3 offset1:1
	v_lshrrev_b16 v130, 8, v130
	v_and_b32_e32 v133, 0xffffff00, v131
	s_waitcnt vmcnt(13)
	v_ashrrev_i32_e32 v132, v47, v152
	v_lshlrev_b16 v131, 8, v131
	v_and_b32_e32 v139, 0xf0f0f0f, v151
	v_or_b32_e32 v2, v2, v130
	v_add_nc_i16 v133, v133, 0xf000 clamp
	v_lshlrev_b32_e32 v135, 18, v132
	v_lshlrev_b32_e32 v136, 25, v132
	;; [unrolled: 1-line block ×4, first 2 shown]
	v_add_nc_i16 v131, v131, 0xf000 clamp
	v_and_b32_e32 v135, 0x100000, v135
	v_and_b32_e32 v136, 0x10000000, v136
	v_and_b32_e32 v134, 16, v134
	v_and_b32_e32 v138, 0x1000, v138
	v_and_b32_e32 v133, 0xffffff00, v133
	v_lshrrev_b16 v131, 8, v131
	v_or3_b32 v130, v139, v135, v136
	v_lshrrev_b32_e32 v136, 12, v132
	v_or3_b32 v134, v134, v139, v138
	v_lshrrev_b32_e32 v138, 5, v132
	v_or_b32_e32 v131, v131, v133
	v_lshrrev_b32_e32 v130, 16, v130
	v_lshlrev_b32_e32 v139, 2, v132
	v_lshlrev_b16 v135, 8, v134
	v_and_b32_e32 v134, 0x1f00, v134
	v_add_nc_u16 v2, v2, 0xf000
	v_lshlrev_b16 v133, 8, v130
	v_and_b32_e32 v130, 0x1f00, v130
	v_add_nc_u16 v135, v135, 0xf000
	v_lshlrev_b32_e32 v127, 16, v127
	v_lshrrev_b32_e32 v140, 4, v151
	v_add_nc_u16 v133, v133, 0xf000
	v_and_b32_e32 v136, 16, v136
	v_lshrrev_b16 v135, 8, v135
	v_and_b32_e32 v138, 0x1000, v138
	v_lshlrev_b32_e32 v132, 9, v132
	v_lshrrev_b16 v133, 8, v133
	v_and_b32_e32 v139, 0x100000, v139
	v_or_b32_e32 v134, v134, v135
	v_and_b32_e32 v2, 0xffff, v2
	v_lshlrev_b32_e32 v131, 16, v131
	v_or_b32_e32 v130, v130, v133
	v_and_b32_e32 v133, 0xf0f0f0f, v140
	v_and_b32_e32 v132, 0x10000000, v132
	v_or3_b32 v135, v138, v136, v139
	v_or_b32_e32 v127, v128, v127
	v_add_nc_u16 v128, v134, 0xf000
	v_add_nc_u16 v130, v130, 0xf000
	v_or_b32_e32 v2, v2, v131
	v_or3_b32 v131, v135, v132, v133
	v_and_b32_e32 v136, 0xf0f0f0f, v149
	v_and_b32_e32 v3, 0xffff, v128
	v_lshlrev_b32_e32 v128, 16, v130
	v_ashrrev_i32_e32 v130, v47, v150
	ds_store_2addr_b32 v64, v127, v2 offset1:1
	v_lshlrev_b16 v2, 8, v131
	v_lshrrev_b32_e32 v127, 16, v131
	v_or_b32_e32 v3, v3, v128
	v_lshlrev_b32_e32 v133, 18, v130
	v_lshlrev_b32_e32 v134, 25, v130
	v_and_b32_e32 v128, 0x1f00, v131
	v_add_nc_i16 v2, v2, 0xf000 clamp
	v_and_b32_e32 v131, 0xffffff00, v127
	v_lshlrev_b32_e32 v132, 4, v130
	v_lshlrev_b32_e32 v135, 11, v130
	v_and_b32_e32 v133, 0x100000, v133
	v_and_b32_e32 v134, 0x10000000, v134
	v_lshrrev_b16 v2, 8, v2
	v_and_b32_e32 v132, 16, v132
	v_and_b32_e32 v135, 0x1000, v135
	v_add_nc_i16 v131, v131, 0xf000 clamp
	v_or3_b32 v133, v136, v133, v134
	v_or_b32_e32 v2, v128, v2
	v_lshrrev_b32_e32 v134, 12, v130
	v_or3_b32 v132, v132, v136, v135
	v_and_b32_e32 v128, 0xffffff00, v131
	v_lshrrev_b32_e32 v131, 16, v133
	v_lshrrev_b32_e32 v135, 5, v130
	v_lshlrev_b32_e32 v137, 2, v130
	v_lshlrev_b16 v127, 8, v127
	v_and_b32_e32 v133, 0x1f00, v132
	v_lshlrev_b16 v132, 8, v132
	v_lshlrev_b16 v136, 8, v131
	v_lshrrev_b32_e32 v138, 4, v149
	v_and_b32_e32 v134, 16, v134
	v_and_b32_e32 v135, 0x1000, v135
	v_lshlrev_b32_e32 v130, 9, v130
	v_and_b32_e32 v137, 0x100000, v137
	v_add_nc_i16 v127, v127, 0xf000 clamp
	v_add_nc_u16 v132, v132, 0xf000
	v_add_nc_u16 v136, v136, 0xf000
	v_and_b32_e32 v138, 0xf0f0f0f, v138
	v_and_b32_e32 v130, 0x10000000, v130
	v_or3_b32 v134, v135, v134, v137
	v_lshrrev_b16 v132, 8, v132
	v_and_b32_e32 v131, 0x1f00, v131
	v_lshrrev_b16 v135, 8, v136
	v_lshrrev_b16 v127, 8, v127
	v_or3_b32 v130, v134, v130, v138
	v_or_b32_e32 v132, v133, v132
	v_add_nc_u16 v2, v2, 0xf000
	v_or_b32_e32 v131, v131, v135
	v_or_b32_e32 v127, v127, v128
	v_lshlrev_b16 v128, 8, v130
	v_add_nc_u16 v132, v132, 0xf000
	v_lshrrev_b32_e32 v133, 16, v130
	v_add_nc_u16 v131, v131, 0xf000
	v_and_b32_e32 v2, 0xffff, v2
	v_add_nc_i16 v128, v128, 0xf000 clamp
	v_lshlrev_b32_e32 v127, 16, v127
	v_and_b32_e32 v132, 0xffff, v132
	v_lshlrev_b32_e32 v131, 16, v131
	v_and_b32_e32 v130, 0x1f00, v130
	v_lshrrev_b16 v128, 8, v128
	v_and_b32_e32 v134, 0xffffff00, v133
	v_ashrrev_i32_e32 v124, v47, v124
	v_or_b32_e32 v2, v2, v127
	v_or_b32_e32 v127, v132, v131
	;; [unrolled: 1-line block ×3, first 2 shown]
	v_add_nc_i16 v130, v134, 0xf000 clamp
	v_lshlrev_b16 v131, 8, v133
	v_lshlrev_b32_e32 v132, 18, v124
	v_lshlrev_b32_e32 v133, 25, v124
	;; [unrolled: 1-line block ×4, first 2 shown]
	v_and_b32_e32 v136, 0xf0f0f0f, v123
	v_and_b32_e32 v132, 0x100000, v132
	;; [unrolled: 1-line block ×5, first 2 shown]
	v_lshrrev_b32_e32 v123, 4, v123
	v_add_nc_i16 v131, v131, 0xf000 clamp
	v_or3_b32 v132, v136, v132, v133
	v_and_b32_e32 v130, 0xffffff00, v130
	v_or3_b32 v133, v134, v136, v135
	v_lshrrev_b32_e32 v134, 12, v124
	v_lshrrev_b32_e32 v135, 5, v124
	v_lshlrev_b32_e32 v136, 2, v124
	v_lshrrev_b32_e32 v132, 16, v132
	v_lshlrev_b32_e32 v124, 9, v124
	v_and_b32_e32 v134, 16, v134
	v_and_b32_e32 v135, 0x1000, v135
	;; [unrolled: 1-line block ×3, first 2 shown]
	v_lshlrev_b16 v137, 8, v133
	v_lshlrev_b16 v138, 8, v132
	v_and_b32_e32 v123, 0xf0f0f0f, v123
	v_and_b32_e32 v124, 0x10000000, v124
	v_or3_b32 v134, v135, v134, v136
	v_add_nc_u16 v135, v137, 0xf000
	v_lshrrev_b16 v131, 8, v131
	v_add_nc_u16 v136, v138, 0xf000
	v_and_b32_e32 v133, 0x1f00, v133
	v_or3_b32 v123, v134, v124, v123
	v_lshrrev_b16 v124, 8, v135
	v_and_b32_e32 v132, 0x1f00, v132
	v_lshrrev_b16 v134, 8, v136
	v_or_b32_e32 v130, v131, v130
	v_lshlrev_b16 v131, 8, v123
	v_add_nc_u16 v128, v128, 0xf000
	v_or_b32_e32 v124, v133, v124
	v_or_b32_e32 v132, v132, v134
	v_lshrrev_b32_e32 v133, 16, v123
	v_add_nc_i16 v131, v131, 0xf000 clamp
	v_and_b32_e32 v128, 0xffff, v128
	v_lshlrev_b32_e32 v130, 16, v130
	v_add_nc_u16 v124, v124, 0xf000
	v_add_nc_u16 v132, v132, 0xf000
	v_and_b32_e32 v123, 0x1f00, v123
	v_lshrrev_b16 v131, 8, v131
	v_and_b32_e32 v134, 0xffffff00, v133
	v_or_b32_e32 v128, v128, v130
	v_and_b32_e32 v124, 0xffff, v124
	v_lshlrev_b32_e32 v130, 16, v132
	v_or_b32_e32 v123, v123, v131
	v_add_nc_i16 v131, v134, 0xf000 clamp
	v_ashrrev_i32_e32 v1, v47, v1
	v_lshlrev_b16 v132, 8, v133
	v_or_b32_e32 v124, v124, v130
	v_and_b32_e32 v135, 0xf0f0f0f, v0
	v_and_b32_e32 v130, 0xffffff00, v131
	v_lshlrev_b32_e32 v131, 4, v1
	v_lshlrev_b32_e32 v133, 11, v1
	;; [unrolled: 1-line block ×4, first 2 shown]
	v_lshrrev_b32_e32 v137, 12, v1
	v_lshrrev_b32_e32 v138, 5, v1
	v_lshlrev_b32_e32 v139, 2, v1
	v_and_b32_e32 v131, 16, v131
	v_and_b32_e32 v133, 0x1000, v133
	;; [unrolled: 1-line block ×4, first 2 shown]
	v_lshrrev_b32_e32 v0, 4, v0
	v_and_b32_e32 v137, 16, v137
	v_and_b32_e32 v138, 0x1000, v138
	v_lshlrev_b32_e32 v1, 9, v1
	v_and_b32_e32 v139, 0x100000, v139
	v_add_nc_i16 v132, v132, 0xf000 clamp
	v_or3_b32 v131, v131, v135, v133
	v_or3_b32 v133, v135, v134, v136
	v_and_b32_e32 v0, 0xf0f0f0f, v0
	v_and_b32_e32 v1, 0x10000000, v1
	v_or3_b32 v134, v138, v137, v139
	v_lshrrev_b16 v132, 8, v132
	v_lshlrev_b16 v135, 8, v131
	v_lshrrev_b32_e32 v133, 16, v133
	v_and_b32_e32 v131, 0x1f00, v131
	v_or3_b32 v0, v134, v1, v0
	v_or_b32_e32 v1, v132, v130
	v_add_nc_u16 v130, v135, 0xf000
	v_lshlrev_b16 v132, 8, v133
	v_and_b32_e32 v133, 0x1f00, v133
	v_lshlrev_b16 v134, 8, v0
	v_lshrrev_b32_e32 v135, 16, v0
	v_lshrrev_b16 v130, 8, v130
	v_add_nc_u16 v132, v132, 0xf000
	v_and_b32_e32 v0, 0x1f00, v0
	v_add_nc_i16 v134, v134, 0xf000 clamp
	v_and_b32_e32 v136, 0xffffff00, v135
	v_lshlrev_b16 v135, 8, v135
	v_lshrrev_b16 v132, 8, v132
	v_add_nc_u16 v123, v123, 0xf000
	v_lshrrev_b16 v134, 8, v134
	v_add_nc_i16 v136, v136, 0xf000 clamp
	v_add_nc_i16 v135, v135, 0xf000 clamp
	v_or_b32_e32 v130, v131, v130
	v_or_b32_e32 v131, v133, v132
	;; [unrolled: 1-line block ×3, first 2 shown]
	v_and_b32_e32 v132, 0xffffff00, v136
	v_lshrrev_b16 v133, 8, v135
	v_and_b32_e32 v123, 0xffff, v123
	v_lshlrev_b32_e32 v1, 16, v1
	v_add_nc_u16 v130, v130, 0xf000
	v_add_nc_u16 v131, v131, 0xf000
	;; [unrolled: 1-line block ×3, first 2 shown]
	v_or_b32_e32 v132, v133, v132
	v_or_b32_e32 v1, v123, v1
	v_and_b32_e32 v123, 0xffff, v130
	v_lshlrev_b32_e32 v130, 16, v131
	v_and_b32_e32 v0, 0xffff, v0
	v_lshlrev_b32_e32 v131, 16, v132
	ds_store_2addr_b32 v66, v3, v2 offset1:1
	ds_store_2addr_b32 v67, v127, v128 offset1:1
	;; [unrolled: 1-line block ×3, first 2 shown]
	s_waitcnt vmcnt(12)
	v_cvt_f32_f16_e64 v2, v141
	v_or_b32_e32 v1, v123, v130
	s_waitcnt vmcnt(11)
	v_cvt_f32_f16_e64 v3, v142
	v_or_b32_e32 v0, v0, v131
	s_waitcnt vmcnt(10)
	v_cvt_f32_f16_e64 v123, v143
	s_waitcnt vmcnt(9)
	v_cvt_f32_f16_e64 v124, v144
	ds_store_2addr_b32 v69, v1, v0 offset1:1
	ds_store_b32 v114, v2
	ds_store_b32 v115, v3
	ds_store_b32 v116, v123
	ds_store_b32 v117, v124
	v_mov_b32_e32 v124, v104
	s_waitcnt vmcnt(8)
	v_cvt_f32_f16_e64 v0, v129
	s_waitcnt vmcnt(6)
	ds_store_b32 v75, v8
	s_waitcnt vmcnt(5)
	ds_store_b32 v76, v119
	s_waitcnt vmcnt(4)
	ds_store_b32 v77, v120
	s_waitcnt vmcnt(3)
	ds_store_b32 v78, v121
	s_waitcnt vmcnt(2)
	ds_store_b32 v96, v122
	s_waitcnt vmcnt(1)
	ds_store_b32 v98, v125
	s_waitcnt vmcnt(0)
	ds_store_b32 v100, v126
	ds_store_b32 v73, v7
	ds_store_b32 v87, v0
	v_dual_mov_b32 v119, v108 :: v_dual_mov_b32 v120, v107
	v_dual_mov_b32 v121, v101 :: v_dual_mov_b32 v122, v106
	v_mov_b32_e32 v123, v105
	v_mov_b32_e32 v125, v103
	s_waitcnt lgkmcnt(0)
	s_barrier
	buffer_gl0_inv
.LBB161_7:                              ;   Parent Loop BB161_6 Depth=1
                                        ; =>  This Inner Loop Header: Depth=2
	ds_load_2addr_b32 v[7:8], v121 offset1:1
	ds_load_b128 v[0:3], v120
	ds_load_b128 v[126:129], v120 offset:16
	ds_load_2addr_b32 v[158:159], v121 offset0:2 offset1:3
	v_add_nc_u32_e32 v131, 0x2080, v121
	v_add_nc_u32_e32 v132, 0x4100, v121
	;; [unrolled: 1-line block ×3, first 2 shown]
	ds_load_2addr_b32 v[172:173], v121 offset0:4 offset1:5
	ds_load_2addr_b32 v[178:179], v121 offset0:6 offset1:7
	ds_load_2addr_b32 v[160:161], v131 offset1:1
	ds_load_2addr_b32 v[162:163], v132 offset1:1
	;; [unrolled: 1-line block ×3, first 2 shown]
	s_add_i32 s0, s0, 4
	s_delay_alu instid0(SALU_CYCLE_1) | instskip(SKIP_3) | instid1(VALU_DEP_1)
	s_cmp_lt_u32 s0, 12
	s_waitcnt lgkmcnt(7)
	v_dot4_i32_iu8 v130, v7, v0, 0 neg_lo:[1,1,0]
	s_waitcnt lgkmcnt(6)
	v_dot4_i32_iu8 v130, v8, v126, v130 neg_lo:[1,1,0]
	;; [unrolled: 2-line block ×4, first 2 shown]
	v_dot4_i32_iu8 v130, v158, v1, v130 neg_lo:[1,1,0]
	s_waitcnt lgkmcnt(0)
	v_dot4_i32_iu8 v0, v164, v0, 0 neg_lo:[1,1,0]
	v_dot4_i32_iu8 v131, v161, v126, v131 neg_lo:[1,1,0]
	;; [unrolled: 1-line block ×3, first 2 shown]
	s_delay_alu instid0(VALU_DEP_3)
	v_dot4_i32_iu8 v0, v165, v126, v0 neg_lo:[1,1,0]
	v_dot4_i32_iu8 v126, v159, v127, v130 neg_lo:[1,1,0]
	v_add_nc_u32_e32 v130, 0x2088, v121
	ds_load_2addr_b32 v[166:167], v130 offset1:1
	s_waitcnt lgkmcnt(0)
	v_dot4_i32_iu8 v130, v166, v1, v131 neg_lo:[1,1,0]
	v_add_nc_u32_e32 v131, 0x4108, v121
	s_delay_alu instid0(VALU_DEP_2) | instskip(SKIP_4) | instid1(VALU_DEP_2)
	v_dot4_i32_iu8 v130, v167, v127, v130 neg_lo:[1,1,0]
	ds_load_2addr_b32 v[168:169], v131 offset1:1
	s_waitcnt lgkmcnt(0)
	v_dot4_i32_iu8 v131, v168, v1, v132 neg_lo:[1,1,0]
	v_add_nc_u32_e32 v132, 0x6188, v121
	v_dot4_i32_iu8 v131, v169, v127, v131 neg_lo:[1,1,0]
	ds_load_2addr_b32 v[170:171], v132 offset1:1
	v_add_nc_u32_e32 v132, 0x4110, v121
	ds_load_2addr_b32 v[174:175], v132 offset1:1
	v_add_nc_u32_e32 v132, 0x6190, v121
	ds_load_2addr_b32 v[176:177], v132 offset1:1
	s_waitcnt lgkmcnt(2)
	v_dot4_i32_iu8 v0, v170, v1, v0 neg_lo:[1,1,0]
	v_dot4_i32_iu8 v1, v172, v2, v126 neg_lo:[1,1,0]
	v_add_nc_u32_e32 v126, 0x2090, v121
	s_delay_alu instid0(VALU_DEP_3) | instskip(NEXT) | instid1(VALU_DEP_3)
	v_dot4_i32_iu8 v0, v171, v127, v0 neg_lo:[1,1,0]
	v_dot4_i32_iu8 v1, v173, v128, v1 neg_lo:[1,1,0]
	ds_load_2addr_b32 v[126:127], v126 offset1:1
	s_waitcnt lgkmcnt(2)
	v_dot4_i32_iu8 v131, v174, v2, v131 neg_lo:[1,1,0]
	v_dot4_i32_iu8 v186, v178, v3, v1 neg_lo:[1,1,0]
	s_waitcnt lgkmcnt(1)
	v_dot4_i32_iu8 v0, v176, v2, v0 neg_lo:[1,1,0]
	s_delay_alu instid0(VALU_DEP_1) | instskip(SKIP_3) | instid1(VALU_DEP_2)
	v_dot4_i32_iu8 v0, v177, v128, v0 neg_lo:[1,1,0]
	s_waitcnt lgkmcnt(0)
	v_dot4_i32_iu8 v130, v126, v2, v130 neg_lo:[1,1,0]
	v_dot4_i32_iu8 v2, v175, v128, v131 neg_lo:[1,1,0]
	;; [unrolled: 1-line block ×3, first 2 shown]
	v_add_nc_u32_e32 v128, 0x2098, v121
	ds_load_b128 v[130:133], v120 offset:1040
	ds_load_2addr_b32 v[180:181], v128 offset1:1
	s_waitcnt lgkmcnt(0)
	v_dot4_i32_iu8 v128, v180, v3, v1 neg_lo:[1,1,0]
	v_add_nc_u32_e32 v1, 0x4118, v121
	ds_load_2addr_b32 v[182:183], v1 offset1:1
	v_add_nc_u32_e32 v1, 0x6198, v121
	v_add_nc_u32_e32 v121, 32, v121
	ds_load_2addr_b32 v[184:185], v1 offset1:1
	s_waitcnt lgkmcnt(1)
	v_dot4_i32_iu8 v187, v182, v3, v2 neg_lo:[1,1,0]
	s_waitcnt lgkmcnt(0)
	v_dot4_i32_iu8 v188, v184, v3, v0 neg_lo:[1,1,0]
	ds_load_b128 v[0:3], v120 offset:1024
	s_waitcnt lgkmcnt(0)
	v_dot4_i32_iu8 v134, v0, v7, 0 neg_lo:[1,1,0]
	v_dot4_i32_iu8 v135, v0, v160, 0 neg_lo:[1,1,0]
	v_dot4_i32_iu8 v136, v0, v162, 0 neg_lo:[1,1,0]
	v_dot4_i32_iu8 v0, v0, v164, 0 neg_lo:[1,1,0]
	s_delay_alu instid0(VALU_DEP_4) | instskip(NEXT) | instid1(VALU_DEP_4)
	v_dot4_i32_iu8 v134, v130, v8, v134 neg_lo:[1,1,0]
	v_dot4_i32_iu8 v135, v130, v161, v135 neg_lo:[1,1,0]
	s_delay_alu instid0(VALU_DEP_4) | instskip(NEXT) | instid1(VALU_DEP_4)
	v_dot4_i32_iu8 v136, v130, v163, v136 neg_lo:[1,1,0]
	v_dot4_i32_iu8 v0, v130, v165, v0 neg_lo:[1,1,0]
	s_delay_alu instid0(VALU_DEP_4) | instskip(NEXT) | instid1(VALU_DEP_4)
	v_dot4_i32_iu8 v130, v1, v158, v134 neg_lo:[1,1,0]
	v_dot4_i32_iu8 v134, v1, v166, v135 neg_lo:[1,1,0]
	s_delay_alu instid0(VALU_DEP_4) | instskip(NEXT) | instid1(VALU_DEP_4)
	v_dot4_i32_iu8 v135, v1, v168, v136 neg_lo:[1,1,0]
	v_dot4_i32_iu8 v0, v1, v170, v0 neg_lo:[1,1,0]
	s_delay_alu instid0(VALU_DEP_4) | instskip(NEXT) | instid1(VALU_DEP_4)
	v_dot4_i32_iu8 v1, v131, v159, v130 neg_lo:[1,1,0]
	v_dot4_i32_iu8 v130, v131, v167, v134 neg_lo:[1,1,0]
	s_delay_alu instid0(VALU_DEP_4) | instskip(NEXT) | instid1(VALU_DEP_4)
	v_dot4_i32_iu8 v134, v131, v169, v135 neg_lo:[1,1,0]
	v_dot4_i32_iu8 v0, v131, v171, v0 neg_lo:[1,1,0]
	s_delay_alu instid0(VALU_DEP_4) | instskip(NEXT) | instid1(VALU_DEP_4)
	v_dot4_i32_iu8 v1, v2, v172, v1 neg_lo:[1,1,0]
	v_dot4_i32_iu8 v130, v2, v126, v130 neg_lo:[1,1,0]
	s_delay_alu instid0(VALU_DEP_4) | instskip(NEXT) | instid1(VALU_DEP_4)
	v_dot4_i32_iu8 v131, v2, v174, v134 neg_lo:[1,1,0]
	v_dot4_i32_iu8 v0, v2, v176, v0 neg_lo:[1,1,0]
	ds_load_b128 v[134:137], v120 offset:2064
	v_dot4_i32_iu8 v1, v132, v173, v1 neg_lo:[1,1,0]
	v_dot4_i32_iu8 v2, v132, v127, v130 neg_lo:[1,1,0]
	v_dot4_i32_iu8 v130, v132, v175, v131 neg_lo:[1,1,0]
	v_dot4_i32_iu8 v0, v132, v177, v0 neg_lo:[1,1,0]
	s_delay_alu instid0(VALU_DEP_4) | instskip(NEXT) | instid1(VALU_DEP_4)
	v_dot4_i32_iu8 v131, v3, v178, v1 neg_lo:[1,1,0]
	v_dot4_i32_iu8 v132, v3, v180, v2 neg_lo:[1,1,0]
	s_delay_alu instid0(VALU_DEP_4) | instskip(NEXT) | instid1(VALU_DEP_4)
	v_dot4_i32_iu8 v130, v3, v182, v130 neg_lo:[1,1,0]
	v_dot4_i32_iu8 v189, v3, v184, v0 neg_lo:[1,1,0]
	ds_load_b128 v[0:3], v120 offset:2048
	v_dot4_i32_iu8 v130, v133, v183, v130 neg_lo:[1,1,0]
	s_waitcnt lgkmcnt(0)
	v_dot4_i32_iu8 v138, v0, v7, 0 neg_lo:[1,1,0]
	v_dot4_i32_iu8 v139, v0, v160, 0 neg_lo:[1,1,0]
	v_dot4_i32_iu8 v140, v0, v162, 0 neg_lo:[1,1,0]
	v_dot4_i32_iu8 v0, v0, v164, 0 neg_lo:[1,1,0]
	s_delay_alu instid0(VALU_DEP_4) | instskip(NEXT) | instid1(VALU_DEP_4)
	v_dot4_i32_iu8 v138, v134, v8, v138 neg_lo:[1,1,0]
	v_dot4_i32_iu8 v139, v134, v161, v139 neg_lo:[1,1,0]
	s_delay_alu instid0(VALU_DEP_4) | instskip(NEXT) | instid1(VALU_DEP_4)
	v_dot4_i32_iu8 v140, v134, v163, v140 neg_lo:[1,1,0]
	v_dot4_i32_iu8 v0, v134, v165, v0 neg_lo:[1,1,0]
	s_delay_alu instid0(VALU_DEP_4) | instskip(NEXT) | instid1(VALU_DEP_4)
	v_dot4_i32_iu8 v134, v1, v158, v138 neg_lo:[1,1,0]
	v_dot4_i32_iu8 v138, v1, v166, v139 neg_lo:[1,1,0]
	s_delay_alu instid0(VALU_DEP_4) | instskip(NEXT) | instid1(VALU_DEP_4)
	v_dot4_i32_iu8 v139, v1, v168, v140 neg_lo:[1,1,0]
	v_dot4_i32_iu8 v0, v1, v170, v0 neg_lo:[1,1,0]
	s_delay_alu instid0(VALU_DEP_4) | instskip(NEXT) | instid1(VALU_DEP_4)
	v_dot4_i32_iu8 v1, v135, v159, v134 neg_lo:[1,1,0]
	v_dot4_i32_iu8 v134, v135, v167, v138 neg_lo:[1,1,0]
	s_delay_alu instid0(VALU_DEP_4) | instskip(NEXT) | instid1(VALU_DEP_4)
	v_dot4_i32_iu8 v138, v135, v169, v139 neg_lo:[1,1,0]
	v_dot4_i32_iu8 v0, v135, v171, v0 neg_lo:[1,1,0]
	s_delay_alu instid0(VALU_DEP_4) | instskip(NEXT) | instid1(VALU_DEP_4)
	v_dot4_i32_iu8 v1, v2, v172, v1 neg_lo:[1,1,0]
	v_dot4_i32_iu8 v134, v2, v126, v134 neg_lo:[1,1,0]
	s_delay_alu instid0(VALU_DEP_4) | instskip(NEXT) | instid1(VALU_DEP_4)
	v_dot4_i32_iu8 v135, v2, v174, v138 neg_lo:[1,1,0]
	v_dot4_i32_iu8 v0, v2, v176, v0 neg_lo:[1,1,0]
	ds_load_b128 v[138:141], v120 offset:3088
	v_dot4_i32_iu8 v1, v136, v173, v1 neg_lo:[1,1,0]
	v_dot4_i32_iu8 v2, v136, v127, v134 neg_lo:[1,1,0]
	v_dot4_i32_iu8 v134, v136, v175, v135 neg_lo:[1,1,0]
	v_dot4_i32_iu8 v0, v136, v177, v0 neg_lo:[1,1,0]
	s_delay_alu instid0(VALU_DEP_4) | instskip(NEXT) | instid1(VALU_DEP_4)
	v_dot4_i32_iu8 v135, v3, v178, v1 neg_lo:[1,1,0]
	v_dot4_i32_iu8 v136, v3, v180, v2 neg_lo:[1,1,0]
	s_delay_alu instid0(VALU_DEP_4) | instskip(NEXT) | instid1(VALU_DEP_4)
	v_dot4_i32_iu8 v134, v3, v182, v134 neg_lo:[1,1,0]
	v_dot4_i32_iu8 v190, v3, v184, v0 neg_lo:[1,1,0]
	ds_load_b128 v[0:3], v120 offset:3072
	v_dot4_i32_iu8 v134, v137, v183, v134 neg_lo:[1,1,0]
	;; [unrolled: 42-line block ×5, first 2 shown]
	s_waitcnt lgkmcnt(0)
	v_dot4_i32_iu8 v154, v0, v7, 0 neg_lo:[1,1,0]
	v_dot4_i32_iu8 v155, v0, v160, 0 neg_lo:[1,1,0]
	;; [unrolled: 1-line block ×4, first 2 shown]
	s_delay_alu instid0(VALU_DEP_4) | instskip(NEXT) | instid1(VALU_DEP_4)
	v_dot4_i32_iu8 v154, v150, v8, v154 neg_lo:[1,1,0]
	v_dot4_i32_iu8 v155, v150, v161, v155 neg_lo:[1,1,0]
	s_delay_alu instid0(VALU_DEP_4) | instskip(NEXT) | instid1(VALU_DEP_4)
	v_dot4_i32_iu8 v156, v150, v163, v156 neg_lo:[1,1,0]
	v_dot4_i32_iu8 v0, v150, v165, v0 neg_lo:[1,1,0]
	;; [unrolled: 3-line block ×8, first 2 shown]
	ds_load_b128 v[154:157], v120 offset:7184
	v_dot4_i32_iu8 v1, v152, v173, v1 neg_lo:[1,1,0]
	v_dot4_i32_iu8 v2, v152, v127, v150 neg_lo:[1,1,0]
	;; [unrolled: 1-line block ×4, first 2 shown]
	s_delay_alu instid0(VALU_DEP_4) | instskip(NEXT) | instid1(VALU_DEP_4)
	v_dot4_i32_iu8 v151, v3, v178, v1 neg_lo:[1,1,0]
	v_dot4_i32_iu8 v152, v3, v180, v2 neg_lo:[1,1,0]
	s_delay_alu instid0(VALU_DEP_4) | instskip(NEXT) | instid1(VALU_DEP_4)
	v_dot4_i32_iu8 v150, v3, v182, v150 neg_lo:[1,1,0]
	v_dot4_i32_iu8 v194, v3, v184, v0 neg_lo:[1,1,0]
	ds_load_b128 v[0:3], v120 offset:7168
	v_add_nc_u32_e32 v120, 32, v120
	v_dot4_i32_iu8 v150, v153, v183, v150 neg_lo:[1,1,0]
	s_waitcnt lgkmcnt(0)
	v_dot4_i32_iu8 v7, v0, v7, 0 neg_lo:[1,1,0]
	s_delay_alu instid0(VALU_DEP_1) | instskip(SKIP_3) | instid1(VALU_DEP_4)
	v_dot4_i32_iu8 v7, v154, v8, v7 neg_lo:[1,1,0]
	v_dot4_i32_iu8 v8, v0, v160, 0 neg_lo:[1,1,0]
	;; [unrolled: 1-line block ×5, first 2 shown]
	s_delay_alu instid0(VALU_DEP_4) | instskip(NEXT) | instid1(VALU_DEP_4)
	v_dot4_i32_iu8 v8, v154, v161, v8 neg_lo:[1,1,0]
	v_dot4_i32_iu8 v160, v154, v163, v160 neg_lo:[1,1,0]
	s_delay_alu instid0(VALU_DEP_4) | instskip(NEXT) | instid1(VALU_DEP_4)
	v_dot4_i32_iu8 v0, v154, v165, v0 neg_lo:[1,1,0]
	v_dot4_i32_iu8 v7, v155, v159, v7 neg_lo:[1,1,0]
	;; [unrolled: 3-line block ×7, first 2 shown]
	s_delay_alu instid0(VALU_DEP_4)
	v_dot4_i32_iu8 v0, v2, v176, v0 neg_lo:[1,1,0]
	v_dot4_i32_iu8 v126, v183, v129, v187 neg_lo:[1,1,0]
	;; [unrolled: 1-line block ×7, first 2 shown]
	s_delay_alu instid0(VALU_DEP_4) | instskip(NEXT) | instid1(VALU_DEP_4)
	v_dot4_i32_iu8 v2, v3, v180, v7 neg_lo:[1,1,0]
	v_dot4_i32_iu8 v7, v3, v182, v8 neg_lo:[1,1,0]
	s_delay_alu instid0(VALU_DEP_4)
	v_dot4_i32_iu8 v0, v3, v184, v0 neg_lo:[1,1,0]
	v_dot4_i32_iu8 v3, v179, v129, v186 neg_lo:[1,1,0]
	;; [unrolled: 1-line block ×25, first 2 shown]
	ds_load_b32 v154, v122
	ds_load_b32 v155, v123
	;; [unrolled: 1-line block ×4, first 2 shown]
	ds_load_2addr_b32 v[0:1], v119 offset1:32
	v_cvt_f32_i32_e32 v3, v3
	v_add_nc_u32_e32 v125, 4, v125
	v_add_nc_u32_e32 v124, 4, v124
	;; [unrolled: 1-line block ×4, first 2 shown]
	s_waitcnt lgkmcnt(0)
	v_mul_f32_e32 v158, v0, v154
	v_mul_f32_e32 v161, v0, v157
	v_dual_mul_f32 v162, v154, v1 :: v_dual_mul_f32 v159, v0, v155
	s_delay_alu instid0(VALU_DEP_3) | instskip(SKIP_2) | instid1(VALU_DEP_2)
	v_dual_mul_f32 v160, v0, v156 :: v_dual_fmac_f32 v39, v158, v3
	v_cvt_f32_i32_e32 v3, v128
	v_mul_f32_e32 v163, v155, v1
	v_dual_mul_f32 v165, v157, v1 :: v_dual_fmac_f32 v40, v162, v3
	v_cvt_f32_i32_e32 v3, v132
	v_mul_f32_e32 v164, v156, v1
	ds_load_2addr_b32 v[0:1], v119 offset0:64 offset1:96
	s_waitcnt lgkmcnt(0)
	v_mul_f32_e32 v166, v154, v0
	v_mul_f32_e32 v167, v155, v0
	;; [unrolled: 1-line block ×5, first 2 shown]
	v_dual_mul_f32 v172, v156, v1 :: v_dual_fmac_f32 v35, v166, v3
	v_mul_f32_e32 v170, v154, v1
	v_cvt_f32_i32_e32 v3, v136
	v_mul_f32_e32 v173, v157, v1
	ds_load_2addr_b32 v[0:1], v119 offset0:128 offset1:160
	v_fmac_f32_e32 v28, v170, v3
	v_cvt_f32_i32_e32 v3, v140
	s_waitcnt lgkmcnt(0)
	v_mul_f32_e32 v174, v154, v0
	v_mul_f32_e32 v175, v155, v0
	;; [unrolled: 1-line block ×3, first 2 shown]
	v_dual_mul_f32 v177, v157, v0 :: v_dual_mul_f32 v178, v154, v1
	s_delay_alu instid0(VALU_DEP_4)
	v_dual_mul_f32 v179, v155, v1 :: v_dual_fmac_f32 v24, v174, v3
	v_mul_f32_e32 v180, v156, v1
	v_cvt_f32_i32_e32 v3, v144
	v_mul_f32_e32 v181, v157, v1
	ds_load_2addr_b32 v[0:1], v119 offset0:192 offset1:224
	v_add_nc_u32_e32 v119, 4, v119
	v_fmac_f32_e32 v20, v178, v3
	v_cvt_f32_i32_e32 v3, v148
	s_waitcnt lgkmcnt(0)
	v_mul_f32_e32 v182, v154, v0
	v_dual_mul_f32 v154, v154, v1 :: v_dual_mul_f32 v183, v155, v0
	v_dual_mul_f32 v155, v155, v1 :: v_dual_mul_f32 v184, v156, v0
	s_delay_alu instid0(VALU_DEP_3) | instskip(SKIP_2) | instid1(VALU_DEP_2)
	v_fmac_f32_e32 v16, v182, v3
	v_cvt_f32_i32_e32 v3, v152
	v_mul_f32_e32 v0, v157, v0
	v_fmac_f32_e32 v12, v154, v3
	v_cvt_f32_i32_e32 v3, v8
	s_delay_alu instid0(VALU_DEP_1) | instskip(SKIP_1) | instid1(VALU_DEP_1)
	v_fmac_f32_e32 v46, v159, v3
	v_cvt_f32_i32_e32 v3, v126
	v_fmac_f32_e32 v42, v160, v3
	v_cvt_f32_i32_e32 v3, v127
	s_delay_alu instid0(VALU_DEP_1) | instskip(SKIP_1) | instid1(VALU_DEP_1)
	v_fmac_f32_e32 v41, v161, v3
	v_cvt_f32_i32_e32 v3, v129
	;; [unrolled: 5-line block ×6, first 2 shown]
	v_fmac_f32_e32 v25, v173, v3
	v_cvt_f32_i32_e32 v3, v141
	s_delay_alu instid0(VALU_DEP_1) | instskip(SKIP_1) | instid1(VALU_DEP_1)
	v_dual_mul_f32 v156, v156, v1 :: v_dual_fmac_f32 v23, v175, v3
	v_cvt_f32_i32_e32 v3, v142
	v_dual_mul_f32 v1, v157, v1 :: v_dual_fmac_f32 v22, v176, v3
	v_cvt_f32_i32_e32 v3, v143
	s_delay_alu instid0(VALU_DEP_1) | instskip(SKIP_1) | instid1(VALU_DEP_1)
	v_fmac_f32_e32 v21, v177, v3
	v_cvt_f32_i32_e32 v3, v145
	v_fmac_f32_e32 v19, v179, v3
	v_cvt_f32_i32_e32 v3, v146
	s_delay_alu instid0(VALU_DEP_1) | instskip(SKIP_1) | instid1(VALU_DEP_1)
	v_fmac_f32_e32 v18, v180, v3
	v_cvt_f32_i32_e32 v3, v147
	v_fmac_f32_e32 v17, v181, v3
	;; [unrolled: 5-line block ×5, first 2 shown]
	s_cbranch_scc1 .LBB161_7
; %bb.8:                                ;   in Loop: Header=BB161_6 Depth=1
	s_or_b32 s0, s13, 4
	s_delay_alu instid0(SALU_CYCLE_1)
	s_cmp_ge_i32 s0, s5
	s_barrier
	buffer_gl0_inv
	s_cbranch_scc1 .LBB161_5
; %bb.9:                                ;   in Loop: Header=BB161_6 Depth=1
	v_add_nc_u32_e32 v125, s13, v102
	v_add_nc_u32_e32 v118, 4, v118
	s_mov_b32 s0, 12
	s_delay_alu instid0(VALU_DEP_2)
	v_add_nc_u32_e32 v2, v125, v90
	v_add_nc_u32_e32 v7, v125, v91
	;; [unrolled: 1-line block ×5, first 2 shown]
	v_mad_i64_i32 v[0:1], null, v2, 36, v[4:5]
	v_mad_i64_i32 v[2:3], null, v7, 36, v[4:5]
	v_mad_i64_i32 v[7:8], null, v119, 36, v[4:5]
	v_mad_i64_i32 v[119:120], null, v121, 36, v[4:5]
	v_mad_i64_i32 v[121:122], null, v123, 36, v[4:5]
	v_add_nc_u32_e32 v127, v125, v95
	v_mad_u64_u32 v[123:124], null, v118, 36, s[2:3]
	v_add_nc_u32_e32 v129, v125, v97
	v_add_nc_u32_e32 v118, v125, v99
	s_delay_alu instid0(VALU_DEP_4) | instskip(NEXT) | instid1(VALU_DEP_3)
	v_mad_i64_i32 v[125:126], null, v127, 36, v[4:5]
	v_mad_i64_i32 v[127:128], null, v129, 36, v[4:5]
	s_delay_alu instid0(VALU_DEP_3)
	v_mad_i64_i32 v[129:130], null, v118, 36, v[4:5]
	s_clause 0x8
	global_load_b32 v131, v[123:124], off
	global_load_b32 v2, v[2:3], off offset:4
	global_load_b32 v3, v[7:8], off offset:4
	;; [unrolled: 1-line block ×8, first 2 shown]
	v_dual_mov_b32 v123, v110 :: v_dual_mov_b32 v118, v108
	v_dual_mov_b32 v119, v107 :: v_dual_mov_b32 v120, v113
	;; [unrolled: 1-line block ×3, first 2 shown]
	v_mov_b32_e32 v124, v109
	s_waitcnt vmcnt(8)
	v_cvt_f32_f16_e64 v1, v131
	s_waitcnt vmcnt(7)
	ds_store_b32 v75, v2
	s_waitcnt vmcnt(6)
	ds_store_b32 v76, v3
	;; [unrolled: 2-line block ×8, first 2 shown]
	ds_store_b32 v87, v1
	s_waitcnt lgkmcnt(0)
	s_barrier
	buffer_gl0_inv
.LBB161_10:                             ;   Parent Loop BB161_6 Depth=1
                                        ; =>  This Inner Loop Header: Depth=2
	ds_load_2addr_b32 v[7:8], v120 offset1:1
	ds_load_b128 v[0:3], v119
	ds_load_b128 v[125:128], v119 offset:16
	ds_load_2addr_b32 v[157:158], v120 offset0:2 offset1:3
	v_add_nc_u32_e32 v130, 0x2080, v120
	v_add_nc_u32_e32 v131, 0x4100, v120
	;; [unrolled: 1-line block ×3, first 2 shown]
	ds_load_2addr_b32 v[171:172], v120 offset0:4 offset1:5
	ds_load_2addr_b32 v[177:178], v120 offset0:6 offset1:7
	ds_load_2addr_b32 v[159:160], v130 offset1:1
	ds_load_2addr_b32 v[161:162], v131 offset1:1
	;; [unrolled: 1-line block ×3, first 2 shown]
	s_add_i32 s0, s0, 4
	s_delay_alu instid0(SALU_CYCLE_1) | instskip(SKIP_3) | instid1(VALU_DEP_1)
	s_cmp_lt_u32 s0, 28
	s_waitcnt lgkmcnt(7)
	v_dot4_i32_iu8 v129, v7, v0, 0 neg_lo:[1,1,0]
	s_waitcnt lgkmcnt(6)
	v_dot4_i32_iu8 v129, v8, v125, v129 neg_lo:[1,1,0]
	;; [unrolled: 2-line block ×4, first 2 shown]
	v_dot4_i32_iu8 v129, v157, v1, v129 neg_lo:[1,1,0]
	s_waitcnt lgkmcnt(0)
	v_dot4_i32_iu8 v0, v163, v0, 0 neg_lo:[1,1,0]
	v_dot4_i32_iu8 v130, v160, v125, v130 neg_lo:[1,1,0]
	;; [unrolled: 1-line block ×3, first 2 shown]
	s_delay_alu instid0(VALU_DEP_3)
	v_dot4_i32_iu8 v0, v164, v125, v0 neg_lo:[1,1,0]
	v_dot4_i32_iu8 v125, v158, v126, v129 neg_lo:[1,1,0]
	v_add_nc_u32_e32 v129, 0x2088, v120
	ds_load_2addr_b32 v[165:166], v129 offset1:1
	s_waitcnt lgkmcnt(0)
	v_dot4_i32_iu8 v129, v165, v1, v130 neg_lo:[1,1,0]
	v_add_nc_u32_e32 v130, 0x4108, v120
	s_delay_alu instid0(VALU_DEP_2) | instskip(SKIP_4) | instid1(VALU_DEP_2)
	v_dot4_i32_iu8 v129, v166, v126, v129 neg_lo:[1,1,0]
	ds_load_2addr_b32 v[167:168], v130 offset1:1
	s_waitcnt lgkmcnt(0)
	v_dot4_i32_iu8 v130, v167, v1, v131 neg_lo:[1,1,0]
	v_add_nc_u32_e32 v131, 0x6188, v120
	v_dot4_i32_iu8 v130, v168, v126, v130 neg_lo:[1,1,0]
	ds_load_2addr_b32 v[169:170], v131 offset1:1
	v_add_nc_u32_e32 v131, 0x4110, v120
	ds_load_2addr_b32 v[173:174], v131 offset1:1
	v_add_nc_u32_e32 v131, 0x6190, v120
	ds_load_2addr_b32 v[175:176], v131 offset1:1
	s_waitcnt lgkmcnt(2)
	v_dot4_i32_iu8 v0, v169, v1, v0 neg_lo:[1,1,0]
	v_dot4_i32_iu8 v1, v171, v2, v125 neg_lo:[1,1,0]
	v_add_nc_u32_e32 v125, 0x2090, v120
	s_delay_alu instid0(VALU_DEP_3) | instskip(NEXT) | instid1(VALU_DEP_3)
	v_dot4_i32_iu8 v0, v170, v126, v0 neg_lo:[1,1,0]
	v_dot4_i32_iu8 v1, v172, v127, v1 neg_lo:[1,1,0]
	ds_load_2addr_b32 v[125:126], v125 offset1:1
	s_waitcnt lgkmcnt(2)
	v_dot4_i32_iu8 v130, v173, v2, v130 neg_lo:[1,1,0]
	v_dot4_i32_iu8 v185, v177, v3, v1 neg_lo:[1,1,0]
	s_waitcnt lgkmcnt(1)
	v_dot4_i32_iu8 v0, v175, v2, v0 neg_lo:[1,1,0]
	s_delay_alu instid0(VALU_DEP_1) | instskip(SKIP_3) | instid1(VALU_DEP_2)
	v_dot4_i32_iu8 v0, v176, v127, v0 neg_lo:[1,1,0]
	s_waitcnt lgkmcnt(0)
	v_dot4_i32_iu8 v129, v125, v2, v129 neg_lo:[1,1,0]
	v_dot4_i32_iu8 v2, v174, v127, v130 neg_lo:[1,1,0]
	;; [unrolled: 1-line block ×3, first 2 shown]
	v_add_nc_u32_e32 v127, 0x2098, v120
	ds_load_b128 v[129:132], v119 offset:1040
	ds_load_2addr_b32 v[179:180], v127 offset1:1
	s_waitcnt lgkmcnt(0)
	v_dot4_i32_iu8 v127, v179, v3, v1 neg_lo:[1,1,0]
	v_add_nc_u32_e32 v1, 0x4118, v120
	ds_load_2addr_b32 v[181:182], v1 offset1:1
	v_add_nc_u32_e32 v1, 0x6198, v120
	v_add_nc_u32_e32 v120, 32, v120
	ds_load_2addr_b32 v[183:184], v1 offset1:1
	s_waitcnt lgkmcnt(1)
	v_dot4_i32_iu8 v186, v181, v3, v2 neg_lo:[1,1,0]
	s_waitcnt lgkmcnt(0)
	v_dot4_i32_iu8 v187, v183, v3, v0 neg_lo:[1,1,0]
	ds_load_b128 v[0:3], v119 offset:1024
	s_waitcnt lgkmcnt(0)
	v_dot4_i32_iu8 v133, v0, v7, 0 neg_lo:[1,1,0]
	v_dot4_i32_iu8 v134, v0, v159, 0 neg_lo:[1,1,0]
	v_dot4_i32_iu8 v135, v0, v161, 0 neg_lo:[1,1,0]
	v_dot4_i32_iu8 v0, v0, v163, 0 neg_lo:[1,1,0]
	s_delay_alu instid0(VALU_DEP_4) | instskip(NEXT) | instid1(VALU_DEP_4)
	v_dot4_i32_iu8 v133, v129, v8, v133 neg_lo:[1,1,0]
	v_dot4_i32_iu8 v134, v129, v160, v134 neg_lo:[1,1,0]
	s_delay_alu instid0(VALU_DEP_4) | instskip(NEXT) | instid1(VALU_DEP_4)
	v_dot4_i32_iu8 v135, v129, v162, v135 neg_lo:[1,1,0]
	v_dot4_i32_iu8 v0, v129, v164, v0 neg_lo:[1,1,0]
	s_delay_alu instid0(VALU_DEP_4) | instskip(NEXT) | instid1(VALU_DEP_4)
	v_dot4_i32_iu8 v129, v1, v157, v133 neg_lo:[1,1,0]
	v_dot4_i32_iu8 v133, v1, v165, v134 neg_lo:[1,1,0]
	s_delay_alu instid0(VALU_DEP_4) | instskip(NEXT) | instid1(VALU_DEP_4)
	v_dot4_i32_iu8 v134, v1, v167, v135 neg_lo:[1,1,0]
	v_dot4_i32_iu8 v0, v1, v169, v0 neg_lo:[1,1,0]
	s_delay_alu instid0(VALU_DEP_4) | instskip(NEXT) | instid1(VALU_DEP_4)
	v_dot4_i32_iu8 v1, v130, v158, v129 neg_lo:[1,1,0]
	v_dot4_i32_iu8 v129, v130, v166, v133 neg_lo:[1,1,0]
	s_delay_alu instid0(VALU_DEP_4) | instskip(NEXT) | instid1(VALU_DEP_4)
	v_dot4_i32_iu8 v133, v130, v168, v134 neg_lo:[1,1,0]
	v_dot4_i32_iu8 v0, v130, v170, v0 neg_lo:[1,1,0]
	s_delay_alu instid0(VALU_DEP_4) | instskip(NEXT) | instid1(VALU_DEP_4)
	v_dot4_i32_iu8 v1, v2, v171, v1 neg_lo:[1,1,0]
	v_dot4_i32_iu8 v129, v2, v125, v129 neg_lo:[1,1,0]
	s_delay_alu instid0(VALU_DEP_4) | instskip(NEXT) | instid1(VALU_DEP_4)
	v_dot4_i32_iu8 v130, v2, v173, v133 neg_lo:[1,1,0]
	v_dot4_i32_iu8 v0, v2, v175, v0 neg_lo:[1,1,0]
	ds_load_b128 v[133:136], v119 offset:2064
	v_dot4_i32_iu8 v1, v131, v172, v1 neg_lo:[1,1,0]
	v_dot4_i32_iu8 v2, v131, v126, v129 neg_lo:[1,1,0]
	v_dot4_i32_iu8 v129, v131, v174, v130 neg_lo:[1,1,0]
	v_dot4_i32_iu8 v0, v131, v176, v0 neg_lo:[1,1,0]
	s_delay_alu instid0(VALU_DEP_4) | instskip(NEXT) | instid1(VALU_DEP_4)
	v_dot4_i32_iu8 v130, v3, v177, v1 neg_lo:[1,1,0]
	v_dot4_i32_iu8 v131, v3, v179, v2 neg_lo:[1,1,0]
	s_delay_alu instid0(VALU_DEP_4) | instskip(NEXT) | instid1(VALU_DEP_4)
	v_dot4_i32_iu8 v129, v3, v181, v129 neg_lo:[1,1,0]
	v_dot4_i32_iu8 v188, v3, v183, v0 neg_lo:[1,1,0]
	ds_load_b128 v[0:3], v119 offset:2048
	v_dot4_i32_iu8 v129, v132, v182, v129 neg_lo:[1,1,0]
	s_waitcnt lgkmcnt(0)
	v_dot4_i32_iu8 v137, v0, v7, 0 neg_lo:[1,1,0]
	v_dot4_i32_iu8 v138, v0, v159, 0 neg_lo:[1,1,0]
	v_dot4_i32_iu8 v139, v0, v161, 0 neg_lo:[1,1,0]
	v_dot4_i32_iu8 v0, v0, v163, 0 neg_lo:[1,1,0]
	s_delay_alu instid0(VALU_DEP_4) | instskip(NEXT) | instid1(VALU_DEP_4)
	v_dot4_i32_iu8 v137, v133, v8, v137 neg_lo:[1,1,0]
	v_dot4_i32_iu8 v138, v133, v160, v138 neg_lo:[1,1,0]
	s_delay_alu instid0(VALU_DEP_4) | instskip(NEXT) | instid1(VALU_DEP_4)
	v_dot4_i32_iu8 v139, v133, v162, v139 neg_lo:[1,1,0]
	v_dot4_i32_iu8 v0, v133, v164, v0 neg_lo:[1,1,0]
	s_delay_alu instid0(VALU_DEP_4) | instskip(NEXT) | instid1(VALU_DEP_4)
	v_dot4_i32_iu8 v133, v1, v157, v137 neg_lo:[1,1,0]
	v_dot4_i32_iu8 v137, v1, v165, v138 neg_lo:[1,1,0]
	s_delay_alu instid0(VALU_DEP_4) | instskip(NEXT) | instid1(VALU_DEP_4)
	v_dot4_i32_iu8 v138, v1, v167, v139 neg_lo:[1,1,0]
	v_dot4_i32_iu8 v0, v1, v169, v0 neg_lo:[1,1,0]
	s_delay_alu instid0(VALU_DEP_4) | instskip(NEXT) | instid1(VALU_DEP_4)
	v_dot4_i32_iu8 v1, v134, v158, v133 neg_lo:[1,1,0]
	v_dot4_i32_iu8 v133, v134, v166, v137 neg_lo:[1,1,0]
	s_delay_alu instid0(VALU_DEP_4) | instskip(NEXT) | instid1(VALU_DEP_4)
	v_dot4_i32_iu8 v137, v134, v168, v138 neg_lo:[1,1,0]
	v_dot4_i32_iu8 v0, v134, v170, v0 neg_lo:[1,1,0]
	s_delay_alu instid0(VALU_DEP_4) | instskip(NEXT) | instid1(VALU_DEP_4)
	v_dot4_i32_iu8 v1, v2, v171, v1 neg_lo:[1,1,0]
	v_dot4_i32_iu8 v133, v2, v125, v133 neg_lo:[1,1,0]
	s_delay_alu instid0(VALU_DEP_4) | instskip(NEXT) | instid1(VALU_DEP_4)
	v_dot4_i32_iu8 v134, v2, v173, v137 neg_lo:[1,1,0]
	v_dot4_i32_iu8 v0, v2, v175, v0 neg_lo:[1,1,0]
	ds_load_b128 v[137:140], v119 offset:3088
	v_dot4_i32_iu8 v1, v135, v172, v1 neg_lo:[1,1,0]
	v_dot4_i32_iu8 v2, v135, v126, v133 neg_lo:[1,1,0]
	v_dot4_i32_iu8 v133, v135, v174, v134 neg_lo:[1,1,0]
	v_dot4_i32_iu8 v0, v135, v176, v0 neg_lo:[1,1,0]
	s_delay_alu instid0(VALU_DEP_4) | instskip(NEXT) | instid1(VALU_DEP_4)
	v_dot4_i32_iu8 v134, v3, v177, v1 neg_lo:[1,1,0]
	v_dot4_i32_iu8 v135, v3, v179, v2 neg_lo:[1,1,0]
	s_delay_alu instid0(VALU_DEP_4) | instskip(NEXT) | instid1(VALU_DEP_4)
	v_dot4_i32_iu8 v133, v3, v181, v133 neg_lo:[1,1,0]
	v_dot4_i32_iu8 v189, v3, v183, v0 neg_lo:[1,1,0]
	ds_load_b128 v[0:3], v119 offset:3072
	v_dot4_i32_iu8 v133, v136, v182, v133 neg_lo:[1,1,0]
	;; [unrolled: 42-line block ×5, first 2 shown]
	s_waitcnt lgkmcnt(0)
	v_dot4_i32_iu8 v153, v0, v7, 0 neg_lo:[1,1,0]
	v_dot4_i32_iu8 v154, v0, v159, 0 neg_lo:[1,1,0]
	;; [unrolled: 1-line block ×4, first 2 shown]
	s_delay_alu instid0(VALU_DEP_4) | instskip(NEXT) | instid1(VALU_DEP_4)
	v_dot4_i32_iu8 v153, v149, v8, v153 neg_lo:[1,1,0]
	v_dot4_i32_iu8 v154, v149, v160, v154 neg_lo:[1,1,0]
	s_delay_alu instid0(VALU_DEP_4) | instskip(NEXT) | instid1(VALU_DEP_4)
	v_dot4_i32_iu8 v155, v149, v162, v155 neg_lo:[1,1,0]
	v_dot4_i32_iu8 v0, v149, v164, v0 neg_lo:[1,1,0]
	;; [unrolled: 3-line block ×8, first 2 shown]
	ds_load_b128 v[153:156], v119 offset:7184
	v_dot4_i32_iu8 v1, v151, v172, v1 neg_lo:[1,1,0]
	v_dot4_i32_iu8 v2, v151, v126, v149 neg_lo:[1,1,0]
	;; [unrolled: 1-line block ×4, first 2 shown]
	s_delay_alu instid0(VALU_DEP_4) | instskip(NEXT) | instid1(VALU_DEP_4)
	v_dot4_i32_iu8 v150, v3, v177, v1 neg_lo:[1,1,0]
	v_dot4_i32_iu8 v151, v3, v179, v2 neg_lo:[1,1,0]
	s_delay_alu instid0(VALU_DEP_4) | instskip(NEXT) | instid1(VALU_DEP_4)
	v_dot4_i32_iu8 v149, v3, v181, v149 neg_lo:[1,1,0]
	v_dot4_i32_iu8 v193, v3, v183, v0 neg_lo:[1,1,0]
	ds_load_b128 v[0:3], v119 offset:7168
	v_add_nc_u32_e32 v119, 32, v119
	v_dot4_i32_iu8 v149, v152, v182, v149 neg_lo:[1,1,0]
	s_waitcnt lgkmcnt(0)
	v_dot4_i32_iu8 v7, v0, v7, 0 neg_lo:[1,1,0]
	s_delay_alu instid0(VALU_DEP_1) | instskip(SKIP_3) | instid1(VALU_DEP_4)
	v_dot4_i32_iu8 v7, v153, v8, v7 neg_lo:[1,1,0]
	v_dot4_i32_iu8 v8, v0, v159, 0 neg_lo:[1,1,0]
	;; [unrolled: 1-line block ×5, first 2 shown]
	s_delay_alu instid0(VALU_DEP_4) | instskip(NEXT) | instid1(VALU_DEP_4)
	v_dot4_i32_iu8 v8, v153, v160, v8 neg_lo:[1,1,0]
	v_dot4_i32_iu8 v159, v153, v162, v159 neg_lo:[1,1,0]
	s_delay_alu instid0(VALU_DEP_4) | instskip(NEXT) | instid1(VALU_DEP_4)
	v_dot4_i32_iu8 v0, v153, v164, v0 neg_lo:[1,1,0]
	v_dot4_i32_iu8 v7, v154, v158, v7 neg_lo:[1,1,0]
	;; [unrolled: 3-line block ×7, first 2 shown]
	s_delay_alu instid0(VALU_DEP_4)
	v_dot4_i32_iu8 v0, v2, v175, v0 neg_lo:[1,1,0]
	v_dot4_i32_iu8 v125, v182, v128, v186 neg_lo:[1,1,0]
	;; [unrolled: 1-line block ×7, first 2 shown]
	s_delay_alu instid0(VALU_DEP_4) | instskip(NEXT) | instid1(VALU_DEP_4)
	v_dot4_i32_iu8 v2, v3, v179, v7 neg_lo:[1,1,0]
	v_dot4_i32_iu8 v7, v3, v181, v8 neg_lo:[1,1,0]
	s_delay_alu instid0(VALU_DEP_4)
	v_dot4_i32_iu8 v0, v3, v183, v0 neg_lo:[1,1,0]
	v_dot4_i32_iu8 v3, v178, v128, v185 neg_lo:[1,1,0]
	;; [unrolled: 1-line block ×25, first 2 shown]
	ds_load_b32 v153, v121
	ds_load_b32 v154, v122
	;; [unrolled: 1-line block ×4, first 2 shown]
	ds_load_2addr_b32 v[0:1], v118 offset1:32
	v_cvt_f32_i32_e32 v3, v3
	v_add_nc_u32_e32 v124, 4, v124
	v_add_nc_u32_e32 v123, 4, v123
	;; [unrolled: 1-line block ×4, first 2 shown]
	s_waitcnt lgkmcnt(0)
	v_mul_f32_e32 v157, v0, v153
	v_mul_f32_e32 v158, v0, v154
	;; [unrolled: 1-line block ×3, first 2 shown]
	v_dual_mul_f32 v160, v0, v156 :: v_dual_mul_f32 v163, v155, v1
	v_mul_f32_e32 v161, v153, v1
	v_mul_f32_e32 v162, v154, v1
	;; [unrolled: 1-line block ×3, first 2 shown]
	ds_load_2addr_b32 v[0:1], v118 offset0:64 offset1:96
	v_fmac_f32_e32 v39, v157, v3
	v_cvt_f32_i32_e32 v3, v127
	s_delay_alu instid0(VALU_DEP_1)
	v_fmac_f32_e32 v40, v161, v3
	v_cvt_f32_i32_e32 v3, v131
	s_waitcnt lgkmcnt(0)
	v_mul_f32_e32 v165, v153, v0
	v_dual_mul_f32 v166, v154, v0 :: v_dual_mul_f32 v169, v153, v1
	v_mul_f32_e32 v167, v155, v0
	v_dual_mul_f32 v168, v156, v0 :: v_dual_mul_f32 v171, v155, v1
	v_mul_f32_e32 v170, v154, v1
	v_mul_f32_e32 v172, v156, v1
	ds_load_2addr_b32 v[0:1], v118 offset0:128 offset1:160
	s_waitcnt lgkmcnt(0)
	v_mul_f32_e32 v173, v153, v0
	v_dual_mul_f32 v174, v154, v0 :: v_dual_mul_f32 v177, v153, v1
	v_mul_f32_e32 v175, v155, v0
	v_dual_mul_f32 v176, v156, v0 :: v_dual_mul_f32 v179, v155, v1
	v_mul_f32_e32 v178, v154, v1
	v_mul_f32_e32 v180, v156, v1
	ds_load_2addr_b32 v[0:1], v118 offset0:192 offset1:224
	s_waitcnt lgkmcnt(0)
	v_dual_mul_f32 v181, v153, v0 :: v_dual_add_nc_u32 v118, 4, v118
	v_dual_mul_f32 v153, v153, v1 :: v_dual_mul_f32 v182, v154, v0
	v_dual_mul_f32 v154, v154, v1 :: v_dual_fmac_f32 v35, v165, v3
	v_cvt_f32_i32_e32 v3, v135
	s_delay_alu instid0(VALU_DEP_1) | instskip(SKIP_1) | instid1(VALU_DEP_1)
	v_fmac_f32_e32 v28, v169, v3
	v_cvt_f32_i32_e32 v3, v139
	v_fmac_f32_e32 v24, v173, v3
	v_cvt_f32_i32_e32 v3, v143
	s_delay_alu instid0(VALU_DEP_1) | instskip(SKIP_3) | instid1(VALU_DEP_3)
	v_fmac_f32_e32 v20, v177, v3
	v_cvt_f32_i32_e32 v3, v147
	v_mul_f32_e32 v183, v155, v0
	v_dual_mul_f32 v155, v155, v1 :: v_dual_mul_f32 v0, v156, v0
	v_fmac_f32_e32 v16, v181, v3
	v_cvt_f32_i32_e32 v3, v151
	s_delay_alu instid0(VALU_DEP_1) | instskip(SKIP_1) | instid1(VALU_DEP_1)
	v_dual_mul_f32 v1, v156, v1 :: v_dual_fmac_f32 v12, v153, v3
	v_cvt_f32_i32_e32 v3, v8
	v_fmac_f32_e32 v46, v158, v3
	v_cvt_f32_i32_e32 v3, v125
	s_delay_alu instid0(VALU_DEP_1) | instskip(SKIP_1) | instid1(VALU_DEP_1)
	v_fmac_f32_e32 v42, v159, v3
	v_cvt_f32_i32_e32 v3, v126
	v_fmac_f32_e32 v41, v160, v3
	v_cvt_f32_i32_e32 v3, v128
	s_delay_alu instid0(VALU_DEP_1) | instskip(SKIP_1) | instid1(VALU_DEP_1)
	v_fmac_f32_e32 v38, v162, v3
	;; [unrolled: 5-line block ×11, first 2 shown]
	v_cvt_f32_i32_e32 v0, v7
	v_fmac_f32_e32 v10, v155, v0
	v_cvt_f32_i32_e32 v0, v152
	s_delay_alu instid0(VALU_DEP_1)
	v_fmac_f32_e32 v9, v1, v0
	s_cbranch_scc1 .LBB161_10
; %bb.11:                               ;   in Loop: Header=BB161_6 Depth=1
	s_barrier
	buffer_gl0_inv
	s_branch .LBB161_5
.LBB161_12:
	v_dual_mov_b32 v1, v29 :: v_dual_mov_b32 v0, v30
.LBB161_13:
	s_mov_b32 s0, exec_lo
	v_cmpx_gt_u32_e64 s4, v34
	s_cbranch_execz .LBB161_64
; %bb.14:
	s_delay_alu instid0(VALU_DEP_2) | instskip(SKIP_1) | instid1(VALU_DEP_2)
	v_add_nc_u32_e32 v0, s10, v0
	v_mul_lo_u32 v5, v34, s6
	v_cmp_gt_u32_e32 vcc_lo, s6, v0
	s_and_saveexec_b32 s1, vcc_lo
	s_cbranch_execz .LBB161_16
; %bb.15:
	v_bfe_u32 v3, v39, 16, 1
	s_delay_alu instid0(VALU_DEP_3) | instskip(SKIP_1) | instid1(VALU_DEP_3)
	v_add_nc_u32_e32 v2, v0, v5
	v_cmp_o_f32_e64 s0, v39, v39
	v_add3_u32 v4, v39, v3, 0x7fff
	v_mov_b32_e32 v3, 0
	s_delay_alu instid0(VALU_DEP_2) | instskip(NEXT) | instid1(VALU_DEP_2)
	v_lshrrev_b32_e32 v4, 16, v4
	v_lshlrev_b64 v[2:3], 1, v[2:3]
	s_delay_alu instid0(VALU_DEP_2) | instskip(SKIP_1) | instid1(VALU_DEP_2)
	v_cndmask_b32_e64 v4, 0x7fc0, v4, s0
	s_waitcnt lgkmcnt(0)
	v_add_co_u32 v2, s0, s8, v2
	s_delay_alu instid0(VALU_DEP_1)
	v_add_co_ci_u32_e64 v3, s0, s9, v3, s0
	global_store_b16 v[2:3], v4, off
.LBB161_16:
	s_or_b32 exec_lo, exec_lo, s1
	v_add_nc_u32_e32 v2, 32, v0
	s_delay_alu instid0(VALU_DEP_1) | instskip(NEXT) | instid1(VALU_DEP_1)
	v_cmp_gt_u32_e64 s0, s6, v2
	s_and_saveexec_b32 s2, s0
	s_cbranch_execz .LBB161_18
; %bb.17:
	v_bfe_u32 v4, v46, 16, 1
	v_add_nc_u32_e32 v3, v2, v5
	v_cmp_o_f32_e64 s1, v46, v46
	s_delay_alu instid0(VALU_DEP_3) | instskip(SKIP_1) | instid1(VALU_DEP_2)
	v_add3_u32 v6, v46, v4, 0x7fff
	v_mov_b32_e32 v4, 0
	v_lshrrev_b32_e32 v6, 16, v6
	s_delay_alu instid0(VALU_DEP_2) | instskip(NEXT) | instid1(VALU_DEP_2)
	v_lshlrev_b64 v[3:4], 1, v[3:4]
	v_cndmask_b32_e64 v6, 0x7fc0, v6, s1
	s_waitcnt lgkmcnt(0)
	s_delay_alu instid0(VALU_DEP_2) | instskip(NEXT) | instid1(VALU_DEP_1)
	v_add_co_u32 v3, s1, s8, v3
	v_add_co_ci_u32_e64 v4, s1, s9, v4, s1
	global_store_b16 v[3:4], v6, off
.LBB161_18:
	s_or_b32 exec_lo, exec_lo, s2
	v_add_nc_u32_e32 v3, 64, v0
	s_delay_alu instid0(VALU_DEP_1) | instskip(NEXT) | instid1(VALU_DEP_1)
	v_cmp_gt_u32_e64 s1, s6, v3
	s_and_saveexec_b32 s3, s1
	s_cbranch_execz .LBB161_20
; %bb.19:
	v_bfe_u32 v4, v42, 16, 1
	v_dual_mov_b32 v7, 0 :: v_dual_add_nc_u32 v6, v3, v5
	v_cmp_o_f32_e64 s2, v42, v42
	s_delay_alu instid0(VALU_DEP_3) | instskip(NEXT) | instid1(VALU_DEP_3)
	v_add3_u32 v4, v42, v4, 0x7fff
	v_lshlrev_b64 v[6:7], 1, v[6:7]
	s_delay_alu instid0(VALU_DEP_2) | instskip(NEXT) | instid1(VALU_DEP_1)
	v_lshrrev_b32_e32 v4, 16, v4
	v_cndmask_b32_e64 v4, 0x7fc0, v4, s2
	s_waitcnt lgkmcnt(0)
	s_delay_alu instid0(VALU_DEP_3) | instskip(NEXT) | instid1(VALU_DEP_1)
	v_add_co_u32 v6, s2, s8, v6
	v_add_co_ci_u32_e64 v7, s2, s9, v7, s2
	global_store_b16 v[6:7], v4, off
.LBB161_20:
	s_or_b32 exec_lo, exec_lo, s3
	v_add_nc_u32_e32 v4, 0x60, v0
	s_delay_alu instid0(VALU_DEP_1) | instskip(NEXT) | instid1(VALU_DEP_1)
	v_cmp_gt_u32_e64 s2, s6, v4
	s_and_saveexec_b32 s5, s2
	s_cbranch_execz .LBB161_22
; %bb.21:
	v_bfe_u32 v6, v41, 16, 1
	v_add_nc_u32_e32 v5, v4, v5
	v_cmp_o_f32_e64 s3, v41, v41
	s_delay_alu instid0(VALU_DEP_3) | instskip(SKIP_1) | instid1(VALU_DEP_2)
	v_add3_u32 v7, v41, v6, 0x7fff
	v_mov_b32_e32 v6, 0
	v_lshrrev_b32_e32 v7, 16, v7
	s_delay_alu instid0(VALU_DEP_2) | instskip(NEXT) | instid1(VALU_DEP_2)
	v_lshlrev_b64 v[5:6], 1, v[5:6]
	v_cndmask_b32_e64 v7, 0x7fc0, v7, s3
	s_waitcnt lgkmcnt(0)
	s_delay_alu instid0(VALU_DEP_2) | instskip(NEXT) | instid1(VALU_DEP_1)
	v_add_co_u32 v5, s3, s8, v5
	v_add_co_ci_u32_e64 v6, s3, s9, v6, s3
	global_store_b16 v[5:6], v7, off
.LBB161_22:
	s_or_b32 exec_lo, exec_lo, s5
	v_add3_u32 v5, v1, s7, 8
	s_delay_alu instid0(VALU_DEP_1) | instskip(NEXT) | instid1(VALU_DEP_1)
	v_cmp_gt_u32_e64 s3, s4, v5
	s_and_b32 exec_lo, exec_lo, s3
	s_cbranch_execz .LBB161_64
; %bb.23:
	v_mul_lo_u32 v5, v5, s6
	s_and_saveexec_b32 s5, vcc_lo
	s_cbranch_execnz .LBB161_65
; %bb.24:
	s_or_b32 exec_lo, exec_lo, s5
	s_and_saveexec_b32 s5, s0
	s_cbranch_execnz .LBB161_66
.LBB161_25:
	s_or_b32 exec_lo, exec_lo, s5
	s_and_saveexec_b32 s5, s1
	s_cbranch_execnz .LBB161_67
.LBB161_26:
	s_or_b32 exec_lo, exec_lo, s5
	s_and_saveexec_b32 s5, s2
	s_cbranch_execz .LBB161_28
.LBB161_27:
	v_bfe_u32 v6, v36, 16, 1
	v_add_nc_u32_e32 v5, v5, v4
	v_cmp_o_f32_e64 s3, v36, v36
	s_delay_alu instid0(VALU_DEP_3) | instskip(SKIP_1) | instid1(VALU_DEP_2)
	v_add3_u32 v7, v36, v6, 0x7fff
	v_mov_b32_e32 v6, 0
	v_lshrrev_b32_e32 v7, 16, v7
	s_delay_alu instid0(VALU_DEP_2) | instskip(NEXT) | instid1(VALU_DEP_2)
	v_lshlrev_b64 v[5:6], 1, v[5:6]
	v_cndmask_b32_e64 v7, 0x7fc0, v7, s3
	s_waitcnt lgkmcnt(0)
	s_delay_alu instid0(VALU_DEP_2) | instskip(NEXT) | instid1(VALU_DEP_1)
	v_add_co_u32 v5, s3, s8, v5
	v_add_co_ci_u32_e64 v6, s3, s9, v6, s3
	global_store_b16 v[5:6], v7, off
.LBB161_28:
	s_or_b32 exec_lo, exec_lo, s5
	v_add3_u32 v5, v1, s7, 16
	s_delay_alu instid0(VALU_DEP_1) | instskip(NEXT) | instid1(VALU_DEP_1)
	v_cmp_gt_u32_e64 s3, s4, v5
	s_and_b32 exec_lo, exec_lo, s3
	s_cbranch_execz .LBB161_64
; %bb.29:
	v_mul_lo_u32 v5, v5, s6
	s_and_saveexec_b32 s5, vcc_lo
	s_cbranch_execnz .LBB161_68
; %bb.30:
	s_or_b32 exec_lo, exec_lo, s5
	s_and_saveexec_b32 s5, s0
	s_cbranch_execnz .LBB161_69
.LBB161_31:
	s_or_b32 exec_lo, exec_lo, s5
	s_and_saveexec_b32 s5, s1
	s_cbranch_execnz .LBB161_70
.LBB161_32:
	s_or_b32 exec_lo, exec_lo, s5
	s_and_saveexec_b32 s5, s2
	s_cbranch_execz .LBB161_34
.LBB161_33:
	v_bfe_u32 v6, v31, 16, 1
	v_add_nc_u32_e32 v5, v5, v4
	v_cmp_o_f32_e64 s3, v31, v31
	s_delay_alu instid0(VALU_DEP_3) | instskip(SKIP_1) | instid1(VALU_DEP_2)
	v_add3_u32 v7, v31, v6, 0x7fff
	v_mov_b32_e32 v6, 0
	v_lshrrev_b32_e32 v7, 16, v7
	s_delay_alu instid0(VALU_DEP_2) | instskip(NEXT) | instid1(VALU_DEP_2)
	v_lshlrev_b64 v[5:6], 1, v[5:6]
	v_cndmask_b32_e64 v7, 0x7fc0, v7, s3
	s_waitcnt lgkmcnt(0)
	s_delay_alu instid0(VALU_DEP_2) | instskip(NEXT) | instid1(VALU_DEP_1)
	v_add_co_u32 v5, s3, s8, v5
	v_add_co_ci_u32_e64 v6, s3, s9, v6, s3
	global_store_b16 v[5:6], v7, off
.LBB161_34:
	s_or_b32 exec_lo, exec_lo, s5
	v_add3_u32 v5, v1, s7, 24
	s_delay_alu instid0(VALU_DEP_1) | instskip(NEXT) | instid1(VALU_DEP_1)
	v_cmp_gt_u32_e64 s3, s4, v5
	s_and_b32 exec_lo, exec_lo, s3
	s_cbranch_execz .LBB161_64
; %bb.35:
	v_mul_lo_u32 v5, v5, s6
	s_and_saveexec_b32 s5, vcc_lo
	s_cbranch_execnz .LBB161_71
; %bb.36:
	s_or_b32 exec_lo, exec_lo, s5
	s_and_saveexec_b32 s5, s0
	s_cbranch_execnz .LBB161_72
.LBB161_37:
	s_or_b32 exec_lo, exec_lo, s5
	s_and_saveexec_b32 s5, s1
	s_cbranch_execnz .LBB161_73
.LBB161_38:
	s_or_b32 exec_lo, exec_lo, s5
	s_and_saveexec_b32 s5, s2
	s_cbranch_execz .LBB161_40
.LBB161_39:
	v_bfe_u32 v6, v25, 16, 1
	v_add_nc_u32_e32 v5, v5, v4
	v_cmp_o_f32_e64 s3, v25, v25
	s_delay_alu instid0(VALU_DEP_3) | instskip(SKIP_1) | instid1(VALU_DEP_2)
	v_add3_u32 v7, v25, v6, 0x7fff
	v_mov_b32_e32 v6, 0
	v_lshrrev_b32_e32 v7, 16, v7
	s_delay_alu instid0(VALU_DEP_2) | instskip(NEXT) | instid1(VALU_DEP_2)
	v_lshlrev_b64 v[5:6], 1, v[5:6]
	v_cndmask_b32_e64 v7, 0x7fc0, v7, s3
	s_waitcnt lgkmcnt(0)
	s_delay_alu instid0(VALU_DEP_2) | instskip(NEXT) | instid1(VALU_DEP_1)
	v_add_co_u32 v5, s3, s8, v5
	v_add_co_ci_u32_e64 v6, s3, s9, v6, s3
	global_store_b16 v[5:6], v7, off
.LBB161_40:
	s_or_b32 exec_lo, exec_lo, s5
	v_add3_u32 v5, v1, s7, 32
	s_delay_alu instid0(VALU_DEP_1) | instskip(NEXT) | instid1(VALU_DEP_1)
	v_cmp_gt_u32_e64 s3, s4, v5
	s_and_b32 exec_lo, exec_lo, s3
	s_cbranch_execz .LBB161_64
; %bb.41:
	v_mul_lo_u32 v5, v5, s6
	s_and_saveexec_b32 s5, vcc_lo
	s_cbranch_execnz .LBB161_74
; %bb.42:
	s_or_b32 exec_lo, exec_lo, s5
	s_and_saveexec_b32 s5, s0
	s_cbranch_execnz .LBB161_75
.LBB161_43:
	s_or_b32 exec_lo, exec_lo, s5
	s_and_saveexec_b32 s5, s1
	s_cbranch_execnz .LBB161_76
.LBB161_44:
	s_or_b32 exec_lo, exec_lo, s5
	s_and_saveexec_b32 s5, s2
	s_cbranch_execz .LBB161_46
.LBB161_45:
	v_bfe_u32 v6, v21, 16, 1
	v_add_nc_u32_e32 v5, v5, v4
	v_cmp_o_f32_e64 s3, v21, v21
	s_delay_alu instid0(VALU_DEP_3) | instskip(SKIP_1) | instid1(VALU_DEP_2)
	v_add3_u32 v7, v21, v6, 0x7fff
	v_mov_b32_e32 v6, 0
	v_lshrrev_b32_e32 v7, 16, v7
	s_delay_alu instid0(VALU_DEP_2) | instskip(NEXT) | instid1(VALU_DEP_2)
	v_lshlrev_b64 v[5:6], 1, v[5:6]
	v_cndmask_b32_e64 v7, 0x7fc0, v7, s3
	s_waitcnt lgkmcnt(0)
	s_delay_alu instid0(VALU_DEP_2) | instskip(NEXT) | instid1(VALU_DEP_1)
	v_add_co_u32 v5, s3, s8, v5
	v_add_co_ci_u32_e64 v6, s3, s9, v6, s3
	global_store_b16 v[5:6], v7, off
.LBB161_46:
	s_or_b32 exec_lo, exec_lo, s5
	v_add3_u32 v5, v1, s7, 40
	s_delay_alu instid0(VALU_DEP_1) | instskip(NEXT) | instid1(VALU_DEP_1)
	v_cmp_gt_u32_e64 s3, s4, v5
	s_and_b32 exec_lo, exec_lo, s3
	s_cbranch_execz .LBB161_64
; %bb.47:
	v_mul_lo_u32 v5, v5, s6
	s_and_saveexec_b32 s5, vcc_lo
	s_cbranch_execnz .LBB161_77
; %bb.48:
	s_or_b32 exec_lo, exec_lo, s5
	s_and_saveexec_b32 s5, s0
	s_cbranch_execnz .LBB161_78
.LBB161_49:
	s_or_b32 exec_lo, exec_lo, s5
	s_and_saveexec_b32 s5, s1
	s_cbranch_execnz .LBB161_79
.LBB161_50:
	s_or_b32 exec_lo, exec_lo, s5
	s_and_saveexec_b32 s5, s2
	s_cbranch_execz .LBB161_52
.LBB161_51:
	v_bfe_u32 v6, v17, 16, 1
	v_add_nc_u32_e32 v5, v5, v4
	v_cmp_o_f32_e64 s3, v17, v17
	s_delay_alu instid0(VALU_DEP_3) | instskip(SKIP_1) | instid1(VALU_DEP_2)
	v_add3_u32 v7, v17, v6, 0x7fff
	v_mov_b32_e32 v6, 0
	v_lshrrev_b32_e32 v7, 16, v7
	s_delay_alu instid0(VALU_DEP_2) | instskip(NEXT) | instid1(VALU_DEP_2)
	v_lshlrev_b64 v[5:6], 1, v[5:6]
	v_cndmask_b32_e64 v7, 0x7fc0, v7, s3
	s_waitcnt lgkmcnt(0)
	s_delay_alu instid0(VALU_DEP_2) | instskip(NEXT) | instid1(VALU_DEP_1)
	v_add_co_u32 v5, s3, s8, v5
	v_add_co_ci_u32_e64 v6, s3, s9, v6, s3
	global_store_b16 v[5:6], v7, off
.LBB161_52:
	s_or_b32 exec_lo, exec_lo, s5
	v_add3_u32 v5, v1, s7, 48
	s_delay_alu instid0(VALU_DEP_1) | instskip(NEXT) | instid1(VALU_DEP_1)
	v_cmp_gt_u32_e64 s3, s4, v5
	s_and_b32 exec_lo, exec_lo, s3
	s_cbranch_execz .LBB161_64
; %bb.53:
	v_mul_lo_u32 v5, v5, s6
	s_and_saveexec_b32 s5, vcc_lo
	s_cbranch_execnz .LBB161_80
; %bb.54:
	s_or_b32 exec_lo, exec_lo, s5
	s_and_saveexec_b32 s5, s0
	s_cbranch_execnz .LBB161_81
.LBB161_55:
	s_or_b32 exec_lo, exec_lo, s5
	s_and_saveexec_b32 s5, s1
	s_cbranch_execnz .LBB161_82
.LBB161_56:
	s_or_b32 exec_lo, exec_lo, s5
	s_and_saveexec_b32 s5, s2
	s_cbranch_execz .LBB161_58
.LBB161_57:
	v_bfe_u32 v6, v13, 16, 1
	v_add_nc_u32_e32 v5, v5, v4
	v_cmp_o_f32_e64 s3, v13, v13
	s_delay_alu instid0(VALU_DEP_3) | instskip(SKIP_1) | instid1(VALU_DEP_2)
	v_add3_u32 v7, v13, v6, 0x7fff
	v_mov_b32_e32 v6, 0
	v_lshrrev_b32_e32 v7, 16, v7
	s_delay_alu instid0(VALU_DEP_2) | instskip(NEXT) | instid1(VALU_DEP_2)
	v_lshlrev_b64 v[5:6], 1, v[5:6]
	v_cndmask_b32_e64 v7, 0x7fc0, v7, s3
	s_waitcnt lgkmcnt(0)
	s_delay_alu instid0(VALU_DEP_2) | instskip(NEXT) | instid1(VALU_DEP_1)
	v_add_co_u32 v5, s3, s8, v5
	v_add_co_ci_u32_e64 v6, s3, s9, v6, s3
	global_store_b16 v[5:6], v7, off
.LBB161_58:
	s_or_b32 exec_lo, exec_lo, s5
	v_add3_u32 v1, v1, s7, 56
	s_delay_alu instid0(VALU_DEP_1) | instskip(NEXT) | instid1(VALU_DEP_1)
	v_cmp_gt_u32_e64 s3, s4, v1
	s_and_b32 exec_lo, exec_lo, s3
	s_cbranch_execz .LBB161_64
; %bb.59:
	v_mul_lo_u32 v1, v1, s6
	s_and_saveexec_b32 s3, vcc_lo
	s_cbranch_execnz .LBB161_83
; %bb.60:
	s_or_b32 exec_lo, exec_lo, s3
	s_and_saveexec_b32 s3, s0
	s_cbranch_execnz .LBB161_84
.LBB161_61:
	s_or_b32 exec_lo, exec_lo, s3
	s_and_saveexec_b32 s0, s1
	s_cbranch_execnz .LBB161_85
.LBB161_62:
	s_or_b32 exec_lo, exec_lo, s0
	s_delay_alu instid0(SALU_CYCLE_1)
	s_and_b32 exec_lo, exec_lo, s2
	s_cbranch_execz .LBB161_64
.LBB161_63:
	v_bfe_u32 v2, v9, 16, 1
	v_dual_mov_b32 v1, 0 :: v_dual_add_nc_u32 v0, v1, v4
	v_cmp_o_f32_e32 vcc_lo, v9, v9
	s_delay_alu instid0(VALU_DEP_3) | instskip(NEXT) | instid1(VALU_DEP_3)
	v_add3_u32 v2, v9, v2, 0x7fff
	v_lshlrev_b64 v[0:1], 1, v[0:1]
	s_delay_alu instid0(VALU_DEP_2) | instskip(NEXT) | instid1(VALU_DEP_1)
	v_lshrrev_b32_e32 v2, 16, v2
	v_cndmask_b32_e32 v2, 0x7fc0, v2, vcc_lo
	s_waitcnt lgkmcnt(0)
	s_delay_alu instid0(VALU_DEP_3) | instskip(NEXT) | instid1(VALU_DEP_4)
	v_add_co_u32 v0, vcc_lo, s8, v0
	v_add_co_ci_u32_e32 v1, vcc_lo, s9, v1, vcc_lo
	global_store_b16 v[0:1], v2, off
.LBB161_64:
	s_nop 0
	s_sendmsg sendmsg(MSG_DEALLOC_VGPRS)
	s_endpgm
.LBB161_65:
	v_bfe_u32 v7, v40, 16, 1
	s_delay_alu instid0(VALU_DEP_2) | instskip(SKIP_1) | instid1(VALU_DEP_3)
	v_add_nc_u32_e32 v6, v5, v0
	v_cmp_o_f32_e64 s3, v40, v40
	v_add3_u32 v8, v40, v7, 0x7fff
	v_mov_b32_e32 v7, 0
	s_delay_alu instid0(VALU_DEP_2) | instskip(NEXT) | instid1(VALU_DEP_2)
	v_lshrrev_b32_e32 v8, 16, v8
	v_lshlrev_b64 v[6:7], 1, v[6:7]
	s_delay_alu instid0(VALU_DEP_2) | instskip(SKIP_1) | instid1(VALU_DEP_2)
	v_cndmask_b32_e64 v8, 0x7fc0, v8, s3
	s_waitcnt lgkmcnt(0)
	v_add_co_u32 v6, s3, s8, v6
	s_delay_alu instid0(VALU_DEP_1)
	v_add_co_ci_u32_e64 v7, s3, s9, v7, s3
	global_store_b16 v[6:7], v8, off
	s_or_b32 exec_lo, exec_lo, s5
	s_and_saveexec_b32 s5, s0
	s_cbranch_execz .LBB161_25
.LBB161_66:
	v_bfe_u32 v7, v38, 16, 1
	s_delay_alu instid0(VALU_DEP_2) | instskip(SKIP_1) | instid1(VALU_DEP_3)
	v_add_nc_u32_e32 v6, v5, v2
	v_cmp_o_f32_e64 s3, v38, v38
	v_add3_u32 v8, v38, v7, 0x7fff
	v_mov_b32_e32 v7, 0
	s_delay_alu instid0(VALU_DEP_2) | instskip(NEXT) | instid1(VALU_DEP_2)
	v_lshrrev_b32_e32 v8, 16, v8
	v_lshlrev_b64 v[6:7], 1, v[6:7]
	s_delay_alu instid0(VALU_DEP_2) | instskip(SKIP_1) | instid1(VALU_DEP_2)
	v_cndmask_b32_e64 v8, 0x7fc0, v8, s3
	s_waitcnt lgkmcnt(0)
	v_add_co_u32 v6, s3, s8, v6
	s_delay_alu instid0(VALU_DEP_1)
	v_add_co_ci_u32_e64 v7, s3, s9, v7, s3
	global_store_b16 v[6:7], v8, off
	s_or_b32 exec_lo, exec_lo, s5
	s_and_saveexec_b32 s5, s1
	s_cbranch_execz .LBB161_26
.LBB161_67:
	v_bfe_u32 v7, v37, 16, 1
	v_add_nc_u32_e32 v6, v5, v3
	v_cmp_o_f32_e64 s3, v37, v37
	s_delay_alu instid0(VALU_DEP_3) | instskip(SKIP_1) | instid1(VALU_DEP_2)
	v_add3_u32 v8, v37, v7, 0x7fff
	v_mov_b32_e32 v7, 0
	v_lshrrev_b32_e32 v8, 16, v8
	s_delay_alu instid0(VALU_DEP_2) | instskip(NEXT) | instid1(VALU_DEP_2)
	v_lshlrev_b64 v[6:7], 1, v[6:7]
	v_cndmask_b32_e64 v8, 0x7fc0, v8, s3
	s_waitcnt lgkmcnt(0)
	s_delay_alu instid0(VALU_DEP_2) | instskip(NEXT) | instid1(VALU_DEP_1)
	v_add_co_u32 v6, s3, s8, v6
	v_add_co_ci_u32_e64 v7, s3, s9, v7, s3
	global_store_b16 v[6:7], v8, off
	s_or_b32 exec_lo, exec_lo, s5
	s_and_saveexec_b32 s5, s2
	s_cbranch_execnz .LBB161_27
	s_branch .LBB161_28
.LBB161_68:
	v_bfe_u32 v7, v35, 16, 1
	s_delay_alu instid0(VALU_DEP_2) | instskip(SKIP_1) | instid1(VALU_DEP_3)
	v_add_nc_u32_e32 v6, v5, v0
	v_cmp_o_f32_e64 s3, v35, v35
	v_add3_u32 v8, v35, v7, 0x7fff
	v_mov_b32_e32 v7, 0
	s_delay_alu instid0(VALU_DEP_2) | instskip(NEXT) | instid1(VALU_DEP_2)
	v_lshrrev_b32_e32 v8, 16, v8
	v_lshlrev_b64 v[6:7], 1, v[6:7]
	s_delay_alu instid0(VALU_DEP_2) | instskip(SKIP_1) | instid1(VALU_DEP_2)
	v_cndmask_b32_e64 v8, 0x7fc0, v8, s3
	s_waitcnt lgkmcnt(0)
	v_add_co_u32 v6, s3, s8, v6
	s_delay_alu instid0(VALU_DEP_1)
	v_add_co_ci_u32_e64 v7, s3, s9, v7, s3
	global_store_b16 v[6:7], v8, off
	s_or_b32 exec_lo, exec_lo, s5
	s_and_saveexec_b32 s5, s0
	s_cbranch_execz .LBB161_31
.LBB161_69:
	v_bfe_u32 v7, v33, 16, 1
	s_delay_alu instid0(VALU_DEP_2) | instskip(SKIP_1) | instid1(VALU_DEP_3)
	v_add_nc_u32_e32 v6, v5, v2
	v_cmp_o_f32_e64 s3, v33, v33
	v_add3_u32 v8, v33, v7, 0x7fff
	v_mov_b32_e32 v7, 0
	s_delay_alu instid0(VALU_DEP_2) | instskip(NEXT) | instid1(VALU_DEP_2)
	v_lshrrev_b32_e32 v8, 16, v8
	v_lshlrev_b64 v[6:7], 1, v[6:7]
	s_delay_alu instid0(VALU_DEP_2) | instskip(SKIP_1) | instid1(VALU_DEP_2)
	v_cndmask_b32_e64 v8, 0x7fc0, v8, s3
	s_waitcnt lgkmcnt(0)
	v_add_co_u32 v6, s3, s8, v6
	s_delay_alu instid0(VALU_DEP_1)
	v_add_co_ci_u32_e64 v7, s3, s9, v7, s3
	global_store_b16 v[6:7], v8, off
	s_or_b32 exec_lo, exec_lo, s5
	s_and_saveexec_b32 s5, s1
	s_cbranch_execz .LBB161_32
.LBB161_70:
	v_bfe_u32 v7, v32, 16, 1
	v_add_nc_u32_e32 v6, v5, v3
	v_cmp_o_f32_e64 s3, v32, v32
	s_delay_alu instid0(VALU_DEP_3) | instskip(SKIP_1) | instid1(VALU_DEP_2)
	v_add3_u32 v8, v32, v7, 0x7fff
	v_mov_b32_e32 v7, 0
	v_lshrrev_b32_e32 v8, 16, v8
	s_delay_alu instid0(VALU_DEP_2) | instskip(NEXT) | instid1(VALU_DEP_2)
	v_lshlrev_b64 v[6:7], 1, v[6:7]
	v_cndmask_b32_e64 v8, 0x7fc0, v8, s3
	s_waitcnt lgkmcnt(0)
	s_delay_alu instid0(VALU_DEP_2) | instskip(NEXT) | instid1(VALU_DEP_1)
	v_add_co_u32 v6, s3, s8, v6
	v_add_co_ci_u32_e64 v7, s3, s9, v7, s3
	global_store_b16 v[6:7], v8, off
	s_or_b32 exec_lo, exec_lo, s5
	s_and_saveexec_b32 s5, s2
	s_cbranch_execnz .LBB161_33
	s_branch .LBB161_34
.LBB161_71:
	v_bfe_u32 v7, v28, 16, 1
	s_delay_alu instid0(VALU_DEP_2) | instskip(SKIP_1) | instid1(VALU_DEP_3)
	v_add_nc_u32_e32 v6, v5, v0
	v_cmp_o_f32_e64 s3, v28, v28
	v_add3_u32 v8, v28, v7, 0x7fff
	v_mov_b32_e32 v7, 0
	s_delay_alu instid0(VALU_DEP_2) | instskip(NEXT) | instid1(VALU_DEP_2)
	v_lshrrev_b32_e32 v8, 16, v8
	v_lshlrev_b64 v[6:7], 1, v[6:7]
	s_delay_alu instid0(VALU_DEP_2) | instskip(SKIP_1) | instid1(VALU_DEP_2)
	v_cndmask_b32_e64 v8, 0x7fc0, v8, s3
	s_waitcnt lgkmcnt(0)
	v_add_co_u32 v6, s3, s8, v6
	s_delay_alu instid0(VALU_DEP_1)
	v_add_co_ci_u32_e64 v7, s3, s9, v7, s3
	global_store_b16 v[6:7], v8, off
	s_or_b32 exec_lo, exec_lo, s5
	s_and_saveexec_b32 s5, s0
	s_cbranch_execz .LBB161_37
.LBB161_72:
	v_bfe_u32 v7, v27, 16, 1
	s_delay_alu instid0(VALU_DEP_2) | instskip(SKIP_1) | instid1(VALU_DEP_3)
	v_add_nc_u32_e32 v6, v5, v2
	v_cmp_o_f32_e64 s3, v27, v27
	v_add3_u32 v8, v27, v7, 0x7fff
	v_mov_b32_e32 v7, 0
	s_delay_alu instid0(VALU_DEP_2) | instskip(NEXT) | instid1(VALU_DEP_2)
	v_lshrrev_b32_e32 v8, 16, v8
	v_lshlrev_b64 v[6:7], 1, v[6:7]
	s_delay_alu instid0(VALU_DEP_2) | instskip(SKIP_1) | instid1(VALU_DEP_2)
	v_cndmask_b32_e64 v8, 0x7fc0, v8, s3
	s_waitcnt lgkmcnt(0)
	v_add_co_u32 v6, s3, s8, v6
	s_delay_alu instid0(VALU_DEP_1)
	v_add_co_ci_u32_e64 v7, s3, s9, v7, s3
	global_store_b16 v[6:7], v8, off
	s_or_b32 exec_lo, exec_lo, s5
	s_and_saveexec_b32 s5, s1
	s_cbranch_execz .LBB161_38
.LBB161_73:
	v_bfe_u32 v7, v26, 16, 1
	v_add_nc_u32_e32 v6, v5, v3
	v_cmp_o_f32_e64 s3, v26, v26
	s_delay_alu instid0(VALU_DEP_3) | instskip(SKIP_1) | instid1(VALU_DEP_2)
	v_add3_u32 v8, v26, v7, 0x7fff
	v_mov_b32_e32 v7, 0
	v_lshrrev_b32_e32 v8, 16, v8
	s_delay_alu instid0(VALU_DEP_2) | instskip(NEXT) | instid1(VALU_DEP_2)
	v_lshlrev_b64 v[6:7], 1, v[6:7]
	v_cndmask_b32_e64 v8, 0x7fc0, v8, s3
	s_waitcnt lgkmcnt(0)
	s_delay_alu instid0(VALU_DEP_2) | instskip(NEXT) | instid1(VALU_DEP_1)
	v_add_co_u32 v6, s3, s8, v6
	v_add_co_ci_u32_e64 v7, s3, s9, v7, s3
	global_store_b16 v[6:7], v8, off
	s_or_b32 exec_lo, exec_lo, s5
	s_and_saveexec_b32 s5, s2
	s_cbranch_execnz .LBB161_39
	s_branch .LBB161_40
.LBB161_74:
	v_bfe_u32 v7, v24, 16, 1
	s_delay_alu instid0(VALU_DEP_2) | instskip(SKIP_1) | instid1(VALU_DEP_3)
	v_add_nc_u32_e32 v6, v5, v0
	v_cmp_o_f32_e64 s3, v24, v24
	v_add3_u32 v8, v24, v7, 0x7fff
	v_mov_b32_e32 v7, 0
	s_delay_alu instid0(VALU_DEP_2) | instskip(NEXT) | instid1(VALU_DEP_2)
	v_lshrrev_b32_e32 v8, 16, v8
	v_lshlrev_b64 v[6:7], 1, v[6:7]
	s_delay_alu instid0(VALU_DEP_2) | instskip(SKIP_1) | instid1(VALU_DEP_2)
	v_cndmask_b32_e64 v8, 0x7fc0, v8, s3
	s_waitcnt lgkmcnt(0)
	v_add_co_u32 v6, s3, s8, v6
	s_delay_alu instid0(VALU_DEP_1)
	v_add_co_ci_u32_e64 v7, s3, s9, v7, s3
	global_store_b16 v[6:7], v8, off
	s_or_b32 exec_lo, exec_lo, s5
	s_and_saveexec_b32 s5, s0
	s_cbranch_execz .LBB161_43
.LBB161_75:
	v_bfe_u32 v7, v23, 16, 1
	s_delay_alu instid0(VALU_DEP_2) | instskip(SKIP_1) | instid1(VALU_DEP_3)
	v_add_nc_u32_e32 v6, v5, v2
	v_cmp_o_f32_e64 s3, v23, v23
	v_add3_u32 v8, v23, v7, 0x7fff
	v_mov_b32_e32 v7, 0
	s_delay_alu instid0(VALU_DEP_2) | instskip(NEXT) | instid1(VALU_DEP_2)
	v_lshrrev_b32_e32 v8, 16, v8
	v_lshlrev_b64 v[6:7], 1, v[6:7]
	s_delay_alu instid0(VALU_DEP_2) | instskip(SKIP_1) | instid1(VALU_DEP_2)
	v_cndmask_b32_e64 v8, 0x7fc0, v8, s3
	s_waitcnt lgkmcnt(0)
	v_add_co_u32 v6, s3, s8, v6
	s_delay_alu instid0(VALU_DEP_1)
	v_add_co_ci_u32_e64 v7, s3, s9, v7, s3
	global_store_b16 v[6:7], v8, off
	s_or_b32 exec_lo, exec_lo, s5
	s_and_saveexec_b32 s5, s1
	s_cbranch_execz .LBB161_44
.LBB161_76:
	v_bfe_u32 v7, v22, 16, 1
	v_add_nc_u32_e32 v6, v5, v3
	v_cmp_o_f32_e64 s3, v22, v22
	s_delay_alu instid0(VALU_DEP_3) | instskip(SKIP_1) | instid1(VALU_DEP_2)
	v_add3_u32 v8, v22, v7, 0x7fff
	v_mov_b32_e32 v7, 0
	v_lshrrev_b32_e32 v8, 16, v8
	s_delay_alu instid0(VALU_DEP_2) | instskip(NEXT) | instid1(VALU_DEP_2)
	v_lshlrev_b64 v[6:7], 1, v[6:7]
	v_cndmask_b32_e64 v8, 0x7fc0, v8, s3
	s_waitcnt lgkmcnt(0)
	s_delay_alu instid0(VALU_DEP_2) | instskip(NEXT) | instid1(VALU_DEP_1)
	v_add_co_u32 v6, s3, s8, v6
	v_add_co_ci_u32_e64 v7, s3, s9, v7, s3
	global_store_b16 v[6:7], v8, off
	s_or_b32 exec_lo, exec_lo, s5
	s_and_saveexec_b32 s5, s2
	s_cbranch_execnz .LBB161_45
	s_branch .LBB161_46
.LBB161_77:
	v_bfe_u32 v7, v20, 16, 1
	s_delay_alu instid0(VALU_DEP_2) | instskip(SKIP_1) | instid1(VALU_DEP_3)
	v_add_nc_u32_e32 v6, v5, v0
	v_cmp_o_f32_e64 s3, v20, v20
	v_add3_u32 v8, v20, v7, 0x7fff
	v_mov_b32_e32 v7, 0
	s_delay_alu instid0(VALU_DEP_2) | instskip(NEXT) | instid1(VALU_DEP_2)
	v_lshrrev_b32_e32 v8, 16, v8
	v_lshlrev_b64 v[6:7], 1, v[6:7]
	s_delay_alu instid0(VALU_DEP_2) | instskip(SKIP_1) | instid1(VALU_DEP_2)
	v_cndmask_b32_e64 v8, 0x7fc0, v8, s3
	s_waitcnt lgkmcnt(0)
	v_add_co_u32 v6, s3, s8, v6
	s_delay_alu instid0(VALU_DEP_1)
	v_add_co_ci_u32_e64 v7, s3, s9, v7, s3
	global_store_b16 v[6:7], v8, off
	s_or_b32 exec_lo, exec_lo, s5
	s_and_saveexec_b32 s5, s0
	s_cbranch_execz .LBB161_49
.LBB161_78:
	v_bfe_u32 v7, v19, 16, 1
	s_delay_alu instid0(VALU_DEP_2) | instskip(SKIP_1) | instid1(VALU_DEP_3)
	v_add_nc_u32_e32 v6, v5, v2
	v_cmp_o_f32_e64 s3, v19, v19
	v_add3_u32 v8, v19, v7, 0x7fff
	v_mov_b32_e32 v7, 0
	s_delay_alu instid0(VALU_DEP_2) | instskip(NEXT) | instid1(VALU_DEP_2)
	v_lshrrev_b32_e32 v8, 16, v8
	v_lshlrev_b64 v[6:7], 1, v[6:7]
	s_delay_alu instid0(VALU_DEP_2) | instskip(SKIP_1) | instid1(VALU_DEP_2)
	v_cndmask_b32_e64 v8, 0x7fc0, v8, s3
	s_waitcnt lgkmcnt(0)
	v_add_co_u32 v6, s3, s8, v6
	s_delay_alu instid0(VALU_DEP_1)
	v_add_co_ci_u32_e64 v7, s3, s9, v7, s3
	global_store_b16 v[6:7], v8, off
	s_or_b32 exec_lo, exec_lo, s5
	s_and_saveexec_b32 s5, s1
	s_cbranch_execz .LBB161_50
.LBB161_79:
	v_bfe_u32 v7, v18, 16, 1
	v_add_nc_u32_e32 v6, v5, v3
	v_cmp_o_f32_e64 s3, v18, v18
	s_delay_alu instid0(VALU_DEP_3) | instskip(SKIP_1) | instid1(VALU_DEP_2)
	v_add3_u32 v8, v18, v7, 0x7fff
	v_mov_b32_e32 v7, 0
	v_lshrrev_b32_e32 v8, 16, v8
	s_delay_alu instid0(VALU_DEP_2) | instskip(NEXT) | instid1(VALU_DEP_2)
	v_lshlrev_b64 v[6:7], 1, v[6:7]
	v_cndmask_b32_e64 v8, 0x7fc0, v8, s3
	s_waitcnt lgkmcnt(0)
	s_delay_alu instid0(VALU_DEP_2) | instskip(NEXT) | instid1(VALU_DEP_1)
	v_add_co_u32 v6, s3, s8, v6
	v_add_co_ci_u32_e64 v7, s3, s9, v7, s3
	global_store_b16 v[6:7], v8, off
	s_or_b32 exec_lo, exec_lo, s5
	s_and_saveexec_b32 s5, s2
	s_cbranch_execnz .LBB161_51
	s_branch .LBB161_52
.LBB161_80:
	v_bfe_u32 v7, v16, 16, 1
	s_delay_alu instid0(VALU_DEP_2) | instskip(SKIP_1) | instid1(VALU_DEP_3)
	v_add_nc_u32_e32 v6, v5, v0
	v_cmp_o_f32_e64 s3, v16, v16
	v_add3_u32 v8, v16, v7, 0x7fff
	v_mov_b32_e32 v7, 0
	s_delay_alu instid0(VALU_DEP_2) | instskip(NEXT) | instid1(VALU_DEP_2)
	v_lshrrev_b32_e32 v8, 16, v8
	v_lshlrev_b64 v[6:7], 1, v[6:7]
	s_delay_alu instid0(VALU_DEP_2) | instskip(SKIP_1) | instid1(VALU_DEP_2)
	v_cndmask_b32_e64 v8, 0x7fc0, v8, s3
	s_waitcnt lgkmcnt(0)
	v_add_co_u32 v6, s3, s8, v6
	s_delay_alu instid0(VALU_DEP_1)
	v_add_co_ci_u32_e64 v7, s3, s9, v7, s3
	global_store_b16 v[6:7], v8, off
	s_or_b32 exec_lo, exec_lo, s5
	s_and_saveexec_b32 s5, s0
	s_cbranch_execz .LBB161_55
.LBB161_81:
	v_bfe_u32 v7, v15, 16, 1
	s_delay_alu instid0(VALU_DEP_2) | instskip(SKIP_1) | instid1(VALU_DEP_3)
	v_add_nc_u32_e32 v6, v5, v2
	v_cmp_o_f32_e64 s3, v15, v15
	v_add3_u32 v8, v15, v7, 0x7fff
	v_mov_b32_e32 v7, 0
	s_delay_alu instid0(VALU_DEP_2) | instskip(NEXT) | instid1(VALU_DEP_2)
	v_lshrrev_b32_e32 v8, 16, v8
	v_lshlrev_b64 v[6:7], 1, v[6:7]
	s_delay_alu instid0(VALU_DEP_2) | instskip(SKIP_1) | instid1(VALU_DEP_2)
	v_cndmask_b32_e64 v8, 0x7fc0, v8, s3
	s_waitcnt lgkmcnt(0)
	v_add_co_u32 v6, s3, s8, v6
	s_delay_alu instid0(VALU_DEP_1)
	v_add_co_ci_u32_e64 v7, s3, s9, v7, s3
	global_store_b16 v[6:7], v8, off
	s_or_b32 exec_lo, exec_lo, s5
	s_and_saveexec_b32 s5, s1
	s_cbranch_execz .LBB161_56
.LBB161_82:
	v_bfe_u32 v7, v14, 16, 1
	v_add_nc_u32_e32 v6, v5, v3
	v_cmp_o_f32_e64 s3, v14, v14
	s_delay_alu instid0(VALU_DEP_3) | instskip(SKIP_1) | instid1(VALU_DEP_2)
	v_add3_u32 v8, v14, v7, 0x7fff
	v_mov_b32_e32 v7, 0
	v_lshrrev_b32_e32 v8, 16, v8
	s_delay_alu instid0(VALU_DEP_2) | instskip(NEXT) | instid1(VALU_DEP_2)
	v_lshlrev_b64 v[6:7], 1, v[6:7]
	v_cndmask_b32_e64 v8, 0x7fc0, v8, s3
	s_waitcnt lgkmcnt(0)
	s_delay_alu instid0(VALU_DEP_2) | instskip(NEXT) | instid1(VALU_DEP_1)
	v_add_co_u32 v6, s3, s8, v6
	v_add_co_ci_u32_e64 v7, s3, s9, v7, s3
	global_store_b16 v[6:7], v8, off
	s_or_b32 exec_lo, exec_lo, s5
	s_and_saveexec_b32 s5, s2
	s_cbranch_execnz .LBB161_57
	s_branch .LBB161_58
.LBB161_83:
	v_bfe_u32 v6, v12, 16, 1
	s_delay_alu instid0(VALU_DEP_2) | instskip(SKIP_1) | instid1(VALU_DEP_3)
	v_add_nc_u32_e32 v5, v1, v0
	v_cmp_o_f32_e32 vcc_lo, v12, v12
	v_add3_u32 v0, v12, v6, 0x7fff
	v_mov_b32_e32 v6, 0
	s_delay_alu instid0(VALU_DEP_2) | instskip(NEXT) | instid1(VALU_DEP_2)
	v_lshrrev_b32_e32 v0, 16, v0
	v_lshlrev_b64 v[5:6], 1, v[5:6]
	s_delay_alu instid0(VALU_DEP_2) | instskip(SKIP_1) | instid1(VALU_DEP_2)
	v_cndmask_b32_e32 v0, 0x7fc0, v0, vcc_lo
	s_waitcnt lgkmcnt(0)
	v_add_co_u32 v5, vcc_lo, s8, v5
	s_delay_alu instid0(VALU_DEP_3)
	v_add_co_ci_u32_e32 v6, vcc_lo, s9, v6, vcc_lo
	global_store_b16 v[5:6], v0, off
	s_or_b32 exec_lo, exec_lo, s3
	s_and_saveexec_b32 s3, s0
	s_cbranch_execz .LBB161_61
.LBB161_84:
	v_bfe_u32 v0, v11, 16, 1
	s_delay_alu instid0(VALU_DEP_2) | instskip(SKIP_1) | instid1(VALU_DEP_3)
	v_dual_mov_b32 v6, 0 :: v_dual_add_nc_u32 v5, v1, v2
	v_cmp_o_f32_e32 vcc_lo, v11, v11
	v_add3_u32 v0, v11, v0, 0x7fff
	s_delay_alu instid0(VALU_DEP_3) | instskip(NEXT) | instid1(VALU_DEP_2)
	v_lshlrev_b64 v[5:6], 1, v[5:6]
	v_lshrrev_b32_e32 v0, 16, v0
	s_delay_alu instid0(VALU_DEP_1) | instskip(SKIP_1) | instid1(VALU_DEP_3)
	v_cndmask_b32_e32 v0, 0x7fc0, v0, vcc_lo
	s_waitcnt lgkmcnt(0)
	v_add_co_u32 v5, vcc_lo, s8, v5
	s_delay_alu instid0(VALU_DEP_4)
	v_add_co_ci_u32_e32 v6, vcc_lo, s9, v6, vcc_lo
	global_store_b16 v[5:6], v0, off
	s_or_b32 exec_lo, exec_lo, s3
	s_and_saveexec_b32 s0, s1
	s_cbranch_execz .LBB161_62
.LBB161_85:
	v_bfe_u32 v0, v10, 16, 1
	v_dual_mov_b32 v3, 0 :: v_dual_add_nc_u32 v2, v1, v3
	v_cmp_o_f32_e32 vcc_lo, v10, v10
	s_delay_alu instid0(VALU_DEP_3) | instskip(NEXT) | instid1(VALU_DEP_3)
	v_add3_u32 v0, v10, v0, 0x7fff
	v_lshlrev_b64 v[2:3], 1, v[2:3]
	s_delay_alu instid0(VALU_DEP_2) | instskip(NEXT) | instid1(VALU_DEP_1)
	v_lshrrev_b32_e32 v0, 16, v0
	v_cndmask_b32_e32 v0, 0x7fc0, v0, vcc_lo
	s_waitcnt lgkmcnt(0)
	s_delay_alu instid0(VALU_DEP_3) | instskip(NEXT) | instid1(VALU_DEP_4)
	v_add_co_u32 v2, vcc_lo, s8, v2
	v_add_co_ci_u32_e32 v3, vcc_lo, s9, v3, vcc_lo
	global_store_b16 v[2:3], v0, off
	s_or_b32 exec_lo, exec_lo, s0
	s_delay_alu instid0(SALU_CYCLE_1)
	s_and_b32 exec_lo, exec_lo, s2
	s_cbranch_execnz .LBB161_63
	s_branch .LBB161_64
	.section	.rodata,"a",@progbits
	.p2align	6, 0x0
	.amdhsa_kernel _ZL12mul_mat_q5_0IN3c108BFloat16ELb0EEvPKvS3_PT_iiiii
		.amdhsa_group_segment_fixed_size 46720
		.amdhsa_private_segment_fixed_size 0
		.amdhsa_kernarg_size 44
		.amdhsa_user_sgpr_count 14
		.amdhsa_user_sgpr_dispatch_ptr 0
		.amdhsa_user_sgpr_queue_ptr 0
		.amdhsa_user_sgpr_kernarg_segment_ptr 1
		.amdhsa_user_sgpr_dispatch_id 0
		.amdhsa_user_sgpr_private_segment_size 0
		.amdhsa_wavefront_size32 1
		.amdhsa_uses_dynamic_stack 0
		.amdhsa_enable_private_segment 0
		.amdhsa_system_sgpr_workgroup_id_x 1
		.amdhsa_system_sgpr_workgroup_id_y 1
		.amdhsa_system_sgpr_workgroup_id_z 0
		.amdhsa_system_sgpr_workgroup_info 0
		.amdhsa_system_vgpr_workitem_id 1
		.amdhsa_next_free_vgpr 195
		.amdhsa_next_free_sgpr 16
		.amdhsa_reserve_vcc 1
		.amdhsa_float_round_mode_32 0
		.amdhsa_float_round_mode_16_64 0
		.amdhsa_float_denorm_mode_32 3
		.amdhsa_float_denorm_mode_16_64 3
		.amdhsa_dx10_clamp 1
		.amdhsa_ieee_mode 1
		.amdhsa_fp16_overflow 0
		.amdhsa_workgroup_processor_mode 1
		.amdhsa_memory_ordered 1
		.amdhsa_forward_progress 0
		.amdhsa_shared_vgpr_count 0
		.amdhsa_exception_fp_ieee_invalid_op 0
		.amdhsa_exception_fp_denorm_src 0
		.amdhsa_exception_fp_ieee_div_zero 0
		.amdhsa_exception_fp_ieee_overflow 0
		.amdhsa_exception_fp_ieee_underflow 0
		.amdhsa_exception_fp_ieee_inexact 0
		.amdhsa_exception_int_div_zero 0
	.end_amdhsa_kernel
	.section	.text._ZL12mul_mat_q5_0IN3c108BFloat16ELb0EEvPKvS3_PT_iiiii,"axG",@progbits,_ZL12mul_mat_q5_0IN3c108BFloat16ELb0EEvPKvS3_PT_iiiii,comdat
.Lfunc_end161:
	.size	_ZL12mul_mat_q5_0IN3c108BFloat16ELb0EEvPKvS3_PT_iiiii, .Lfunc_end161-_ZL12mul_mat_q5_0IN3c108BFloat16ELb0EEvPKvS3_PT_iiiii
                                        ; -- End function
	.section	.AMDGPU.csdata,"",@progbits
; Kernel info:
; codeLenInByte = 20568
; NumSgprs: 18
; NumVgprs: 195
; ScratchSize: 0
; MemoryBound: 0
; FloatMode: 240
; IeeeMode: 1
; LDSByteSize: 46720 bytes/workgroup (compile time only)
; SGPRBlocks: 2
; VGPRBlocks: 24
; NumSGPRsForWavesPerEU: 18
; NumVGPRsForWavesPerEU: 195
; Occupancy: 4
; WaveLimiterHint : 0
; COMPUTE_PGM_RSRC2:SCRATCH_EN: 0
; COMPUTE_PGM_RSRC2:USER_SGPR: 14
; COMPUTE_PGM_RSRC2:TRAP_HANDLER: 0
; COMPUTE_PGM_RSRC2:TGID_X_EN: 1
; COMPUTE_PGM_RSRC2:TGID_Y_EN: 1
; COMPUTE_PGM_RSRC2:TGID_Z_EN: 0
; COMPUTE_PGM_RSRC2:TIDIG_COMP_CNT: 1
	.section	.text._ZL12mul_mat_q5_0IN3c108BFloat16ELb1EEvPKvS3_PT_iiiii,"axG",@progbits,_ZL12mul_mat_q5_0IN3c108BFloat16ELb1EEvPKvS3_PT_iiiii,comdat
	.globl	_ZL12mul_mat_q5_0IN3c108BFloat16ELb1EEvPKvS3_PT_iiiii ; -- Begin function _ZL12mul_mat_q5_0IN3c108BFloat16ELb1EEvPKvS3_PT_iiiii
	.p2align	8
	.type	_ZL12mul_mat_q5_0IN3c108BFloat16ELb1EEvPKvS3_PT_iiiii,@function
_ZL12mul_mat_q5_0IN3c108BFloat16ELb1EEvPKvS3_PT_iiiii: ; @_ZL12mul_mat_q5_0IN3c108BFloat16ELb1EEvPKvS3_PT_iiiii
; %bb.0:
	s_clause 0x1
	s_load_b128 s[4:7], s[0:1], 0x18
	s_load_b32 s10, s[0:1], 0x28
	v_bfe_u32 v42, v0, 10, 10
	v_and_b32_e32 v43, 0x3ff, v0
	s_lshl_b32 s11, s15, 6
	s_waitcnt lgkmcnt(0)
	s_cmp_gt_i32 s4, 31
	s_cbranch_scc1 .LBB162_2
; %bb.1:
	v_bfe_u32 v1, v0, 10, 10
	v_and_b32_e32 v0, 0x3ff, v0
	s_mov_b32 s2, 0
	s_mov_b32 s3, 0
	s_delay_alu instid0(VALU_DEP_2)
	v_add_nc_u32_e32 v51, s11, v1
	s_branch .LBB162_3
.LBB162_2:
	s_mov_b32 s2, -1
                                        ; implicit-def: $sgpr3
                                        ; implicit-def: $vgpr1
                                        ; implicit-def: $vgpr0
                                        ; implicit-def: $vgpr51
.LBB162_3:
	s_load_b64 s[8:9], s[0:1], 0x10
	v_dual_mov_b32 v25, s3 :: v_dual_mov_b32 v48, s3
	v_dual_mov_b32 v29, s3 :: v_dual_mov_b32 v70, s3
	;; [unrolled: 1-line block ×14, first 2 shown]
	v_mov_b32_e32 v36, s3
	v_mov_b32_e32 v40, s3
	;; [unrolled: 1-line block ×4, first 2 shown]
	s_and_not1_b32 vcc_lo, exec_lo, s2
	s_lshl_b32 s12, s14, 7
	s_cbranch_vccnz .LBB162_13
; %bb.4:
	s_load_b128 s[0:3], s[0:1], 0x0
	s_ashr_i32 s13, s4, 31
	s_ashr_i32 s14, s7, 31
	s_lshr_b32 s13, s13, 27
	v_add_nc_u32_e32 v37, 8, v42
	s_add_i32 s4, s4, s13
	s_lshr_b32 s13, s14, 27
	s_ashr_i32 s4, s4, 5
	s_add_i32 s7, s7, s13
	s_mul_i32 s13, s4, s12
	s_ashr_i32 s14, s7, 5
	s_mul_i32 s7, s13, 22
	s_mul_hi_i32 s13, s13, 22
	v_dual_mov_b32 v68, 0 :: v_dual_lshlrev_b32 v1, 3, v43
	v_add_nc_u32_e32 v38, 16, v42
	v_add_nc_u32_e32 v39, 24, v42
	v_dual_mov_b32 v67, 0 :: v_dual_add_nc_u32 v40, 32, v42
	v_add_nc_u32_e32 v41, 40, v42
	s_waitcnt lgkmcnt(0)
	s_add_u32 s7, s0, s7
	s_addc_u32 s13, s1, s13
	s_not_b32 s0, s12
	v_add_nc_u32_e32 v44, 48, v42
	s_add_i32 s0, s0, s5
	v_add_nc_u32_e32 v46, 56, v42
	v_min_i32_e32 v2, s0, v42
	v_min_i32_e32 v3, s0, v37
	;; [unrolled: 1-line block ×3, first 2 shown]
	v_add_nc_u32_e32 v12, 0x48, v42
	v_min_i32_e32 v13, s0, v46
	v_mad_u64_u32 v[4:5], null, 0x104, v2, v[1:2]
	v_mul_lo_u32 v54, v2, s4
	v_mad_u64_u32 v[5:6], null, 0x104, v3, v[1:2]
	v_min_i32_e32 v2, s0, v39
	v_mul_lo_u32 v55, v3, s4
	v_mul_lo_u32 v56, v8, s4
	v_min_i32_e32 v3, s0, v40
	v_mul_lo_u32 v62, v13, s4
	v_mad_u64_u32 v[6:7], null, 0x104, v8, v[1:2]
	v_mul_lo_u32 v57, v2, s4
	v_mad_u64_u32 v[7:8], null, 0x104, v2, v[1:2]
	v_min_i32_e32 v2, s0, v41
	v_mul_lo_u32 v59, v3, s4
	s_add_i32 s1, s6, -1
	v_dual_mov_b32 v76, 0 :: v_dual_add_nc_u32 v51, s11, v42
	s_delay_alu instid0(VALU_DEP_3) | instskip(SKIP_4) | instid1(VALU_DEP_4)
	v_mad_u64_u32 v[8:9], null, 0x104, v3, v[1:2]
	v_min_i32_e32 v3, s0, v44
	v_mul_lo_u32 v60, v2, s4
	v_mad_u64_u32 v[9:10], null, 0x104, v2, v[1:2]
	v_add_nc_u32_e32 v2, 64, v42
	v_mul_lo_u32 v61, v3, s4
	v_mov_b32_e32 v71, 0
	v_add_nc_u32_e32 v15, 16, v51
	v_add_nc_u32_e32 v27, 32, v51
	v_mad_u64_u32 v[10:11], null, 0x104, v3, v[1:2]
	v_min_i32_e32 v2, s0, v2
	v_min_i32_e32 v3, s0, v12
	v_cvt_f64_u32_e32 v[23:24], v15
	v_cvt_f64_u32_e32 v[27:28], v27
	v_add_nc_u32_e32 v17, 0x58, v42
	v_mad_u64_u32 v[11:12], null, 0x104, v13, v[1:2]
	v_mul_lo_u32 v64, v2, s4
	v_mad_u64_u32 v[12:13], null, 0x104, v2, v[1:2]
	v_add_nc_u32_e32 v2, 0x50, v42
	v_mul_lo_u32 v65, v3, s4
	v_add_nc_u32_e32 v35, 0x68, v42
	v_add_nc_u32_e32 v36, 0x70, v42
	v_min_i32_e32 v17, s0, v17
	v_mad_u64_u32 v[13:14], null, 0x104, v3, v[1:2]
	v_min_i32_e32 v16, s0, v2
	v_cvt_f64_i32_e32 v[2:3], s1
	v_add_nc_u32_e32 v14, 8, v51
	v_min_i32_e32 v35, s0, v35
	v_mul_lo_u32 v72, v17, s4
	v_mul_lo_u32 v69, v16, s4
	v_lshrrev_b32_e32 v74, 3, v43
	v_cvt_f64_u32_e32 v[21:22], v14
	v_mul_lo_u32 v75, v35, s4
	v_add_nc_u32_e32 v50, 0x78, v42
	v_and_b32_e32 v79, 7, v43
	v_lshl_add_u32 v48, v42, 2, v74
	v_lshrrev_b32_e32 v49, 2, v43
	v_dual_mov_b32 v45, 0 :: v_dual_and_b32 v0, 3, v43
	v_mul_u32_u24_e32 v101, 0x104, v43
	s_delay_alu instid0(VALU_DEP_4) | instskip(SKIP_1) | instid1(VALU_DEP_4)
	v_min_i32_e32 v52, s0, v48
	v_add_nc_u32_e32 v58, 64, v48
	v_lshlrev_b32_e32 v53, 2, v0
	v_lshl_add_u32 v108, v42, 4, 0xb280
	s_mov_b32 s5, 0
	v_mul_lo_u32 v80, v52, s4
	v_min_i32_e32 v58, s0, v58
	v_mov_b32_e32 v70, 0
	s_delay_alu instid0(VALU_DEP_2)
	v_mul_lo_u32 v82, v58, s4
	v_mad_u64_u32 v[14:15], null, 0x104, v16, v[1:2]
	v_add_nc_u32_e32 v15, 40, v51
	v_min_f64 v[27:28], v[27:28], v[2:3]
	v_min_f64 v[23:24], v[23:24], v[2:3]
	;; [unrolled: 1-line block ×3, first 2 shown]
	s_delay_alu instid0(VALU_DEP_4) | instskip(NEXT) | instid1(VALU_DEP_4)
	v_cvt_f64_u32_e32 v[29:30], v15
	v_cvt_i32_f64_e32 v27, v[27:28]
	s_delay_alu instid0(VALU_DEP_4) | instskip(SKIP_1) | instid1(VALU_DEP_4)
	v_cvt_i32_f64_e32 v24, v[23:24]
	v_lshlrev_b32_e32 v23, 2, v43
	v_min_f64 v[29:30], v[29:30], v[2:3]
	s_delay_alu instid0(VALU_DEP_4) | instskip(NEXT) | instid1(VALU_DEP_4)
	v_mul_lo_u32 v93, s14, v27
	v_mul_lo_u32 v89, s14, v24
	v_and_b32_e32 v27, 0xfc, v43
	s_delay_alu instid0(VALU_DEP_4) | instskip(NEXT) | instid1(VALU_DEP_1)
	v_cvt_i32_f64_e32 v28, v[29:30]
	v_mul_lo_u32 v95, s14, v28
	v_mov_b32_e32 v28, 0
	v_add_nc_u32_e32 v16, 48, v51
	v_add_nc_u32_e32 v18, 24, v51
	;; [unrolled: 1-line block ×3, first 2 shown]
	v_cvt_f64_u32_e32 v[19:20], v51
	s_delay_alu instid0(VALU_DEP_4) | instskip(NEXT) | instid1(VALU_DEP_4)
	v_cvt_f64_u32_e32 v[31:32], v16
	v_cvt_f64_u32_e32 v[25:26], v18
	s_delay_alu instid0(VALU_DEP_4) | instskip(SKIP_2) | instid1(VALU_DEP_2)
	v_cvt_f64_u32_e32 v[33:34], v15
	v_add_nc_u32_e32 v18, 0x60, v42
	v_mad_u64_u32 v[15:16], null, 0x104, v17, v[1:2]
	v_min_i32_e32 v18, s0, v18
	s_delay_alu instid0(VALU_DEP_1) | instskip(SKIP_4) | instid1(VALU_DEP_2)
	v_mad_u64_u32 v[16:17], null, 0x104, v18, v[1:2]
	v_mul_lo_u32 v73, v18, s4
	v_mad_u64_u32 v[17:18], null, 0x104, v35, v[1:2]
	v_min_f64 v[31:32], v[31:32], v[2:3]
	v_min_f64 v[25:26], v[25:26], v[2:3]
	v_cvt_i32_f64_e32 v29, v[31:32]
	s_delay_alu instid0(VALU_DEP_2) | instskip(SKIP_1) | instid1(VALU_DEP_3)
	v_cvt_i32_f64_e32 v25, v[25:26]
	v_lshlrev_b32_e32 v26, 5, v58
	v_mul_lo_u32 v97, s14, v29
	v_mov_b32_e32 v29, 0
	v_min_i32_e32 v47, s0, v36
	v_min_f64 v[35:36], v[19:20], v[2:3]
	v_ashrrev_i32_e32 v20, 31, v52
	v_mul_lo_u32 v91, s14, v25
	s_delay_alu instid0(VALU_DEP_4)
	v_mad_u64_u32 v[18:19], null, 0x104, v47, v[1:2]
	v_min_f64 v[2:3], v[33:34], v[2:3]
	v_add_nc_u32_e32 v19, 32, v48
	v_mul_lo_u32 v77, v47, s4
	v_min_i32_e32 v47, s0, v50
	v_ashrrev_i32_e32 v33, 31, v58
	s_delay_alu instid0(VALU_DEP_4) | instskip(SKIP_1) | instid1(VALU_DEP_4)
	v_min_i32_e32 v50, s0, v19
	v_lshrrev_b32_e32 v19, 30, v20
	v_mul_lo_u32 v78, v47, s4
	s_delay_alu instid0(VALU_DEP_4) | instskip(NEXT) | instid1(VALU_DEP_4)
	v_lshrrev_b32_e32 v33, 30, v33
	v_ashrrev_i32_e32 v20, 31, v50
	s_delay_alu instid0(VALU_DEP_4) | instskip(SKIP_1) | instid1(VALU_DEP_4)
	v_add_nc_u32_e32 v63, v52, v19
	v_mul_lo_u32 v81, v50, s4
	v_add_nc_u32_e32 v33, v58, v33
	s_delay_alu instid0(VALU_DEP_4) | instskip(NEXT) | instid1(VALU_DEP_2)
	v_lshrrev_b32_e32 v66, 30, v20
	v_and_b32_e32 v33, -4, v33
	s_delay_alu instid0(VALU_DEP_2) | instskip(SKIP_1) | instid1(VALU_DEP_2)
	v_add_nc_u32_e32 v34, v50, v66
	v_mov_b32_e32 v66, 0
	v_and_b32_e32 v34, -4, v34
	v_cvt_i32_f64_e32 v35, v[35:36]
	v_lshlrev_b32_e32 v36, 5, v50
	v_cvt_i32_f64_e32 v50, v[21:22]
	v_lshl_add_u32 v22, v42, 3, v49
	v_mad_u64_u32 v[19:20], null, 0x104, v47, v[1:2]
	v_add_nc_u32_e32 v47, 0x60, v48
	v_lshlrev_b32_e32 v48, 5, v52
	v_lshlrev_b32_e32 v20, 2, v79
	v_cvt_i32_f64_e32 v2, v[2:3]
	v_and_b32_e32 v1, -4, v63
	v_min_i32_e32 v47, s0, v47
	v_and_b32_e32 v22, 63, v22
	v_add3_u32 v33, v33, v20, 0xa200
	v_add3_u32 v34, v34, v20, 0xa200
	v_mov_b32_e32 v63, 0
	v_ashrrev_i32_e32 v52, 31, v47
	v_or_b32_e32 v30, s11, v22
	v_add_nc_u32_e32 v116, v33, v26
	v_mov_b32_e32 v26, 0
	v_add3_u32 v1, v1, v20, 0xa200
	v_lshrrev_b32_e32 v21, 30, v52
	v_mul_lo_u32 v83, v47, s4
	v_lshlrev_b32_e32 v31, 5, v47
	v_lshlrev_b32_e32 v52, 7, v42
	v_min_i32_e32 v30, s1, v30
	v_add_nc_u32_e32 v21, v47, v21
	v_dual_mov_b32 v36, 0 :: v_dual_add_nc_u32 v115, v34, v36
	v_lshl_or_b32 v32, v22, 4, v53
	v_add_nc_u32_e32 v107, 0x8200, v52
	s_delay_alu instid0(VALU_DEP_4)
	v_and_b32_e32 v21, -4, v21
	v_add_nc_u32_e32 v114, v1, v48
	v_mov_b32_e32 v34, 0
	v_add_nc_u32_e32 v84, 0xb280, v32
	v_mov_b32_e32 v32, 0
	v_add3_u32 v3, v21, v20, 0xa200
	v_and_b32_e32 v20, 31, v43
	v_and_b32_e32 v21, 28, v23
	v_mad_u64_u32 v[22:23], null, v30, s14, v[0:1]
	v_mul_lo_u32 v85, s14, v35
	s_delay_alu instid0(VALU_DEP_4) | instskip(SKIP_3) | instid1(VALU_DEP_4)
	v_lshlrev_b32_e32 v47, 2, v20
	v_mov_b32_e32 v35, 0
	v_add_co_u32 v20, s0, s2, v21
	v_mul_lo_u32 v87, s14, v50
	v_or_b32_e32 v58, v52, v47
	v_lshl_or_b32 v23, v38, 7, v47
	v_mul_lo_u32 v99, s14, v2
	v_add_nc_u32_e32 v2, 0x60, v43
	v_add_co_ci_u32_e64 v21, null, s3, 0, s0
	v_add_nc_u32_e32 v86, 0x8200, v58
	v_mov_b32_e32 v58, 0
	v_lshl_or_b32 v0, v37, 7, v47
	v_add_nc_u32_e32 v90, 0x8200, v23
	v_lshl_or_b32 v23, v40, 7, v47
	v_mov_b32_e32 v40, 0
	v_and_b32_e32 v2, 0x1fc, v2
	v_add_nc_u32_e32 v88, 0x8200, v0
	v_lshl_or_b32 v0, v39, 7, v47
	v_mov_b32_e32 v39, 0
	v_lshl_or_b32 v24, v44, 7, v47
	v_add_nc_u32_e32 v94, 0x8200, v23
	v_add_nc_u32_e32 v23, 64, v43
	;; [unrolled: 1-line block ×3, first 2 shown]
	v_lshl_or_b32 v0, v41, 7, v47
	v_add_nc_u32_e32 v98, 0x8200, v24
	v_add_nc_u32_e32 v24, 32, v43
	v_and_b32_e32 v23, 0x1fc, v23
	s_movk_i32 s0, 0x80
	v_add_nc_u32_e32 v96, 0x8200, v0
	v_lshl_or_b32 v0, v46, 7, v47
	v_and_b32_e32 v25, 0x1fc, v24
	v_lshrrev_b32_e32 v102, 3, v24
	v_mad_u32_u24 v113, 0x104, v43, s0
	v_add_nc_u32_e32 v117, v3, v31
	v_add_nc_u32_e32 v100, 0x8200, v0
	v_dual_mov_b32 v47, 0 :: v_dual_lshlrev_b32 v0, 5, v43
	v_mov_b32_e32 v52, 0
	v_dual_mov_b32 v46, 0 :: v_dual_mov_b32 v31, 0
	s_delay_alu instid0(VALU_DEP_3) | instskip(SKIP_3) | instid1(VALU_DEP_4)
	v_add_nc_u32_e32 v2, v0, v2
	v_add_nc_u32_e32 v23, v0, v23
	;; [unrolled: 1-line block ×3, first 2 shown]
	v_dual_mov_b32 v27, 0 :: v_dual_add_nc_u32 v0, v0, v27
	v_add_nc_u32_e32 v103, 0xae00, v2
	s_delay_alu instid0(VALU_DEP_4) | instskip(NEXT) | instid1(VALU_DEP_4)
	v_add_nc_u32_e32 v104, 0xaa00, v23
	v_add_nc_u32_e32 v105, 0xa600, v25
	s_delay_alu instid0(VALU_DEP_4)
	v_add_nc_u32_e32 v106, 0xa200, v0
	v_add_nc_u32_e32 v109, 0xae10, v2
	v_add_nc_u32_e32 v110, 0xaa10, v23
	v_add_nc_u32_e32 v111, 0xa610, v25
	v_add_nc_u32_e32 v112, 0xa210, v0
	v_mov_b32_e32 v50, 0
	v_mov_b32_e32 v44, 0
	;; [unrolled: 1-line block ×4, first 2 shown]
	v_dual_mov_b32 v48, 0 :: v_dual_mov_b32 v41, 0
	v_mov_b32_e32 v37, 0
	v_mov_b32_e32 v33, 0
	;; [unrolled: 1-line block ×3, first 2 shown]
	s_branch .LBB162_6
.LBB162_5:                              ;   in Loop: Header=BB162_6 Depth=1
	s_add_i32 s5, s5, 8
	s_delay_alu instid0(SALU_CYCLE_1)
	s_cmp_ge_i32 s5, s4
	s_cbranch_scc1 .LBB162_12
.LBB162_6:                              ; =>This Loop Header: Depth=1
                                        ;     Child Loop BB162_7 Depth 2
                                        ;     Child Loop BB162_10 Depth 2
	s_mul_i32 s0, s5, 22
	s_mul_hi_u32 s1, s5, 22
	s_add_u32 s0, s7, s0
	s_addc_u32 s1, s13, s1
	s_delay_alu instid0(SALU_CYCLE_1) | instskip(NEXT) | instid1(VALU_DEP_1)
	v_mad_u64_u32 v[0:1], null, v49, 22, s[0:1]
	v_mad_i64_i32 v[2:3], null, v54, 22, v[0:1]
	v_mad_i64_i32 v[118:119], null, v56, 22, v[0:1]
	;; [unrolled: 1-line block ×4, first 2 shown]
	s_delay_alu instid0(VALU_DEP_4)
	v_add_co_u32 v122, vcc_lo, v2, v53
	v_add_co_ci_u32_e32 v123, vcc_lo, 0, v3, vcc_lo
	v_add_co_u32 v124, vcc_lo, v118, v53
	v_add_co_ci_u32_e32 v125, vcc_lo, 0, v119, vcc_lo
	;; [unrolled: 2-line block ×4, first 2 shown]
	s_clause 0x7
	global_load_b32 v127, v[126:127], off offset:6
	global_load_b32 v128, v[120:121], off offset:2
	;; [unrolled: 1-line block ×8, first 2 shown]
	v_mad_i64_i32 v[2:3], null, v59, 22, v[0:1]
	v_mad_i64_i32 v[23:24], null, v60, 22, v[0:1]
	v_mad_i64_i32 v[120:121], null, v62, 22, v[0:1]
	v_mad_i64_i32 v[118:119], null, v61, 22, v[0:1]
	s_delay_alu instid0(VALU_DEP_4)
	v_add_co_u32 v135, vcc_lo, v2, v53
	v_add_co_ci_u32_e32 v136, vcc_lo, 0, v3, vcc_lo
	v_add_co_u32 v137, vcc_lo, v23, v53
	v_add_co_ci_u32_e32 v138, vcc_lo, 0, v24, vcc_lo
	s_clause 0x5
	global_load_b32 v123, v[120:121], off offset:2
	global_load_b32 v125, v[118:119], off offset:2
	;; [unrolled: 1-line block ×6, first 2 shown]
	v_add_co_u32 v2, vcc_lo, v118, v53
	v_add_co_ci_u32_e32 v3, vcc_lo, 0, v119, vcc_lo
	v_add_co_u32 v23, vcc_lo, v120, v53
	v_add_co_ci_u32_e32 v24, vcc_lo, 0, v121, vcc_lo
	s_clause 0x1
	global_load_b32 v124, v[2:3], off offset:6
	global_load_b32 v23, v[23:24], off offset:6
	v_mad_i64_i32 v[135:136], null, v64, 22, v[0:1]
	v_mad_i64_i32 v[118:119], null, v69, 22, v[0:1]
	;; [unrolled: 1-line block ×4, first 2 shown]
	s_delay_alu instid0(VALU_DEP_4)
	v_add_co_u32 v139, vcc_lo, v135, v53
	v_add_co_ci_u32_e32 v140, vcc_lo, 0, v136, vcc_lo
	v_add_co_u32 v141, vcc_lo, v118, v53
	v_add_co_ci_u32_e32 v142, vcc_lo, 0, v119, vcc_lo
	;; [unrolled: 2-line block ×4, first 2 shown]
	s_clause 0x7
	global_load_b32 v2, v[2:3], off offset:6
	global_load_b32 v3, v[137:138], off offset:2
	;; [unrolled: 1-line block ×8, first 2 shown]
	s_waitcnt vmcnt(23)
	v_and_b32_e32 v138, 0xf0f0f0f, v127
	s_waitcnt vmcnt(22)
	v_ashrrev_i32_e32 v128, v53, v128
	s_waitcnt vmcnt(21)
	v_and_b32_e32 v137, 0xf0f0f0f, v129
	s_waitcnt vmcnt(20)
	v_ashrrev_i32_e32 v130, v53, v130
	;; [unrolled: 4-line block ×4, first 2 shown]
	v_lshlrev_b32_e32 v158, 4, v130
	v_lshlrev_b32_e32 v159, 11, v130
	;; [unrolled: 1-line block ×5, first 2 shown]
	v_lshrrev_b32_e32 v148, 12, v134
	v_lshrrev_b32_e32 v149, 5, v134
	v_lshlrev_b32_e32 v150, 2, v134
	v_lshlrev_b32_e32 v153, 18, v132
	;; [unrolled: 1-line block ×3, first 2 shown]
	v_lshrrev_b32_e32 v155, 12, v132
	v_lshrrev_b32_e32 v156, 5, v132
	v_lshlrev_b32_e32 v157, 2, v132
	s_waitcnt vmcnt(13)
	v_ashrrev_i32_e32 v142, v53, v145
	s_waitcnt vmcnt(12)
	v_ashrrev_i32_e32 v139, v53, v146
	s_waitcnt vmcnt(11)
	v_and_b32_e32 v140, 0xf0f0f0f, v147
	v_lshrrev_b32_e32 v141, 4, v147
	v_lshlrev_b32_e32 v145, 11, v134
	v_lshlrev_b32_e32 v146, 18, v134
	;; [unrolled: 1-line block ×5, first 2 shown]
	v_lshrrev_b32_e32 v162, 12, v130
	v_lshrrev_b32_e32 v163, 5, v130
	v_lshlrev_b32_e32 v164, 2, v130
	v_lshrrev_b32_e32 v133, 4, v133
	v_lshlrev_b32_e32 v134, 9, v134
	v_lshlrev_b32_e32 v165, 4, v128
	;; [unrolled: 1-line block ×5, first 2 shown]
	v_lshrrev_b32_e32 v169, 12, v128
	v_lshrrev_b32_e32 v170, 5, v128
	v_lshlrev_b32_e32 v171, 2, v128
	v_lshlrev_b32_e32 v172, 4, v139
	;; [unrolled: 1-line block ×5, first 2 shown]
	v_and_b32_e32 v144, 16, v144
	v_and_b32_e32 v145, 0x1000, v145
	;; [unrolled: 1-line block ×7, first 2 shown]
	v_lshrrev_b32_e32 v131, 4, v131
	v_lshlrev_b32_e32 v132, 9, v132
	v_lshrrev_b32_e32 v176, 12, v139
	v_lshrrev_b32_e32 v177, 5, v139
	v_lshlrev_b32_e32 v178, 2, v139
	v_lshlrev_b32_e32 v179, 4, v142
	;; [unrolled: 1-line block ×5, first 2 shown]
	v_and_b32_e32 v151, 16, v151
	v_and_b32_e32 v152, 0x1000, v152
	;; [unrolled: 1-line block ×7, first 2 shown]
	v_lshrrev_b32_e32 v129, 4, v129
	v_lshlrev_b32_e32 v130, 9, v130
	v_and_b32_e32 v158, 16, v158
	v_and_b32_e32 v159, 0x1000, v159
	v_and_b32_e32 v160, 0x100000, v160
	v_and_b32_e32 v161, 0x10000000, v161
	v_and_b32_e32 v162, 16, v162
	v_and_b32_e32 v163, 0x1000, v163
	v_and_b32_e32 v164, 0x100000, v164
	v_lshrrev_b32_e32 v127, 4, v127
	v_and_b32_e32 v133, 0xf0f0f0f, v133
	v_lshlrev_b32_e32 v128, 9, v128
	v_and_b32_e32 v134, 0x10000000, v134
	v_and_b32_e32 v165, 16, v165
	;; [unrolled: 1-line block ×12, first 2 shown]
	v_or3_b32 v144, v144, v135, v145
	v_or3_b32 v135, v135, v146, v147
	;; [unrolled: 1-line block ×3, first 2 shown]
	s_waitcnt vmcnt(10)
	v_and_b32_e32 v143, 0xf0f0f0f, v126
	v_and_b32_e32 v131, 0xf0f0f0f, v131
	v_lshlrev_b32_e32 v139, 9, v139
	v_and_b32_e32 v132, 0x10000000, v132
	v_and_b32_e32 v176, 16, v176
	;; [unrolled: 1-line block ×8, first 2 shown]
	v_or3_b32 v146, v151, v136, v152
	v_or3_b32 v136, v136, v153, v154
	;; [unrolled: 1-line block ×3, first 2 shown]
	v_and_b32_e32 v129, 0xf0f0f0f, v129
	v_and_b32_e32 v130, 0x10000000, v130
	v_or3_b32 v148, v158, v137, v159
	v_or3_b32 v137, v137, v160, v161
	;; [unrolled: 1-line block ×3, first 2 shown]
	v_and_b32_e32 v127, 0xf0f0f0f, v127
	v_and_b32_e32 v128, 0x10000000, v128
	v_or3_b32 v150, v165, v138, v166
	v_or3_b32 v138, v138, v167, v168
	;; [unrolled: 1-line block ×5, first 2 shown]
	v_lshrrev_b32_e32 v135, 16, v135
	v_and_b32_e32 v155, 0x1f00, v144
	v_lshlrev_b16 v144, 8, v144
	v_or3_b32 v133, v145, v134, v133
	v_and_b32_e32 v141, 0xf0f0f0f, v141
	v_and_b32_e32 v139, 0x10000000, v139
	v_or3_b32 v153, v177, v176, v178
	v_or3_b32 v154, v179, v143, v180
	v_or3_b32 v143, v143, v181, v182
	v_lshrrev_b32_e32 v134, 16, v136
	v_lshlrev_b16 v145, 8, v146
	v_or3_b32 v131, v147, v132, v131
	v_and_b32_e32 v136, 0x1f00, v146
	v_lshrrev_b32_e32 v132, 16, v137
	v_lshlrev_b16 v146, 8, v148
	v_or3_b32 v129, v149, v130, v129
	v_and_b32_e32 v137, 0x1f00, v148
	v_lshrrev_b32_e32 v130, 16, v138
	v_and_b32_e32 v138, 0x1f00, v150
	v_lshlrev_b16 v147, 8, v150
	v_or3_b32 v127, v151, v128, v127
	v_lshrrev_b32_e32 v128, 16, v140
	v_and_b32_e32 v140, 0x1f00, v152
	v_lshlrev_b16 v148, 8, v152
	v_add_nc_u16 v144, v144, 0xf000
	v_and_b32_e32 v150, 0x1f00, v135
	v_lshlrev_b16 v135, 8, v135
	v_lshrrev_b32_e32 v151, 16, v133
	v_and_b32_e32 v152, 0x1f00, v133
	v_lshlrev_b16 v133, 8, v133
	v_or3_b32 v139, v153, v139, v141
	v_lshrrev_b32_e32 v141, 16, v143
	v_and_b32_e32 v143, 0x1f00, v154
	v_lshlrev_b16 v149, 8, v154
	v_add_nc_u16 v145, v145, 0xf000
	v_and_b32_e32 v153, 0x1f00, v134
	v_lshlrev_b16 v134, 8, v134
	v_lshrrev_b32_e32 v154, 16, v131
	v_and_b32_e32 v156, 0x1f00, v131
	v_lshlrev_b16 v131, 8, v131
	v_add_nc_u16 v146, v146, 0xf000
	v_and_b32_e32 v157, 0x1f00, v132
	v_lshlrev_b16 v132, 8, v132
	v_lshrrev_b32_e32 v158, 16, v129
	v_and_b32_e32 v159, 0x1f00, v129
	v_lshlrev_b16 v129, 8, v129
	v_lshrrev_b16 v144, 8, v144
	v_add_nc_u16 v135, v135, 0xf000
	v_add_nc_i16 v133, v133, 0xf000 clamp
	v_and_b32_e32 v167, 0xffffff00, v151
	v_lshlrev_b16 v151, 8, v151
	v_lshrrev_b16 v145, 8, v145
	v_add_nc_u16 v134, v134, 0xf000
	v_add_nc_i16 v131, v131, 0xf000 clamp
	;; [unrolled: 5-line block ×3, first 2 shown]
	v_and_b32_e32 v169, 0xffffff00, v158
	v_lshlrev_b16 v158, 8, v158
	v_or_b32_e32 v144, v155, v144
	v_lshrrev_b16 v135, 8, v135
	v_lshrrev_b16 v133, 8, v133
	v_add_nc_i16 v155, v167, 0xf000 clamp
	v_add_nc_i16 v151, v151, 0xf000 clamp
	v_or_b32_e32 v136, v136, v145
	v_lshrrev_b16 v134, 8, v134
	v_lshrrev_b16 v131, 8, v131
	v_add_nc_i16 v145, v168, 0xf000 clamp
	v_add_nc_i16 v154, v154, 0xf000 clamp
	;; [unrolled: 5-line block ×3, first 2 shown]
	v_or_b32_e32 v135, v150, v135
	v_or_b32_e32 v133, v152, v133
	v_and_b32_e32 v150, 0xffffff00, v155
	v_lshrrev_b16 v151, 8, v151
	v_or_b32_e32 v134, v153, v134
	v_or_b32_e32 v131, v156, v131
	v_and_b32_e32 v145, 0xffffff00, v145
	v_lshrrev_b16 v152, 8, v154
	;; [unrolled: 4-line block ×3, first 2 shown]
	v_add_nc_u16 v147, v147, 0xf000
	v_and_b32_e32 v160, 0x1f00, v130
	v_lshlrev_b16 v130, 8, v130
	v_lshrrev_b32_e32 v161, 16, v127
	v_and_b32_e32 v162, 0x1f00, v127
	v_lshlrev_b16 v127, 8, v127
	v_add_nc_u16 v144, v144, 0xf000
	v_add_nc_u16 v135, v135, 0xf000
	v_add_nc_u16 v133, v133, 0xf000
	v_or_b32_e32 v150, v151, v150
	v_add_nc_u16 v148, v148, 0xf000
	v_and_b32_e32 v163, 0x1f00, v128
	v_lshlrev_b16 v128, 8, v128
	v_lshrrev_b32_e32 v164, 16, v139
	v_and_b32_e32 v165, 0x1f00, v139
	v_lshlrev_b16 v139, 8, v139
	v_add_nc_u16 v136, v136, 0xf000
	v_add_nc_u16 v134, v134, 0xf000
	;; [unrolled: 1-line block ×3, first 2 shown]
	v_or_b32_e32 v145, v152, v145
	v_add_nc_u16 v137, v137, 0xf000
	v_add_nc_u16 v132, v132, 0xf000
	;; [unrolled: 1-line block ×3, first 2 shown]
	v_or_b32_e32 v146, v153, v146
	v_lshlrev_b16 v166, 8, v141
	v_lshrrev_b16 v147, 8, v147
	v_add_nc_u16 v130, v130, 0xf000
	v_add_nc_i16 v127, v127, 0xf000 clamp
	v_and_b32_e32 v170, 0xffffff00, v161
	v_lshlrev_b16 v161, 8, v161
	v_and_b32_e32 v144, 0xffff, v144
	v_lshlrev_b32_e32 v135, 16, v135
	v_and_b32_e32 v133, 0xffff, v133
	v_lshlrev_b32_e32 v150, 16, v150
	v_lshrrev_b16 v148, 8, v148
	v_add_nc_u16 v128, v128, 0xf000
	v_add_nc_i16 v139, v139, 0xf000 clamp
	v_and_b32_e32 v171, 0xffffff00, v164
	v_lshlrev_b16 v164, 8, v164
	v_and_b32_e32 v136, 0xffff, v136
	v_lshlrev_b32_e32 v134, 16, v134
	v_and_b32_e32 v131, 0xffff, v131
	v_lshlrev_b32_e32 v145, 16, v145
	;; [unrolled: 2-line block ×4, first 2 shown]
	v_add_nc_u16 v149, v149, 0xf000
	v_add_nc_u16 v166, v166, 0xf000
	v_or_b32_e32 v138, v138, v147
	v_lshrrev_b16 v130, 8, v130
	v_lshrrev_b16 v127, 8, v127
	v_add_nc_i16 v147, v170, 0xf000 clamp
	v_add_nc_i16 v161, v161, 0xf000 clamp
	v_or_b32_e32 v135, v144, v135
	v_or_b32_e32 v133, v133, v150
	;; [unrolled: 1-line block ×3, first 2 shown]
	v_lshrrev_b16 v128, 8, v128
	v_lshrrev_b16 v139, 8, v139
	v_add_nc_i16 v148, v171, 0xf000 clamp
	v_add_nc_i16 v164, v164, 0xf000 clamp
	v_or_b32_e32 v134, v136, v134
	v_or_b32_e32 v131, v131, v145
	;; [unrolled: 1-line block ×4, first 2 shown]
	v_lshrrev_b16 v149, 8, v149
	v_or_b32_e32 v130, v160, v130
	v_or_b32_e32 v127, v162, v127
	v_and_b32_e32 v147, 0xffffff00, v147
	v_lshrrev_b16 v154, 8, v161
	ds_store_2addr_b32 v4, v135, v133 offset1:1
	ds_store_2addr_b32 v5, v134, v131 offset1:1
	;; [unrolled: 1-line block ×3, first 2 shown]
	v_and_b32_e32 v129, 0x1f00, v141
	v_lshrrev_b32_e32 v131, 12, v142
	v_lshrrev_b32_e32 v132, 5, v142
	v_lshrrev_b16 v133, 8, v166
	v_lshlrev_b32_e32 v134, 2, v142
	v_or_b32_e32 v128, v163, v128
	v_or_b32_e32 v139, v165, v139
	v_and_b32_e32 v148, 0xffffff00, v148
	v_lshrrev_b16 v155, 8, v164
	v_add_nc_u16 v138, v138, 0xf000
	v_add_nc_u16 v130, v130, 0xf000
	;; [unrolled: 1-line block ×3, first 2 shown]
	v_or_b32_e32 v147, v154, v147
	v_lshrrev_b32_e32 v126, 4, v126
	v_and_b32_e32 v131, 16, v131
	v_and_b32_e32 v132, 0x1000, v132
	v_lshlrev_b32_e32 v135, 9, v142
	v_and_b32_e32 v134, 0x100000, v134
	v_or_b32_e32 v136, v143, v149
	v_or_b32_e32 v129, v129, v133
	v_add_nc_u16 v140, v140, 0xf000
	v_add_nc_u16 v128, v128, 0xf000
	;; [unrolled: 1-line block ×3, first 2 shown]
	v_or_b32_e32 v148, v155, v148
	v_and_b32_e32 v138, 0xffff, v138
	v_lshlrev_b32_e32 v130, 16, v130
	v_and_b32_e32 v127, 0xffff, v127
	v_lshlrev_b32_e32 v147, 16, v147
	v_and_b32_e32 v126, 0xf0f0f0f, v126
	v_and_b32_e32 v133, 0x10000000, v135
	v_or3_b32 v131, v132, v131, v134
	v_add_nc_u16 v132, v136, 0xf000
	v_add_nc_u16 v129, v129, 0xf000
	v_and_b32_e32 v140, 0xffff, v140
	v_lshlrev_b32_e32 v128, 16, v128
	v_and_b32_e32 v139, 0xffff, v139
	v_lshlrev_b32_e32 v148, 16, v148
	v_or_b32_e32 v130, v138, v130
	v_or_b32_e32 v127, v127, v147
	v_or3_b32 v126, v131, v133, v126
	v_and_b32_e32 v131, 0xffff, v132
	v_lshlrev_b32_e32 v129, 16, v129
	v_ashrrev_i32_e32 v125, v53, v125
	v_or_b32_e32 v128, v140, v128
	v_or_b32_e32 v134, v139, v148
	ds_store_2addr_b32 v7, v130, v127 offset1:1
	ds_store_2addr_b32 v8, v128, v134 offset1:1
	v_lshlrev_b16 v127, 8, v126
	v_lshrrev_b32_e32 v128, 16, v126
	v_or_b32_e32 v137, v131, v129
	v_lshlrev_b32_e32 v130, 4, v125
	v_lshlrev_b32_e32 v131, 11, v125
	;; [unrolled: 1-line block ×4, first 2 shown]
	v_add_nc_i16 v127, v127, 0xf000 clamp
	v_and_b32_e32 v129, 0xffffff00, v128
	s_waitcnt vmcnt(9)
	v_and_b32_e32 v134, 0xf0f0f0f, v124
	v_and_b32_e32 v130, 16, v130
	;; [unrolled: 1-line block ×6, first 2 shown]
	v_lshlrev_b16 v128, 8, v128
	v_lshrrev_b16 v127, 8, v127
	v_add_nc_i16 v129, v129, 0xf000 clamp
	v_or3_b32 v130, v130, v134, v131
	v_or3_b32 v131, v134, v132, v133
	v_lshrrev_b32_e32 v132, 12, v125
	v_lshrrev_b32_e32 v133, 5, v125
	v_lshlrev_b32_e32 v134, 2, v125
	v_add_nc_i16 v128, v128, 0xf000 clamp
	v_or_b32_e32 v126, v126, v127
	v_and_b32_e32 v127, 0xffffff00, v129
	v_lshlrev_b16 v129, 8, v130
	v_lshrrev_b32_e32 v124, 4, v124
	v_and_b32_e32 v132, 16, v132
	v_and_b32_e32 v133, 0x1000, v133
	v_lshlrev_b32_e32 v125, 9, v125
	v_and_b32_e32 v134, 0x100000, v134
	v_lshrrev_b32_e32 v131, 16, v131
	v_lshrrev_b16 v128, 8, v128
	v_add_nc_u16 v129, v129, 0xf000
	v_and_b32_e32 v124, 0xf0f0f0f, v124
	v_and_b32_e32 v125, 0x10000000, v125
	v_or3_b32 v132, v133, v132, v134
	v_lshlrev_b16 v135, 8, v131
	v_and_b32_e32 v130, 0x1f00, v130
	v_lshrrev_b16 v129, 8, v129
	v_add_nc_u16 v126, v126, 0xf000
	v_or_b32_e32 v127, v128, v127
	v_or3_b32 v124, v132, v125, v124
	v_add_nc_u16 v133, v135, 0xf000
	v_or_b32_e32 v128, v130, v129
	v_and_b32_e32 v126, 0xffff, v126
	v_lshlrev_b32_e32 v127, 16, v127
	v_lshlrev_b16 v130, 8, v124
	v_and_b32_e32 v125, 0x1f00, v131
	v_lshrrev_b16 v129, 8, v133
	v_ashrrev_i32_e32 v140, v53, v123
	v_or_b32_e32 v138, v126, v127
	v_add_nc_i16 v126, v130, 0xf000 clamp
	v_add_nc_u16 v128, v128, 0xf000
	v_or_b32_e32 v125, v125, v129
	v_lshrrev_b32_e32 v129, 16, v124
	v_and_b32_e32 v124, 0x1f00, v124
	v_lshrrev_b16 v126, 8, v126
	v_and_b32_e32 v139, 0xffff, v128
	v_add_nc_u16 v125, v125, 0xf000
	v_and_b32_e32 v127, 0xffffff00, v129
	s_waitcnt vmcnt(8)
	v_and_b32_e32 v144, 0xf0f0f0f, v23
	v_or_b32_e32 v142, v124, v126
	v_lshlrev_b32_e32 v124, 4, v140
	v_lshlrev_b32_e32 v126, 11, v140
	;; [unrolled: 1-line block ×3, first 2 shown]
	v_add_nc_i16 v123, v127, 0xf000 clamp
	v_lshlrev_b16 v125, 8, v129
	v_and_b32_e32 v124, 16, v124
	v_and_b32_e32 v127, 0x1000, v126
	v_lshlrev_b32_e32 v128, 18, v140
	v_and_b32_e32 v143, 0xffffff00, v123
	v_add_nc_i16 v123, v125, 0xf000 clamp
	v_mad_i64_i32 v[125:126], null, v73, 22, v[0:1]
	v_lshlrev_b32_e32 v129, 25, v140
	v_or3_b32 v146, v124, v144, v127
	v_and_b32_e32 v147, 0x100000, v128
	v_mad_i64_i32 v[127:128], null, v77, 22, v[0:1]
	v_lshrrev_b16 v145, 8, v123
	v_mad_i64_i32 v[123:124], null, v78, 22, v[0:1]
	v_and_b32_e32 v148, 0x10000000, v129
	v_add_co_u32 v129, vcc_lo, v125, v53
	v_add_co_ci_u32_e32 v130, vcc_lo, 0, v126, vcc_lo
	v_mad_i64_i32 v[131:132], null, v75, 22, v[0:1]
	v_add_co_u32 v133, vcc_lo, v127, v53
	v_add_co_ci_u32_e32 v134, vcc_lo, 0, v128, vcc_lo
	v_add_co_u32 v0, vcc_lo, v123, v53
	v_add_co_ci_u32_e32 v1, vcc_lo, 0, v124, vcc_lo
	;; [unrolled: 2-line block ×3, first 2 shown]
	s_clause 0x7
	global_load_b32 v0, v[0:1], off offset:6
	global_load_b32 v1, v[123:124], off offset:2
	;; [unrolled: 1-line block ×8, first 2 shown]
	v_lshlrev_b16 v125, 8, v146
	v_or3_b32 v128, v144, v147, v148
	v_lshrrev_b32_e32 v131, 12, v140
	v_lshrrev_b32_e32 v132, 5, v140
	v_lshlrev_b32_e32 v134, 2, v140
	v_add_nc_u16 v125, v125, 0xf000
	v_lshrrev_b32_e32 v128, 16, v128
	v_add_nc_u16 v126, v142, 0xf000
	v_or_b32_e32 v127, v145, v143
	v_and_b32_e32 v130, 0x1f00, v146
	v_lshrrev_b16 v125, 8, v125
	v_lshlrev_b16 v133, 8, v128
	v_lshrrev_b32_e32 v23, 4, v23
	v_and_b32_e32 v131, 16, v131
	v_and_b32_e32 v132, 0x1000, v132
	v_lshlrev_b32_e32 v135, 9, v140
	v_and_b32_e32 v134, 0x100000, v134
	v_and_b32_e32 v126, 0xffff, v126
	v_lshlrev_b32_e32 v127, 16, v127
	v_or_b32_e32 v125, v130, v125
	v_add_nc_u16 v130, v133, 0xf000
	v_and_b32_e32 v23, 0xf0f0f0f, v23
	v_and_b32_e32 v133, 0x10000000, v135
	v_or3_b32 v131, v132, v131, v134
	v_or_b32_e32 v129, v139, v141
	v_and_b32_e32 v128, 0x1f00, v128
	v_lshrrev_b16 v130, 8, v130
	v_or_b32_e32 v126, v126, v127
	v_or3_b32 v23, v131, v133, v23
	s_waitcnt vmcnt(8)
	v_ashrrev_i32_e32 v122, v53, v122
	ds_store_2addr_b32 v9, v137, v138 offset1:1
	v_or_b32_e32 v127, v128, v130
	ds_store_2addr_b32 v10, v129, v126 offset1:1
	v_lshlrev_b16 v126, 8, v23
	v_lshlrev_b32_e32 v130, 18, v122
	v_lshlrev_b32_e32 v131, 25, v122
	v_lshrrev_b32_e32 v128, 16, v23
	v_lshlrev_b32_e32 v129, 4, v122
	v_add_nc_i16 v126, v126, 0xf000 clamp
	v_lshlrev_b32_e32 v132, 11, v122
	v_and_b32_e32 v133, 0xf0f0f0f, v121
	v_and_b32_e32 v130, 0x100000, v130
	;; [unrolled: 1-line block ×7, first 2 shown]
	v_lshlrev_b16 v128, 8, v128
	v_lshrrev_b16 v126, 8, v126
	v_or3_b32 v130, v133, v130, v131
	v_or3_b32 v129, v129, v133, v132
	v_add_nc_i16 v131, v134, 0xf000 clamp
	v_add_nc_i16 v128, v128, 0xf000 clamp
	v_or_b32_e32 v23, v23, v126
	v_lshrrev_b32_e32 v126, 16, v130
	v_lshlrev_b16 v130, 8, v129
	v_and_b32_e32 v131, 0xffffff00, v131
	v_lshrrev_b16 v128, 8, v128
	v_lshrrev_b32_e32 v133, 5, v122
	v_lshlrev_b16 v132, 8, v126
	v_add_nc_u16 v130, v130, 0xf000
	v_lshlrev_b32_e32 v134, 2, v122
	v_or_b32_e32 v128, v128, v131
	v_and_b32_e32 v129, 0x1f00, v129
	v_add_nc_u16 v131, v132, 0xf000
	v_lshrrev_b32_e32 v132, 12, v122
	v_lshrrev_b16 v130, 8, v130
	v_and_b32_e32 v126, 0x1f00, v126
	v_lshrrev_b32_e32 v121, 4, v121
	v_lshrrev_b16 v131, 8, v131
	v_and_b32_e32 v132, 16, v132
	v_and_b32_e32 v133, 0x1000, v133
	v_lshlrev_b32_e32 v122, 9, v122
	v_and_b32_e32 v134, 0x100000, v134
	v_add_nc_u16 v125, v125, 0xf000
	v_add_nc_u16 v127, v127, 0xf000
	;; [unrolled: 1-line block ×3, first 2 shown]
	v_or_b32_e32 v129, v129, v130
	v_or_b32_e32 v126, v126, v131
	v_and_b32_e32 v121, 0xf0f0f0f, v121
	v_and_b32_e32 v122, 0x10000000, v122
	v_or3_b32 v130, v133, v132, v134
	v_and_b32_e32 v125, 0xffff, v125
	v_lshlrev_b32_e32 v127, 16, v127
	v_add_nc_u16 v129, v129, 0xf000
	v_add_nc_u16 v126, v126, 0xf000
	v_and_b32_e32 v23, 0xffff, v23
	v_lshlrev_b32_e32 v128, 16, v128
	v_or3_b32 v121, v130, v122, v121
	v_ashrrev_i32_e32 v120, v53, v120
	v_and_b32_e32 v122, 0xffff, v129
	v_lshlrev_b32_e32 v126, 16, v126
	v_or_b32_e32 v125, v125, v127
	v_or_b32_e32 v127, v23, v128
	v_lshlrev_b16 v23, 8, v121
	v_lshrrev_b32_e32 v128, 16, v121
	v_lshlrev_b32_e32 v129, 4, v120
	v_lshlrev_b32_e32 v130, 11, v120
	v_or_b32_e32 v122, v122, v126
	v_add_nc_i16 v23, v23, 0xf000 clamp
	v_and_b32_e32 v126, 0xffffff00, v128
	v_lshlrev_b32_e32 v131, 18, v120
	v_lshlrev_b32_e32 v132, 25, v120
	v_and_b32_e32 v133, 0xf0f0f0f, v119
	v_and_b32_e32 v129, 16, v129
	;; [unrolled: 1-line block ×6, first 2 shown]
	v_lshrrev_b16 v23, 8, v23
	v_add_nc_i16 v126, v126, 0xf000 clamp
	v_or3_b32 v129, v129, v133, v130
	v_lshlrev_b16 v128, 8, v128
	v_or3_b32 v130, v133, v131, v132
	v_or_b32_e32 v23, v121, v23
	v_and_b32_e32 v121, 0xffffff00, v126
	v_lshlrev_b16 v126, 8, v129
	v_lshrrev_b32_e32 v131, 12, v120
	v_lshrrev_b32_e32 v132, 5, v120
	v_lshlrev_b32_e32 v133, 2, v120
	v_add_nc_i16 v128, v128, 0xf000 clamp
	v_add_nc_u16 v126, v126, 0xf000
	v_lshrrev_b32_e32 v119, 4, v119
	v_and_b32_e32 v131, 16, v131
	v_and_b32_e32 v132, 0x1000, v132
	v_lshlrev_b32_e32 v120, 9, v120
	v_and_b32_e32 v133, 0x100000, v133
	v_lshrrev_b16 v128, 8, v128
	v_lshrrev_b32_e32 v130, 16, v130
	v_and_b32_e32 v129, 0x1f00, v129
	v_lshrrev_b16 v126, 8, v126
	v_and_b32_e32 v119, 0xf0f0f0f, v119
	v_and_b32_e32 v120, 0x10000000, v120
	v_or3_b32 v131, v132, v131, v133
	v_add_nc_u16 v23, v23, 0xf000
	v_lshlrev_b16 v132, 8, v130
	v_or_b32_e32 v121, v128, v121
	v_or_b32_e32 v126, v129, v126
	v_or3_b32 v119, v131, v120, v119
	v_and_b32_e32 v23, 0xffff, v23
	v_add_nc_u16 v120, v132, 0xf000
	v_lshlrev_b32_e32 v121, 16, v121
	v_add_nc_u16 v126, v126, 0xf000
	v_lshlrev_b16 v128, 8, v119
	v_ashrrev_i32_e32 v118, v53, v118
	v_and_b32_e32 v129, 0x1f00, v130
	v_lshrrev_b16 v120, 8, v120
	v_or_b32_e32 v121, v23, v121
	v_and_b32_e32 v23, 0xffff, v126
	v_add_nc_i16 v126, v128, 0xf000 clamp
	v_lshrrev_b32_e32 v128, 16, v119
	v_lshlrev_b32_e32 v130, 18, v118
	v_lshlrev_b32_e32 v131, 25, v118
	v_or_b32_e32 v120, v129, v120
	v_and_b32_e32 v134, 0xf0f0f0f, v24
	v_and_b32_e32 v129, 0xffffff00, v128
	v_lshlrev_b16 v128, 8, v128
	v_and_b32_e32 v130, 0x100000, v130
	v_and_b32_e32 v131, 0x10000000, v131
	v_lshlrev_b32_e32 v132, 4, v118
	v_lshlrev_b32_e32 v133, 11, v118
	v_add_nc_i16 v129, v129, 0xf000 clamp
	v_add_nc_i16 v128, v128, 0xf000 clamp
	v_or3_b32 v130, v134, v130, v131
	v_and_b32_e32 v119, 0x1f00, v119
	v_lshrrev_b16 v126, 8, v126
	v_and_b32_e32 v132, 16, v132
	v_and_b32_e32 v133, 0x1000, v133
	;; [unrolled: 1-line block ×3, first 2 shown]
	v_lshrrev_b16 v128, 8, v128
	v_lshrrev_b32_e32 v130, 16, v130
	v_or_b32_e32 v119, v119, v126
	v_or3_b32 v126, v132, v134, v133
	v_add_nc_u16 v120, v120, 0xf000
	v_or_b32_e32 v128, v128, v129
	v_lshlrev_b16 v129, 8, v130
	v_add_nc_u16 v119, v119, 0xf000
	v_lshlrev_b16 v131, 8, v126
	v_lshlrev_b32_e32 v120, 16, v120
	v_lshlrev_b32_e32 v128, 16, v128
	v_add_nc_u16 v129, v129, 0xf000
	v_and_b32_e32 v119, 0xffff, v119
	v_add_nc_u16 v131, v131, 0xf000
	v_or_b32_e32 v120, v23, v120
	v_and_b32_e32 v23, 0x1f00, v130
	v_lshrrev_b16 v129, 8, v129
	v_and_b32_e32 v126, 0x1f00, v126
	v_lshrrev_b16 v131, 8, v131
	v_or_b32_e32 v119, v119, v128
	v_lshrrev_b32_e32 v128, 12, v118
	v_lshrrev_b32_e32 v130, 5, v118
	v_or_b32_e32 v23, v23, v129
	v_lshlrev_b32_e32 v129, 2, v118
	v_or_b32_e32 v126, v126, v131
	v_lshrrev_b32_e32 v24, 4, v24
	v_and_b32_e32 v128, 16, v128
	v_and_b32_e32 v130, 0x1000, v130
	v_and_b32_e32 v129, 0x100000, v129
	v_add_nc_u16 v23, v23, 0xf000
	v_lshlrev_b32_e32 v118, 9, v118
	v_add_nc_u16 v126, v126, 0xf000
	v_and_b32_e32 v131, 0xf0f0f0f, v24
	v_or3_b32 v128, v130, v128, v129
	v_lshlrev_b32_e32 v129, 16, v23
	v_mad_u64_u32 v[23:24], null, v79, 22, s[0:1]
	v_and_b32_e32 v118, 0x10000000, v118
	v_and_b32_e32 v126, 0xffff, v126
	ds_store_2addr_b32 v11, v125, v127 offset1:1
	ds_store_2addr_b32 v12, v122, v121 offset1:1
	;; [unrolled: 1-line block ×3, first 2 shown]
	v_ashrrev_i32_e32 v3, v53, v3
	s_mov_b32 s0, -4
	v_or3_b32 v130, v128, v118, v131
	v_mad_i64_i32 v[118:119], null, v80, 22, v[23:24]
	v_mad_i64_i32 v[120:121], null, v81, 22, v[23:24]
	v_or_b32_e32 v137, v126, v129
	v_mad_i64_i32 v[125:126], null, v82, 22, v[23:24]
	v_add_nc_u32_e32 v131, s5, v74
	v_mad_i64_i32 v[127:128], null, v83, 22, v[23:24]
	s_clause 0x3
	global_load_u16 v141, v[118:119], off
	global_load_u16 v142, v[120:121], off
	;; [unrolled: 1-line block ×4, first 2 shown]
	v_add_nc_u32_e32 v122, v131, v85
	v_add_nc_u32_e32 v118, s5, v22
	;; [unrolled: 1-line block ×6, first 2 shown]
	v_lshrrev_b32_e32 v138, 16, v130
	v_and_b32_e32 v139, 0x1f00, v130
	v_lshlrev_b16 v140, 8, v130
	v_mad_i64_i32 v[23:24], null, v122, 36, v[20:21]
	v_mad_i64_i32 v[119:120], null, v121, 36, v[20:21]
	;; [unrolled: 1-line block ×5, first 2 shown]
	v_mad_u64_u32 v[129:130], null, v118, 36, s[2:3]
	v_add_nc_u32_e32 v133, v131, v95
	v_add_nc_u32_e32 v135, v131, v97
	;; [unrolled: 1-line block ×3, first 2 shown]
	s_delay_alu instid0(VALU_DEP_3) | instskip(NEXT) | instid1(VALU_DEP_3)
	v_mad_i64_i32 v[131:132], null, v133, 36, v[20:21]
	v_mad_i64_i32 v[133:134], null, v135, 36, v[20:21]
	s_delay_alu instid0(VALU_DEP_3)
	v_mad_i64_i32 v[135:136], null, v145, 36, v[20:21]
	s_clause 0x8
	global_load_b32 v129, v[129:130], off
	global_load_b32 v23, v[23:24], off offset:4
	global_load_b32 v24, v[119:120], off offset:4
	;; [unrolled: 1-line block ×8, first 2 shown]
	v_lshlrev_b32_e32 v131, 4, v3
	v_lshlrev_b32_e32 v132, 11, v3
	;; [unrolled: 1-line block ×4, first 2 shown]
	v_add_nc_i16 v127, v140, 0xf000 clamp
	v_and_b32_e32 v135, 0xf0f0f0f, v2
	v_and_b32_e32 v131, 16, v131
	;; [unrolled: 1-line block ×5, first 2 shown]
	v_lshrrev_b16 v127, 8, v127
	v_lshlrev_b32_e32 v136, 2, v3
	v_or3_b32 v131, v131, v135, v132
	v_and_b32_e32 v128, 0xffffff00, v138
	v_or3_b32 v132, v135, v133, v134
	v_lshrrev_b32_e32 v134, 12, v3
	v_lshrrev_b32_e32 v135, 5, v3
	v_lshlrev_b16 v130, 8, v138
	v_or_b32_e32 v127, v139, v127
	v_lshlrev_b16 v133, 8, v131
	v_lshrrev_b32_e32 v132, 16, v132
	v_lshrrev_b32_e32 v2, 4, v2
	v_and_b32_e32 v134, 16, v134
	v_and_b32_e32 v135, 0x1000, v135
	v_lshlrev_b32_e32 v3, 9, v3
	v_and_b32_e32 v136, 0x100000, v136
	v_add_nc_i16 v128, v128, 0xf000 clamp
	v_add_nc_i16 v130, v130, 0xf000 clamp
	v_add_nc_u16 v133, v133, 0xf000
	v_and_b32_e32 v2, 0xf0f0f0f, v2
	v_and_b32_e32 v3, 0x10000000, v3
	v_or3_b32 v134, v135, v134, v136
	v_add_nc_u16 v127, v127, 0xf000
	v_lshlrev_b16 v135, 8, v132
	v_and_b32_e32 v128, 0xffffff00, v128
	v_lshrrev_b16 v130, 8, v130
	v_and_b32_e32 v131, 0x1f00, v131
	v_lshrrev_b16 v133, 8, v133
	v_or3_b32 v2, v134, v3, v2
	v_and_b32_e32 v3, 0xffff, v127
	v_add_nc_u16 v127, v135, 0xf000
	v_or_b32_e32 v128, v130, v128
	v_or_b32_e32 v130, v131, v133
	v_and_b32_e32 v132, 0x1f00, v132
	v_lshlrev_b16 v131, 8, v2
	v_lshrrev_b16 v127, 8, v127
	v_lshlrev_b32_e32 v128, 16, v128
	v_add_nc_u16 v130, v130, 0xf000
	s_delay_alu instid0(VALU_DEP_3) | instskip(NEXT) | instid1(VALU_DEP_3)
	v_or_b32_e32 v127, v132, v127
	v_or_b32_e32 v3, v3, v128
	s_delay_alu instid0(VALU_DEP_3)
	v_and_b32_e32 v128, 0xffff, v130
	v_add_nc_i16 v130, v131, 0xf000 clamp
	v_lshrrev_b32_e32 v131, 16, v2
	v_and_b32_e32 v2, 0x1f00, v2
	v_add_nc_u16 v127, v127, 0xf000
	ds_store_2addr_b32 v14, v137, v3 offset1:1
	v_lshrrev_b16 v130, 8, v130
	v_and_b32_e32 v133, 0xffffff00, v131
	s_waitcnt vmcnt(13)
	v_ashrrev_i32_e32 v132, v53, v152
	v_lshlrev_b16 v131, 8, v131
	v_and_b32_e32 v139, 0xf0f0f0f, v151
	v_or_b32_e32 v2, v2, v130
	v_add_nc_i16 v133, v133, 0xf000 clamp
	v_lshlrev_b32_e32 v135, 18, v132
	v_lshlrev_b32_e32 v136, 25, v132
	;; [unrolled: 1-line block ×4, first 2 shown]
	v_add_nc_i16 v131, v131, 0xf000 clamp
	v_and_b32_e32 v135, 0x100000, v135
	v_and_b32_e32 v136, 0x10000000, v136
	;; [unrolled: 1-line block ×5, first 2 shown]
	v_lshrrev_b16 v131, 8, v131
	v_or3_b32 v130, v139, v135, v136
	v_lshrrev_b32_e32 v136, 12, v132
	v_or3_b32 v134, v134, v139, v138
	v_lshrrev_b32_e32 v138, 5, v132
	v_or_b32_e32 v131, v131, v133
	v_lshrrev_b32_e32 v130, 16, v130
	v_lshlrev_b32_e32 v139, 2, v132
	v_lshlrev_b16 v135, 8, v134
	v_and_b32_e32 v134, 0x1f00, v134
	v_add_nc_u16 v2, v2, 0xf000
	v_lshlrev_b16 v133, 8, v130
	v_and_b32_e32 v130, 0x1f00, v130
	v_add_nc_u16 v135, v135, 0xf000
	v_lshlrev_b32_e32 v127, 16, v127
	v_lshrrev_b32_e32 v140, 4, v151
	v_add_nc_u16 v133, v133, 0xf000
	v_and_b32_e32 v136, 16, v136
	v_lshrrev_b16 v135, 8, v135
	v_and_b32_e32 v138, 0x1000, v138
	v_lshlrev_b32_e32 v132, 9, v132
	v_lshrrev_b16 v133, 8, v133
	v_and_b32_e32 v139, 0x100000, v139
	v_or_b32_e32 v134, v134, v135
	v_and_b32_e32 v2, 0xffff, v2
	v_lshlrev_b32_e32 v131, 16, v131
	v_or_b32_e32 v130, v130, v133
	v_and_b32_e32 v133, 0xf0f0f0f, v140
	v_and_b32_e32 v132, 0x10000000, v132
	v_or3_b32 v135, v138, v136, v139
	v_or_b32_e32 v127, v128, v127
	v_add_nc_u16 v128, v134, 0xf000
	v_add_nc_u16 v130, v130, 0xf000
	v_or_b32_e32 v2, v2, v131
	v_or3_b32 v131, v135, v132, v133
	v_and_b32_e32 v136, 0xf0f0f0f, v149
	v_and_b32_e32 v3, 0xffff, v128
	v_lshlrev_b32_e32 v128, 16, v130
	v_ashrrev_i32_e32 v130, v53, v150
	ds_store_2addr_b32 v15, v127, v2 offset1:1
	v_lshlrev_b16 v2, 8, v131
	v_lshrrev_b32_e32 v127, 16, v131
	v_or_b32_e32 v3, v3, v128
	v_lshlrev_b32_e32 v133, 18, v130
	v_lshlrev_b32_e32 v134, 25, v130
	v_and_b32_e32 v128, 0x1f00, v131
	v_add_nc_i16 v2, v2, 0xf000 clamp
	v_and_b32_e32 v131, 0xffffff00, v127
	v_lshlrev_b32_e32 v132, 4, v130
	v_lshlrev_b32_e32 v135, 11, v130
	v_and_b32_e32 v133, 0x100000, v133
	v_and_b32_e32 v134, 0x10000000, v134
	v_lshrrev_b16 v2, 8, v2
	v_and_b32_e32 v132, 16, v132
	v_and_b32_e32 v135, 0x1000, v135
	v_add_nc_i16 v131, v131, 0xf000 clamp
	v_or3_b32 v133, v136, v133, v134
	v_or_b32_e32 v2, v128, v2
	v_lshrrev_b32_e32 v134, 12, v130
	v_or3_b32 v132, v132, v136, v135
	v_and_b32_e32 v128, 0xffffff00, v131
	v_lshrrev_b32_e32 v131, 16, v133
	v_lshrrev_b32_e32 v135, 5, v130
	v_lshlrev_b32_e32 v137, 2, v130
	v_lshlrev_b16 v127, 8, v127
	v_and_b32_e32 v133, 0x1f00, v132
	v_lshlrev_b16 v132, 8, v132
	v_lshlrev_b16 v136, 8, v131
	v_lshrrev_b32_e32 v138, 4, v149
	v_and_b32_e32 v134, 16, v134
	v_and_b32_e32 v135, 0x1000, v135
	v_lshlrev_b32_e32 v130, 9, v130
	v_and_b32_e32 v137, 0x100000, v137
	v_add_nc_i16 v127, v127, 0xf000 clamp
	v_add_nc_u16 v132, v132, 0xf000
	v_add_nc_u16 v136, v136, 0xf000
	v_and_b32_e32 v138, 0xf0f0f0f, v138
	v_and_b32_e32 v130, 0x10000000, v130
	v_or3_b32 v134, v135, v134, v137
	v_lshrrev_b16 v132, 8, v132
	v_and_b32_e32 v131, 0x1f00, v131
	v_lshrrev_b16 v135, 8, v136
	v_lshrrev_b16 v127, 8, v127
	v_or3_b32 v130, v134, v130, v138
	v_or_b32_e32 v132, v133, v132
	v_add_nc_u16 v2, v2, 0xf000
	v_or_b32_e32 v131, v131, v135
	v_or_b32_e32 v127, v127, v128
	v_lshlrev_b16 v128, 8, v130
	v_add_nc_u16 v132, v132, 0xf000
	v_lshrrev_b32_e32 v133, 16, v130
	v_add_nc_u16 v131, v131, 0xf000
	v_and_b32_e32 v2, 0xffff, v2
	v_add_nc_i16 v128, v128, 0xf000 clamp
	v_lshlrev_b32_e32 v127, 16, v127
	v_and_b32_e32 v132, 0xffff, v132
	v_lshlrev_b32_e32 v131, 16, v131
	v_and_b32_e32 v130, 0x1f00, v130
	v_lshrrev_b16 v128, 8, v128
	v_and_b32_e32 v134, 0xffffff00, v133
	v_ashrrev_i32_e32 v124, v53, v124
	v_or_b32_e32 v2, v2, v127
	v_or_b32_e32 v127, v132, v131
	;; [unrolled: 1-line block ×3, first 2 shown]
	v_add_nc_i16 v130, v134, 0xf000 clamp
	v_lshlrev_b16 v131, 8, v133
	v_lshlrev_b32_e32 v132, 18, v124
	v_lshlrev_b32_e32 v133, 25, v124
	;; [unrolled: 1-line block ×4, first 2 shown]
	v_and_b32_e32 v136, 0xf0f0f0f, v123
	v_and_b32_e32 v132, 0x100000, v132
	v_and_b32_e32 v133, 0x10000000, v133
	v_and_b32_e32 v134, 16, v134
	v_and_b32_e32 v135, 0x1000, v135
	v_lshrrev_b32_e32 v123, 4, v123
	v_add_nc_i16 v131, v131, 0xf000 clamp
	v_or3_b32 v132, v136, v132, v133
	v_and_b32_e32 v130, 0xffffff00, v130
	v_or3_b32 v133, v134, v136, v135
	v_lshrrev_b32_e32 v134, 12, v124
	v_lshrrev_b32_e32 v135, 5, v124
	v_lshlrev_b32_e32 v136, 2, v124
	v_lshrrev_b32_e32 v132, 16, v132
	v_lshlrev_b32_e32 v124, 9, v124
	v_and_b32_e32 v134, 16, v134
	v_and_b32_e32 v135, 0x1000, v135
	;; [unrolled: 1-line block ×3, first 2 shown]
	v_lshlrev_b16 v137, 8, v133
	v_lshlrev_b16 v138, 8, v132
	v_and_b32_e32 v123, 0xf0f0f0f, v123
	v_and_b32_e32 v124, 0x10000000, v124
	v_or3_b32 v134, v135, v134, v136
	v_add_nc_u16 v135, v137, 0xf000
	v_lshrrev_b16 v131, 8, v131
	v_add_nc_u16 v136, v138, 0xf000
	v_and_b32_e32 v133, 0x1f00, v133
	v_or3_b32 v123, v134, v124, v123
	v_lshrrev_b16 v124, 8, v135
	v_and_b32_e32 v132, 0x1f00, v132
	v_lshrrev_b16 v134, 8, v136
	v_or_b32_e32 v130, v131, v130
	v_lshlrev_b16 v131, 8, v123
	v_add_nc_u16 v128, v128, 0xf000
	v_or_b32_e32 v124, v133, v124
	v_or_b32_e32 v132, v132, v134
	v_lshrrev_b32_e32 v133, 16, v123
	v_add_nc_i16 v131, v131, 0xf000 clamp
	v_and_b32_e32 v128, 0xffff, v128
	v_lshlrev_b32_e32 v130, 16, v130
	v_add_nc_u16 v124, v124, 0xf000
	v_add_nc_u16 v132, v132, 0xf000
	v_and_b32_e32 v123, 0x1f00, v123
	v_lshrrev_b16 v131, 8, v131
	v_and_b32_e32 v134, 0xffffff00, v133
	v_or_b32_e32 v128, v128, v130
	v_and_b32_e32 v124, 0xffff, v124
	v_lshlrev_b32_e32 v130, 16, v132
	v_or_b32_e32 v123, v123, v131
	v_add_nc_i16 v131, v134, 0xf000 clamp
	v_ashrrev_i32_e32 v1, v53, v1
	v_lshlrev_b16 v132, 8, v133
	v_or_b32_e32 v124, v124, v130
	v_and_b32_e32 v135, 0xf0f0f0f, v0
	v_and_b32_e32 v130, 0xffffff00, v131
	v_lshlrev_b32_e32 v131, 4, v1
	v_lshlrev_b32_e32 v133, 11, v1
	;; [unrolled: 1-line block ×4, first 2 shown]
	v_lshrrev_b32_e32 v137, 12, v1
	v_lshrrev_b32_e32 v138, 5, v1
	v_lshlrev_b32_e32 v139, 2, v1
	v_and_b32_e32 v131, 16, v131
	v_and_b32_e32 v133, 0x1000, v133
	v_and_b32_e32 v134, 0x100000, v134
	v_and_b32_e32 v136, 0x10000000, v136
	v_lshrrev_b32_e32 v0, 4, v0
	v_and_b32_e32 v137, 16, v137
	v_and_b32_e32 v138, 0x1000, v138
	v_lshlrev_b32_e32 v1, 9, v1
	v_and_b32_e32 v139, 0x100000, v139
	v_add_nc_i16 v132, v132, 0xf000 clamp
	v_or3_b32 v131, v131, v135, v133
	v_or3_b32 v133, v135, v134, v136
	v_and_b32_e32 v0, 0xf0f0f0f, v0
	v_and_b32_e32 v1, 0x10000000, v1
	v_or3_b32 v134, v138, v137, v139
	v_lshrrev_b16 v132, 8, v132
	v_lshlrev_b16 v135, 8, v131
	v_lshrrev_b32_e32 v133, 16, v133
	v_and_b32_e32 v131, 0x1f00, v131
	v_or3_b32 v0, v134, v1, v0
	v_or_b32_e32 v1, v132, v130
	v_add_nc_u16 v130, v135, 0xf000
	v_lshlrev_b16 v132, 8, v133
	v_and_b32_e32 v133, 0x1f00, v133
	v_lshlrev_b16 v134, 8, v0
	v_lshrrev_b32_e32 v135, 16, v0
	v_lshrrev_b16 v130, 8, v130
	v_add_nc_u16 v132, v132, 0xf000
	v_and_b32_e32 v0, 0x1f00, v0
	v_add_nc_i16 v134, v134, 0xf000 clamp
	v_and_b32_e32 v136, 0xffffff00, v135
	v_lshlrev_b16 v135, 8, v135
	v_lshrrev_b16 v132, 8, v132
	v_add_nc_u16 v123, v123, 0xf000
	v_lshrrev_b16 v134, 8, v134
	v_add_nc_i16 v136, v136, 0xf000 clamp
	v_add_nc_i16 v135, v135, 0xf000 clamp
	v_or_b32_e32 v130, v131, v130
	v_or_b32_e32 v131, v133, v132
	;; [unrolled: 1-line block ×3, first 2 shown]
	v_and_b32_e32 v132, 0xffffff00, v136
	v_lshrrev_b16 v133, 8, v135
	v_and_b32_e32 v123, 0xffff, v123
	v_lshlrev_b32_e32 v1, 16, v1
	v_add_nc_u16 v130, v130, 0xf000
	v_add_nc_u16 v131, v131, 0xf000
	;; [unrolled: 1-line block ×3, first 2 shown]
	v_or_b32_e32 v132, v133, v132
	v_or_b32_e32 v1, v123, v1
	v_and_b32_e32 v123, 0xffff, v130
	v_lshlrev_b32_e32 v130, 16, v131
	v_and_b32_e32 v0, 0xffff, v0
	v_lshlrev_b32_e32 v131, 16, v132
	ds_store_2addr_b32 v16, v3, v2 offset1:1
	ds_store_2addr_b32 v17, v127, v128 offset1:1
	;; [unrolled: 1-line block ×3, first 2 shown]
	s_waitcnt vmcnt(12)
	v_cvt_f32_f16_e64 v2, v141
	v_or_b32_e32 v1, v123, v130
	s_waitcnt vmcnt(11)
	v_cvt_f32_f16_e64 v3, v142
	v_or_b32_e32 v0, v0, v131
	s_waitcnt vmcnt(10)
	v_cvt_f32_f16_e64 v123, v143
	s_waitcnt vmcnt(9)
	v_cvt_f32_f16_e64 v124, v144
	ds_store_2addr_b32 v19, v1, v0 offset1:1
	ds_store_b32 v114, v2
	ds_store_b32 v115, v3
	;; [unrolled: 1-line block ×4, first 2 shown]
	v_mov_b32_e32 v124, v104
	s_waitcnt vmcnt(8)
	v_cvt_f32_f16_e64 v0, v129
	s_waitcnt vmcnt(6)
	ds_store_b32 v88, v24
	s_waitcnt vmcnt(5)
	ds_store_b32 v90, v119
	;; [unrolled: 2-line block ×7, first 2 shown]
	ds_store_b32 v86, v23
	ds_store_b32 v84, v0
	v_dual_mov_b32 v119, v108 :: v_dual_mov_b32 v120, v107
	v_dual_mov_b32 v121, v101 :: v_dual_mov_b32 v122, v106
	v_mov_b32_e32 v123, v105
	v_mov_b32_e32 v125, v103
	s_waitcnt lgkmcnt(0)
	s_barrier
	buffer_gl0_inv
.LBB162_7:                              ;   Parent Loop BB162_6 Depth=1
                                        ; =>  This Inner Loop Header: Depth=2
	ds_load_2addr_b32 v[23:24], v121 offset1:1
	ds_load_b128 v[0:3], v120
	ds_load_b128 v[126:129], v120 offset:16
	ds_load_2addr_b32 v[158:159], v121 offset0:2 offset1:3
	v_add_nc_u32_e32 v131, 0x2080, v121
	v_add_nc_u32_e32 v132, 0x4100, v121
	;; [unrolled: 1-line block ×3, first 2 shown]
	ds_load_2addr_b32 v[172:173], v121 offset0:4 offset1:5
	ds_load_2addr_b32 v[178:179], v121 offset0:6 offset1:7
	ds_load_2addr_b32 v[160:161], v131 offset1:1
	ds_load_2addr_b32 v[162:163], v132 offset1:1
	;; [unrolled: 1-line block ×3, first 2 shown]
	s_add_i32 s0, s0, 4
	s_delay_alu instid0(SALU_CYCLE_1) | instskip(SKIP_3) | instid1(VALU_DEP_1)
	s_cmp_lt_u32 s0, 12
	s_waitcnt lgkmcnt(7)
	v_dot4_i32_iu8 v130, v23, v0, 0 neg_lo:[1,1,0]
	s_waitcnt lgkmcnt(6)
	v_dot4_i32_iu8 v130, v24, v126, v130 neg_lo:[1,1,0]
	;; [unrolled: 2-line block ×4, first 2 shown]
	v_dot4_i32_iu8 v130, v158, v1, v130 neg_lo:[1,1,0]
	s_waitcnt lgkmcnt(0)
	v_dot4_i32_iu8 v0, v164, v0, 0 neg_lo:[1,1,0]
	v_dot4_i32_iu8 v131, v161, v126, v131 neg_lo:[1,1,0]
	;; [unrolled: 1-line block ×3, first 2 shown]
	s_delay_alu instid0(VALU_DEP_3)
	v_dot4_i32_iu8 v0, v165, v126, v0 neg_lo:[1,1,0]
	v_dot4_i32_iu8 v126, v159, v127, v130 neg_lo:[1,1,0]
	v_add_nc_u32_e32 v130, 0x2088, v121
	ds_load_2addr_b32 v[166:167], v130 offset1:1
	s_waitcnt lgkmcnt(0)
	v_dot4_i32_iu8 v130, v166, v1, v131 neg_lo:[1,1,0]
	v_add_nc_u32_e32 v131, 0x4108, v121
	s_delay_alu instid0(VALU_DEP_2) | instskip(SKIP_4) | instid1(VALU_DEP_2)
	v_dot4_i32_iu8 v130, v167, v127, v130 neg_lo:[1,1,0]
	ds_load_2addr_b32 v[168:169], v131 offset1:1
	s_waitcnt lgkmcnt(0)
	v_dot4_i32_iu8 v131, v168, v1, v132 neg_lo:[1,1,0]
	v_add_nc_u32_e32 v132, 0x6188, v121
	v_dot4_i32_iu8 v131, v169, v127, v131 neg_lo:[1,1,0]
	ds_load_2addr_b32 v[170:171], v132 offset1:1
	v_add_nc_u32_e32 v132, 0x4110, v121
	ds_load_2addr_b32 v[174:175], v132 offset1:1
	v_add_nc_u32_e32 v132, 0x6190, v121
	ds_load_2addr_b32 v[176:177], v132 offset1:1
	s_waitcnt lgkmcnt(2)
	v_dot4_i32_iu8 v0, v170, v1, v0 neg_lo:[1,1,0]
	v_dot4_i32_iu8 v1, v172, v2, v126 neg_lo:[1,1,0]
	v_add_nc_u32_e32 v126, 0x2090, v121
	s_delay_alu instid0(VALU_DEP_3) | instskip(NEXT) | instid1(VALU_DEP_3)
	v_dot4_i32_iu8 v0, v171, v127, v0 neg_lo:[1,1,0]
	v_dot4_i32_iu8 v1, v173, v128, v1 neg_lo:[1,1,0]
	ds_load_2addr_b32 v[126:127], v126 offset1:1
	s_waitcnt lgkmcnt(2)
	v_dot4_i32_iu8 v131, v174, v2, v131 neg_lo:[1,1,0]
	v_dot4_i32_iu8 v186, v178, v3, v1 neg_lo:[1,1,0]
	s_waitcnt lgkmcnt(1)
	v_dot4_i32_iu8 v0, v176, v2, v0 neg_lo:[1,1,0]
	s_delay_alu instid0(VALU_DEP_1) | instskip(SKIP_3) | instid1(VALU_DEP_2)
	v_dot4_i32_iu8 v0, v177, v128, v0 neg_lo:[1,1,0]
	s_waitcnt lgkmcnt(0)
	v_dot4_i32_iu8 v130, v126, v2, v130 neg_lo:[1,1,0]
	v_dot4_i32_iu8 v2, v175, v128, v131 neg_lo:[1,1,0]
	;; [unrolled: 1-line block ×3, first 2 shown]
	v_add_nc_u32_e32 v128, 0x2098, v121
	ds_load_b128 v[130:133], v120 offset:1040
	ds_load_2addr_b32 v[180:181], v128 offset1:1
	s_waitcnt lgkmcnt(0)
	v_dot4_i32_iu8 v128, v180, v3, v1 neg_lo:[1,1,0]
	v_add_nc_u32_e32 v1, 0x4118, v121
	ds_load_2addr_b32 v[182:183], v1 offset1:1
	v_add_nc_u32_e32 v1, 0x6198, v121
	v_add_nc_u32_e32 v121, 32, v121
	ds_load_2addr_b32 v[184:185], v1 offset1:1
	s_waitcnt lgkmcnt(1)
	v_dot4_i32_iu8 v187, v182, v3, v2 neg_lo:[1,1,0]
	s_waitcnt lgkmcnt(0)
	v_dot4_i32_iu8 v188, v184, v3, v0 neg_lo:[1,1,0]
	ds_load_b128 v[0:3], v120 offset:1024
	s_waitcnt lgkmcnt(0)
	v_dot4_i32_iu8 v134, v0, v23, 0 neg_lo:[1,1,0]
	v_dot4_i32_iu8 v135, v0, v160, 0 neg_lo:[1,1,0]
	v_dot4_i32_iu8 v136, v0, v162, 0 neg_lo:[1,1,0]
	v_dot4_i32_iu8 v0, v0, v164, 0 neg_lo:[1,1,0]
	s_delay_alu instid0(VALU_DEP_4) | instskip(NEXT) | instid1(VALU_DEP_4)
	v_dot4_i32_iu8 v134, v130, v24, v134 neg_lo:[1,1,0]
	v_dot4_i32_iu8 v135, v130, v161, v135 neg_lo:[1,1,0]
	s_delay_alu instid0(VALU_DEP_4) | instskip(NEXT) | instid1(VALU_DEP_4)
	v_dot4_i32_iu8 v136, v130, v163, v136 neg_lo:[1,1,0]
	v_dot4_i32_iu8 v0, v130, v165, v0 neg_lo:[1,1,0]
	s_delay_alu instid0(VALU_DEP_4) | instskip(NEXT) | instid1(VALU_DEP_4)
	v_dot4_i32_iu8 v130, v1, v158, v134 neg_lo:[1,1,0]
	v_dot4_i32_iu8 v134, v1, v166, v135 neg_lo:[1,1,0]
	s_delay_alu instid0(VALU_DEP_4) | instskip(NEXT) | instid1(VALU_DEP_4)
	v_dot4_i32_iu8 v135, v1, v168, v136 neg_lo:[1,1,0]
	v_dot4_i32_iu8 v0, v1, v170, v0 neg_lo:[1,1,0]
	s_delay_alu instid0(VALU_DEP_4) | instskip(NEXT) | instid1(VALU_DEP_4)
	v_dot4_i32_iu8 v1, v131, v159, v130 neg_lo:[1,1,0]
	v_dot4_i32_iu8 v130, v131, v167, v134 neg_lo:[1,1,0]
	s_delay_alu instid0(VALU_DEP_4) | instskip(NEXT) | instid1(VALU_DEP_4)
	v_dot4_i32_iu8 v134, v131, v169, v135 neg_lo:[1,1,0]
	v_dot4_i32_iu8 v0, v131, v171, v0 neg_lo:[1,1,0]
	s_delay_alu instid0(VALU_DEP_4) | instskip(NEXT) | instid1(VALU_DEP_4)
	v_dot4_i32_iu8 v1, v2, v172, v1 neg_lo:[1,1,0]
	v_dot4_i32_iu8 v130, v2, v126, v130 neg_lo:[1,1,0]
	s_delay_alu instid0(VALU_DEP_4) | instskip(NEXT) | instid1(VALU_DEP_4)
	v_dot4_i32_iu8 v131, v2, v174, v134 neg_lo:[1,1,0]
	v_dot4_i32_iu8 v0, v2, v176, v0 neg_lo:[1,1,0]
	ds_load_b128 v[134:137], v120 offset:2064
	v_dot4_i32_iu8 v1, v132, v173, v1 neg_lo:[1,1,0]
	v_dot4_i32_iu8 v2, v132, v127, v130 neg_lo:[1,1,0]
	v_dot4_i32_iu8 v130, v132, v175, v131 neg_lo:[1,1,0]
	v_dot4_i32_iu8 v0, v132, v177, v0 neg_lo:[1,1,0]
	s_delay_alu instid0(VALU_DEP_4) | instskip(NEXT) | instid1(VALU_DEP_4)
	v_dot4_i32_iu8 v131, v3, v178, v1 neg_lo:[1,1,0]
	v_dot4_i32_iu8 v132, v3, v180, v2 neg_lo:[1,1,0]
	s_delay_alu instid0(VALU_DEP_4) | instskip(NEXT) | instid1(VALU_DEP_4)
	v_dot4_i32_iu8 v130, v3, v182, v130 neg_lo:[1,1,0]
	v_dot4_i32_iu8 v189, v3, v184, v0 neg_lo:[1,1,0]
	ds_load_b128 v[0:3], v120 offset:2048
	v_dot4_i32_iu8 v130, v133, v183, v130 neg_lo:[1,1,0]
	s_waitcnt lgkmcnt(0)
	v_dot4_i32_iu8 v138, v0, v23, 0 neg_lo:[1,1,0]
	v_dot4_i32_iu8 v139, v0, v160, 0 neg_lo:[1,1,0]
	v_dot4_i32_iu8 v140, v0, v162, 0 neg_lo:[1,1,0]
	v_dot4_i32_iu8 v0, v0, v164, 0 neg_lo:[1,1,0]
	s_delay_alu instid0(VALU_DEP_4) | instskip(NEXT) | instid1(VALU_DEP_4)
	v_dot4_i32_iu8 v138, v134, v24, v138 neg_lo:[1,1,0]
	v_dot4_i32_iu8 v139, v134, v161, v139 neg_lo:[1,1,0]
	s_delay_alu instid0(VALU_DEP_4) | instskip(NEXT) | instid1(VALU_DEP_4)
	v_dot4_i32_iu8 v140, v134, v163, v140 neg_lo:[1,1,0]
	v_dot4_i32_iu8 v0, v134, v165, v0 neg_lo:[1,1,0]
	s_delay_alu instid0(VALU_DEP_4) | instskip(NEXT) | instid1(VALU_DEP_4)
	v_dot4_i32_iu8 v134, v1, v158, v138 neg_lo:[1,1,0]
	v_dot4_i32_iu8 v138, v1, v166, v139 neg_lo:[1,1,0]
	s_delay_alu instid0(VALU_DEP_4) | instskip(NEXT) | instid1(VALU_DEP_4)
	v_dot4_i32_iu8 v139, v1, v168, v140 neg_lo:[1,1,0]
	v_dot4_i32_iu8 v0, v1, v170, v0 neg_lo:[1,1,0]
	s_delay_alu instid0(VALU_DEP_4) | instskip(NEXT) | instid1(VALU_DEP_4)
	v_dot4_i32_iu8 v1, v135, v159, v134 neg_lo:[1,1,0]
	v_dot4_i32_iu8 v134, v135, v167, v138 neg_lo:[1,1,0]
	s_delay_alu instid0(VALU_DEP_4) | instskip(NEXT) | instid1(VALU_DEP_4)
	v_dot4_i32_iu8 v138, v135, v169, v139 neg_lo:[1,1,0]
	v_dot4_i32_iu8 v0, v135, v171, v0 neg_lo:[1,1,0]
	s_delay_alu instid0(VALU_DEP_4) | instskip(NEXT) | instid1(VALU_DEP_4)
	v_dot4_i32_iu8 v1, v2, v172, v1 neg_lo:[1,1,0]
	v_dot4_i32_iu8 v134, v2, v126, v134 neg_lo:[1,1,0]
	s_delay_alu instid0(VALU_DEP_4) | instskip(NEXT) | instid1(VALU_DEP_4)
	v_dot4_i32_iu8 v135, v2, v174, v138 neg_lo:[1,1,0]
	v_dot4_i32_iu8 v0, v2, v176, v0 neg_lo:[1,1,0]
	ds_load_b128 v[138:141], v120 offset:3088
	v_dot4_i32_iu8 v1, v136, v173, v1 neg_lo:[1,1,0]
	v_dot4_i32_iu8 v2, v136, v127, v134 neg_lo:[1,1,0]
	v_dot4_i32_iu8 v134, v136, v175, v135 neg_lo:[1,1,0]
	v_dot4_i32_iu8 v0, v136, v177, v0 neg_lo:[1,1,0]
	s_delay_alu instid0(VALU_DEP_4) | instskip(NEXT) | instid1(VALU_DEP_4)
	v_dot4_i32_iu8 v135, v3, v178, v1 neg_lo:[1,1,0]
	v_dot4_i32_iu8 v136, v3, v180, v2 neg_lo:[1,1,0]
	s_delay_alu instid0(VALU_DEP_4) | instskip(NEXT) | instid1(VALU_DEP_4)
	v_dot4_i32_iu8 v134, v3, v182, v134 neg_lo:[1,1,0]
	v_dot4_i32_iu8 v190, v3, v184, v0 neg_lo:[1,1,0]
	ds_load_b128 v[0:3], v120 offset:3072
	v_dot4_i32_iu8 v134, v137, v183, v134 neg_lo:[1,1,0]
	;; [unrolled: 42-line block ×5, first 2 shown]
	s_waitcnt lgkmcnt(0)
	v_dot4_i32_iu8 v154, v0, v23, 0 neg_lo:[1,1,0]
	v_dot4_i32_iu8 v155, v0, v160, 0 neg_lo:[1,1,0]
	;; [unrolled: 1-line block ×4, first 2 shown]
	s_delay_alu instid0(VALU_DEP_4) | instskip(NEXT) | instid1(VALU_DEP_4)
	v_dot4_i32_iu8 v154, v150, v24, v154 neg_lo:[1,1,0]
	v_dot4_i32_iu8 v155, v150, v161, v155 neg_lo:[1,1,0]
	s_delay_alu instid0(VALU_DEP_4) | instskip(NEXT) | instid1(VALU_DEP_4)
	v_dot4_i32_iu8 v156, v150, v163, v156 neg_lo:[1,1,0]
	v_dot4_i32_iu8 v0, v150, v165, v0 neg_lo:[1,1,0]
	;; [unrolled: 3-line block ×8, first 2 shown]
	ds_load_b128 v[154:157], v120 offset:7184
	v_dot4_i32_iu8 v1, v152, v173, v1 neg_lo:[1,1,0]
	v_dot4_i32_iu8 v2, v152, v127, v150 neg_lo:[1,1,0]
	v_dot4_i32_iu8 v150, v152, v175, v151 neg_lo:[1,1,0]
	v_dot4_i32_iu8 v0, v152, v177, v0 neg_lo:[1,1,0]
	s_delay_alu instid0(VALU_DEP_4) | instskip(NEXT) | instid1(VALU_DEP_4)
	v_dot4_i32_iu8 v151, v3, v178, v1 neg_lo:[1,1,0]
	v_dot4_i32_iu8 v152, v3, v180, v2 neg_lo:[1,1,0]
	s_delay_alu instid0(VALU_DEP_4) | instskip(NEXT) | instid1(VALU_DEP_4)
	v_dot4_i32_iu8 v150, v3, v182, v150 neg_lo:[1,1,0]
	v_dot4_i32_iu8 v194, v3, v184, v0 neg_lo:[1,1,0]
	ds_load_b128 v[0:3], v120 offset:7168
	v_add_nc_u32_e32 v120, 32, v120
	v_dot4_i32_iu8 v150, v153, v183, v150 neg_lo:[1,1,0]
	s_waitcnt lgkmcnt(0)
	v_dot4_i32_iu8 v23, v0, v23, 0 neg_lo:[1,1,0]
	s_delay_alu instid0(VALU_DEP_1) | instskip(SKIP_3) | instid1(VALU_DEP_4)
	v_dot4_i32_iu8 v23, v154, v24, v23 neg_lo:[1,1,0]
	v_dot4_i32_iu8 v24, v0, v160, 0 neg_lo:[1,1,0]
	v_dot4_i32_iu8 v160, v0, v162, 0 neg_lo:[1,1,0]
	v_dot4_i32_iu8 v0, v0, v164, 0 neg_lo:[1,1,0]
	v_dot4_i32_iu8 v23, v1, v158, v23 neg_lo:[1,1,0]
	s_delay_alu instid0(VALU_DEP_4) | instskip(NEXT) | instid1(VALU_DEP_4)
	v_dot4_i32_iu8 v24, v154, v161, v24 neg_lo:[1,1,0]
	v_dot4_i32_iu8 v160, v154, v163, v160 neg_lo:[1,1,0]
	s_delay_alu instid0(VALU_DEP_4) | instskip(NEXT) | instid1(VALU_DEP_4)
	v_dot4_i32_iu8 v0, v154, v165, v0 neg_lo:[1,1,0]
	v_dot4_i32_iu8 v23, v155, v159, v23 neg_lo:[1,1,0]
	s_delay_alu instid0(VALU_DEP_4) | instskip(NEXT) | instid1(VALU_DEP_4)
	v_dot4_i32_iu8 v24, v1, v166, v24 neg_lo:[1,1,0]
	v_dot4_i32_iu8 v154, v1, v168, v160 neg_lo:[1,1,0]
	s_delay_alu instid0(VALU_DEP_4) | instskip(NEXT) | instid1(VALU_DEP_4)
	v_dot4_i32_iu8 v0, v1, v170, v0 neg_lo:[1,1,0]
	v_dot4_i32_iu8 v1, v2, v172, v23 neg_lo:[1,1,0]
	s_delay_alu instid0(VALU_DEP_4) | instskip(NEXT) | instid1(VALU_DEP_4)
	v_dot4_i32_iu8 v24, v155, v167, v24 neg_lo:[1,1,0]
	v_dot4_i32_iu8 v154, v155, v169, v154 neg_lo:[1,1,0]
	s_delay_alu instid0(VALU_DEP_4) | instskip(NEXT) | instid1(VALU_DEP_4)
	v_dot4_i32_iu8 v0, v155, v171, v0 neg_lo:[1,1,0]
	v_dot4_i32_iu8 v1, v156, v173, v1 neg_lo:[1,1,0]
	s_delay_alu instid0(VALU_DEP_4) | instskip(NEXT) | instid1(VALU_DEP_4)
	v_dot4_i32_iu8 v23, v2, v126, v24 neg_lo:[1,1,0]
	v_dot4_i32_iu8 v24, v2, v174, v154 neg_lo:[1,1,0]
	s_delay_alu instid0(VALU_DEP_4)
	v_dot4_i32_iu8 v0, v2, v176, v0 neg_lo:[1,1,0]
	v_dot4_i32_iu8 v126, v183, v129, v187 neg_lo:[1,1,0]
	;; [unrolled: 1-line block ×7, first 2 shown]
	s_delay_alu instid0(VALU_DEP_4) | instskip(NEXT) | instid1(VALU_DEP_4)
	v_dot4_i32_iu8 v2, v3, v180, v23 neg_lo:[1,1,0]
	v_dot4_i32_iu8 v23, v3, v182, v24 neg_lo:[1,1,0]
	s_delay_alu instid0(VALU_DEP_4)
	v_dot4_i32_iu8 v0, v3, v184, v0 neg_lo:[1,1,0]
	v_dot4_i32_iu8 v3, v179, v129, v186 neg_lo:[1,1,0]
	;; [unrolled: 1-line block ×25, first 2 shown]
	ds_load_b32 v154, v122
	ds_load_b32 v155, v123
	;; [unrolled: 1-line block ×4, first 2 shown]
	ds_load_2addr_b32 v[0:1], v119 offset1:32
	v_cvt_f32_i32_e32 v3, v3
	v_add_nc_u32_e32 v125, 4, v125
	v_add_nc_u32_e32 v123, 4, v123
	;; [unrolled: 1-line block ×4, first 2 shown]
	s_waitcnt lgkmcnt(0)
	v_mul_f32_e32 v158, v0, v154
	v_mul_f32_e32 v159, v0, v155
	;; [unrolled: 1-line block ×8, first 2 shown]
	ds_load_2addr_b32 v[0:1], v119 offset0:64 offset1:96
	v_fmac_f32_e32 v45, v158, v3
	v_cvt_f32_i32_e32 v3, v128
	s_delay_alu instid0(VALU_DEP_1)
	v_fmac_f32_e32 v68, v162, v3
	v_cvt_f32_i32_e32 v3, v132
	s_waitcnt lgkmcnt(0)
	v_mul_f32_e32 v166, v154, v0
	v_mul_f32_e32 v167, v155, v0
	;; [unrolled: 1-line block ×3, first 2 shown]
	v_dual_mul_f32 v169, v157, v0 :: v_dual_mul_f32 v170, v154, v1
	v_mul_f32_e32 v171, v155, v1
	v_mul_f32_e32 v172, v156, v1
	;; [unrolled: 1-line block ×3, first 2 shown]
	ds_load_2addr_b32 v[0:1], v119 offset0:128 offset1:160
	v_fmac_f32_e32 v58, v166, v3
	v_cvt_f32_i32_e32 v3, v136
	s_delay_alu instid0(VALU_DEP_1)
	v_fmac_f32_e32 v47, v170, v3
	v_cvt_f32_i32_e32 v3, v140
	s_waitcnt lgkmcnt(0)
	v_dual_mul_f32 v179, v155, v1 :: v_dual_mul_f32 v174, v154, v0
	v_mul_f32_e32 v175, v155, v0
	v_mul_f32_e32 v176, v156, v0
	v_dual_mul_f32 v177, v157, v0 :: v_dual_mul_f32 v178, v154, v1
	v_mul_f32_e32 v180, v156, v1
	v_dual_mul_f32 v181, v157, v1 :: v_dual_fmac_f32 v40, v174, v3
	ds_load_2addr_b32 v[0:1], v119 offset0:192 offset1:224
	v_cvt_f32_i32_e32 v3, v144
	v_add_nc_u32_e32 v119, 4, v119
	s_delay_alu instid0(VALU_DEP_2)
	v_fmac_f32_e32 v36, v178, v3
	v_cvt_f32_i32_e32 v3, v148
	s_waitcnt lgkmcnt(0)
	v_mul_f32_e32 v182, v154, v0
	v_mul_f32_e32 v183, v155, v0
	;; [unrolled: 1-line block ×5, first 2 shown]
	v_fmac_f32_e32 v32, v182, v3
	v_cvt_f32_i32_e32 v3, v152
	v_mul_f32_e32 v0, v157, v0
	s_delay_alu instid0(VALU_DEP_2) | instskip(SKIP_1) | instid1(VALU_DEP_1)
	v_fmac_f32_e32 v28, v154, v3
	v_cvt_f32_i32_e32 v3, v24
	v_fmac_f32_e32 v76, v159, v3
	v_cvt_f32_i32_e32 v3, v126
	s_delay_alu instid0(VALU_DEP_1) | instskip(SKIP_1) | instid1(VALU_DEP_1)
	v_fmac_f32_e32 v71, v160, v3
	v_cvt_f32_i32_e32 v3, v127
	v_fmac_f32_e32 v70, v161, v3
	v_cvt_f32_i32_e32 v3, v129
	s_delay_alu instid0(VALU_DEP_1) | instskip(SKIP_1) | instid1(VALU_DEP_1)
	;; [unrolled: 5-line block ×8, first 2 shown]
	v_dual_mul_f32 v156, v156, v1 :: v_dual_fmac_f32 v35, v179, v3
	v_cvt_f32_i32_e32 v3, v146
	v_dual_mul_f32 v1, v157, v1 :: v_dual_fmac_f32 v34, v180, v3
	v_cvt_f32_i32_e32 v3, v147
	s_delay_alu instid0(VALU_DEP_1) | instskip(SKIP_1) | instid1(VALU_DEP_1)
	v_fmac_f32_e32 v33, v181, v3
	v_cvt_f32_i32_e32 v3, v149
	v_fmac_f32_e32 v31, v183, v3
	v_cvt_f32_i32_e32 v3, v150
	s_delay_alu instid0(VALU_DEP_1) | instskip(SKIP_1) | instid1(VALU_DEP_1)
	v_fmac_f32_e32 v30, v184, v3
	v_cvt_f32_i32_e32 v3, v151
	v_fmac_f32_e32 v29, v0, v3
	;; [unrolled: 5-line block ×3, first 2 shown]
	v_cvt_f32_i32_e32 v0, v153
	s_delay_alu instid0(VALU_DEP_1)
	v_fmac_f32_e32 v25, v1, v0
	s_cbranch_scc1 .LBB162_7
; %bb.8:                                ;   in Loop: Header=BB162_6 Depth=1
	s_or_b32 s0, s5, 4
	s_delay_alu instid0(SALU_CYCLE_1)
	s_cmp_ge_i32 s0, s4
	s_barrier
	buffer_gl0_inv
	s_cbranch_scc1 .LBB162_5
; %bb.9:                                ;   in Loop: Header=BB162_6 Depth=1
	v_add_nc_u32_e32 v125, s5, v102
	v_add_nc_u32_e32 v118, 4, v118
	s_mov_b32 s0, 12
	s_delay_alu instid0(VALU_DEP_2)
	v_add_nc_u32_e32 v2, v125, v85
	v_add_nc_u32_e32 v23, v125, v87
	;; [unrolled: 1-line block ×5, first 2 shown]
	v_mad_i64_i32 v[0:1], null, v2, 36, v[20:21]
	v_mad_i64_i32 v[2:3], null, v23, 36, v[20:21]
	;; [unrolled: 1-line block ×5, first 2 shown]
	v_add_nc_u32_e32 v127, v125, v95
	v_mad_u64_u32 v[123:124], null, v118, 36, s[2:3]
	v_add_nc_u32_e32 v129, v125, v97
	v_add_nc_u32_e32 v118, v125, v99
	s_delay_alu instid0(VALU_DEP_4) | instskip(NEXT) | instid1(VALU_DEP_3)
	v_mad_i64_i32 v[125:126], null, v127, 36, v[20:21]
	v_mad_i64_i32 v[127:128], null, v129, 36, v[20:21]
	s_delay_alu instid0(VALU_DEP_3)
	v_mad_i64_i32 v[129:130], null, v118, 36, v[20:21]
	s_clause 0x8
	global_load_b32 v131, v[123:124], off
	global_load_b32 v2, v[2:3], off offset:4
	global_load_b32 v3, v[23:24], off offset:4
	;; [unrolled: 1-line block ×8, first 2 shown]
	v_dual_mov_b32 v123, v110 :: v_dual_mov_b32 v118, v108
	v_dual_mov_b32 v119, v107 :: v_dual_mov_b32 v120, v113
	;; [unrolled: 1-line block ×3, first 2 shown]
	v_mov_b32_e32 v124, v109
	s_waitcnt vmcnt(8)
	v_cvt_f32_f16_e64 v1, v131
	s_waitcnt vmcnt(7)
	ds_store_b32 v88, v2
	s_waitcnt vmcnt(6)
	ds_store_b32 v90, v3
	;; [unrolled: 2-line block ×8, first 2 shown]
	ds_store_b32 v84, v1
	s_waitcnt lgkmcnt(0)
	s_barrier
	buffer_gl0_inv
.LBB162_10:                             ;   Parent Loop BB162_6 Depth=1
                                        ; =>  This Inner Loop Header: Depth=2
	ds_load_2addr_b32 v[23:24], v120 offset1:1
	ds_load_b128 v[0:3], v119
	ds_load_b128 v[125:128], v119 offset:16
	ds_load_2addr_b32 v[157:158], v120 offset0:2 offset1:3
	v_add_nc_u32_e32 v130, 0x2080, v120
	v_add_nc_u32_e32 v131, 0x4100, v120
	;; [unrolled: 1-line block ×3, first 2 shown]
	ds_load_2addr_b32 v[171:172], v120 offset0:4 offset1:5
	ds_load_2addr_b32 v[177:178], v120 offset0:6 offset1:7
	ds_load_2addr_b32 v[159:160], v130 offset1:1
	ds_load_2addr_b32 v[161:162], v131 offset1:1
	;; [unrolled: 1-line block ×3, first 2 shown]
	s_add_i32 s0, s0, 4
	s_delay_alu instid0(SALU_CYCLE_1) | instskip(SKIP_3) | instid1(VALU_DEP_1)
	s_cmp_lt_u32 s0, 28
	s_waitcnt lgkmcnt(7)
	v_dot4_i32_iu8 v129, v23, v0, 0 neg_lo:[1,1,0]
	s_waitcnt lgkmcnt(6)
	v_dot4_i32_iu8 v129, v24, v125, v129 neg_lo:[1,1,0]
	;; [unrolled: 2-line block ×4, first 2 shown]
	v_dot4_i32_iu8 v129, v157, v1, v129 neg_lo:[1,1,0]
	s_waitcnt lgkmcnt(0)
	v_dot4_i32_iu8 v0, v163, v0, 0 neg_lo:[1,1,0]
	v_dot4_i32_iu8 v130, v160, v125, v130 neg_lo:[1,1,0]
	;; [unrolled: 1-line block ×3, first 2 shown]
	s_delay_alu instid0(VALU_DEP_3)
	v_dot4_i32_iu8 v0, v164, v125, v0 neg_lo:[1,1,0]
	v_dot4_i32_iu8 v125, v158, v126, v129 neg_lo:[1,1,0]
	v_add_nc_u32_e32 v129, 0x2088, v120
	ds_load_2addr_b32 v[165:166], v129 offset1:1
	s_waitcnt lgkmcnt(0)
	v_dot4_i32_iu8 v129, v165, v1, v130 neg_lo:[1,1,0]
	v_add_nc_u32_e32 v130, 0x4108, v120
	s_delay_alu instid0(VALU_DEP_2) | instskip(SKIP_4) | instid1(VALU_DEP_2)
	v_dot4_i32_iu8 v129, v166, v126, v129 neg_lo:[1,1,0]
	ds_load_2addr_b32 v[167:168], v130 offset1:1
	s_waitcnt lgkmcnt(0)
	v_dot4_i32_iu8 v130, v167, v1, v131 neg_lo:[1,1,0]
	v_add_nc_u32_e32 v131, 0x6188, v120
	v_dot4_i32_iu8 v130, v168, v126, v130 neg_lo:[1,1,0]
	ds_load_2addr_b32 v[169:170], v131 offset1:1
	v_add_nc_u32_e32 v131, 0x4110, v120
	ds_load_2addr_b32 v[173:174], v131 offset1:1
	v_add_nc_u32_e32 v131, 0x6190, v120
	ds_load_2addr_b32 v[175:176], v131 offset1:1
	s_waitcnt lgkmcnt(2)
	v_dot4_i32_iu8 v0, v169, v1, v0 neg_lo:[1,1,0]
	v_dot4_i32_iu8 v1, v171, v2, v125 neg_lo:[1,1,0]
	v_add_nc_u32_e32 v125, 0x2090, v120
	s_delay_alu instid0(VALU_DEP_3) | instskip(NEXT) | instid1(VALU_DEP_3)
	v_dot4_i32_iu8 v0, v170, v126, v0 neg_lo:[1,1,0]
	v_dot4_i32_iu8 v1, v172, v127, v1 neg_lo:[1,1,0]
	ds_load_2addr_b32 v[125:126], v125 offset1:1
	s_waitcnt lgkmcnt(2)
	v_dot4_i32_iu8 v130, v173, v2, v130 neg_lo:[1,1,0]
	v_dot4_i32_iu8 v185, v177, v3, v1 neg_lo:[1,1,0]
	s_waitcnt lgkmcnt(1)
	v_dot4_i32_iu8 v0, v175, v2, v0 neg_lo:[1,1,0]
	s_delay_alu instid0(VALU_DEP_1) | instskip(SKIP_3) | instid1(VALU_DEP_2)
	v_dot4_i32_iu8 v0, v176, v127, v0 neg_lo:[1,1,0]
	s_waitcnt lgkmcnt(0)
	v_dot4_i32_iu8 v129, v125, v2, v129 neg_lo:[1,1,0]
	v_dot4_i32_iu8 v2, v174, v127, v130 neg_lo:[1,1,0]
	;; [unrolled: 1-line block ×3, first 2 shown]
	v_add_nc_u32_e32 v127, 0x2098, v120
	ds_load_b128 v[129:132], v119 offset:1040
	ds_load_2addr_b32 v[179:180], v127 offset1:1
	s_waitcnt lgkmcnt(0)
	v_dot4_i32_iu8 v127, v179, v3, v1 neg_lo:[1,1,0]
	v_add_nc_u32_e32 v1, 0x4118, v120
	ds_load_2addr_b32 v[181:182], v1 offset1:1
	v_add_nc_u32_e32 v1, 0x6198, v120
	v_add_nc_u32_e32 v120, 32, v120
	ds_load_2addr_b32 v[183:184], v1 offset1:1
	s_waitcnt lgkmcnt(1)
	v_dot4_i32_iu8 v186, v181, v3, v2 neg_lo:[1,1,0]
	s_waitcnt lgkmcnt(0)
	v_dot4_i32_iu8 v187, v183, v3, v0 neg_lo:[1,1,0]
	ds_load_b128 v[0:3], v119 offset:1024
	s_waitcnt lgkmcnt(0)
	v_dot4_i32_iu8 v133, v0, v23, 0 neg_lo:[1,1,0]
	v_dot4_i32_iu8 v134, v0, v159, 0 neg_lo:[1,1,0]
	v_dot4_i32_iu8 v135, v0, v161, 0 neg_lo:[1,1,0]
	v_dot4_i32_iu8 v0, v0, v163, 0 neg_lo:[1,1,0]
	s_delay_alu instid0(VALU_DEP_4) | instskip(NEXT) | instid1(VALU_DEP_4)
	v_dot4_i32_iu8 v133, v129, v24, v133 neg_lo:[1,1,0]
	v_dot4_i32_iu8 v134, v129, v160, v134 neg_lo:[1,1,0]
	s_delay_alu instid0(VALU_DEP_4) | instskip(NEXT) | instid1(VALU_DEP_4)
	v_dot4_i32_iu8 v135, v129, v162, v135 neg_lo:[1,1,0]
	v_dot4_i32_iu8 v0, v129, v164, v0 neg_lo:[1,1,0]
	s_delay_alu instid0(VALU_DEP_4) | instskip(NEXT) | instid1(VALU_DEP_4)
	v_dot4_i32_iu8 v129, v1, v157, v133 neg_lo:[1,1,0]
	v_dot4_i32_iu8 v133, v1, v165, v134 neg_lo:[1,1,0]
	s_delay_alu instid0(VALU_DEP_4) | instskip(NEXT) | instid1(VALU_DEP_4)
	v_dot4_i32_iu8 v134, v1, v167, v135 neg_lo:[1,1,0]
	v_dot4_i32_iu8 v0, v1, v169, v0 neg_lo:[1,1,0]
	s_delay_alu instid0(VALU_DEP_4) | instskip(NEXT) | instid1(VALU_DEP_4)
	v_dot4_i32_iu8 v1, v130, v158, v129 neg_lo:[1,1,0]
	v_dot4_i32_iu8 v129, v130, v166, v133 neg_lo:[1,1,0]
	s_delay_alu instid0(VALU_DEP_4) | instskip(NEXT) | instid1(VALU_DEP_4)
	v_dot4_i32_iu8 v133, v130, v168, v134 neg_lo:[1,1,0]
	v_dot4_i32_iu8 v0, v130, v170, v0 neg_lo:[1,1,0]
	s_delay_alu instid0(VALU_DEP_4) | instskip(NEXT) | instid1(VALU_DEP_4)
	v_dot4_i32_iu8 v1, v2, v171, v1 neg_lo:[1,1,0]
	v_dot4_i32_iu8 v129, v2, v125, v129 neg_lo:[1,1,0]
	s_delay_alu instid0(VALU_DEP_4) | instskip(NEXT) | instid1(VALU_DEP_4)
	v_dot4_i32_iu8 v130, v2, v173, v133 neg_lo:[1,1,0]
	v_dot4_i32_iu8 v0, v2, v175, v0 neg_lo:[1,1,0]
	ds_load_b128 v[133:136], v119 offset:2064
	v_dot4_i32_iu8 v1, v131, v172, v1 neg_lo:[1,1,0]
	v_dot4_i32_iu8 v2, v131, v126, v129 neg_lo:[1,1,0]
	v_dot4_i32_iu8 v129, v131, v174, v130 neg_lo:[1,1,0]
	v_dot4_i32_iu8 v0, v131, v176, v0 neg_lo:[1,1,0]
	s_delay_alu instid0(VALU_DEP_4) | instskip(NEXT) | instid1(VALU_DEP_4)
	v_dot4_i32_iu8 v130, v3, v177, v1 neg_lo:[1,1,0]
	v_dot4_i32_iu8 v131, v3, v179, v2 neg_lo:[1,1,0]
	s_delay_alu instid0(VALU_DEP_4) | instskip(NEXT) | instid1(VALU_DEP_4)
	v_dot4_i32_iu8 v129, v3, v181, v129 neg_lo:[1,1,0]
	v_dot4_i32_iu8 v188, v3, v183, v0 neg_lo:[1,1,0]
	ds_load_b128 v[0:3], v119 offset:2048
	v_dot4_i32_iu8 v129, v132, v182, v129 neg_lo:[1,1,0]
	s_waitcnt lgkmcnt(0)
	v_dot4_i32_iu8 v137, v0, v23, 0 neg_lo:[1,1,0]
	v_dot4_i32_iu8 v138, v0, v159, 0 neg_lo:[1,1,0]
	v_dot4_i32_iu8 v139, v0, v161, 0 neg_lo:[1,1,0]
	v_dot4_i32_iu8 v0, v0, v163, 0 neg_lo:[1,1,0]
	s_delay_alu instid0(VALU_DEP_4) | instskip(NEXT) | instid1(VALU_DEP_4)
	v_dot4_i32_iu8 v137, v133, v24, v137 neg_lo:[1,1,0]
	v_dot4_i32_iu8 v138, v133, v160, v138 neg_lo:[1,1,0]
	s_delay_alu instid0(VALU_DEP_4) | instskip(NEXT) | instid1(VALU_DEP_4)
	v_dot4_i32_iu8 v139, v133, v162, v139 neg_lo:[1,1,0]
	v_dot4_i32_iu8 v0, v133, v164, v0 neg_lo:[1,1,0]
	s_delay_alu instid0(VALU_DEP_4) | instskip(NEXT) | instid1(VALU_DEP_4)
	v_dot4_i32_iu8 v133, v1, v157, v137 neg_lo:[1,1,0]
	v_dot4_i32_iu8 v137, v1, v165, v138 neg_lo:[1,1,0]
	s_delay_alu instid0(VALU_DEP_4) | instskip(NEXT) | instid1(VALU_DEP_4)
	v_dot4_i32_iu8 v138, v1, v167, v139 neg_lo:[1,1,0]
	v_dot4_i32_iu8 v0, v1, v169, v0 neg_lo:[1,1,0]
	s_delay_alu instid0(VALU_DEP_4) | instskip(NEXT) | instid1(VALU_DEP_4)
	v_dot4_i32_iu8 v1, v134, v158, v133 neg_lo:[1,1,0]
	v_dot4_i32_iu8 v133, v134, v166, v137 neg_lo:[1,1,0]
	s_delay_alu instid0(VALU_DEP_4) | instskip(NEXT) | instid1(VALU_DEP_4)
	v_dot4_i32_iu8 v137, v134, v168, v138 neg_lo:[1,1,0]
	v_dot4_i32_iu8 v0, v134, v170, v0 neg_lo:[1,1,0]
	s_delay_alu instid0(VALU_DEP_4) | instskip(NEXT) | instid1(VALU_DEP_4)
	v_dot4_i32_iu8 v1, v2, v171, v1 neg_lo:[1,1,0]
	v_dot4_i32_iu8 v133, v2, v125, v133 neg_lo:[1,1,0]
	s_delay_alu instid0(VALU_DEP_4) | instskip(NEXT) | instid1(VALU_DEP_4)
	v_dot4_i32_iu8 v134, v2, v173, v137 neg_lo:[1,1,0]
	v_dot4_i32_iu8 v0, v2, v175, v0 neg_lo:[1,1,0]
	ds_load_b128 v[137:140], v119 offset:3088
	v_dot4_i32_iu8 v1, v135, v172, v1 neg_lo:[1,1,0]
	v_dot4_i32_iu8 v2, v135, v126, v133 neg_lo:[1,1,0]
	v_dot4_i32_iu8 v133, v135, v174, v134 neg_lo:[1,1,0]
	v_dot4_i32_iu8 v0, v135, v176, v0 neg_lo:[1,1,0]
	s_delay_alu instid0(VALU_DEP_4) | instskip(NEXT) | instid1(VALU_DEP_4)
	v_dot4_i32_iu8 v134, v3, v177, v1 neg_lo:[1,1,0]
	v_dot4_i32_iu8 v135, v3, v179, v2 neg_lo:[1,1,0]
	s_delay_alu instid0(VALU_DEP_4) | instskip(NEXT) | instid1(VALU_DEP_4)
	v_dot4_i32_iu8 v133, v3, v181, v133 neg_lo:[1,1,0]
	v_dot4_i32_iu8 v189, v3, v183, v0 neg_lo:[1,1,0]
	ds_load_b128 v[0:3], v119 offset:3072
	v_dot4_i32_iu8 v133, v136, v182, v133 neg_lo:[1,1,0]
	s_waitcnt lgkmcnt(0)
	v_dot4_i32_iu8 v141, v0, v23, 0 neg_lo:[1,1,0]
	v_dot4_i32_iu8 v142, v0, v159, 0 neg_lo:[1,1,0]
	v_dot4_i32_iu8 v143, v0, v161, 0 neg_lo:[1,1,0]
	v_dot4_i32_iu8 v0, v0, v163, 0 neg_lo:[1,1,0]
	s_delay_alu instid0(VALU_DEP_4) | instskip(NEXT) | instid1(VALU_DEP_4)
	v_dot4_i32_iu8 v141, v137, v24, v141 neg_lo:[1,1,0]
	v_dot4_i32_iu8 v142, v137, v160, v142 neg_lo:[1,1,0]
	s_delay_alu instid0(VALU_DEP_4) | instskip(NEXT) | instid1(VALU_DEP_4)
	v_dot4_i32_iu8 v143, v137, v162, v143 neg_lo:[1,1,0]
	v_dot4_i32_iu8 v0, v137, v164, v0 neg_lo:[1,1,0]
	s_delay_alu instid0(VALU_DEP_4) | instskip(NEXT) | instid1(VALU_DEP_4)
	v_dot4_i32_iu8 v137, v1, v157, v141 neg_lo:[1,1,0]
	v_dot4_i32_iu8 v141, v1, v165, v142 neg_lo:[1,1,0]
	s_delay_alu instid0(VALU_DEP_4) | instskip(NEXT) | instid1(VALU_DEP_4)
	v_dot4_i32_iu8 v142, v1, v167, v143 neg_lo:[1,1,0]
	v_dot4_i32_iu8 v0, v1, v169, v0 neg_lo:[1,1,0]
	s_delay_alu instid0(VALU_DEP_4) | instskip(NEXT) | instid1(VALU_DEP_4)
	v_dot4_i32_iu8 v1, v138, v158, v137 neg_lo:[1,1,0]
	v_dot4_i32_iu8 v137, v138, v166, v141 neg_lo:[1,1,0]
	s_delay_alu instid0(VALU_DEP_4) | instskip(NEXT) | instid1(VALU_DEP_4)
	v_dot4_i32_iu8 v141, v138, v168, v142 neg_lo:[1,1,0]
	v_dot4_i32_iu8 v0, v138, v170, v0 neg_lo:[1,1,0]
	s_delay_alu instid0(VALU_DEP_4) | instskip(NEXT) | instid1(VALU_DEP_4)
	v_dot4_i32_iu8 v1, v2, v171, v1 neg_lo:[1,1,0]
	v_dot4_i32_iu8 v137, v2, v125, v137 neg_lo:[1,1,0]
	s_delay_alu instid0(VALU_DEP_4) | instskip(NEXT) | instid1(VALU_DEP_4)
	v_dot4_i32_iu8 v138, v2, v173, v141 neg_lo:[1,1,0]
	v_dot4_i32_iu8 v0, v2, v175, v0 neg_lo:[1,1,0]
	ds_load_b128 v[141:144], v119 offset:4112
	v_dot4_i32_iu8 v1, v139, v172, v1 neg_lo:[1,1,0]
	v_dot4_i32_iu8 v2, v139, v126, v137 neg_lo:[1,1,0]
	v_dot4_i32_iu8 v137, v139, v174, v138 neg_lo:[1,1,0]
	v_dot4_i32_iu8 v0, v139, v176, v0 neg_lo:[1,1,0]
	s_delay_alu instid0(VALU_DEP_4) | instskip(NEXT) | instid1(VALU_DEP_4)
	v_dot4_i32_iu8 v138, v3, v177, v1 neg_lo:[1,1,0]
	v_dot4_i32_iu8 v139, v3, v179, v2 neg_lo:[1,1,0]
	s_delay_alu instid0(VALU_DEP_4) | instskip(NEXT) | instid1(VALU_DEP_4)
	v_dot4_i32_iu8 v137, v3, v181, v137 neg_lo:[1,1,0]
	v_dot4_i32_iu8 v190, v3, v183, v0 neg_lo:[1,1,0]
	ds_load_b128 v[0:3], v119 offset:4096
	v_dot4_i32_iu8 v137, v140, v182, v137 neg_lo:[1,1,0]
	s_waitcnt lgkmcnt(0)
	v_dot4_i32_iu8 v145, v0, v23, 0 neg_lo:[1,1,0]
	v_dot4_i32_iu8 v146, v0, v159, 0 neg_lo:[1,1,0]
	v_dot4_i32_iu8 v147, v0, v161, 0 neg_lo:[1,1,0]
	v_dot4_i32_iu8 v0, v0, v163, 0 neg_lo:[1,1,0]
	s_delay_alu instid0(VALU_DEP_4) | instskip(NEXT) | instid1(VALU_DEP_4)
	v_dot4_i32_iu8 v145, v141, v24, v145 neg_lo:[1,1,0]
	v_dot4_i32_iu8 v146, v141, v160, v146 neg_lo:[1,1,0]
	s_delay_alu instid0(VALU_DEP_4) | instskip(NEXT) | instid1(VALU_DEP_4)
	v_dot4_i32_iu8 v147, v141, v162, v147 neg_lo:[1,1,0]
	v_dot4_i32_iu8 v0, v141, v164, v0 neg_lo:[1,1,0]
	s_delay_alu instid0(VALU_DEP_4) | instskip(NEXT) | instid1(VALU_DEP_4)
	v_dot4_i32_iu8 v141, v1, v157, v145 neg_lo:[1,1,0]
	v_dot4_i32_iu8 v145, v1, v165, v146 neg_lo:[1,1,0]
	s_delay_alu instid0(VALU_DEP_4) | instskip(NEXT) | instid1(VALU_DEP_4)
	v_dot4_i32_iu8 v146, v1, v167, v147 neg_lo:[1,1,0]
	v_dot4_i32_iu8 v0, v1, v169, v0 neg_lo:[1,1,0]
	s_delay_alu instid0(VALU_DEP_4) | instskip(NEXT) | instid1(VALU_DEP_4)
	v_dot4_i32_iu8 v1, v142, v158, v141 neg_lo:[1,1,0]
	v_dot4_i32_iu8 v141, v142, v166, v145 neg_lo:[1,1,0]
	s_delay_alu instid0(VALU_DEP_4) | instskip(NEXT) | instid1(VALU_DEP_4)
	v_dot4_i32_iu8 v145, v142, v168, v146 neg_lo:[1,1,0]
	v_dot4_i32_iu8 v0, v142, v170, v0 neg_lo:[1,1,0]
	s_delay_alu instid0(VALU_DEP_4) | instskip(NEXT) | instid1(VALU_DEP_4)
	v_dot4_i32_iu8 v1, v2, v171, v1 neg_lo:[1,1,0]
	v_dot4_i32_iu8 v141, v2, v125, v141 neg_lo:[1,1,0]
	s_delay_alu instid0(VALU_DEP_4) | instskip(NEXT) | instid1(VALU_DEP_4)
	v_dot4_i32_iu8 v142, v2, v173, v145 neg_lo:[1,1,0]
	v_dot4_i32_iu8 v0, v2, v175, v0 neg_lo:[1,1,0]
	ds_load_b128 v[145:148], v119 offset:5136
	v_dot4_i32_iu8 v1, v143, v172, v1 neg_lo:[1,1,0]
	v_dot4_i32_iu8 v2, v143, v126, v141 neg_lo:[1,1,0]
	v_dot4_i32_iu8 v141, v143, v174, v142 neg_lo:[1,1,0]
	v_dot4_i32_iu8 v0, v143, v176, v0 neg_lo:[1,1,0]
	s_delay_alu instid0(VALU_DEP_4) | instskip(NEXT) | instid1(VALU_DEP_4)
	v_dot4_i32_iu8 v142, v3, v177, v1 neg_lo:[1,1,0]
	v_dot4_i32_iu8 v143, v3, v179, v2 neg_lo:[1,1,0]
	s_delay_alu instid0(VALU_DEP_4) | instskip(NEXT) | instid1(VALU_DEP_4)
	v_dot4_i32_iu8 v141, v3, v181, v141 neg_lo:[1,1,0]
	v_dot4_i32_iu8 v191, v3, v183, v0 neg_lo:[1,1,0]
	ds_load_b128 v[0:3], v119 offset:5120
	v_dot4_i32_iu8 v141, v144, v182, v141 neg_lo:[1,1,0]
	s_waitcnt lgkmcnt(0)
	v_dot4_i32_iu8 v149, v0, v23, 0 neg_lo:[1,1,0]
	v_dot4_i32_iu8 v150, v0, v159, 0 neg_lo:[1,1,0]
	v_dot4_i32_iu8 v151, v0, v161, 0 neg_lo:[1,1,0]
	v_dot4_i32_iu8 v0, v0, v163, 0 neg_lo:[1,1,0]
	s_delay_alu instid0(VALU_DEP_4) | instskip(NEXT) | instid1(VALU_DEP_4)
	v_dot4_i32_iu8 v149, v145, v24, v149 neg_lo:[1,1,0]
	v_dot4_i32_iu8 v150, v145, v160, v150 neg_lo:[1,1,0]
	s_delay_alu instid0(VALU_DEP_4) | instskip(NEXT) | instid1(VALU_DEP_4)
	v_dot4_i32_iu8 v151, v145, v162, v151 neg_lo:[1,1,0]
	v_dot4_i32_iu8 v0, v145, v164, v0 neg_lo:[1,1,0]
	s_delay_alu instid0(VALU_DEP_4) | instskip(NEXT) | instid1(VALU_DEP_4)
	v_dot4_i32_iu8 v145, v1, v157, v149 neg_lo:[1,1,0]
	v_dot4_i32_iu8 v149, v1, v165, v150 neg_lo:[1,1,0]
	s_delay_alu instid0(VALU_DEP_4) | instskip(NEXT) | instid1(VALU_DEP_4)
	v_dot4_i32_iu8 v150, v1, v167, v151 neg_lo:[1,1,0]
	v_dot4_i32_iu8 v0, v1, v169, v0 neg_lo:[1,1,0]
	s_delay_alu instid0(VALU_DEP_4) | instskip(NEXT) | instid1(VALU_DEP_4)
	v_dot4_i32_iu8 v1, v146, v158, v145 neg_lo:[1,1,0]
	v_dot4_i32_iu8 v145, v146, v166, v149 neg_lo:[1,1,0]
	s_delay_alu instid0(VALU_DEP_4) | instskip(NEXT) | instid1(VALU_DEP_4)
	v_dot4_i32_iu8 v149, v146, v168, v150 neg_lo:[1,1,0]
	v_dot4_i32_iu8 v0, v146, v170, v0 neg_lo:[1,1,0]
	s_delay_alu instid0(VALU_DEP_4) | instskip(NEXT) | instid1(VALU_DEP_4)
	v_dot4_i32_iu8 v1, v2, v171, v1 neg_lo:[1,1,0]
	v_dot4_i32_iu8 v145, v2, v125, v145 neg_lo:[1,1,0]
	s_delay_alu instid0(VALU_DEP_4) | instskip(NEXT) | instid1(VALU_DEP_4)
	v_dot4_i32_iu8 v146, v2, v173, v149 neg_lo:[1,1,0]
	v_dot4_i32_iu8 v0, v2, v175, v0 neg_lo:[1,1,0]
	ds_load_b128 v[149:152], v119 offset:6160
	v_dot4_i32_iu8 v1, v147, v172, v1 neg_lo:[1,1,0]
	v_dot4_i32_iu8 v2, v147, v126, v145 neg_lo:[1,1,0]
	v_dot4_i32_iu8 v145, v147, v174, v146 neg_lo:[1,1,0]
	v_dot4_i32_iu8 v0, v147, v176, v0 neg_lo:[1,1,0]
	s_delay_alu instid0(VALU_DEP_4) | instskip(NEXT) | instid1(VALU_DEP_4)
	v_dot4_i32_iu8 v146, v3, v177, v1 neg_lo:[1,1,0]
	v_dot4_i32_iu8 v147, v3, v179, v2 neg_lo:[1,1,0]
	s_delay_alu instid0(VALU_DEP_4) | instskip(NEXT) | instid1(VALU_DEP_4)
	v_dot4_i32_iu8 v145, v3, v181, v145 neg_lo:[1,1,0]
	v_dot4_i32_iu8 v192, v3, v183, v0 neg_lo:[1,1,0]
	ds_load_b128 v[0:3], v119 offset:6144
	v_dot4_i32_iu8 v145, v148, v182, v145 neg_lo:[1,1,0]
	s_waitcnt lgkmcnt(0)
	v_dot4_i32_iu8 v153, v0, v23, 0 neg_lo:[1,1,0]
	v_dot4_i32_iu8 v154, v0, v159, 0 neg_lo:[1,1,0]
	;; [unrolled: 1-line block ×4, first 2 shown]
	s_delay_alu instid0(VALU_DEP_4) | instskip(NEXT) | instid1(VALU_DEP_4)
	v_dot4_i32_iu8 v153, v149, v24, v153 neg_lo:[1,1,0]
	v_dot4_i32_iu8 v154, v149, v160, v154 neg_lo:[1,1,0]
	s_delay_alu instid0(VALU_DEP_4) | instskip(NEXT) | instid1(VALU_DEP_4)
	v_dot4_i32_iu8 v155, v149, v162, v155 neg_lo:[1,1,0]
	v_dot4_i32_iu8 v0, v149, v164, v0 neg_lo:[1,1,0]
	;; [unrolled: 3-line block ×8, first 2 shown]
	ds_load_b128 v[153:156], v119 offset:7184
	v_dot4_i32_iu8 v1, v151, v172, v1 neg_lo:[1,1,0]
	v_dot4_i32_iu8 v2, v151, v126, v149 neg_lo:[1,1,0]
	;; [unrolled: 1-line block ×4, first 2 shown]
	s_delay_alu instid0(VALU_DEP_4) | instskip(NEXT) | instid1(VALU_DEP_4)
	v_dot4_i32_iu8 v150, v3, v177, v1 neg_lo:[1,1,0]
	v_dot4_i32_iu8 v151, v3, v179, v2 neg_lo:[1,1,0]
	s_delay_alu instid0(VALU_DEP_4) | instskip(NEXT) | instid1(VALU_DEP_4)
	v_dot4_i32_iu8 v149, v3, v181, v149 neg_lo:[1,1,0]
	v_dot4_i32_iu8 v193, v3, v183, v0 neg_lo:[1,1,0]
	ds_load_b128 v[0:3], v119 offset:7168
	v_add_nc_u32_e32 v119, 32, v119
	v_dot4_i32_iu8 v149, v152, v182, v149 neg_lo:[1,1,0]
	s_waitcnt lgkmcnt(0)
	v_dot4_i32_iu8 v23, v0, v23, 0 neg_lo:[1,1,0]
	s_delay_alu instid0(VALU_DEP_1) | instskip(SKIP_3) | instid1(VALU_DEP_4)
	v_dot4_i32_iu8 v23, v153, v24, v23 neg_lo:[1,1,0]
	v_dot4_i32_iu8 v24, v0, v159, 0 neg_lo:[1,1,0]
	v_dot4_i32_iu8 v159, v0, v161, 0 neg_lo:[1,1,0]
	v_dot4_i32_iu8 v0, v0, v163, 0 neg_lo:[1,1,0]
	v_dot4_i32_iu8 v23, v1, v157, v23 neg_lo:[1,1,0]
	s_delay_alu instid0(VALU_DEP_4) | instskip(NEXT) | instid1(VALU_DEP_4)
	v_dot4_i32_iu8 v24, v153, v160, v24 neg_lo:[1,1,0]
	v_dot4_i32_iu8 v159, v153, v162, v159 neg_lo:[1,1,0]
	s_delay_alu instid0(VALU_DEP_4) | instskip(NEXT) | instid1(VALU_DEP_4)
	v_dot4_i32_iu8 v0, v153, v164, v0 neg_lo:[1,1,0]
	v_dot4_i32_iu8 v23, v154, v158, v23 neg_lo:[1,1,0]
	s_delay_alu instid0(VALU_DEP_4) | instskip(NEXT) | instid1(VALU_DEP_4)
	v_dot4_i32_iu8 v24, v1, v165, v24 neg_lo:[1,1,0]
	v_dot4_i32_iu8 v153, v1, v167, v159 neg_lo:[1,1,0]
	s_delay_alu instid0(VALU_DEP_4) | instskip(NEXT) | instid1(VALU_DEP_4)
	v_dot4_i32_iu8 v0, v1, v169, v0 neg_lo:[1,1,0]
	v_dot4_i32_iu8 v1, v2, v171, v23 neg_lo:[1,1,0]
	s_delay_alu instid0(VALU_DEP_4) | instskip(NEXT) | instid1(VALU_DEP_4)
	v_dot4_i32_iu8 v24, v154, v166, v24 neg_lo:[1,1,0]
	v_dot4_i32_iu8 v153, v154, v168, v153 neg_lo:[1,1,0]
	s_delay_alu instid0(VALU_DEP_4) | instskip(NEXT) | instid1(VALU_DEP_4)
	v_dot4_i32_iu8 v0, v154, v170, v0 neg_lo:[1,1,0]
	v_dot4_i32_iu8 v1, v155, v172, v1 neg_lo:[1,1,0]
	s_delay_alu instid0(VALU_DEP_4) | instskip(NEXT) | instid1(VALU_DEP_4)
	v_dot4_i32_iu8 v23, v2, v125, v24 neg_lo:[1,1,0]
	v_dot4_i32_iu8 v24, v2, v173, v153 neg_lo:[1,1,0]
	s_delay_alu instid0(VALU_DEP_4)
	v_dot4_i32_iu8 v0, v2, v175, v0 neg_lo:[1,1,0]
	v_dot4_i32_iu8 v125, v182, v128, v186 neg_lo:[1,1,0]
	;; [unrolled: 1-line block ×7, first 2 shown]
	s_delay_alu instid0(VALU_DEP_4) | instskip(NEXT) | instid1(VALU_DEP_4)
	v_dot4_i32_iu8 v2, v3, v179, v23 neg_lo:[1,1,0]
	v_dot4_i32_iu8 v23, v3, v181, v24 neg_lo:[1,1,0]
	s_delay_alu instid0(VALU_DEP_4)
	v_dot4_i32_iu8 v0, v3, v183, v0 neg_lo:[1,1,0]
	v_dot4_i32_iu8 v3, v178, v128, v185 neg_lo:[1,1,0]
	;; [unrolled: 1-line block ×25, first 2 shown]
	ds_load_b32 v153, v121
	ds_load_b32 v154, v122
	ds_load_b32 v155, v123
	ds_load_b32 v156, v124
	ds_load_2addr_b32 v[0:1], v118 offset1:32
	v_cvt_f32_i32_e32 v3, v3
	v_add_nc_u32_e32 v124, 4, v124
	v_add_nc_u32_e32 v123, 4, v123
	;; [unrolled: 1-line block ×4, first 2 shown]
	s_waitcnt lgkmcnt(0)
	v_mul_f32_e32 v157, v0, v153
	v_mul_f32_e32 v158, v0, v154
	;; [unrolled: 1-line block ×3, first 2 shown]
	v_dual_mul_f32 v160, v0, v156 :: v_dual_mul_f32 v163, v155, v1
	v_mul_f32_e32 v161, v153, v1
	v_mul_f32_e32 v162, v154, v1
	;; [unrolled: 1-line block ×3, first 2 shown]
	ds_load_2addr_b32 v[0:1], v118 offset0:64 offset1:96
	v_fmac_f32_e32 v45, v157, v3
	v_cvt_f32_i32_e32 v3, v127
	s_delay_alu instid0(VALU_DEP_1)
	v_fmac_f32_e32 v68, v161, v3
	v_cvt_f32_i32_e32 v3, v131
	s_waitcnt lgkmcnt(0)
	v_mul_f32_e32 v165, v153, v0
	v_dual_mul_f32 v166, v154, v0 :: v_dual_mul_f32 v169, v153, v1
	v_mul_f32_e32 v167, v155, v0
	v_dual_mul_f32 v168, v156, v0 :: v_dual_mul_f32 v171, v155, v1
	v_mul_f32_e32 v170, v154, v1
	v_mul_f32_e32 v172, v156, v1
	ds_load_2addr_b32 v[0:1], v118 offset0:128 offset1:160
	s_waitcnt lgkmcnt(0)
	v_mul_f32_e32 v173, v153, v0
	v_dual_mul_f32 v174, v154, v0 :: v_dual_mul_f32 v177, v153, v1
	v_mul_f32_e32 v175, v155, v0
	v_dual_mul_f32 v176, v156, v0 :: v_dual_mul_f32 v179, v155, v1
	v_mul_f32_e32 v178, v154, v1
	v_mul_f32_e32 v180, v156, v1
	ds_load_2addr_b32 v[0:1], v118 offset0:192 offset1:224
	s_waitcnt lgkmcnt(0)
	v_dual_mul_f32 v181, v153, v0 :: v_dual_add_nc_u32 v118, 4, v118
	v_dual_mul_f32 v153, v153, v1 :: v_dual_mul_f32 v182, v154, v0
	v_mul_f32_e32 v154, v154, v1
	v_fmac_f32_e32 v58, v165, v3
	v_cvt_f32_i32_e32 v3, v135
	s_delay_alu instid0(VALU_DEP_1) | instskip(SKIP_1) | instid1(VALU_DEP_1)
	v_fmac_f32_e32 v47, v169, v3
	v_cvt_f32_i32_e32 v3, v139
	v_fmac_f32_e32 v40, v173, v3
	v_cvt_f32_i32_e32 v3, v143
	s_delay_alu instid0(VALU_DEP_1) | instskip(SKIP_3) | instid1(VALU_DEP_3)
	v_fmac_f32_e32 v36, v177, v3
	v_cvt_f32_i32_e32 v3, v147
	v_mul_f32_e32 v183, v155, v0
	v_dual_mul_f32 v155, v155, v1 :: v_dual_mul_f32 v0, v156, v0
	v_fmac_f32_e32 v32, v181, v3
	v_cvt_f32_i32_e32 v3, v151
	s_delay_alu instid0(VALU_DEP_1) | instskip(SKIP_1) | instid1(VALU_DEP_1)
	v_dual_mul_f32 v1, v156, v1 :: v_dual_fmac_f32 v28, v153, v3
	v_cvt_f32_i32_e32 v3, v24
	v_fmac_f32_e32 v76, v158, v3
	v_cvt_f32_i32_e32 v3, v125
	s_delay_alu instid0(VALU_DEP_1) | instskip(SKIP_1) | instid1(VALU_DEP_1)
	v_fmac_f32_e32 v71, v159, v3
	v_cvt_f32_i32_e32 v3, v126
	v_fmac_f32_e32 v70, v160, v3
	v_cvt_f32_i32_e32 v3, v128
	s_delay_alu instid0(VALU_DEP_1) | instskip(SKIP_1) | instid1(VALU_DEP_1)
	v_fmac_f32_e32 v67, v162, v3
	;; [unrolled: 5-line block ×11, first 2 shown]
	v_cvt_f32_i32_e32 v0, v23
	v_fmac_f32_e32 v26, v155, v0
	v_cvt_f32_i32_e32 v0, v152
	s_delay_alu instid0(VALU_DEP_1)
	v_fmac_f32_e32 v25, v1, v0
	s_cbranch_scc1 .LBB162_10
; %bb.11:                               ;   in Loop: Header=BB162_6 Depth=1
	s_barrier
	buffer_gl0_inv
	s_branch .LBB162_5
.LBB162_12:
	v_dual_mov_b32 v1, v42 :: v_dual_mov_b32 v0, v43
.LBB162_13:
	s_mov_b32 s0, exec_lo
	v_cmpx_gt_u32_e64 s6, v51
	s_cbranch_execz .LBB162_64
; %bb.14:
	s_delay_alu instid0(VALU_DEP_2) | instskip(SKIP_1) | instid1(VALU_DEP_2)
	v_add_nc_u32_e32 v0, s12, v0
	v_mul_lo_u32 v5, v51, s10
	v_cmp_gt_u32_e32 vcc_lo, s10, v0
	s_and_saveexec_b32 s1, vcc_lo
	s_cbranch_execz .LBB162_16
; %bb.15:
	v_bfe_u32 v3, v45, 16, 1
	s_delay_alu instid0(VALU_DEP_3) | instskip(SKIP_1) | instid1(VALU_DEP_3)
	v_add_nc_u32_e32 v2, v0, v5
	v_cmp_o_f32_e64 s0, v45, v45
	v_add3_u32 v4, v45, v3, 0x7fff
	v_mov_b32_e32 v3, 0
	s_delay_alu instid0(VALU_DEP_2) | instskip(NEXT) | instid1(VALU_DEP_2)
	v_lshrrev_b32_e32 v4, 16, v4
	v_lshlrev_b64 v[2:3], 1, v[2:3]
	s_delay_alu instid0(VALU_DEP_2) | instskip(SKIP_1) | instid1(VALU_DEP_2)
	v_cndmask_b32_e64 v4, 0x7fc0, v4, s0
	s_waitcnt lgkmcnt(0)
	v_add_co_u32 v2, s0, s8, v2
	s_delay_alu instid0(VALU_DEP_1)
	v_add_co_ci_u32_e64 v3, s0, s9, v3, s0
	global_store_b16 v[2:3], v4, off
.LBB162_16:
	s_or_b32 exec_lo, exec_lo, s1
	v_add_nc_u32_e32 v2, 32, v0
	s_delay_alu instid0(VALU_DEP_1) | instskip(NEXT) | instid1(VALU_DEP_1)
	v_cmp_gt_u32_e64 s0, s10, v2
	s_and_saveexec_b32 s2, s0
	s_cbranch_execz .LBB162_18
; %bb.17:
	v_bfe_u32 v4, v76, 16, 1
	v_add_nc_u32_e32 v3, v2, v5
	v_cmp_o_f32_e64 s1, v76, v76
	s_delay_alu instid0(VALU_DEP_3) | instskip(SKIP_1) | instid1(VALU_DEP_2)
	v_add3_u32 v6, v76, v4, 0x7fff
	v_mov_b32_e32 v4, 0
	v_lshrrev_b32_e32 v6, 16, v6
	s_delay_alu instid0(VALU_DEP_2) | instskip(NEXT) | instid1(VALU_DEP_2)
	v_lshlrev_b64 v[3:4], 1, v[3:4]
	v_cndmask_b32_e64 v6, 0x7fc0, v6, s1
	s_waitcnt lgkmcnt(0)
	s_delay_alu instid0(VALU_DEP_2) | instskip(NEXT) | instid1(VALU_DEP_1)
	v_add_co_u32 v3, s1, s8, v3
	v_add_co_ci_u32_e64 v4, s1, s9, v4, s1
	global_store_b16 v[3:4], v6, off
.LBB162_18:
	s_or_b32 exec_lo, exec_lo, s2
	v_add_nc_u32_e32 v3, 64, v0
	s_delay_alu instid0(VALU_DEP_1) | instskip(NEXT) | instid1(VALU_DEP_1)
	v_cmp_gt_u32_e64 s1, s10, v3
	s_and_saveexec_b32 s3, s1
	s_cbranch_execz .LBB162_20
; %bb.19:
	v_bfe_u32 v4, v71, 16, 1
	v_dual_mov_b32 v7, 0 :: v_dual_add_nc_u32 v6, v3, v5
	v_cmp_o_f32_e64 s2, v71, v71
	s_delay_alu instid0(VALU_DEP_3) | instskip(NEXT) | instid1(VALU_DEP_3)
	v_add3_u32 v4, v71, v4, 0x7fff
	v_lshlrev_b64 v[6:7], 1, v[6:7]
	s_delay_alu instid0(VALU_DEP_2) | instskip(NEXT) | instid1(VALU_DEP_1)
	v_lshrrev_b32_e32 v4, 16, v4
	v_cndmask_b32_e64 v4, 0x7fc0, v4, s2
	s_waitcnt lgkmcnt(0)
	s_delay_alu instid0(VALU_DEP_3) | instskip(NEXT) | instid1(VALU_DEP_1)
	v_add_co_u32 v6, s2, s8, v6
	v_add_co_ci_u32_e64 v7, s2, s9, v7, s2
	global_store_b16 v[6:7], v4, off
.LBB162_20:
	s_or_b32 exec_lo, exec_lo, s3
	v_add_nc_u32_e32 v4, 0x60, v0
	s_delay_alu instid0(VALU_DEP_1) | instskip(NEXT) | instid1(VALU_DEP_1)
	v_cmp_gt_u32_e64 s2, s10, v4
	s_and_saveexec_b32 s4, s2
	s_cbranch_execz .LBB162_22
; %bb.21:
	v_bfe_u32 v6, v70, 16, 1
	v_add_nc_u32_e32 v5, v4, v5
	v_cmp_o_f32_e64 s3, v70, v70
	s_delay_alu instid0(VALU_DEP_3) | instskip(SKIP_1) | instid1(VALU_DEP_2)
	v_add3_u32 v7, v70, v6, 0x7fff
	v_mov_b32_e32 v6, 0
	v_lshrrev_b32_e32 v7, 16, v7
	s_delay_alu instid0(VALU_DEP_2) | instskip(NEXT) | instid1(VALU_DEP_2)
	v_lshlrev_b64 v[5:6], 1, v[5:6]
	v_cndmask_b32_e64 v7, 0x7fc0, v7, s3
	s_waitcnt lgkmcnt(0)
	s_delay_alu instid0(VALU_DEP_2) | instskip(NEXT) | instid1(VALU_DEP_1)
	v_add_co_u32 v5, s3, s8, v5
	v_add_co_ci_u32_e64 v6, s3, s9, v6, s3
	global_store_b16 v[5:6], v7, off
.LBB162_22:
	s_or_b32 exec_lo, exec_lo, s4
	v_add3_u32 v5, v1, s11, 8
	s_delay_alu instid0(VALU_DEP_1) | instskip(NEXT) | instid1(VALU_DEP_1)
	v_cmp_gt_u32_e64 s3, s6, v5
	s_and_b32 exec_lo, exec_lo, s3
	s_cbranch_execz .LBB162_64
; %bb.23:
	v_mul_lo_u32 v5, v5, s10
	s_and_saveexec_b32 s4, vcc_lo
	s_cbranch_execnz .LBB162_65
; %bb.24:
	s_or_b32 exec_lo, exec_lo, s4
	s_and_saveexec_b32 s4, s0
	s_cbranch_execnz .LBB162_66
.LBB162_25:
	s_or_b32 exec_lo, exec_lo, s4
	s_and_saveexec_b32 s4, s1
	s_cbranch_execnz .LBB162_67
.LBB162_26:
	s_or_b32 exec_lo, exec_lo, s4
	s_and_saveexec_b32 s4, s2
	s_cbranch_execz .LBB162_28
.LBB162_27:
	v_bfe_u32 v6, v63, 16, 1
	v_add_nc_u32_e32 v5, v5, v4
	v_cmp_o_f32_e64 s3, v63, v63
	s_delay_alu instid0(VALU_DEP_3) | instskip(SKIP_1) | instid1(VALU_DEP_2)
	v_add3_u32 v7, v63, v6, 0x7fff
	v_mov_b32_e32 v6, 0
	v_lshrrev_b32_e32 v7, 16, v7
	s_delay_alu instid0(VALU_DEP_2) | instskip(NEXT) | instid1(VALU_DEP_2)
	v_lshlrev_b64 v[5:6], 1, v[5:6]
	v_cndmask_b32_e64 v7, 0x7fc0, v7, s3
	s_waitcnt lgkmcnt(0)
	s_delay_alu instid0(VALU_DEP_2) | instskip(NEXT) | instid1(VALU_DEP_1)
	v_add_co_u32 v5, s3, s8, v5
	v_add_co_ci_u32_e64 v6, s3, s9, v6, s3
	global_store_b16 v[5:6], v7, off
.LBB162_28:
	s_or_b32 exec_lo, exec_lo, s4
	v_add3_u32 v5, v1, s11, 16
	s_delay_alu instid0(VALU_DEP_1) | instskip(NEXT) | instid1(VALU_DEP_1)
	v_cmp_gt_u32_e64 s3, s6, v5
	s_and_b32 exec_lo, exec_lo, s3
	s_cbranch_execz .LBB162_64
; %bb.29:
	v_mul_lo_u32 v5, v5, s10
	s_and_saveexec_b32 s4, vcc_lo
	s_cbranch_execnz .LBB162_68
; %bb.30:
	s_or_b32 exec_lo, exec_lo, s4
	s_and_saveexec_b32 s4, s0
	s_cbranch_execnz .LBB162_69
.LBB162_31:
	s_or_b32 exec_lo, exec_lo, s4
	s_and_saveexec_b32 s4, s1
	s_cbranch_execnz .LBB162_70
.LBB162_32:
	s_or_b32 exec_lo, exec_lo, s4
	s_and_saveexec_b32 s4, s2
	s_cbranch_execz .LBB162_34
.LBB162_33:
	v_bfe_u32 v6, v48, 16, 1
	v_add_nc_u32_e32 v5, v5, v4
	v_cmp_o_f32_e64 s3, v48, v48
	s_delay_alu instid0(VALU_DEP_3) | instskip(SKIP_1) | instid1(VALU_DEP_2)
	v_add3_u32 v7, v48, v6, 0x7fff
	v_mov_b32_e32 v6, 0
	v_lshrrev_b32_e32 v7, 16, v7
	s_delay_alu instid0(VALU_DEP_2) | instskip(NEXT) | instid1(VALU_DEP_2)
	v_lshlrev_b64 v[5:6], 1, v[5:6]
	v_cndmask_b32_e64 v7, 0x7fc0, v7, s3
	s_waitcnt lgkmcnt(0)
	s_delay_alu instid0(VALU_DEP_2) | instskip(NEXT) | instid1(VALU_DEP_1)
	v_add_co_u32 v5, s3, s8, v5
	v_add_co_ci_u32_e64 v6, s3, s9, v6, s3
	global_store_b16 v[5:6], v7, off
.LBB162_34:
	s_or_b32 exec_lo, exec_lo, s4
	v_add3_u32 v5, v1, s11, 24
	s_delay_alu instid0(VALU_DEP_1) | instskip(NEXT) | instid1(VALU_DEP_1)
	v_cmp_gt_u32_e64 s3, s6, v5
	s_and_b32 exec_lo, exec_lo, s3
	s_cbranch_execz .LBB162_64
; %bb.35:
	v_mul_lo_u32 v5, v5, s10
	s_and_saveexec_b32 s4, vcc_lo
	s_cbranch_execnz .LBB162_71
; %bb.36:
	s_or_b32 exec_lo, exec_lo, s4
	s_and_saveexec_b32 s4, s0
	s_cbranch_execnz .LBB162_72
.LBB162_37:
	s_or_b32 exec_lo, exec_lo, s4
	s_and_saveexec_b32 s4, s1
	s_cbranch_execnz .LBB162_73
.LBB162_38:
	s_or_b32 exec_lo, exec_lo, s4
	s_and_saveexec_b32 s4, s2
	s_cbranch_execz .LBB162_40
.LBB162_39:
	v_bfe_u32 v6, v41, 16, 1
	v_add_nc_u32_e32 v5, v5, v4
	v_cmp_o_f32_e64 s3, v41, v41
	s_delay_alu instid0(VALU_DEP_3) | instskip(SKIP_1) | instid1(VALU_DEP_2)
	v_add3_u32 v7, v41, v6, 0x7fff
	v_mov_b32_e32 v6, 0
	v_lshrrev_b32_e32 v7, 16, v7
	s_delay_alu instid0(VALU_DEP_2) | instskip(NEXT) | instid1(VALU_DEP_2)
	v_lshlrev_b64 v[5:6], 1, v[5:6]
	v_cndmask_b32_e64 v7, 0x7fc0, v7, s3
	s_waitcnt lgkmcnt(0)
	s_delay_alu instid0(VALU_DEP_2) | instskip(NEXT) | instid1(VALU_DEP_1)
	v_add_co_u32 v5, s3, s8, v5
	v_add_co_ci_u32_e64 v6, s3, s9, v6, s3
	global_store_b16 v[5:6], v7, off
.LBB162_40:
	s_or_b32 exec_lo, exec_lo, s4
	v_add3_u32 v5, v1, s11, 32
	s_delay_alu instid0(VALU_DEP_1) | instskip(NEXT) | instid1(VALU_DEP_1)
	v_cmp_gt_u32_e64 s3, s6, v5
	s_and_b32 exec_lo, exec_lo, s3
	s_cbranch_execz .LBB162_64
; %bb.41:
	v_mul_lo_u32 v5, v5, s10
	s_and_saveexec_b32 s4, vcc_lo
	s_cbranch_execnz .LBB162_74
; %bb.42:
	s_or_b32 exec_lo, exec_lo, s4
	s_and_saveexec_b32 s4, s0
	s_cbranch_execnz .LBB162_75
.LBB162_43:
	s_or_b32 exec_lo, exec_lo, s4
	s_and_saveexec_b32 s4, s1
	s_cbranch_execnz .LBB162_76
.LBB162_44:
	s_or_b32 exec_lo, exec_lo, s4
	s_and_saveexec_b32 s4, s2
	s_cbranch_execz .LBB162_46
.LBB162_45:
	v_bfe_u32 v6, v37, 16, 1
	v_add_nc_u32_e32 v5, v5, v4
	v_cmp_o_f32_e64 s3, v37, v37
	s_delay_alu instid0(VALU_DEP_3) | instskip(SKIP_1) | instid1(VALU_DEP_2)
	v_add3_u32 v7, v37, v6, 0x7fff
	v_mov_b32_e32 v6, 0
	v_lshrrev_b32_e32 v7, 16, v7
	s_delay_alu instid0(VALU_DEP_2) | instskip(NEXT) | instid1(VALU_DEP_2)
	v_lshlrev_b64 v[5:6], 1, v[5:6]
	v_cndmask_b32_e64 v7, 0x7fc0, v7, s3
	s_waitcnt lgkmcnt(0)
	s_delay_alu instid0(VALU_DEP_2) | instskip(NEXT) | instid1(VALU_DEP_1)
	v_add_co_u32 v5, s3, s8, v5
	v_add_co_ci_u32_e64 v6, s3, s9, v6, s3
	global_store_b16 v[5:6], v7, off
.LBB162_46:
	s_or_b32 exec_lo, exec_lo, s4
	v_add3_u32 v5, v1, s11, 40
	s_delay_alu instid0(VALU_DEP_1) | instskip(NEXT) | instid1(VALU_DEP_1)
	v_cmp_gt_u32_e64 s3, s6, v5
	s_and_b32 exec_lo, exec_lo, s3
	s_cbranch_execz .LBB162_64
; %bb.47:
	v_mul_lo_u32 v5, v5, s10
	s_and_saveexec_b32 s4, vcc_lo
	s_cbranch_execnz .LBB162_77
; %bb.48:
	s_or_b32 exec_lo, exec_lo, s4
	s_and_saveexec_b32 s4, s0
	s_cbranch_execnz .LBB162_78
.LBB162_49:
	s_or_b32 exec_lo, exec_lo, s4
	s_and_saveexec_b32 s4, s1
	s_cbranch_execnz .LBB162_79
.LBB162_50:
	s_or_b32 exec_lo, exec_lo, s4
	s_and_saveexec_b32 s4, s2
	s_cbranch_execz .LBB162_52
.LBB162_51:
	v_bfe_u32 v6, v33, 16, 1
	v_add_nc_u32_e32 v5, v5, v4
	v_cmp_o_f32_e64 s3, v33, v33
	s_delay_alu instid0(VALU_DEP_3) | instskip(SKIP_1) | instid1(VALU_DEP_2)
	v_add3_u32 v7, v33, v6, 0x7fff
	v_mov_b32_e32 v6, 0
	v_lshrrev_b32_e32 v7, 16, v7
	s_delay_alu instid0(VALU_DEP_2) | instskip(NEXT) | instid1(VALU_DEP_2)
	v_lshlrev_b64 v[5:6], 1, v[5:6]
	v_cndmask_b32_e64 v7, 0x7fc0, v7, s3
	s_waitcnt lgkmcnt(0)
	s_delay_alu instid0(VALU_DEP_2) | instskip(NEXT) | instid1(VALU_DEP_1)
	v_add_co_u32 v5, s3, s8, v5
	v_add_co_ci_u32_e64 v6, s3, s9, v6, s3
	global_store_b16 v[5:6], v7, off
.LBB162_52:
	s_or_b32 exec_lo, exec_lo, s4
	v_add3_u32 v5, v1, s11, 48
	s_delay_alu instid0(VALU_DEP_1) | instskip(NEXT) | instid1(VALU_DEP_1)
	v_cmp_gt_u32_e64 s3, s6, v5
	s_and_b32 exec_lo, exec_lo, s3
	s_cbranch_execz .LBB162_64
; %bb.53:
	v_mul_lo_u32 v5, v5, s10
	s_and_saveexec_b32 s4, vcc_lo
	s_cbranch_execnz .LBB162_80
; %bb.54:
	s_or_b32 exec_lo, exec_lo, s4
	s_and_saveexec_b32 s4, s0
	s_cbranch_execnz .LBB162_81
.LBB162_55:
	s_or_b32 exec_lo, exec_lo, s4
	s_and_saveexec_b32 s4, s1
	s_cbranch_execnz .LBB162_82
.LBB162_56:
	s_or_b32 exec_lo, exec_lo, s4
	s_and_saveexec_b32 s4, s2
	s_cbranch_execz .LBB162_58
.LBB162_57:
	v_bfe_u32 v6, v29, 16, 1
	v_add_nc_u32_e32 v5, v5, v4
	v_cmp_o_f32_e64 s3, v29, v29
	s_delay_alu instid0(VALU_DEP_3) | instskip(SKIP_1) | instid1(VALU_DEP_2)
	v_add3_u32 v7, v29, v6, 0x7fff
	v_mov_b32_e32 v6, 0
	v_lshrrev_b32_e32 v7, 16, v7
	s_delay_alu instid0(VALU_DEP_2) | instskip(NEXT) | instid1(VALU_DEP_2)
	v_lshlrev_b64 v[5:6], 1, v[5:6]
	v_cndmask_b32_e64 v7, 0x7fc0, v7, s3
	s_waitcnt lgkmcnt(0)
	s_delay_alu instid0(VALU_DEP_2) | instskip(NEXT) | instid1(VALU_DEP_1)
	v_add_co_u32 v5, s3, s8, v5
	v_add_co_ci_u32_e64 v6, s3, s9, v6, s3
	global_store_b16 v[5:6], v7, off
.LBB162_58:
	s_or_b32 exec_lo, exec_lo, s4
	v_add3_u32 v1, v1, s11, 56
	s_delay_alu instid0(VALU_DEP_1) | instskip(NEXT) | instid1(VALU_DEP_1)
	v_cmp_gt_u32_e64 s3, s6, v1
	s_and_b32 exec_lo, exec_lo, s3
	s_cbranch_execz .LBB162_64
; %bb.59:
	v_mul_lo_u32 v1, v1, s10
	s_and_saveexec_b32 s3, vcc_lo
	s_cbranch_execnz .LBB162_83
; %bb.60:
	s_or_b32 exec_lo, exec_lo, s3
	s_and_saveexec_b32 s3, s0
	s_cbranch_execnz .LBB162_84
.LBB162_61:
	s_or_b32 exec_lo, exec_lo, s3
	s_and_saveexec_b32 s0, s1
	s_cbranch_execnz .LBB162_85
.LBB162_62:
	s_or_b32 exec_lo, exec_lo, s0
	s_delay_alu instid0(SALU_CYCLE_1)
	s_and_b32 exec_lo, exec_lo, s2
	s_cbranch_execz .LBB162_64
.LBB162_63:
	v_bfe_u32 v2, v25, 16, 1
	v_dual_mov_b32 v1, 0 :: v_dual_add_nc_u32 v0, v1, v4
	v_cmp_o_f32_e32 vcc_lo, v25, v25
	s_delay_alu instid0(VALU_DEP_3) | instskip(NEXT) | instid1(VALU_DEP_3)
	v_add3_u32 v2, v25, v2, 0x7fff
	v_lshlrev_b64 v[0:1], 1, v[0:1]
	s_delay_alu instid0(VALU_DEP_2) | instskip(NEXT) | instid1(VALU_DEP_1)
	v_lshrrev_b32_e32 v2, 16, v2
	v_cndmask_b32_e32 v2, 0x7fc0, v2, vcc_lo
	s_waitcnt lgkmcnt(0)
	s_delay_alu instid0(VALU_DEP_3) | instskip(NEXT) | instid1(VALU_DEP_4)
	v_add_co_u32 v0, vcc_lo, s8, v0
	v_add_co_ci_u32_e32 v1, vcc_lo, s9, v1, vcc_lo
	global_store_b16 v[0:1], v2, off
.LBB162_64:
	s_nop 0
	s_sendmsg sendmsg(MSG_DEALLOC_VGPRS)
	s_endpgm
.LBB162_65:
	v_bfe_u32 v7, v68, 16, 1
	s_delay_alu instid0(VALU_DEP_2) | instskip(SKIP_1) | instid1(VALU_DEP_3)
	v_add_nc_u32_e32 v6, v5, v0
	v_cmp_o_f32_e64 s3, v68, v68
	v_add3_u32 v8, v68, v7, 0x7fff
	v_mov_b32_e32 v7, 0
	s_delay_alu instid0(VALU_DEP_2) | instskip(NEXT) | instid1(VALU_DEP_2)
	v_lshrrev_b32_e32 v8, 16, v8
	v_lshlrev_b64 v[6:7], 1, v[6:7]
	s_delay_alu instid0(VALU_DEP_2) | instskip(SKIP_1) | instid1(VALU_DEP_2)
	v_cndmask_b32_e64 v8, 0x7fc0, v8, s3
	s_waitcnt lgkmcnt(0)
	v_add_co_u32 v6, s3, s8, v6
	s_delay_alu instid0(VALU_DEP_1)
	v_add_co_ci_u32_e64 v7, s3, s9, v7, s3
	global_store_b16 v[6:7], v8, off
	s_or_b32 exec_lo, exec_lo, s4
	s_and_saveexec_b32 s4, s0
	s_cbranch_execz .LBB162_25
.LBB162_66:
	v_bfe_u32 v7, v67, 16, 1
	s_delay_alu instid0(VALU_DEP_2) | instskip(SKIP_1) | instid1(VALU_DEP_3)
	v_add_nc_u32_e32 v6, v5, v2
	v_cmp_o_f32_e64 s3, v67, v67
	v_add3_u32 v8, v67, v7, 0x7fff
	v_mov_b32_e32 v7, 0
	s_delay_alu instid0(VALU_DEP_2) | instskip(NEXT) | instid1(VALU_DEP_2)
	v_lshrrev_b32_e32 v8, 16, v8
	v_lshlrev_b64 v[6:7], 1, v[6:7]
	s_delay_alu instid0(VALU_DEP_2) | instskip(SKIP_1) | instid1(VALU_DEP_2)
	v_cndmask_b32_e64 v8, 0x7fc0, v8, s3
	s_waitcnt lgkmcnt(0)
	v_add_co_u32 v6, s3, s8, v6
	s_delay_alu instid0(VALU_DEP_1)
	v_add_co_ci_u32_e64 v7, s3, s9, v7, s3
	global_store_b16 v[6:7], v8, off
	s_or_b32 exec_lo, exec_lo, s4
	s_and_saveexec_b32 s4, s1
	s_cbranch_execz .LBB162_26
.LBB162_67:
	v_bfe_u32 v7, v66, 16, 1
	v_add_nc_u32_e32 v6, v5, v3
	v_cmp_o_f32_e64 s3, v66, v66
	s_delay_alu instid0(VALU_DEP_3) | instskip(SKIP_1) | instid1(VALU_DEP_2)
	v_add3_u32 v8, v66, v7, 0x7fff
	v_mov_b32_e32 v7, 0
	v_lshrrev_b32_e32 v8, 16, v8
	s_delay_alu instid0(VALU_DEP_2) | instskip(NEXT) | instid1(VALU_DEP_2)
	v_lshlrev_b64 v[6:7], 1, v[6:7]
	v_cndmask_b32_e64 v8, 0x7fc0, v8, s3
	s_waitcnt lgkmcnt(0)
	s_delay_alu instid0(VALU_DEP_2) | instskip(NEXT) | instid1(VALU_DEP_1)
	v_add_co_u32 v6, s3, s8, v6
	v_add_co_ci_u32_e64 v7, s3, s9, v7, s3
	global_store_b16 v[6:7], v8, off
	s_or_b32 exec_lo, exec_lo, s4
	s_and_saveexec_b32 s4, s2
	s_cbranch_execnz .LBB162_27
	s_branch .LBB162_28
.LBB162_68:
	v_bfe_u32 v7, v58, 16, 1
	s_delay_alu instid0(VALU_DEP_2) | instskip(SKIP_1) | instid1(VALU_DEP_3)
	v_add_nc_u32_e32 v6, v5, v0
	v_cmp_o_f32_e64 s3, v58, v58
	v_add3_u32 v8, v58, v7, 0x7fff
	v_mov_b32_e32 v7, 0
	s_delay_alu instid0(VALU_DEP_2) | instskip(NEXT) | instid1(VALU_DEP_2)
	v_lshrrev_b32_e32 v8, 16, v8
	v_lshlrev_b64 v[6:7], 1, v[6:7]
	s_delay_alu instid0(VALU_DEP_2) | instskip(SKIP_1) | instid1(VALU_DEP_2)
	v_cndmask_b32_e64 v8, 0x7fc0, v8, s3
	s_waitcnt lgkmcnt(0)
	v_add_co_u32 v6, s3, s8, v6
	s_delay_alu instid0(VALU_DEP_1)
	v_add_co_ci_u32_e64 v7, s3, s9, v7, s3
	global_store_b16 v[6:7], v8, off
	s_or_b32 exec_lo, exec_lo, s4
	s_and_saveexec_b32 s4, s0
	s_cbranch_execz .LBB162_31
.LBB162_69:
	v_bfe_u32 v7, v52, 16, 1
	s_delay_alu instid0(VALU_DEP_2) | instskip(SKIP_1) | instid1(VALU_DEP_3)
	v_add_nc_u32_e32 v6, v5, v2
	v_cmp_o_f32_e64 s3, v52, v52
	v_add3_u32 v8, v52, v7, 0x7fff
	v_mov_b32_e32 v7, 0
	s_delay_alu instid0(VALU_DEP_2) | instskip(NEXT) | instid1(VALU_DEP_2)
	v_lshrrev_b32_e32 v8, 16, v8
	v_lshlrev_b64 v[6:7], 1, v[6:7]
	s_delay_alu instid0(VALU_DEP_2) | instskip(SKIP_1) | instid1(VALU_DEP_2)
	v_cndmask_b32_e64 v8, 0x7fc0, v8, s3
	s_waitcnt lgkmcnt(0)
	v_add_co_u32 v6, s3, s8, v6
	s_delay_alu instid0(VALU_DEP_1)
	v_add_co_ci_u32_e64 v7, s3, s9, v7, s3
	global_store_b16 v[6:7], v8, off
	s_or_b32 exec_lo, exec_lo, s4
	s_and_saveexec_b32 s4, s1
	s_cbranch_execz .LBB162_32
.LBB162_70:
	v_bfe_u32 v7, v50, 16, 1
	v_add_nc_u32_e32 v6, v5, v3
	v_cmp_o_f32_e64 s3, v50, v50
	s_delay_alu instid0(VALU_DEP_3) | instskip(SKIP_1) | instid1(VALU_DEP_2)
	v_add3_u32 v8, v50, v7, 0x7fff
	v_mov_b32_e32 v7, 0
	v_lshrrev_b32_e32 v8, 16, v8
	s_delay_alu instid0(VALU_DEP_2) | instskip(NEXT) | instid1(VALU_DEP_2)
	v_lshlrev_b64 v[6:7], 1, v[6:7]
	v_cndmask_b32_e64 v8, 0x7fc0, v8, s3
	s_waitcnt lgkmcnt(0)
	s_delay_alu instid0(VALU_DEP_2) | instskip(NEXT) | instid1(VALU_DEP_1)
	v_add_co_u32 v6, s3, s8, v6
	v_add_co_ci_u32_e64 v7, s3, s9, v7, s3
	global_store_b16 v[6:7], v8, off
	s_or_b32 exec_lo, exec_lo, s4
	s_and_saveexec_b32 s4, s2
	s_cbranch_execnz .LBB162_33
	s_branch .LBB162_34
.LBB162_71:
	v_bfe_u32 v7, v47, 16, 1
	s_delay_alu instid0(VALU_DEP_2) | instskip(SKIP_1) | instid1(VALU_DEP_3)
	v_add_nc_u32_e32 v6, v5, v0
	v_cmp_o_f32_e64 s3, v47, v47
	v_add3_u32 v8, v47, v7, 0x7fff
	v_mov_b32_e32 v7, 0
	s_delay_alu instid0(VALU_DEP_2) | instskip(NEXT) | instid1(VALU_DEP_2)
	v_lshrrev_b32_e32 v8, 16, v8
	v_lshlrev_b64 v[6:7], 1, v[6:7]
	s_delay_alu instid0(VALU_DEP_2) | instskip(SKIP_1) | instid1(VALU_DEP_2)
	v_cndmask_b32_e64 v8, 0x7fc0, v8, s3
	s_waitcnt lgkmcnt(0)
	v_add_co_u32 v6, s3, s8, v6
	s_delay_alu instid0(VALU_DEP_1)
	v_add_co_ci_u32_e64 v7, s3, s9, v7, s3
	global_store_b16 v[6:7], v8, off
	s_or_b32 exec_lo, exec_lo, s4
	s_and_saveexec_b32 s4, s0
	s_cbranch_execz .LBB162_37
.LBB162_72:
	v_bfe_u32 v7, v46, 16, 1
	s_delay_alu instid0(VALU_DEP_2) | instskip(SKIP_1) | instid1(VALU_DEP_3)
	v_add_nc_u32_e32 v6, v5, v2
	v_cmp_o_f32_e64 s3, v46, v46
	v_add3_u32 v8, v46, v7, 0x7fff
	v_mov_b32_e32 v7, 0
	s_delay_alu instid0(VALU_DEP_2) | instskip(NEXT) | instid1(VALU_DEP_2)
	v_lshrrev_b32_e32 v8, 16, v8
	v_lshlrev_b64 v[6:7], 1, v[6:7]
	s_delay_alu instid0(VALU_DEP_2) | instskip(SKIP_1) | instid1(VALU_DEP_2)
	v_cndmask_b32_e64 v8, 0x7fc0, v8, s3
	s_waitcnt lgkmcnt(0)
	v_add_co_u32 v6, s3, s8, v6
	s_delay_alu instid0(VALU_DEP_1)
	v_add_co_ci_u32_e64 v7, s3, s9, v7, s3
	global_store_b16 v[6:7], v8, off
	s_or_b32 exec_lo, exec_lo, s4
	s_and_saveexec_b32 s4, s1
	s_cbranch_execz .LBB162_38
.LBB162_73:
	v_bfe_u32 v7, v44, 16, 1
	v_add_nc_u32_e32 v6, v5, v3
	v_cmp_o_f32_e64 s3, v44, v44
	s_delay_alu instid0(VALU_DEP_3) | instskip(SKIP_1) | instid1(VALU_DEP_2)
	v_add3_u32 v8, v44, v7, 0x7fff
	v_mov_b32_e32 v7, 0
	v_lshrrev_b32_e32 v8, 16, v8
	s_delay_alu instid0(VALU_DEP_2) | instskip(NEXT) | instid1(VALU_DEP_2)
	v_lshlrev_b64 v[6:7], 1, v[6:7]
	v_cndmask_b32_e64 v8, 0x7fc0, v8, s3
	s_waitcnt lgkmcnt(0)
	s_delay_alu instid0(VALU_DEP_2) | instskip(NEXT) | instid1(VALU_DEP_1)
	v_add_co_u32 v6, s3, s8, v6
	v_add_co_ci_u32_e64 v7, s3, s9, v7, s3
	global_store_b16 v[6:7], v8, off
	s_or_b32 exec_lo, exec_lo, s4
	s_and_saveexec_b32 s4, s2
	s_cbranch_execnz .LBB162_39
	s_branch .LBB162_40
.LBB162_74:
	v_bfe_u32 v7, v40, 16, 1
	s_delay_alu instid0(VALU_DEP_2) | instskip(SKIP_1) | instid1(VALU_DEP_3)
	v_add_nc_u32_e32 v6, v5, v0
	v_cmp_o_f32_e64 s3, v40, v40
	v_add3_u32 v8, v40, v7, 0x7fff
	v_mov_b32_e32 v7, 0
	s_delay_alu instid0(VALU_DEP_2) | instskip(NEXT) | instid1(VALU_DEP_2)
	v_lshrrev_b32_e32 v8, 16, v8
	v_lshlrev_b64 v[6:7], 1, v[6:7]
	s_delay_alu instid0(VALU_DEP_2) | instskip(SKIP_1) | instid1(VALU_DEP_2)
	v_cndmask_b32_e64 v8, 0x7fc0, v8, s3
	s_waitcnt lgkmcnt(0)
	v_add_co_u32 v6, s3, s8, v6
	s_delay_alu instid0(VALU_DEP_1)
	v_add_co_ci_u32_e64 v7, s3, s9, v7, s3
	global_store_b16 v[6:7], v8, off
	s_or_b32 exec_lo, exec_lo, s4
	s_and_saveexec_b32 s4, s0
	s_cbranch_execz .LBB162_43
.LBB162_75:
	v_bfe_u32 v7, v39, 16, 1
	s_delay_alu instid0(VALU_DEP_2) | instskip(SKIP_1) | instid1(VALU_DEP_3)
	v_add_nc_u32_e32 v6, v5, v2
	v_cmp_o_f32_e64 s3, v39, v39
	v_add3_u32 v8, v39, v7, 0x7fff
	v_mov_b32_e32 v7, 0
	s_delay_alu instid0(VALU_DEP_2) | instskip(NEXT) | instid1(VALU_DEP_2)
	v_lshrrev_b32_e32 v8, 16, v8
	v_lshlrev_b64 v[6:7], 1, v[6:7]
	s_delay_alu instid0(VALU_DEP_2) | instskip(SKIP_1) | instid1(VALU_DEP_2)
	v_cndmask_b32_e64 v8, 0x7fc0, v8, s3
	s_waitcnt lgkmcnt(0)
	v_add_co_u32 v6, s3, s8, v6
	s_delay_alu instid0(VALU_DEP_1)
	v_add_co_ci_u32_e64 v7, s3, s9, v7, s3
	global_store_b16 v[6:7], v8, off
	s_or_b32 exec_lo, exec_lo, s4
	s_and_saveexec_b32 s4, s1
	s_cbranch_execz .LBB162_44
.LBB162_76:
	v_bfe_u32 v7, v38, 16, 1
	v_add_nc_u32_e32 v6, v5, v3
	v_cmp_o_f32_e64 s3, v38, v38
	s_delay_alu instid0(VALU_DEP_3) | instskip(SKIP_1) | instid1(VALU_DEP_2)
	v_add3_u32 v8, v38, v7, 0x7fff
	v_mov_b32_e32 v7, 0
	v_lshrrev_b32_e32 v8, 16, v8
	s_delay_alu instid0(VALU_DEP_2) | instskip(NEXT) | instid1(VALU_DEP_2)
	v_lshlrev_b64 v[6:7], 1, v[6:7]
	v_cndmask_b32_e64 v8, 0x7fc0, v8, s3
	s_waitcnt lgkmcnt(0)
	s_delay_alu instid0(VALU_DEP_2) | instskip(NEXT) | instid1(VALU_DEP_1)
	v_add_co_u32 v6, s3, s8, v6
	v_add_co_ci_u32_e64 v7, s3, s9, v7, s3
	global_store_b16 v[6:7], v8, off
	s_or_b32 exec_lo, exec_lo, s4
	s_and_saveexec_b32 s4, s2
	s_cbranch_execnz .LBB162_45
	s_branch .LBB162_46
.LBB162_77:
	v_bfe_u32 v7, v36, 16, 1
	s_delay_alu instid0(VALU_DEP_2) | instskip(SKIP_1) | instid1(VALU_DEP_3)
	v_add_nc_u32_e32 v6, v5, v0
	v_cmp_o_f32_e64 s3, v36, v36
	v_add3_u32 v8, v36, v7, 0x7fff
	v_mov_b32_e32 v7, 0
	s_delay_alu instid0(VALU_DEP_2) | instskip(NEXT) | instid1(VALU_DEP_2)
	v_lshrrev_b32_e32 v8, 16, v8
	v_lshlrev_b64 v[6:7], 1, v[6:7]
	s_delay_alu instid0(VALU_DEP_2) | instskip(SKIP_1) | instid1(VALU_DEP_2)
	v_cndmask_b32_e64 v8, 0x7fc0, v8, s3
	s_waitcnt lgkmcnt(0)
	v_add_co_u32 v6, s3, s8, v6
	s_delay_alu instid0(VALU_DEP_1)
	v_add_co_ci_u32_e64 v7, s3, s9, v7, s3
	global_store_b16 v[6:7], v8, off
	s_or_b32 exec_lo, exec_lo, s4
	s_and_saveexec_b32 s4, s0
	s_cbranch_execz .LBB162_49
.LBB162_78:
	v_bfe_u32 v7, v35, 16, 1
	s_delay_alu instid0(VALU_DEP_2) | instskip(SKIP_1) | instid1(VALU_DEP_3)
	v_add_nc_u32_e32 v6, v5, v2
	v_cmp_o_f32_e64 s3, v35, v35
	v_add3_u32 v8, v35, v7, 0x7fff
	v_mov_b32_e32 v7, 0
	s_delay_alu instid0(VALU_DEP_2) | instskip(NEXT) | instid1(VALU_DEP_2)
	v_lshrrev_b32_e32 v8, 16, v8
	v_lshlrev_b64 v[6:7], 1, v[6:7]
	s_delay_alu instid0(VALU_DEP_2) | instskip(SKIP_1) | instid1(VALU_DEP_2)
	v_cndmask_b32_e64 v8, 0x7fc0, v8, s3
	s_waitcnt lgkmcnt(0)
	v_add_co_u32 v6, s3, s8, v6
	s_delay_alu instid0(VALU_DEP_1)
	v_add_co_ci_u32_e64 v7, s3, s9, v7, s3
	global_store_b16 v[6:7], v8, off
	s_or_b32 exec_lo, exec_lo, s4
	s_and_saveexec_b32 s4, s1
	s_cbranch_execz .LBB162_50
.LBB162_79:
	v_bfe_u32 v7, v34, 16, 1
	v_add_nc_u32_e32 v6, v5, v3
	v_cmp_o_f32_e64 s3, v34, v34
	s_delay_alu instid0(VALU_DEP_3) | instskip(SKIP_1) | instid1(VALU_DEP_2)
	v_add3_u32 v8, v34, v7, 0x7fff
	v_mov_b32_e32 v7, 0
	v_lshrrev_b32_e32 v8, 16, v8
	s_delay_alu instid0(VALU_DEP_2) | instskip(NEXT) | instid1(VALU_DEP_2)
	v_lshlrev_b64 v[6:7], 1, v[6:7]
	v_cndmask_b32_e64 v8, 0x7fc0, v8, s3
	s_waitcnt lgkmcnt(0)
	s_delay_alu instid0(VALU_DEP_2) | instskip(NEXT) | instid1(VALU_DEP_1)
	v_add_co_u32 v6, s3, s8, v6
	v_add_co_ci_u32_e64 v7, s3, s9, v7, s3
	global_store_b16 v[6:7], v8, off
	s_or_b32 exec_lo, exec_lo, s4
	s_and_saveexec_b32 s4, s2
	s_cbranch_execnz .LBB162_51
	s_branch .LBB162_52
.LBB162_80:
	v_bfe_u32 v7, v32, 16, 1
	s_delay_alu instid0(VALU_DEP_2) | instskip(SKIP_1) | instid1(VALU_DEP_3)
	v_add_nc_u32_e32 v6, v5, v0
	v_cmp_o_f32_e64 s3, v32, v32
	v_add3_u32 v8, v32, v7, 0x7fff
	v_mov_b32_e32 v7, 0
	s_delay_alu instid0(VALU_DEP_2) | instskip(NEXT) | instid1(VALU_DEP_2)
	v_lshrrev_b32_e32 v8, 16, v8
	v_lshlrev_b64 v[6:7], 1, v[6:7]
	s_delay_alu instid0(VALU_DEP_2) | instskip(SKIP_1) | instid1(VALU_DEP_2)
	v_cndmask_b32_e64 v8, 0x7fc0, v8, s3
	s_waitcnt lgkmcnt(0)
	v_add_co_u32 v6, s3, s8, v6
	s_delay_alu instid0(VALU_DEP_1)
	v_add_co_ci_u32_e64 v7, s3, s9, v7, s3
	global_store_b16 v[6:7], v8, off
	s_or_b32 exec_lo, exec_lo, s4
	s_and_saveexec_b32 s4, s0
	s_cbranch_execz .LBB162_55
.LBB162_81:
	v_bfe_u32 v7, v31, 16, 1
	s_delay_alu instid0(VALU_DEP_2) | instskip(SKIP_1) | instid1(VALU_DEP_3)
	v_add_nc_u32_e32 v6, v5, v2
	v_cmp_o_f32_e64 s3, v31, v31
	v_add3_u32 v8, v31, v7, 0x7fff
	v_mov_b32_e32 v7, 0
	s_delay_alu instid0(VALU_DEP_2) | instskip(NEXT) | instid1(VALU_DEP_2)
	v_lshrrev_b32_e32 v8, 16, v8
	v_lshlrev_b64 v[6:7], 1, v[6:7]
	s_delay_alu instid0(VALU_DEP_2) | instskip(SKIP_1) | instid1(VALU_DEP_2)
	v_cndmask_b32_e64 v8, 0x7fc0, v8, s3
	s_waitcnt lgkmcnt(0)
	v_add_co_u32 v6, s3, s8, v6
	s_delay_alu instid0(VALU_DEP_1)
	v_add_co_ci_u32_e64 v7, s3, s9, v7, s3
	global_store_b16 v[6:7], v8, off
	s_or_b32 exec_lo, exec_lo, s4
	s_and_saveexec_b32 s4, s1
	s_cbranch_execz .LBB162_56
.LBB162_82:
	v_bfe_u32 v7, v30, 16, 1
	v_add_nc_u32_e32 v6, v5, v3
	v_cmp_o_f32_e64 s3, v30, v30
	s_delay_alu instid0(VALU_DEP_3) | instskip(SKIP_1) | instid1(VALU_DEP_2)
	v_add3_u32 v8, v30, v7, 0x7fff
	v_mov_b32_e32 v7, 0
	v_lshrrev_b32_e32 v8, 16, v8
	s_delay_alu instid0(VALU_DEP_2) | instskip(NEXT) | instid1(VALU_DEP_2)
	v_lshlrev_b64 v[6:7], 1, v[6:7]
	v_cndmask_b32_e64 v8, 0x7fc0, v8, s3
	s_waitcnt lgkmcnt(0)
	s_delay_alu instid0(VALU_DEP_2) | instskip(NEXT) | instid1(VALU_DEP_1)
	v_add_co_u32 v6, s3, s8, v6
	v_add_co_ci_u32_e64 v7, s3, s9, v7, s3
	global_store_b16 v[6:7], v8, off
	s_or_b32 exec_lo, exec_lo, s4
	s_and_saveexec_b32 s4, s2
	s_cbranch_execnz .LBB162_57
	s_branch .LBB162_58
.LBB162_83:
	v_bfe_u32 v6, v28, 16, 1
	s_delay_alu instid0(VALU_DEP_2) | instskip(SKIP_1) | instid1(VALU_DEP_3)
	v_add_nc_u32_e32 v5, v1, v0
	v_cmp_o_f32_e32 vcc_lo, v28, v28
	v_add3_u32 v0, v28, v6, 0x7fff
	v_mov_b32_e32 v6, 0
	s_delay_alu instid0(VALU_DEP_2) | instskip(NEXT) | instid1(VALU_DEP_2)
	v_lshrrev_b32_e32 v0, 16, v0
	v_lshlrev_b64 v[5:6], 1, v[5:6]
	s_delay_alu instid0(VALU_DEP_2) | instskip(SKIP_1) | instid1(VALU_DEP_2)
	v_cndmask_b32_e32 v0, 0x7fc0, v0, vcc_lo
	s_waitcnt lgkmcnt(0)
	v_add_co_u32 v5, vcc_lo, s8, v5
	s_delay_alu instid0(VALU_DEP_3)
	v_add_co_ci_u32_e32 v6, vcc_lo, s9, v6, vcc_lo
	global_store_b16 v[5:6], v0, off
	s_or_b32 exec_lo, exec_lo, s3
	s_and_saveexec_b32 s3, s0
	s_cbranch_execz .LBB162_61
.LBB162_84:
	v_bfe_u32 v0, v27, 16, 1
	s_delay_alu instid0(VALU_DEP_2) | instskip(SKIP_1) | instid1(VALU_DEP_3)
	v_dual_mov_b32 v6, 0 :: v_dual_add_nc_u32 v5, v1, v2
	v_cmp_o_f32_e32 vcc_lo, v27, v27
	v_add3_u32 v0, v27, v0, 0x7fff
	s_delay_alu instid0(VALU_DEP_3) | instskip(NEXT) | instid1(VALU_DEP_2)
	v_lshlrev_b64 v[5:6], 1, v[5:6]
	v_lshrrev_b32_e32 v0, 16, v0
	s_delay_alu instid0(VALU_DEP_1) | instskip(SKIP_1) | instid1(VALU_DEP_3)
	v_cndmask_b32_e32 v0, 0x7fc0, v0, vcc_lo
	s_waitcnt lgkmcnt(0)
	v_add_co_u32 v5, vcc_lo, s8, v5
	s_delay_alu instid0(VALU_DEP_4)
	v_add_co_ci_u32_e32 v6, vcc_lo, s9, v6, vcc_lo
	global_store_b16 v[5:6], v0, off
	s_or_b32 exec_lo, exec_lo, s3
	s_and_saveexec_b32 s0, s1
	s_cbranch_execz .LBB162_62
.LBB162_85:
	v_bfe_u32 v0, v26, 16, 1
	v_dual_mov_b32 v3, 0 :: v_dual_add_nc_u32 v2, v1, v3
	v_cmp_o_f32_e32 vcc_lo, v26, v26
	s_delay_alu instid0(VALU_DEP_3) | instskip(NEXT) | instid1(VALU_DEP_3)
	v_add3_u32 v0, v26, v0, 0x7fff
	v_lshlrev_b64 v[2:3], 1, v[2:3]
	s_delay_alu instid0(VALU_DEP_2) | instskip(NEXT) | instid1(VALU_DEP_1)
	v_lshrrev_b32_e32 v0, 16, v0
	v_cndmask_b32_e32 v0, 0x7fc0, v0, vcc_lo
	s_waitcnt lgkmcnt(0)
	s_delay_alu instid0(VALU_DEP_3) | instskip(NEXT) | instid1(VALU_DEP_4)
	v_add_co_u32 v2, vcc_lo, s8, v2
	v_add_co_ci_u32_e32 v3, vcc_lo, s9, v3, vcc_lo
	global_store_b16 v[2:3], v0, off
	s_or_b32 exec_lo, exec_lo, s0
	s_delay_alu instid0(SALU_CYCLE_1)
	s_and_b32 exec_lo, exec_lo, s2
	s_cbranch_execnz .LBB162_63
	s_branch .LBB162_64
	.section	.rodata,"a",@progbits
	.p2align	6, 0x0
	.amdhsa_kernel _ZL12mul_mat_q5_0IN3c108BFloat16ELb1EEvPKvS3_PT_iiiii
		.amdhsa_group_segment_fixed_size 46720
		.amdhsa_private_segment_fixed_size 0
		.amdhsa_kernarg_size 44
		.amdhsa_user_sgpr_count 14
		.amdhsa_user_sgpr_dispatch_ptr 0
		.amdhsa_user_sgpr_queue_ptr 0
		.amdhsa_user_sgpr_kernarg_segment_ptr 1
		.amdhsa_user_sgpr_dispatch_id 0
		.amdhsa_user_sgpr_private_segment_size 0
		.amdhsa_wavefront_size32 1
		.amdhsa_uses_dynamic_stack 0
		.amdhsa_enable_private_segment 0
		.amdhsa_system_sgpr_workgroup_id_x 1
		.amdhsa_system_sgpr_workgroup_id_y 1
		.amdhsa_system_sgpr_workgroup_id_z 0
		.amdhsa_system_sgpr_workgroup_info 0
		.amdhsa_system_vgpr_workitem_id 1
		.amdhsa_next_free_vgpr 195
		.amdhsa_next_free_sgpr 16
		.amdhsa_reserve_vcc 1
		.amdhsa_float_round_mode_32 0
		.amdhsa_float_round_mode_16_64 0
		.amdhsa_float_denorm_mode_32 3
		.amdhsa_float_denorm_mode_16_64 3
		.amdhsa_dx10_clamp 1
		.amdhsa_ieee_mode 1
		.amdhsa_fp16_overflow 0
		.amdhsa_workgroup_processor_mode 1
		.amdhsa_memory_ordered 1
		.amdhsa_forward_progress 0
		.amdhsa_shared_vgpr_count 0
		.amdhsa_exception_fp_ieee_invalid_op 0
		.amdhsa_exception_fp_denorm_src 0
		.amdhsa_exception_fp_ieee_div_zero 0
		.amdhsa_exception_fp_ieee_overflow 0
		.amdhsa_exception_fp_ieee_underflow 0
		.amdhsa_exception_fp_ieee_inexact 0
		.amdhsa_exception_int_div_zero 0
	.end_amdhsa_kernel
	.section	.text._ZL12mul_mat_q5_0IN3c108BFloat16ELb1EEvPKvS3_PT_iiiii,"axG",@progbits,_ZL12mul_mat_q5_0IN3c108BFloat16ELb1EEvPKvS3_PT_iiiii,comdat
.Lfunc_end162:
	.size	_ZL12mul_mat_q5_0IN3c108BFloat16ELb1EEvPKvS3_PT_iiiii, .Lfunc_end162-_ZL12mul_mat_q5_0IN3c108BFloat16ELb1EEvPKvS3_PT_iiiii
                                        ; -- End function
	.section	.AMDGPU.csdata,"",@progbits
; Kernel info:
; codeLenInByte = 20992
; NumSgprs: 18
; NumVgprs: 195
; ScratchSize: 0
; MemoryBound: 0
; FloatMode: 240
; IeeeMode: 1
; LDSByteSize: 46720 bytes/workgroup (compile time only)
; SGPRBlocks: 2
; VGPRBlocks: 24
; NumSGPRsForWavesPerEU: 18
; NumVGPRsForWavesPerEU: 195
; Occupancy: 4
; WaveLimiterHint : 0
; COMPUTE_PGM_RSRC2:SCRATCH_EN: 0
; COMPUTE_PGM_RSRC2:USER_SGPR: 14
; COMPUTE_PGM_RSRC2:TRAP_HANDLER: 0
; COMPUTE_PGM_RSRC2:TGID_X_EN: 1
; COMPUTE_PGM_RSRC2:TGID_Y_EN: 1
; COMPUTE_PGM_RSRC2:TGID_Z_EN: 0
; COMPUTE_PGM_RSRC2:TIDIG_COMP_CNT: 1
	.section	.text._ZL12mul_mat_q5_1IN3c108BFloat16ELb0EEvPKvS3_PT_iiiii,"axG",@progbits,_ZL12mul_mat_q5_1IN3c108BFloat16ELb0EEvPKvS3_PT_iiiii,comdat
	.globl	_ZL12mul_mat_q5_1IN3c108BFloat16ELb0EEvPKvS3_PT_iiiii ; -- Begin function _ZL12mul_mat_q5_1IN3c108BFloat16ELb0EEvPKvS3_PT_iiiii
	.p2align	8
	.type	_ZL12mul_mat_q5_1IN3c108BFloat16ELb0EEvPKvS3_PT_iiiii,@function
_ZL12mul_mat_q5_1IN3c108BFloat16ELb0EEvPKvS3_PT_iiiii: ; @_ZL12mul_mat_q5_1IN3c108BFloat16ELb0EEvPKvS3_PT_iiiii
; %bb.0:
	s_clause 0x1
	s_load_b32 s11, s[0:1], 0x18
	s_load_b128 s[4:7], s[0:1], 0x20
	v_bfe_u32 v29, v0, 10, 10
	v_and_b32_e32 v30, 0x3ff, v0
	s_waitcnt lgkmcnt(0)
	s_lshl_b32 s7, s15, 6
	s_cmp_gt_i32 s11, 31
	s_cbranch_scc1 .LBB163_2
; %bb.1:
	v_bfe_u32 v1, v0, 10, 10
	v_and_b32_e32 v0, 0x3ff, v0
	s_mov_b32 s2, 0
	s_mov_b32 s3, 0
	s_delay_alu instid0(VALU_DEP_2)
	v_add_nc_u32_e32 v34, s7, v1
	s_branch .LBB163_3
.LBB163_2:
	s_mov_b32 s2, -1
                                        ; implicit-def: $sgpr3
                                        ; implicit-def: $vgpr1
                                        ; implicit-def: $vgpr0
                                        ; implicit-def: $vgpr34
.LBB163_3:
	s_load_b64 s[8:9], s[0:1], 0x10
	v_dual_mov_b32 v9, s3 :: v_dual_mov_b32 v36, s3
	v_dual_mov_b32 v13, s3 :: v_dual_mov_b32 v10, s3
	;; [unrolled: 1-line block ×16, first 2 shown]
	s_and_not1_b32 vcc_lo, exec_lo, s2
	s_lshl_b32 s10, s14, 7
	s_cbranch_vccnz .LBB163_13
; %bb.4:
	s_load_b128 s[0:3], s[0:1], 0x0
	s_ashr_i32 s12, s11, 31
	s_ashr_i32 s13, s5, 31
	s_lshr_b32 s12, s12, 27
	s_lshr_b32 s13, s13, 27
	s_add_i32 s14, s11, s12
	v_dual_mov_b32 v39, 0 :: v_dual_add_nc_u32 v34, s7, v29
	s_add_i32 s11, s5, s13
	s_ashr_i32 s5, s14, 5
	s_ashr_i32 s13, s11, 5
	s_mul_i32 s12, s5, s10
	v_dual_mov_b32 v35, 0 :: v_dual_add_nc_u32 v2, 8, v34
	v_dual_mov_b32 v27, 0 :: v_dual_add_nc_u32 v8, 24, v34
	v_add_nc_u32_e32 v10, 32, v34
	s_mul_hi_i32 s15, s12, 24
	s_mul_i32 s12, s12, 24
	v_add_nc_u32_e32 v14, 48, v34
	s_waitcnt lgkmcnt(0)
	s_add_u32 s11, s0, s12
	s_addc_u32 s12, s1, s15
	s_add_i32 s0, s4, -1
	v_cvt_f64_u32_e32 v[0:1], v34
	v_cvt_f64_u32_e32 v[2:3], v2
	v_cvt_f64_i32_e32 v[6:7], s0
	v_cvt_f64_u32_e32 v[8:9], v8
	v_cvt_f64_u32_e32 v[10:11], v10
	;; [unrolled: 1-line block ×3, first 2 shown]
	v_add_nc_u32_e32 v12, 40, v34
	v_dual_mov_b32 v33, 0 :: v_dual_add_nc_u32 v4, 16, v34
	v_add_nc_u32_e32 v16, 56, v34
	v_dual_mov_b32 v40, 0 :: v_dual_lshlrev_b32 v19, 3, v30
	s_delay_alu instid0(VALU_DEP_4) | instskip(NEXT) | instid1(VALU_DEP_4)
	v_cvt_f64_u32_e32 v[12:13], v12
	v_cvt_f64_u32_e32 v[4:5], v4
	v_lshrrev_b32_e32 v45, 3, v30
	v_lshrrev_b32_e32 v43, 2, v30
	v_mad_u32_u24 v49, 0x104, v29, v19
	v_dual_mov_b32 v37, 0 :: v_dual_and_b32 v18, 3, v30
	s_delay_alu instid0(VALU_DEP_4)
	v_lshl_add_u32 v19, v29, 2, v45
	v_dual_mov_b32 v41, 0 :: v_dual_and_b32 v44, 7, v30
	v_dual_mov_b32 v31, 0 :: v_dual_and_b32 v20, 31, v30
	v_lshlrev_b32_e32 v22, 7, v29
	v_lshl_add_u32 v24, v29, 3, v43
	v_add_nc_u32_e32 v25, 32, v19
	v_dual_mov_b32 v28, 0 :: v_dual_lshlrev_b32 v21, 2, v30
	v_lshlrev_b32_e32 v47, 2, v18
	v_lshlrev_b32_e32 v23, 2, v44
	v_and_b32_e32 v24, 63, v24
	v_mul_lo_u32 v48, s5, v29
	v_and_b32_e32 v21, 28, v21
	v_mul_lo_u32 v71, s5, v19
	v_add_nc_u32_e32 v26, 64, v19
	s_lshl_b32 s1, s5, 3
	s_and_not1_b32 s14, s14, 31
	v_add_nc_u32_e32 v51, 0x820, v49
	v_add_nc_u32_e32 v52, 0x1040, v49
	v_min_f64 v[0:1], v[0:1], v[6:7]
	v_min_f64 v[2:3], v[2:3], v[6:7]
	;; [unrolled: 1-line block ×5, first 2 shown]
	v_add_nc_u32_e32 v50, s1, v48
	v_add_nc_u32_e32 v83, s14, v71
	v_dual_mov_b32 v46, 0 :: v_dual_add_nc_u32 v53, 0x1860, v49
	v_add_nc_u32_e32 v54, 0x2080, v49
	v_min_f64 v[12:13], v[12:13], v[6:7]
	v_min_f64 v[4:5], v[4:5], v[6:7]
	v_add_nc_u32_e32 v85, s14, v83
	v_dual_mov_b32 v42, 0 :: v_dual_add_nc_u32 v57, 0x28a0, v49
	v_add_nc_u32_e32 v58, 0x30c0, v49
	v_dual_mov_b32 v32, 0 :: v_dual_add_nc_u32 v59, 0x38e0, v49
	v_add_nc_u32_e32 v61, 0x4100, v49
	v_add_nc_u32_e32 v62, 0x4920, v49
	;; [unrolled: 1-line block ×9, first 2 shown]
	v_mul_u32_u24_e32 v101, 0x104, v30
	v_lshl_add_u32 v108, v29, 4, 0xb280
	v_mov_b32_e32 v36, 0
	v_mov_b32_e32 v38, 0
	v_cvt_i32_f64_e32 v0, v[0:1]
	v_cvt_i32_f64_e32 v1, v[2:3]
	;; [unrolled: 1-line block ×5, first 2 shown]
	v_lshlrev_b32_e32 v14, 5, v26
	v_cvt_i32_f64_e32 v9, v[12:13]
	v_cvt_i32_f64_e32 v2, v[4:5]
	v_and_b32_e32 v4, 0xffc, v25
	v_lshlrev_b32_e32 v13, 5, v25
	v_mov_b32_e32 v25, 0
	v_lshl_or_b32 v20, v20, 2, v22
	v_and_b32_e32 v5, 0xffc, v26
	v_dual_mov_b32 v26, 0 :: v_dual_add_nc_u32 v107, 0x8200, v22
	s_delay_alu instid0(VALU_DEP_3)
	v_dual_mov_b32 v22, 0 :: v_dual_add_nc_u32 v73, 0x8200, v20
	v_add_nc_u32_e32 v75, 0x8600, v20
	v_add_nc_u32_e32 v76, 0x8a00, v20
	;; [unrolled: 1-line block ×7, first 2 shown]
	v_mov_b32_e32 v20, 0
	v_mul_lo_u32 v90, s13, v0
	v_mul_lo_u32 v91, s13, v1
	v_add_nc_u32_e32 v0, 0x60, v30
	v_add_nc_u32_e32 v1, 64, v30
	v_mul_lo_u32 v97, s13, v11
	v_mov_b32_e32 v11, 0
	v_cvt_f64_u32_e32 v[16:17], v16
	v_mul_lo_u32 v93, s13, v3
	v_mul_lo_u32 v94, s13, v8
	v_lshlrev_b32_e32 v3, 5, v30
	v_mul_lo_u32 v95, s13, v9
	v_mul_lo_u32 v92, s13, v2
	v_add_nc_u32_e32 v2, 32, v30
	v_and_b32_e32 v0, 0x1fc, v0
	v_and_b32_e32 v1, 0x1fc, v1
	v_dual_mov_b32 v9, 0 :: v_dual_and_b32 v8, 0xfc, v30
	s_delay_alu instid0(VALU_DEP_4) | instskip(NEXT) | instid1(VALU_DEP_4)
	v_lshrrev_b32_e32 v102, 3, v2
	v_add_nc_u32_e32 v0, v3, v0
	s_delay_alu instid0(VALU_DEP_4) | instskip(NEXT) | instid1(VALU_DEP_2)
	v_add_nc_u32_e32 v1, v3, v1
	v_add_nc_u32_e32 v103, 0xae00, v0
	s_delay_alu instid0(VALU_DEP_2)
	v_add_nc_u32_e32 v104, 0xaa00, v1
	v_add_nc_u32_e32 v109, 0xae10, v0
	;; [unrolled: 1-line block ×3, first 2 shown]
	v_min_f64 v[6:7], v[16:17], v[6:7]
	v_and_b32_e32 v16, 0x7fc, v19
	v_lshlrev_b32_e32 v17, 5, v19
	v_add_nc_u32_e32 v19, 0x60, v19
	s_delay_alu instid0(VALU_DEP_3) | instskip(SKIP_1) | instid1(VALU_DEP_3)
	v_add3_u32 v10, v16, v23, 0xa200
	v_lshl_or_b32 v16, v24, 4, v47
	v_lshlrev_b32_e32 v15, 5, v19
	s_delay_alu instid0(VALU_DEP_3) | instskip(NEXT) | instid1(VALU_DEP_3)
	v_add_nc_u32_e32 v114, v10, v17
	v_dual_mov_b32 v16, 0 :: v_dual_add_nc_u32 v87, 0xb280, v16
	v_dual_mov_b32 v10, 0 :: v_dual_mov_b32 v17, 0
	v_cvt_i32_f64_e32 v12, v[6:7]
	v_or_b32_e32 v7, s7, v24
	v_and_b32_e32 v6, 0xffc, v19
	v_add3_u32 v19, v4, v23, 0xa200
	v_add_co_u32 v4, s15, s2, v21
	s_delay_alu instid0(VALU_DEP_4)
	v_min_i32_e32 v21, s0, v7
	v_add3_u32 v24, v5, v23, 0xa200
	v_add3_u32 v23, v6, v23, 0xa200
	s_movk_i32 s0, 0x80
	v_add_co_ci_u32_e64 v5, null, s3, 0, s15
	v_mad_u64_u32 v[6:7], null, v21, s13, v[18:19]
	v_mov_b32_e32 v21, 0
	v_add_nc_u32_e32 v55, s1, v50
	v_dual_mov_b32 v18, 0 :: v_dual_and_b32 v7, 0x1fc, v2
	v_mad_u32_u24 v113, 0x104, v30, s0
	v_add_nc_u32_e32 v115, v19, v13
	s_delay_alu instid0(VALU_DEP_4) | instskip(NEXT) | instid1(VALU_DEP_4)
	v_add_nc_u32_e32 v56, s1, v55
	v_add_nc_u32_e32 v7, v3, v7
	;; [unrolled: 1-line block ×10, first 2 shown]
	v_dual_mov_b32 v24, 0 :: v_dual_add_nc_u32 v65, s1, v60
	v_mov_b32_e32 v23, 0
	v_mov_b32_e32 v19, 0
	s_delay_alu instid0(VALU_DEP_3) | instskip(SKIP_3) | instid1(VALU_DEP_4)
	v_dual_mov_b32 v15, 0 :: v_dual_add_nc_u32 v70, s1, v65
	v_dual_mov_b32 v14, 0 :: v_dual_mov_b32 v13, 0
	v_mul_lo_u32 v99, s13, v12
	v_mov_b32_e32 v12, 0
	v_add_nc_u32_e32 v72, s1, v70
	s_mov_b32 s13, 0
	s_delay_alu instid0(VALU_DEP_1) | instskip(NEXT) | instid1(VALU_DEP_1)
	v_add_nc_u32_e32 v74, s1, v72
	v_add_nc_u32_e32 v79, s1, v74
	s_delay_alu instid0(VALU_DEP_1) | instskip(NEXT) | instid1(VALU_DEP_1)
	v_add_nc_u32_e32 v80, s1, v79
	v_add_nc_u32_e32 v81, s1, v80
	s_delay_alu instid0(VALU_DEP_1) | instskip(NEXT) | instid1(VALU_DEP_1)
	v_add_nc_u32_e32 v82, s1, v81
	v_add_nc_u32_e32 v84, s1, v82
	s_delay_alu instid0(VALU_DEP_1) | instskip(NEXT) | instid1(VALU_DEP_1)
	v_add_nc_u32_e32 v86, s1, v84
	v_add_nc_u32_e32 v89, s1, v86
	s_branch .LBB163_6
.LBB163_5:                              ;   in Loop: Header=BB163_6 Depth=1
	s_add_i32 s13, s13, 8
	s_delay_alu instid0(SALU_CYCLE_1)
	s_cmp_ge_i32 s13, s5
	s_cbranch_scc1 .LBB163_12
.LBB163_6:                              ; =>This Loop Header: Depth=1
                                        ;     Child Loop BB163_7 Depth 2
                                        ;     Child Loop BB163_10 Depth 2
	s_mul_i32 s0, s13, 24
	s_mul_hi_u32 s1, s13, 24
	s_add_u32 s0, s11, s0
	s_addc_u32 s1, s12, s1
	s_delay_alu instid0(SALU_CYCLE_1) | instskip(NEXT) | instid1(VALU_DEP_1)
	v_mad_u64_u32 v[0:1], null, v43, 24, s[0:1]
	v_mad_u64_u32 v[122:123], null, v48, 24, v[0:1]
	v_mad_u64_u32 v[118:119], null, v55, 24, v[0:1]
	v_mad_u64_u32 v[7:8], null, v56, 24, v[0:1]
	v_mad_u64_u32 v[120:121], null, v50, 24, v[0:1]
	s_delay_alu instid0(VALU_DEP_4)
	v_add_co_u32 v124, vcc_lo, v122, v47
	v_add_co_ci_u32_e32 v125, vcc_lo, 0, v123, vcc_lo
	v_add_co_u32 v126, vcc_lo, v118, v47
	v_add_co_ci_u32_e32 v127, vcc_lo, 0, v119, vcc_lo
	v_add_co_u32 v2, vcc_lo, v7, v47
	v_add_co_ci_u32_e32 v3, vcc_lo, 0, v8, vcc_lo
	v_add_co_u32 v128, vcc_lo, v120, v47
	v_add_co_ci_u32_e32 v129, vcc_lo, 0, v121, vcc_lo
	s_clause 0x7
	global_load_b32 v2, v[2:3], off offset:8
	global_load_b32 v3, v[7:8], off offset:4
	;; [unrolled: 1-line block ×8, first 2 shown]
	v_mad_u64_u32 v[123:124], null, v65, 24, v[0:1]
	v_mad_u64_u32 v[125:126], null, v60, 24, v[0:1]
	;; [unrolled: 1-line block ×4, first 2 shown]
	s_delay_alu instid0(VALU_DEP_4)
	v_add_co_u32 v131, vcc_lo, v123, v47
	v_add_co_ci_u32_e32 v132, vcc_lo, 0, v124, vcc_lo
	v_add_co_u32 v133, vcc_lo, v125, v47
	v_add_co_ci_u32_e32 v134, vcc_lo, 0, v126, vcc_lo
	s_clause 0x5
	global_load_b32 v150, v[129:130], off offset:4
	global_load_b32 v151, v[127:128], off offset:4
	;; [unrolled: 1-line block ×6, first 2 shown]
	v_add_co_u32 v123, vcc_lo, v127, v47
	v_add_co_ci_u32_e32 v124, vcc_lo, 0, v128, vcc_lo
	v_add_co_u32 v125, vcc_lo, v129, v47
	v_add_co_ci_u32_e32 v126, vcc_lo, 0, v130, vcc_lo
	s_clause 0x1
	global_load_b32 v156, v[123:124], off offset:8
	global_load_b32 v157, v[125:126], off offset:8
	v_mad_u64_u32 v[126:127], null, v81, 24, v[0:1]
	v_mad_u64_u32 v[128:129], null, v80, 24, v[0:1]
	;; [unrolled: 1-line block ×4, first 2 shown]
	s_clause 0x3
	global_load_b32 v123, v[126:127], off offset:4
	global_load_b32 v158, v[128:129], off offset:4
	;; [unrolled: 1-line block ×4, first 2 shown]
	v_mad_u64_u32 v[140:141], null, v86, 24, v[0:1]
	v_add_co_u32 v130, vcc_lo, v130, v47
	v_add_co_ci_u32_e32 v131, vcc_lo, 0, v131, vcc_lo
	v_add_co_u32 v124, vcc_lo, v124, v47
	v_add_co_ci_u32_e32 v125, vcc_lo, 0, v125, vcc_lo
	global_load_b32 v161, v[130:131], off offset:8
	v_mad_u64_u32 v[142:143], null, v89, 24, v[0:1]
	global_load_b32 v162, v[124:125], off offset:8
	v_add_co_u32 v124, vcc_lo, v128, v47
	v_add_co_ci_u32_e32 v125, vcc_lo, 0, v129, vcc_lo
	v_add_nc_u32_e32 v128, s13, v45
	v_add_co_u32 v126, vcc_lo, v126, v47
	global_load_b32 v163, v[124:125], off offset:8
	v_add_co_ci_u32_e32 v127, vcc_lo, 0, v127, vcc_lo
	v_add_nc_u32_e32 v130, v128, v90
	v_add_nc_u32_e32 v132, v128, v91
	;; [unrolled: 1-line block ×8, first 2 shown]
	v_mad_i64_i32 v[128:129], null, v130, 36, v[4:5]
	v_mad_i64_i32 v[130:131], null, v132, 36, v[4:5]
	;; [unrolled: 1-line block ×4, first 2 shown]
	v_mad_u64_u32 v[136:137], null, v82, 24, v[0:1]
	v_mad_u64_u32 v[138:139], null, v84, 24, v[0:1]
	global_load_b32 v164, v[126:127], off offset:8
	v_add_nc_u32_e32 v118, s13, v6
	v_mad_u64_u32 v[124:125], null, v44, 24, s[0:1]
	v_add_co_u32 v0, vcc_lo, v136, v47
	v_add_co_ci_u32_e32 v1, vcc_lo, 0, v137, vcc_lo
	v_add_co_u32 v144, vcc_lo, v140, v47
	v_add_co_ci_u32_e32 v145, vcc_lo, 0, v141, vcc_lo
	;; [unrolled: 2-line block ×4, first 2 shown]
	s_clause 0x7
	global_load_b32 v169, v[146:147], off offset:8
	global_load_b32 v170, v[142:143], off offset:4
	;; [unrolled: 1-line block ×8, first 2 shown]
	v_mad_u64_u32 v[126:127], null, v118, 36, s[2:3]
	v_mad_i64_i32 v[0:1], null, v165, 36, v[4:5]
	v_mad_i64_i32 v[136:137], null, v166, 36, v[4:5]
	;; [unrolled: 1-line block ×4, first 2 shown]
	v_mad_u64_u32 v[142:143], null, v71, 24, v[124:125]
	v_mad_u64_u32 v[144:145], null, v83, 24, v[124:125]
	;; [unrolled: 1-line block ×4, first 2 shown]
	s_clause 0x8
	global_load_b32 v124, v[126:127], off
	global_load_b32 v125, v[128:129], off offset:4
	global_load_b32 v126, v[130:131], off offset:4
	;; [unrolled: 1-line block ×8, first 2 shown]
	s_clause 0x3
	global_load_b32 v131, v[142:143], off
	global_load_b32 v132, v[144:145], off
	;; [unrolled: 1-line block ×4, first 2 shown]
	s_mov_b32 s0, -4
	s_waitcnt vmcnt(44)
	v_and_b32_e32 v138, 0xf0f0f0f, v2
	s_waitcnt vmcnt(43)
	v_ashrrev_i32_e32 v3, v47, v3
	s_waitcnt vmcnt(42)
	v_and_b32_e32 v137, 0xf0f0f0f, v7
	s_waitcnt vmcnt(41)
	v_ashrrev_i32_e32 v8, v47, v8
	;; [unrolled: 4-line block ×4, first 2 shown]
	v_lshrrev_b32_e32 v121, 4, v121
	v_lshrrev_b32_e32 v119, 4, v119
	v_lshlrev_b32_e32 v165, 4, v120
	v_lshlrev_b32_e32 v166, 11, v120
	v_lshrrev_b32_e32 v177, 12, v120
	v_lshrrev_b32_e32 v178, 5, v120
	;; [unrolled: 1-line block ×3, first 2 shown]
	v_lshlrev_b32_e32 v180, 4, v8
	v_lshlrev_b32_e32 v181, 11, v8
	v_lshrrev_b32_e32 v184, 12, v8
	v_lshrrev_b32_e32 v185, 5, v8
	;; [unrolled: 1-line block ×3, first 2 shown]
	s_waitcnt vmcnt(35)
	v_ashrrev_i32_e32 v145, v47, v151
	s_waitcnt vmcnt(34)
	v_and_b32_e32 v143, 0xf0f0f0f, v152
	s_waitcnt vmcnt(33)
	v_ashrrev_i32_e32 v142, v47, v153
	v_lshrrev_b32_e32 v144, 4, v152
	s_waitcnt vmcnt(31)
	v_ashrrev_i32_e32 v139, v47, v155
	v_lshlrev_b32_e32 v151, 4, v122
	v_lshlrev_b32_e32 v152, 11, v122
	v_lshrrev_b32_e32 v155, 12, v122
	v_lshlrev_b32_e32 v187, 4, v3
	v_lshlrev_b32_e32 v188, 11, v3
	v_lshrrev_b32_e32 v191, 12, v3
	v_lshrrev_b32_e32 v192, 5, v3
	;; [unrolled: 1-line block ×3, first 2 shown]
	v_lshlrev_b32_e32 v194, 4, v139
	s_waitcnt vmcnt(30)
	v_and_b32_e32 v146, 0xf0f0f0f, v156
	v_lshrrev_b32_e32 v147, 4, v156
	v_lshrrev_b32_e32 v156, 5, v122
	v_lshlrev_b32_e32 v195, 11, v139
	v_lshrrev_b32_e32 v198, 12, v139
	v_lshrrev_b32_e32 v199, 5, v139
	v_and_b32_e32 v140, 0xf0f0f0f, v154
	v_ashrrev_i32_e32 v148, v47, v150
	s_waitcnt vmcnt(29)
	v_and_b32_e32 v149, 0xf0f0f0f, v157
	v_lshrrev_b32_e32 v150, 4, v157
	v_lshlrev_b32_e32 v153, 18, v122
	v_lshlrev_b32_e32 v154, 25, v122
	v_and_b32_e32 v121, 0xf0f0f0f, v121
	v_lshlrev_b32_e32 v157, 2, v122
	v_lshlrev_b32_e32 v122, 9, v122
	;; [unrolled: 1-line block ×4, first 2 shown]
	v_lshrrev_b32_e32 v205, 12, v142
	v_lshrrev_b32_e32 v206, 5, v142
	v_and_b32_e32 v151, 16, v151
	v_and_b32_e32 v152, 0x1000, v152
	v_and_b32_e32 v155, 16, v155
	v_and_b32_e32 v156, 0x1000, v156
	v_lshlrev_b32_e32 v167, 18, v120
	v_lshlrev_b32_e32 v168, 25, v120
	v_and_b32_e32 v119, 0xf0f0f0f, v119
	v_lshlrev_b32_e32 v179, 2, v120
	v_lshlrev_b32_e32 v120, 9, v120
	v_and_b32_e32 v165, 16, v165
	v_and_b32_e32 v166, 0x1000, v166
	v_and_b32_e32 v177, 16, v177
	v_and_b32_e32 v178, 0x1000, v178
	v_lshlrev_b32_e32 v182, 18, v8
	v_lshlrev_b32_e32 v183, 25, v8
	v_and_b32_e32 v7, 0xf0f0f0f, v7
	v_lshlrev_b32_e32 v186, 2, v8
	v_lshlrev_b32_e32 v8, 9, v8
	;; [unrolled: 9-line block ×5, first 2 shown]
	v_and_b32_e32 v153, 0x100000, v153
	v_and_b32_e32 v154, 0x10000000, v154
	;; [unrolled: 1-line block ×8, first 2 shown]
	v_or3_b32 v135, v151, v135, v152
	v_or3_b32 v121, v155, v121, v156
	v_and_b32_e32 v167, 0x100000, v167
	v_and_b32_e32 v168, 0x10000000, v168
	v_and_b32_e32 v179, 0x100000, v179
	v_and_b32_e32 v120, 0x10000000, v120
	v_or3_b32 v136, v165, v136, v166
	v_or3_b32 v119, v177, v119, v178
	v_and_b32_e32 v182, 0x100000, v182
	v_and_b32_e32 v183, 0x10000000, v183
	v_and_b32_e32 v186, 0x100000, v186
	v_and_b32_e32 v8, 0x10000000, v8
	;; [unrolled: 6-line block ×4, first 2 shown]
	v_or3_b32 v140, v194, v140, v195
	v_or3_b32 v141, v198, v141, v199
	v_lshrrev_b32_e32 v219, 12, v148
	v_lshrrev_b32_e32 v220, 5, v148
	v_and_b32_e32 v203, 0x100000, v203
	v_and_b32_e32 v204, 0x10000000, v204
	;; [unrolled: 1-line block ×4, first 2 shown]
	v_or3_b32 v143, v201, v143, v202
	v_or3_b32 v144, v205, v144, v206
	;; [unrolled: 1-line block ×14, first 2 shown]
	ds_store_2addr_b32 v49, v135, v121 offset1:1
	ds_store_2addr_b32 v51, v122, v119 offset1:1
	;; [unrolled: 1-line block ×6, first 2 shown]
	v_and_b32_e32 v2, 0xf0f0f0f, v150
	v_and_b32_e32 v3, 16, v219
	;; [unrolled: 1-line block ×3, first 2 shown]
	s_waitcnt vmcnt(25)
	v_ashrrev_i32_e32 v8, v47, v160
	v_lshlrev_b32_e32 v120, 2, v148
	v_lshlrev_b32_e32 v121, 9, v148
	s_waitcnt vmcnt(24)
	v_and_b32_e32 v122, 0xf0f0f0f, v161
	v_or3_b32 v2, v3, v2, v7
	v_lshlrev_b32_e32 v3, 4, v8
	v_lshlrev_b32_e32 v7, 11, v8
	v_and_b32_e32 v120, 0x100000, v120
	v_and_b32_e32 v121, 0x10000000, v121
	v_lshlrev_b32_e32 v208, 4, v145
	v_and_b32_e32 v3, 16, v3
	v_and_b32_e32 v7, 0x1000, v7
	v_lshlrev_b32_e32 v209, 11, v145
	v_lshrrev_b32_e32 v212, 12, v145
	v_lshrrev_b32_e32 v213, 5, v145
	v_lshlrev_b32_e32 v215, 4, v148
	v_lshlrev_b32_e32 v216, 11, v148
	v_or3_b32 v2, v2, v120, v121
	v_or3_b32 v3, v3, v122, v7
	v_lshrrev_b32_e32 v7, 4, v161
	v_lshrrev_b32_e32 v121, 12, v8
	;; [unrolled: 1-line block ×3, first 2 shown]
	v_lshlrev_b32_e32 v210, 18, v145
	v_lshlrev_b32_e32 v211, 25, v145
	v_and_b32_e32 v147, 0xf0f0f0f, v147
	v_lshlrev_b32_e32 v214, 2, v145
	v_lshlrev_b32_e32 v145, 9, v145
	;; [unrolled: 1-line block ×4, first 2 shown]
	v_and_b32_e32 v208, 16, v208
	v_and_b32_e32 v209, 0x1000, v209
	;; [unrolled: 1-line block ×9, first 2 shown]
	v_ashrrev_i32_e32 v136, v47, v159
	v_and_b32_e32 v210, 0x100000, v210
	v_and_b32_e32 v211, 0x10000000, v211
	;; [unrolled: 1-line block ×5, first 2 shown]
	v_or3_b32 v146, v208, v146, v209
	v_or3_b32 v147, v212, v147, v213
	;; [unrolled: 1-line block ×3, first 2 shown]
	v_and_b32_e32 v119, 0x10000000, v218
	v_lshlrev_b32_e32 v120, 18, v8
	v_lshlrev_b32_e32 v135, 25, v8
	v_lshlrev_b32_e32 v137, 2, v8
	v_lshlrev_b32_e32 v8, 9, v8
	v_or3_b32 v7, v121, v7, v122
	v_lshlrev_b32_e32 v121, 4, v136
	v_lshlrev_b32_e32 v122, 11, v136
	v_or3_b32 v139, v146, v210, v211
	v_or3_b32 v140, v147, v214, v145
	;; [unrolled: 1-line block ×3, first 2 shown]
	v_and_b32_e32 v120, 0x100000, v120
	v_and_b32_e32 v135, 0x10000000, v135
	;; [unrolled: 1-line block ×4, first 2 shown]
	s_waitcnt vmcnt(23)
	v_and_b32_e32 v138, 0xf0f0f0f, v162
	v_and_b32_e32 v121, 16, v121
	;; [unrolled: 1-line block ×3, first 2 shown]
	ds_store_2addr_b32 v58, v139, v140 offset1:1
	ds_store_2addr_b32 v59, v119, v2 offset1:1
	v_or3_b32 v2, v3, v120, v135
	v_or3_b32 v3, v7, v137, v8
	;; [unrolled: 1-line block ×3, first 2 shown]
	v_lshrrev_b32_e32 v119, 4, v162
	v_lshrrev_b32_e32 v120, 12, v136
	;; [unrolled: 1-line block ×3, first 2 shown]
	v_ashrrev_i32_e32 v135, v47, v158
	v_lshlrev_b32_e32 v7, 18, v136
	v_and_b32_e32 v119, 0xf0f0f0f, v119
	v_and_b32_e32 v120, 16, v120
	;; [unrolled: 1-line block ×3, first 2 shown]
	v_lshlrev_b32_e32 v122, 25, v136
	v_lshlrev_b32_e32 v137, 2, v136
	;; [unrolled: 1-line block ×3, first 2 shown]
	v_and_b32_e32 v7, 0x100000, v7
	v_or3_b32 v119, v120, v119, v121
	v_lshlrev_b32_e32 v120, 4, v135
	v_lshlrev_b32_e32 v121, 11, v135
	v_and_b32_e32 v122, 0x10000000, v122
	v_and_b32_e32 v137, 0x100000, v137
	v_and_b32_e32 v136, 0x10000000, v136
	s_waitcnt vmcnt(22)
	v_and_b32_e32 v138, 0xf0f0f0f, v163
	v_and_b32_e32 v120, 16, v120
	;; [unrolled: 1-line block ×3, first 2 shown]
	ds_store_2addr_b32 v61, v2, v3 offset1:1
	v_or3_b32 v2, v8, v7, v122
	v_or3_b32 v3, v119, v137, v136
	v_lshrrev_b32_e32 v119, 4, v163
	v_or3_b32 v8, v120, v138, v121
	v_lshrrev_b32_e32 v120, 12, v135
	v_lshrrev_b32_e32 v121, 5, v135
	v_ashrrev_i32_e32 v123, v47, v123
	v_and_b32_e32 v119, 0xf0f0f0f, v119
	v_lshlrev_b32_e32 v7, 18, v135
	v_and_b32_e32 v120, 16, v120
	v_and_b32_e32 v121, 0x1000, v121
	v_lshlrev_b32_e32 v122, 25, v135
	v_lshlrev_b32_e32 v136, 2, v135
	v_lshlrev_b32_e32 v135, 9, v135
	v_and_b32_e32 v7, 0x100000, v7
	v_or3_b32 v119, v120, v119, v121
	v_lshlrev_b32_e32 v120, 4, v123
	v_lshlrev_b32_e32 v121, 11, v123
	v_and_b32_e32 v122, 0x10000000, v122
	v_and_b32_e32 v136, 0x100000, v136
	;; [unrolled: 1-line block ×3, first 2 shown]
	s_waitcnt vmcnt(21)
	v_and_b32_e32 v137, 0xf0f0f0f, v164
	v_and_b32_e32 v120, 16, v120
	;; [unrolled: 1-line block ×3, first 2 shown]
	ds_store_2addr_b32 v62, v2, v3 offset1:1
	v_or3_b32 v2, v8, v7, v122
	v_or3_b32 v3, v119, v136, v135
	v_lshrrev_b32_e32 v119, 4, v164
	v_or3_b32 v8, v120, v137, v121
	v_lshrrev_b32_e32 v120, 12, v123
	v_lshrrev_b32_e32 v121, 5, v123
	s_waitcnt vmcnt(13)
	v_ashrrev_i32_e32 v135, v47, v176
	v_and_b32_e32 v119, 0xf0f0f0f, v119
	v_lshlrev_b32_e32 v7, 18, v123
	v_and_b32_e32 v120, 16, v120
	v_and_b32_e32 v121, 0x1000, v121
	v_lshlrev_b32_e32 v122, 25, v123
	v_lshlrev_b32_e32 v136, 2, v123
	;; [unrolled: 1-line block ×3, first 2 shown]
	v_and_b32_e32 v7, 0x100000, v7
	v_or3_b32 v119, v120, v119, v121
	v_lshlrev_b32_e32 v120, 4, v135
	v_lshlrev_b32_e32 v121, 11, v135
	v_and_b32_e32 v122, 0x10000000, v122
	v_and_b32_e32 v136, 0x100000, v136
	;; [unrolled: 1-line block ×6, first 2 shown]
	ds_store_2addr_b32 v63, v2, v3 offset1:1
	v_or3_b32 v2, v8, v7, v122
	v_or3_b32 v3, v119, v136, v123
	v_lshrrev_b32_e32 v119, 4, v175
	v_or3_b32 v8, v120, v137, v121
	v_lshrrev_b32_e32 v120, 12, v135
	v_lshrrev_b32_e32 v121, 5, v135
	v_ashrrev_i32_e32 v123, v47, v174
	v_and_b32_e32 v119, 0xf0f0f0f, v119
	v_lshlrev_b32_e32 v7, 18, v135
	v_and_b32_e32 v120, 16, v120
	v_and_b32_e32 v121, 0x1000, v121
	v_lshlrev_b32_e32 v122, 25, v135
	v_lshlrev_b32_e32 v136, 2, v135
	;; [unrolled: 1-line block ×3, first 2 shown]
	v_and_b32_e32 v7, 0x100000, v7
	v_or3_b32 v119, v120, v119, v121
	v_lshlrev_b32_e32 v120, 4, v123
	v_lshlrev_b32_e32 v121, 11, v123
	v_and_b32_e32 v122, 0x10000000, v122
	v_and_b32_e32 v136, 0x100000, v136
	;; [unrolled: 1-line block ×6, first 2 shown]
	v_lshlrev_b32_e32 v138, 18, v123
	v_lshlrev_b32_e32 v139, 25, v123
	v_or3_b32 v7, v8, v7, v122
	v_or3_b32 v8, v119, v136, v135
	;; [unrolled: 1-line block ×3, first 2 shown]
	v_and_b32_e32 v120, 0x100000, v138
	v_and_b32_e32 v121, 0x10000000, v139
	v_lshrrev_b32_e32 v122, 4, v173
	v_lshrrev_b32_e32 v135, 12, v123
	;; [unrolled: 1-line block ×3, first 2 shown]
	v_ashrrev_i32_e32 v137, v47, v172
	v_or3_b32 v119, v119, v120, v121
	v_and_b32_e32 v120, 0xf0f0f0f, v122
	v_and_b32_e32 v121, 16, v135
	;; [unrolled: 1-line block ×3, first 2 shown]
	v_lshlrev_b32_e32 v135, 4, v137
	v_lshlrev_b32_e32 v136, 11, v137
	;; [unrolled: 1-line block ×4, first 2 shown]
	v_and_b32_e32 v139, 0xf0f0f0f, v171
	v_and_b32_e32 v135, 16, v135
	;; [unrolled: 1-line block ×3, first 2 shown]
	v_lshlrev_b32_e32 v140, 18, v137
	v_or3_b32 v120, v121, v120, v122
	v_and_b32_e32 v122, 0x10000000, v123
	v_and_b32_e32 v121, 0x100000, v138
	v_or3_b32 v123, v135, v139, v136
	v_and_b32_e32 v135, 0x100000, v140
	v_ashrrev_i32_e32 v140, v47, v170
	v_lshrrev_b32_e32 v136, 4, v171
	v_lshrrev_b32_e32 v138, 12, v137
	;; [unrolled: 1-line block ×3, first 2 shown]
	v_lshlrev_b32_e32 v144, 2, v137
	v_lshlrev_b32_e32 v142, 4, v140
	;; [unrolled: 1-line block ×3, first 2 shown]
	v_and_b32_e32 v136, 0xf0f0f0f, v136
	v_and_b32_e32 v138, 16, v138
	;; [unrolled: 1-line block ×6, first 2 shown]
	v_lshlrev_b32_e32 v141, 25, v137
	v_or3_b32 v136, v138, v136, v139
	v_and_b32_e32 v138, 0x100000, v144
	v_lshrrev_b32_e32 v144, 5, v140
	v_or3_b32 v139, v142, v145, v143
	v_lshrrev_b32_e32 v142, 4, v169
	v_lshrrev_b32_e32 v143, 12, v140
	v_lshlrev_b32_e32 v137, 9, v137
	v_lshlrev_b32_e32 v145, 18, v140
	;; [unrolled: 1-line block ×3, first 2 shown]
	v_and_b32_e32 v142, 0xf0f0f0f, v142
	v_and_b32_e32 v143, 16, v143
	;; [unrolled: 1-line block ×3, first 2 shown]
	v_lshlrev_b32_e32 v147, 2, v140
	v_lshlrev_b32_e32 v140, 9, v140
	v_and_b32_e32 v141, 0x10000000, v141
	v_and_b32_e32 v137, 0x10000000, v137
	;; [unrolled: 1-line block ×4, first 2 shown]
	v_or3_b32 v142, v143, v142, v144
	v_and_b32_e32 v143, 0x100000, v147
	v_and_b32_e32 v140, 0x10000000, v140
	v_or3_b32 v120, v120, v121, v122
	v_or3_b32 v121, v123, v135, v141
	;; [unrolled: 1-line block ×5, first 2 shown]
	ds_store_2addr_b32 v64, v2, v3 offset1:1
	ds_store_2addr_b32 v66, v7, v8 offset1:1
	;; [unrolled: 1-line block ×5, first 2 shown]
	s_waitcnt vmcnt(3)
	ds_store_b32 v114, v131
	s_waitcnt vmcnt(2)
	ds_store_b32 v115, v132
	;; [unrolled: 2-line block ×4, first 2 shown]
	ds_store_b32 v73, v125
	ds_store_b32 v75, v126
	;; [unrolled: 1-line block ×9, first 2 shown]
	v_mov_b32_e32 v124, v104
	v_dual_mov_b32 v119, v108 :: v_dual_mov_b32 v120, v101
	v_dual_mov_b32 v121, v107 :: v_dual_mov_b32 v122, v106
	v_mov_b32_e32 v123, v105
	v_mov_b32_e32 v125, v103
	s_waitcnt lgkmcnt(0)
	s_barrier
	buffer_gl0_inv
.LBB163_7:                              ;   Parent Loop BB163_6 Depth=1
                                        ; =>  This Inner Loop Header: Depth=2
	ds_load_2addr_b32 v[7:8], v120 offset1:1
	ds_load_b128 v[0:3], v121
	ds_load_b128 v[126:129], v121 offset:16
	v_add_nc_u32_e32 v131, 0x2080, v120
	v_add_nc_u32_e32 v132, 0x4100, v120
	;; [unrolled: 1-line block ×3, first 2 shown]
	ds_load_2addr_b32 v[158:159], v120 offset0:2 offset1:3
	ds_load_2addr_b32 v[172:173], v120 offset0:4 offset1:5
	;; [unrolled: 1-line block ×3, first 2 shown]
	ds_load_2addr_b32 v[160:161], v131 offset1:1
	ds_load_2addr_b32 v[162:163], v132 offset1:1
	;; [unrolled: 1-line block ×3, first 2 shown]
	s_add_i32 s0, s0, 4
	s_delay_alu instid0(SALU_CYCLE_1) | instskip(SKIP_3) | instid1(VALU_DEP_1)
	s_cmp_lt_u32 s0, 12
	s_waitcnt lgkmcnt(7)
	v_dot4_i32_iu8 v130, v7, v0, 0 neg_lo:[1,1,0]
	s_waitcnt lgkmcnt(6)
	v_dot4_i32_iu8 v130, v8, v126, v130 neg_lo:[1,1,0]
	;; [unrolled: 2-line block ×4, first 2 shown]
	v_dot4_i32_iu8 v130, v158, v1, v130 neg_lo:[1,1,0]
	s_waitcnt lgkmcnt(0)
	v_dot4_i32_iu8 v0, v164, v0, 0 neg_lo:[1,1,0]
	v_dot4_i32_iu8 v131, v161, v126, v131 neg_lo:[1,1,0]
	;; [unrolled: 1-line block ×3, first 2 shown]
	s_delay_alu instid0(VALU_DEP_3)
	v_dot4_i32_iu8 v0, v165, v126, v0 neg_lo:[1,1,0]
	v_dot4_i32_iu8 v126, v159, v127, v130 neg_lo:[1,1,0]
	v_add_nc_u32_e32 v130, 0x2088, v120
	ds_load_2addr_b32 v[166:167], v130 offset1:1
	s_waitcnt lgkmcnt(0)
	v_dot4_i32_iu8 v130, v166, v1, v131 neg_lo:[1,1,0]
	v_add_nc_u32_e32 v131, 0x4108, v120
	s_delay_alu instid0(VALU_DEP_2) | instskip(SKIP_4) | instid1(VALU_DEP_2)
	v_dot4_i32_iu8 v130, v167, v127, v130 neg_lo:[1,1,0]
	ds_load_2addr_b32 v[168:169], v131 offset1:1
	s_waitcnt lgkmcnt(0)
	v_dot4_i32_iu8 v131, v168, v1, v132 neg_lo:[1,1,0]
	v_add_nc_u32_e32 v132, 0x6188, v120
	v_dot4_i32_iu8 v131, v169, v127, v131 neg_lo:[1,1,0]
	ds_load_2addr_b32 v[170:171], v132 offset1:1
	v_add_nc_u32_e32 v132, 0x4110, v120
	ds_load_2addr_b32 v[174:175], v132 offset1:1
	v_add_nc_u32_e32 v132, 0x6190, v120
	ds_load_2addr_b32 v[176:177], v132 offset1:1
	s_waitcnt lgkmcnt(2)
	v_dot4_i32_iu8 v0, v170, v1, v0 neg_lo:[1,1,0]
	v_dot4_i32_iu8 v1, v172, v2, v126 neg_lo:[1,1,0]
	v_add_nc_u32_e32 v126, 0x2090, v120
	s_delay_alu instid0(VALU_DEP_3) | instskip(NEXT) | instid1(VALU_DEP_3)
	v_dot4_i32_iu8 v0, v171, v127, v0 neg_lo:[1,1,0]
	v_dot4_i32_iu8 v1, v173, v128, v1 neg_lo:[1,1,0]
	ds_load_2addr_b32 v[126:127], v126 offset1:1
	s_waitcnt lgkmcnt(2)
	v_dot4_i32_iu8 v131, v174, v2, v131 neg_lo:[1,1,0]
	v_dot4_i32_iu8 v186, v178, v3, v1 neg_lo:[1,1,0]
	s_waitcnt lgkmcnt(1)
	v_dot4_i32_iu8 v0, v176, v2, v0 neg_lo:[1,1,0]
	s_delay_alu instid0(VALU_DEP_1) | instskip(SKIP_3) | instid1(VALU_DEP_2)
	v_dot4_i32_iu8 v0, v177, v128, v0 neg_lo:[1,1,0]
	s_waitcnt lgkmcnt(0)
	v_dot4_i32_iu8 v130, v126, v2, v130 neg_lo:[1,1,0]
	v_dot4_i32_iu8 v2, v175, v128, v131 neg_lo:[1,1,0]
	;; [unrolled: 1-line block ×3, first 2 shown]
	v_add_nc_u32_e32 v128, 0x2098, v120
	ds_load_b128 v[130:133], v121 offset:1040
	ds_load_2addr_b32 v[180:181], v128 offset1:1
	s_waitcnt lgkmcnt(0)
	v_dot4_i32_iu8 v128, v180, v3, v1 neg_lo:[1,1,0]
	v_add_nc_u32_e32 v1, 0x4118, v120
	ds_load_2addr_b32 v[182:183], v1 offset1:1
	v_add_nc_u32_e32 v1, 0x6198, v120
	v_add_nc_u32_e32 v120, 32, v120
	ds_load_2addr_b32 v[184:185], v1 offset1:1
	s_waitcnt lgkmcnt(1)
	v_dot4_i32_iu8 v187, v182, v3, v2 neg_lo:[1,1,0]
	s_waitcnt lgkmcnt(0)
	v_dot4_i32_iu8 v188, v184, v3, v0 neg_lo:[1,1,0]
	ds_load_b128 v[0:3], v121 offset:1024
	s_waitcnt lgkmcnt(0)
	v_dot4_i32_iu8 v134, v0, v7, 0 neg_lo:[1,1,0]
	v_dot4_i32_iu8 v135, v0, v160, 0 neg_lo:[1,1,0]
	v_dot4_i32_iu8 v136, v0, v162, 0 neg_lo:[1,1,0]
	v_dot4_i32_iu8 v0, v0, v164, 0 neg_lo:[1,1,0]
	s_delay_alu instid0(VALU_DEP_4) | instskip(NEXT) | instid1(VALU_DEP_4)
	v_dot4_i32_iu8 v134, v130, v8, v134 neg_lo:[1,1,0]
	v_dot4_i32_iu8 v135, v130, v161, v135 neg_lo:[1,1,0]
	s_delay_alu instid0(VALU_DEP_4) | instskip(NEXT) | instid1(VALU_DEP_4)
	v_dot4_i32_iu8 v136, v130, v163, v136 neg_lo:[1,1,0]
	v_dot4_i32_iu8 v0, v130, v165, v0 neg_lo:[1,1,0]
	s_delay_alu instid0(VALU_DEP_4) | instskip(NEXT) | instid1(VALU_DEP_4)
	v_dot4_i32_iu8 v130, v1, v158, v134 neg_lo:[1,1,0]
	v_dot4_i32_iu8 v134, v1, v166, v135 neg_lo:[1,1,0]
	s_delay_alu instid0(VALU_DEP_4) | instskip(NEXT) | instid1(VALU_DEP_4)
	v_dot4_i32_iu8 v135, v1, v168, v136 neg_lo:[1,1,0]
	v_dot4_i32_iu8 v0, v1, v170, v0 neg_lo:[1,1,0]
	s_delay_alu instid0(VALU_DEP_4) | instskip(NEXT) | instid1(VALU_DEP_4)
	v_dot4_i32_iu8 v1, v131, v159, v130 neg_lo:[1,1,0]
	v_dot4_i32_iu8 v130, v131, v167, v134 neg_lo:[1,1,0]
	s_delay_alu instid0(VALU_DEP_4) | instskip(NEXT) | instid1(VALU_DEP_4)
	v_dot4_i32_iu8 v134, v131, v169, v135 neg_lo:[1,1,0]
	v_dot4_i32_iu8 v0, v131, v171, v0 neg_lo:[1,1,0]
	s_delay_alu instid0(VALU_DEP_4) | instskip(NEXT) | instid1(VALU_DEP_4)
	v_dot4_i32_iu8 v1, v2, v172, v1 neg_lo:[1,1,0]
	v_dot4_i32_iu8 v130, v2, v126, v130 neg_lo:[1,1,0]
	s_delay_alu instid0(VALU_DEP_4) | instskip(NEXT) | instid1(VALU_DEP_4)
	v_dot4_i32_iu8 v131, v2, v174, v134 neg_lo:[1,1,0]
	v_dot4_i32_iu8 v0, v2, v176, v0 neg_lo:[1,1,0]
	ds_load_b128 v[134:137], v121 offset:2064
	v_dot4_i32_iu8 v1, v132, v173, v1 neg_lo:[1,1,0]
	v_dot4_i32_iu8 v2, v132, v127, v130 neg_lo:[1,1,0]
	v_dot4_i32_iu8 v130, v132, v175, v131 neg_lo:[1,1,0]
	v_dot4_i32_iu8 v0, v132, v177, v0 neg_lo:[1,1,0]
	s_delay_alu instid0(VALU_DEP_4) | instskip(NEXT) | instid1(VALU_DEP_4)
	v_dot4_i32_iu8 v131, v3, v178, v1 neg_lo:[1,1,0]
	v_dot4_i32_iu8 v132, v3, v180, v2 neg_lo:[1,1,0]
	s_delay_alu instid0(VALU_DEP_4) | instskip(NEXT) | instid1(VALU_DEP_4)
	v_dot4_i32_iu8 v130, v3, v182, v130 neg_lo:[1,1,0]
	v_dot4_i32_iu8 v189, v3, v184, v0 neg_lo:[1,1,0]
	ds_load_b128 v[0:3], v121 offset:2048
	v_dot4_i32_iu8 v130, v133, v183, v130 neg_lo:[1,1,0]
	s_waitcnt lgkmcnt(0)
	v_dot4_i32_iu8 v138, v0, v7, 0 neg_lo:[1,1,0]
	v_dot4_i32_iu8 v139, v0, v160, 0 neg_lo:[1,1,0]
	v_dot4_i32_iu8 v140, v0, v162, 0 neg_lo:[1,1,0]
	v_dot4_i32_iu8 v0, v0, v164, 0 neg_lo:[1,1,0]
	s_delay_alu instid0(VALU_DEP_4) | instskip(NEXT) | instid1(VALU_DEP_4)
	v_dot4_i32_iu8 v138, v134, v8, v138 neg_lo:[1,1,0]
	v_dot4_i32_iu8 v139, v134, v161, v139 neg_lo:[1,1,0]
	s_delay_alu instid0(VALU_DEP_4) | instskip(NEXT) | instid1(VALU_DEP_4)
	v_dot4_i32_iu8 v140, v134, v163, v140 neg_lo:[1,1,0]
	v_dot4_i32_iu8 v0, v134, v165, v0 neg_lo:[1,1,0]
	s_delay_alu instid0(VALU_DEP_4) | instskip(NEXT) | instid1(VALU_DEP_4)
	v_dot4_i32_iu8 v134, v1, v158, v138 neg_lo:[1,1,0]
	v_dot4_i32_iu8 v138, v1, v166, v139 neg_lo:[1,1,0]
	s_delay_alu instid0(VALU_DEP_4) | instskip(NEXT) | instid1(VALU_DEP_4)
	v_dot4_i32_iu8 v139, v1, v168, v140 neg_lo:[1,1,0]
	v_dot4_i32_iu8 v0, v1, v170, v0 neg_lo:[1,1,0]
	s_delay_alu instid0(VALU_DEP_4) | instskip(NEXT) | instid1(VALU_DEP_4)
	v_dot4_i32_iu8 v1, v135, v159, v134 neg_lo:[1,1,0]
	v_dot4_i32_iu8 v134, v135, v167, v138 neg_lo:[1,1,0]
	s_delay_alu instid0(VALU_DEP_4) | instskip(NEXT) | instid1(VALU_DEP_4)
	v_dot4_i32_iu8 v138, v135, v169, v139 neg_lo:[1,1,0]
	v_dot4_i32_iu8 v0, v135, v171, v0 neg_lo:[1,1,0]
	s_delay_alu instid0(VALU_DEP_4) | instskip(NEXT) | instid1(VALU_DEP_4)
	v_dot4_i32_iu8 v1, v2, v172, v1 neg_lo:[1,1,0]
	v_dot4_i32_iu8 v134, v2, v126, v134 neg_lo:[1,1,0]
	s_delay_alu instid0(VALU_DEP_4) | instskip(NEXT) | instid1(VALU_DEP_4)
	v_dot4_i32_iu8 v135, v2, v174, v138 neg_lo:[1,1,0]
	v_dot4_i32_iu8 v0, v2, v176, v0 neg_lo:[1,1,0]
	ds_load_b128 v[138:141], v121 offset:3088
	v_dot4_i32_iu8 v1, v136, v173, v1 neg_lo:[1,1,0]
	v_dot4_i32_iu8 v2, v136, v127, v134 neg_lo:[1,1,0]
	v_dot4_i32_iu8 v134, v136, v175, v135 neg_lo:[1,1,0]
	v_dot4_i32_iu8 v0, v136, v177, v0 neg_lo:[1,1,0]
	s_delay_alu instid0(VALU_DEP_4) | instskip(NEXT) | instid1(VALU_DEP_4)
	v_dot4_i32_iu8 v135, v3, v178, v1 neg_lo:[1,1,0]
	v_dot4_i32_iu8 v136, v3, v180, v2 neg_lo:[1,1,0]
	s_delay_alu instid0(VALU_DEP_4) | instskip(NEXT) | instid1(VALU_DEP_4)
	v_dot4_i32_iu8 v134, v3, v182, v134 neg_lo:[1,1,0]
	v_dot4_i32_iu8 v190, v3, v184, v0 neg_lo:[1,1,0]
	ds_load_b128 v[0:3], v121 offset:3072
	v_dot4_i32_iu8 v134, v137, v183, v134 neg_lo:[1,1,0]
	;; [unrolled: 42-line block ×5, first 2 shown]
	s_waitcnt lgkmcnt(0)
	v_dot4_i32_iu8 v154, v0, v7, 0 neg_lo:[1,1,0]
	v_dot4_i32_iu8 v155, v0, v160, 0 neg_lo:[1,1,0]
	v_dot4_i32_iu8 v156, v0, v162, 0 neg_lo:[1,1,0]
	v_dot4_i32_iu8 v0, v0, v164, 0 neg_lo:[1,1,0]
	s_delay_alu instid0(VALU_DEP_4) | instskip(NEXT) | instid1(VALU_DEP_4)
	v_dot4_i32_iu8 v154, v150, v8, v154 neg_lo:[1,1,0]
	v_dot4_i32_iu8 v155, v150, v161, v155 neg_lo:[1,1,0]
	s_delay_alu instid0(VALU_DEP_4) | instskip(NEXT) | instid1(VALU_DEP_4)
	v_dot4_i32_iu8 v156, v150, v163, v156 neg_lo:[1,1,0]
	v_dot4_i32_iu8 v0, v150, v165, v0 neg_lo:[1,1,0]
	s_delay_alu instid0(VALU_DEP_4) | instskip(NEXT) | instid1(VALU_DEP_4)
	v_dot4_i32_iu8 v150, v1, v158, v154 neg_lo:[1,1,0]
	v_dot4_i32_iu8 v154, v1, v166, v155 neg_lo:[1,1,0]
	s_delay_alu instid0(VALU_DEP_4) | instskip(NEXT) | instid1(VALU_DEP_4)
	v_dot4_i32_iu8 v155, v1, v168, v156 neg_lo:[1,1,0]
	v_dot4_i32_iu8 v0, v1, v170, v0 neg_lo:[1,1,0]
	s_delay_alu instid0(VALU_DEP_4) | instskip(NEXT) | instid1(VALU_DEP_4)
	v_dot4_i32_iu8 v1, v151, v159, v150 neg_lo:[1,1,0]
	v_dot4_i32_iu8 v150, v151, v167, v154 neg_lo:[1,1,0]
	s_delay_alu instid0(VALU_DEP_4) | instskip(NEXT) | instid1(VALU_DEP_4)
	v_dot4_i32_iu8 v154, v151, v169, v155 neg_lo:[1,1,0]
	v_dot4_i32_iu8 v0, v151, v171, v0 neg_lo:[1,1,0]
	s_delay_alu instid0(VALU_DEP_4) | instskip(NEXT) | instid1(VALU_DEP_4)
	v_dot4_i32_iu8 v1, v2, v172, v1 neg_lo:[1,1,0]
	v_dot4_i32_iu8 v150, v2, v126, v150 neg_lo:[1,1,0]
	s_delay_alu instid0(VALU_DEP_4) | instskip(NEXT) | instid1(VALU_DEP_4)
	v_dot4_i32_iu8 v151, v2, v174, v154 neg_lo:[1,1,0]
	v_dot4_i32_iu8 v0, v2, v176, v0 neg_lo:[1,1,0]
	ds_load_b128 v[154:157], v121 offset:7184
	v_dot4_i32_iu8 v1, v152, v173, v1 neg_lo:[1,1,0]
	v_dot4_i32_iu8 v2, v152, v127, v150 neg_lo:[1,1,0]
	;; [unrolled: 1-line block ×4, first 2 shown]
	s_delay_alu instid0(VALU_DEP_4) | instskip(NEXT) | instid1(VALU_DEP_4)
	v_dot4_i32_iu8 v151, v3, v178, v1 neg_lo:[1,1,0]
	v_dot4_i32_iu8 v152, v3, v180, v2 neg_lo:[1,1,0]
	s_delay_alu instid0(VALU_DEP_4) | instskip(NEXT) | instid1(VALU_DEP_4)
	v_dot4_i32_iu8 v150, v3, v182, v150 neg_lo:[1,1,0]
	v_dot4_i32_iu8 v194, v3, v184, v0 neg_lo:[1,1,0]
	ds_load_b128 v[0:3], v121 offset:7168
	v_add_nc_u32_e32 v121, 32, v121
	v_dot4_i32_iu8 v150, v153, v183, v150 neg_lo:[1,1,0]
	s_waitcnt lgkmcnt(0)
	v_dot4_i32_iu8 v7, v0, v7, 0 neg_lo:[1,1,0]
	s_delay_alu instid0(VALU_DEP_1) | instskip(SKIP_3) | instid1(VALU_DEP_4)
	v_dot4_i32_iu8 v7, v154, v8, v7 neg_lo:[1,1,0]
	v_dot4_i32_iu8 v8, v0, v160, 0 neg_lo:[1,1,0]
	v_dot4_i32_iu8 v160, v0, v162, 0 neg_lo:[1,1,0]
	v_dot4_i32_iu8 v0, v0, v164, 0 neg_lo:[1,1,0]
	v_dot4_i32_iu8 v7, v1, v158, v7 neg_lo:[1,1,0]
	s_delay_alu instid0(VALU_DEP_4) | instskip(NEXT) | instid1(VALU_DEP_4)
	v_dot4_i32_iu8 v8, v154, v161, v8 neg_lo:[1,1,0]
	v_dot4_i32_iu8 v160, v154, v163, v160 neg_lo:[1,1,0]
	s_delay_alu instid0(VALU_DEP_4) | instskip(NEXT) | instid1(VALU_DEP_4)
	v_dot4_i32_iu8 v0, v154, v165, v0 neg_lo:[1,1,0]
	v_dot4_i32_iu8 v7, v155, v159, v7 neg_lo:[1,1,0]
	;; [unrolled: 3-line block ×7, first 2 shown]
	s_delay_alu instid0(VALU_DEP_4)
	v_dot4_i32_iu8 v0, v2, v176, v0 neg_lo:[1,1,0]
	v_dot4_i32_iu8 v126, v183, v129, v187 neg_lo:[1,1,0]
	;; [unrolled: 1-line block ×7, first 2 shown]
	s_delay_alu instid0(VALU_DEP_4) | instskip(NEXT) | instid1(VALU_DEP_4)
	v_dot4_i32_iu8 v2, v3, v180, v7 neg_lo:[1,1,0]
	v_dot4_i32_iu8 v7, v3, v182, v8 neg_lo:[1,1,0]
	s_delay_alu instid0(VALU_DEP_4)
	v_dot4_i32_iu8 v0, v3, v184, v0 neg_lo:[1,1,0]
	v_dot4_i32_iu8 v3, v179, v129, v186 neg_lo:[1,1,0]
	;; [unrolled: 1-line block ×25, first 2 shown]
	ds_load_b32 v154, v122
	ds_load_b32 v155, v123
	;; [unrolled: 1-line block ×4, first 2 shown]
	ds_load_2addr_b32 v[0:1], v119 offset1:32
	v_cvt_f32_i32_e32 v136, v136
	v_cvt_f32_i32_e32 v128, v128
	;; [unrolled: 1-line block ×10, first 2 shown]
	v_add_nc_u32_e32 v124, 4, v124
	v_add_nc_u32_e32 v122, 4, v122
	v_add_nc_u32_e32 v125, 4, v125
	v_add_nc_u32_e32 v123, 4, v123
	s_waitcnt lgkmcnt(0)
	v_pk_mul_f16 v158, v0, v154
	v_pk_mul_f16 v159, v0, v155
	;; [unrolled: 1-line block ×8, first 2 shown]
	ds_load_2addr_b32 v[0:1], v119 offset0:64 offset1:96
	v_fma_mix_f32 v128, v162, v128, v162 op_sel:[0,0,1] op_sel_hi:[1,0,1]
	v_fma_mix_f32 v3, v158, v3, v158 op_sel:[0,0,1] op_sel_hi:[1,0,1]
	s_delay_alu instid0(VALU_DEP_1)
	v_add_f32_e32 v39, v39, v3
	v_cvt_f32_i32_e32 v3, v8
	v_cvt_f32_i32_e32 v8, v126
	;; [unrolled: 1-line block ×9, first 2 shown]
	v_fma_mix_f32 v3, v159, v3, v159 op_sel:[0,0,1] op_sel_hi:[1,0,1]
	v_fma_mix_f32 v8, v160, v8, v160 op_sel:[0,0,1] op_sel_hi:[1,0,1]
	;; [unrolled: 1-line block ×3, first 2 shown]
	s_waitcnt lgkmcnt(0)
	v_pk_mul_f16 v166, v154, v0
	v_pk_mul_f16 v167, v155, v0
	v_pk_mul_f16 v168, v156, v0
	v_pk_mul_f16 v169, v157, v0
	v_pk_mul_f16 v170, v154, v1
	v_pk_mul_f16 v171, v155, v1
	v_pk_mul_f16 v172, v156, v1
	v_pk_mul_f16 v173, v157, v1
	ds_load_2addr_b32 v[0:1], v119 offset0:128 offset1:160
	v_fma_mix_f32 v136, v170, v136, v170 op_sel:[0,0,1] op_sel_hi:[1,0,1]
	v_fma_mix_f32 v132, v166, v132, v166 op_sel:[0,0,1] op_sel_hi:[1,0,1]
	;; [unrolled: 1-line block ×5, first 2 shown]
	v_add_f32_e32 v28, v28, v136
	v_cvt_f32_i32_e32 v136, v141
	v_cvt_f32_i32_e32 v141, v147
	v_fma_mix_f32 v134, v172, v134, v172 op_sel:[0,0,1] op_sel_hi:[1,0,1]
	v_add_f32_e32 v46, v46, v3
	v_dual_add_f32 v42, v42, v8 :: v_dual_add_f32 v41, v41, v126
	v_add_f32_e32 v38, v38, v127
	v_add_f32_e32 v36, v36, v129
	;; [unrolled: 1-line block ×4, first 2 shown]
	s_waitcnt lgkmcnt(0)
	v_pk_mul_f16 v174, v154, v0
	v_pk_mul_f16 v175, v155, v0
	;; [unrolled: 1-line block ×8, first 2 shown]
	ds_load_2addr_b32 v[0:1], v119 offset0:192 offset1:224
	v_fma_mix_f32 v144, v178, v144, v178 op_sel:[0,0,1] op_sel_hi:[1,0,1]
	v_fma_mix_f32 v140, v174, v140, v174 op_sel:[0,0,1] op_sel_hi:[1,0,1]
	;; [unrolled: 1-line block ×4, first 2 shown]
	v_add_f32_e32 v40, v40, v128
	v_cvt_f32_i32_e32 v128, v130
	v_cvt_f32_i32_e32 v130, v133
	;; [unrolled: 1-line block ×3, first 2 shown]
	v_add_f32_e32 v17, v17, v141
	v_cvt_f32_i32_e32 v137, v142
	v_add_f32_e32 v20, v20, v144
	v_cvt_f32_i32_e32 v144, v151
	v_cvt_f32_i32_e32 v142, v149
	v_fma_mix_f32 v128, v164, v128, v164 op_sel:[0,0,1] op_sel_hi:[1,0,1]
	v_fma_mix_f32 v137, v176, v137, v176 op_sel:[0,0,1] op_sel_hi:[1,0,1]
	v_add_f32_e32 v35, v35, v132
	v_cvt_f32_i32_e32 v132, v135
	v_cvt_f32_i32_e32 v135, v139
	;; [unrolled: 1-line block ×3, first 2 shown]
	v_add_f32_e32 v22, v22, v137
	s_waitcnt lgkmcnt(0)
	v_pk_mul_f16 v182, v154, v0
	v_pk_mul_f16 v183, v155, v0
	;; [unrolled: 1-line block ×8, first 2 shown]
	v_fma_mix_f32 v2, v155, v2, v155 op_sel:[0,0,1] op_sel_hi:[1,0,1]
	v_add_f32_e32 v24, v24, v140
	v_cvt_f32_i32_e32 v140, v146
	v_fma_mix_f32 v0, v0, v144, v0 op_sel:[0,0,1] op_sel_hi:[1,0,1]
	v_cvt_f32_i32_e32 v144, v153
	v_add_f32_e32 v11, v11, v2
	v_fma_mix_f32 v148, v182, v148, v182 op_sel:[0,0,1] op_sel_hi:[1,0,1]
	v_fma_mix_f32 v152, v154, v152, v154 op_sel:[0,0,1] op_sel_hi:[1,0,1]
	;; [unrolled: 1-line block ×13, first 2 shown]
	v_add_f32_e32 v16, v16, v148
	v_add_f32_e32 v12, v12, v152
	v_dual_add_f32 v37, v37, v128 :: v_dual_add_f32 v14, v14, v143
	v_add_f32_e32 v33, v33, v130
	v_dual_add_f32 v31, v31, v132 :: v_dual_add_f32 v10, v10, v7
	v_add_f32_e32 v27, v27, v133
	v_add_f32_e32 v25, v25, v135
	;; [unrolled: 1-line block ×4, first 2 shown]
	v_dual_add_f32 v19, v19, v139 :: v_dual_add_f32 v18, v18, v140
	v_add_nc_u32_e32 v119, 4, v119
	v_add_f32_e32 v15, v15, v142
	v_add_f32_e32 v13, v13, v0
	;; [unrolled: 1-line block ×3, first 2 shown]
	s_cbranch_scc1 .LBB163_7
; %bb.8:                                ;   in Loop: Header=BB163_6 Depth=1
	s_or_b32 s0, s13, 4
	s_delay_alu instid0(SALU_CYCLE_1)
	s_cmp_ge_i32 s0, s5
	s_barrier
	buffer_gl0_inv
	s_cbranch_scc1 .LBB163_5
; %bb.9:                                ;   in Loop: Header=BB163_6 Depth=1
	v_add_nc_u32_e32 v125, s13, v102
	v_add_nc_u32_e32 v118, 4, v118
	s_mov_b32 s0, 12
	s_delay_alu instid0(VALU_DEP_2)
	v_add_nc_u32_e32 v2, v125, v90
	v_add_nc_u32_e32 v7, v125, v91
	;; [unrolled: 1-line block ×5, first 2 shown]
	v_mad_i64_i32 v[0:1], null, v2, 36, v[4:5]
	v_add_nc_u32_e32 v126, v125, v95
	v_mad_i64_i32 v[2:3], null, v7, 36, v[4:5]
	v_add_nc_u32_e32 v127, v125, v97
	;; [unrolled: 2-line block ×3, first 2 shown]
	v_mad_i64_i32 v[119:120], null, v121, 36, v[4:5]
	v_mad_i64_i32 v[121:122], null, v123, 36, v[4:5]
	v_mad_i64_i32 v[123:124], null, v126, 36, v[4:5]
	v_mad_i64_i32 v[125:126], null, v127, 36, v[4:5]
	v_mad_i64_i32 v[127:128], null, v129, 36, v[4:5]
	v_mad_u64_u32 v[129:130], null, v118, 36, s[2:3]
	s_clause 0x8
	global_load_b32 v0, v[0:1], off offset:4
	global_load_b32 v1, v[2:3], off offset:4
	;; [unrolled: 1-line block ×8, first 2 shown]
	global_load_b32 v127, v[129:130], off
	v_mov_b32_e32 v121, v112
	v_dual_mov_b32 v118, v108 :: v_dual_mov_b32 v119, v107
	v_mov_b32_e32 v120, v113
	v_dual_mov_b32 v122, v111 :: v_dual_mov_b32 v123, v110
	v_mov_b32_e32 v124, v109
	s_waitcnt vmcnt(8)
	ds_store_b32 v73, v0
	s_waitcnt vmcnt(7)
	ds_store_b32 v75, v1
	;; [unrolled: 2-line block ×9, first 2 shown]
	s_waitcnt lgkmcnt(0)
	s_barrier
	buffer_gl0_inv
.LBB163_10:                             ;   Parent Loop BB163_6 Depth=1
                                        ; =>  This Inner Loop Header: Depth=2
	ds_load_2addr_b32 v[7:8], v120 offset1:1
	ds_load_b128 v[0:3], v119
	ds_load_b128 v[125:128], v119 offset:16
	ds_load_2addr_b32 v[157:158], v120 offset0:2 offset1:3
	v_add_nc_u32_e32 v130, 0x2080, v120
	v_add_nc_u32_e32 v131, 0x4100, v120
	;; [unrolled: 1-line block ×3, first 2 shown]
	ds_load_2addr_b32 v[171:172], v120 offset0:4 offset1:5
	ds_load_2addr_b32 v[177:178], v120 offset0:6 offset1:7
	ds_load_2addr_b32 v[159:160], v130 offset1:1
	ds_load_2addr_b32 v[161:162], v131 offset1:1
	;; [unrolled: 1-line block ×3, first 2 shown]
	s_add_i32 s0, s0, 4
	s_delay_alu instid0(SALU_CYCLE_1) | instskip(SKIP_3) | instid1(VALU_DEP_1)
	s_cmp_lt_u32 s0, 28
	s_waitcnt lgkmcnt(7)
	v_dot4_i32_iu8 v129, v7, v0, 0 neg_lo:[1,1,0]
	s_waitcnt lgkmcnt(6)
	v_dot4_i32_iu8 v129, v8, v125, v129 neg_lo:[1,1,0]
	;; [unrolled: 2-line block ×4, first 2 shown]
	v_dot4_i32_iu8 v129, v157, v1, v129 neg_lo:[1,1,0]
	s_waitcnt lgkmcnt(0)
	v_dot4_i32_iu8 v0, v163, v0, 0 neg_lo:[1,1,0]
	v_dot4_i32_iu8 v130, v160, v125, v130 neg_lo:[1,1,0]
	;; [unrolled: 1-line block ×3, first 2 shown]
	s_delay_alu instid0(VALU_DEP_3)
	v_dot4_i32_iu8 v0, v164, v125, v0 neg_lo:[1,1,0]
	v_dot4_i32_iu8 v125, v158, v126, v129 neg_lo:[1,1,0]
	v_add_nc_u32_e32 v129, 0x2088, v120
	ds_load_2addr_b32 v[165:166], v129 offset1:1
	s_waitcnt lgkmcnt(0)
	v_dot4_i32_iu8 v129, v165, v1, v130 neg_lo:[1,1,0]
	v_add_nc_u32_e32 v130, 0x4108, v120
	s_delay_alu instid0(VALU_DEP_2) | instskip(SKIP_4) | instid1(VALU_DEP_2)
	v_dot4_i32_iu8 v129, v166, v126, v129 neg_lo:[1,1,0]
	ds_load_2addr_b32 v[167:168], v130 offset1:1
	s_waitcnt lgkmcnt(0)
	v_dot4_i32_iu8 v130, v167, v1, v131 neg_lo:[1,1,0]
	v_add_nc_u32_e32 v131, 0x6188, v120
	v_dot4_i32_iu8 v130, v168, v126, v130 neg_lo:[1,1,0]
	ds_load_2addr_b32 v[169:170], v131 offset1:1
	v_add_nc_u32_e32 v131, 0x4110, v120
	ds_load_2addr_b32 v[173:174], v131 offset1:1
	v_add_nc_u32_e32 v131, 0x6190, v120
	ds_load_2addr_b32 v[175:176], v131 offset1:1
	s_waitcnt lgkmcnt(2)
	v_dot4_i32_iu8 v0, v169, v1, v0 neg_lo:[1,1,0]
	v_dot4_i32_iu8 v1, v171, v2, v125 neg_lo:[1,1,0]
	v_add_nc_u32_e32 v125, 0x2090, v120
	s_delay_alu instid0(VALU_DEP_3) | instskip(NEXT) | instid1(VALU_DEP_3)
	v_dot4_i32_iu8 v0, v170, v126, v0 neg_lo:[1,1,0]
	v_dot4_i32_iu8 v1, v172, v127, v1 neg_lo:[1,1,0]
	ds_load_2addr_b32 v[125:126], v125 offset1:1
	s_waitcnt lgkmcnt(2)
	v_dot4_i32_iu8 v130, v173, v2, v130 neg_lo:[1,1,0]
	v_dot4_i32_iu8 v185, v177, v3, v1 neg_lo:[1,1,0]
	s_waitcnt lgkmcnt(1)
	v_dot4_i32_iu8 v0, v175, v2, v0 neg_lo:[1,1,0]
	s_delay_alu instid0(VALU_DEP_1) | instskip(SKIP_3) | instid1(VALU_DEP_2)
	v_dot4_i32_iu8 v0, v176, v127, v0 neg_lo:[1,1,0]
	s_waitcnt lgkmcnt(0)
	v_dot4_i32_iu8 v129, v125, v2, v129 neg_lo:[1,1,0]
	v_dot4_i32_iu8 v2, v174, v127, v130 neg_lo:[1,1,0]
	;; [unrolled: 1-line block ×3, first 2 shown]
	v_add_nc_u32_e32 v127, 0x2098, v120
	ds_load_b128 v[129:132], v119 offset:1040
	ds_load_2addr_b32 v[179:180], v127 offset1:1
	s_waitcnt lgkmcnt(0)
	v_dot4_i32_iu8 v127, v179, v3, v1 neg_lo:[1,1,0]
	v_add_nc_u32_e32 v1, 0x4118, v120
	ds_load_2addr_b32 v[181:182], v1 offset1:1
	v_add_nc_u32_e32 v1, 0x6198, v120
	v_add_nc_u32_e32 v120, 32, v120
	ds_load_2addr_b32 v[183:184], v1 offset1:1
	s_waitcnt lgkmcnt(1)
	v_dot4_i32_iu8 v186, v181, v3, v2 neg_lo:[1,1,0]
	s_waitcnt lgkmcnt(0)
	v_dot4_i32_iu8 v187, v183, v3, v0 neg_lo:[1,1,0]
	ds_load_b128 v[0:3], v119 offset:1024
	s_waitcnt lgkmcnt(0)
	v_dot4_i32_iu8 v133, v0, v7, 0 neg_lo:[1,1,0]
	v_dot4_i32_iu8 v134, v0, v159, 0 neg_lo:[1,1,0]
	v_dot4_i32_iu8 v135, v0, v161, 0 neg_lo:[1,1,0]
	v_dot4_i32_iu8 v0, v0, v163, 0 neg_lo:[1,1,0]
	s_delay_alu instid0(VALU_DEP_4) | instskip(NEXT) | instid1(VALU_DEP_4)
	v_dot4_i32_iu8 v133, v129, v8, v133 neg_lo:[1,1,0]
	v_dot4_i32_iu8 v134, v129, v160, v134 neg_lo:[1,1,0]
	s_delay_alu instid0(VALU_DEP_4) | instskip(NEXT) | instid1(VALU_DEP_4)
	v_dot4_i32_iu8 v135, v129, v162, v135 neg_lo:[1,1,0]
	v_dot4_i32_iu8 v0, v129, v164, v0 neg_lo:[1,1,0]
	s_delay_alu instid0(VALU_DEP_4) | instskip(NEXT) | instid1(VALU_DEP_4)
	v_dot4_i32_iu8 v129, v1, v157, v133 neg_lo:[1,1,0]
	v_dot4_i32_iu8 v133, v1, v165, v134 neg_lo:[1,1,0]
	s_delay_alu instid0(VALU_DEP_4) | instskip(NEXT) | instid1(VALU_DEP_4)
	v_dot4_i32_iu8 v134, v1, v167, v135 neg_lo:[1,1,0]
	v_dot4_i32_iu8 v0, v1, v169, v0 neg_lo:[1,1,0]
	s_delay_alu instid0(VALU_DEP_4) | instskip(NEXT) | instid1(VALU_DEP_4)
	v_dot4_i32_iu8 v1, v130, v158, v129 neg_lo:[1,1,0]
	v_dot4_i32_iu8 v129, v130, v166, v133 neg_lo:[1,1,0]
	s_delay_alu instid0(VALU_DEP_4) | instskip(NEXT) | instid1(VALU_DEP_4)
	v_dot4_i32_iu8 v133, v130, v168, v134 neg_lo:[1,1,0]
	v_dot4_i32_iu8 v0, v130, v170, v0 neg_lo:[1,1,0]
	s_delay_alu instid0(VALU_DEP_4) | instskip(NEXT) | instid1(VALU_DEP_4)
	v_dot4_i32_iu8 v1, v2, v171, v1 neg_lo:[1,1,0]
	v_dot4_i32_iu8 v129, v2, v125, v129 neg_lo:[1,1,0]
	s_delay_alu instid0(VALU_DEP_4) | instskip(NEXT) | instid1(VALU_DEP_4)
	v_dot4_i32_iu8 v130, v2, v173, v133 neg_lo:[1,1,0]
	v_dot4_i32_iu8 v0, v2, v175, v0 neg_lo:[1,1,0]
	ds_load_b128 v[133:136], v119 offset:2064
	v_dot4_i32_iu8 v1, v131, v172, v1 neg_lo:[1,1,0]
	v_dot4_i32_iu8 v2, v131, v126, v129 neg_lo:[1,1,0]
	v_dot4_i32_iu8 v129, v131, v174, v130 neg_lo:[1,1,0]
	v_dot4_i32_iu8 v0, v131, v176, v0 neg_lo:[1,1,0]
	s_delay_alu instid0(VALU_DEP_4) | instskip(NEXT) | instid1(VALU_DEP_4)
	v_dot4_i32_iu8 v130, v3, v177, v1 neg_lo:[1,1,0]
	v_dot4_i32_iu8 v131, v3, v179, v2 neg_lo:[1,1,0]
	s_delay_alu instid0(VALU_DEP_4) | instskip(NEXT) | instid1(VALU_DEP_4)
	v_dot4_i32_iu8 v129, v3, v181, v129 neg_lo:[1,1,0]
	v_dot4_i32_iu8 v188, v3, v183, v0 neg_lo:[1,1,0]
	ds_load_b128 v[0:3], v119 offset:2048
	v_dot4_i32_iu8 v129, v132, v182, v129 neg_lo:[1,1,0]
	s_waitcnt lgkmcnt(0)
	v_dot4_i32_iu8 v137, v0, v7, 0 neg_lo:[1,1,0]
	v_dot4_i32_iu8 v138, v0, v159, 0 neg_lo:[1,1,0]
	v_dot4_i32_iu8 v139, v0, v161, 0 neg_lo:[1,1,0]
	v_dot4_i32_iu8 v0, v0, v163, 0 neg_lo:[1,1,0]
	s_delay_alu instid0(VALU_DEP_4) | instskip(NEXT) | instid1(VALU_DEP_4)
	v_dot4_i32_iu8 v137, v133, v8, v137 neg_lo:[1,1,0]
	v_dot4_i32_iu8 v138, v133, v160, v138 neg_lo:[1,1,0]
	s_delay_alu instid0(VALU_DEP_4) | instskip(NEXT) | instid1(VALU_DEP_4)
	v_dot4_i32_iu8 v139, v133, v162, v139 neg_lo:[1,1,0]
	v_dot4_i32_iu8 v0, v133, v164, v0 neg_lo:[1,1,0]
	s_delay_alu instid0(VALU_DEP_4) | instskip(NEXT) | instid1(VALU_DEP_4)
	v_dot4_i32_iu8 v133, v1, v157, v137 neg_lo:[1,1,0]
	v_dot4_i32_iu8 v137, v1, v165, v138 neg_lo:[1,1,0]
	s_delay_alu instid0(VALU_DEP_4) | instskip(NEXT) | instid1(VALU_DEP_4)
	v_dot4_i32_iu8 v138, v1, v167, v139 neg_lo:[1,1,0]
	v_dot4_i32_iu8 v0, v1, v169, v0 neg_lo:[1,1,0]
	s_delay_alu instid0(VALU_DEP_4) | instskip(NEXT) | instid1(VALU_DEP_4)
	v_dot4_i32_iu8 v1, v134, v158, v133 neg_lo:[1,1,0]
	v_dot4_i32_iu8 v133, v134, v166, v137 neg_lo:[1,1,0]
	s_delay_alu instid0(VALU_DEP_4) | instskip(NEXT) | instid1(VALU_DEP_4)
	v_dot4_i32_iu8 v137, v134, v168, v138 neg_lo:[1,1,0]
	v_dot4_i32_iu8 v0, v134, v170, v0 neg_lo:[1,1,0]
	s_delay_alu instid0(VALU_DEP_4) | instskip(NEXT) | instid1(VALU_DEP_4)
	v_dot4_i32_iu8 v1, v2, v171, v1 neg_lo:[1,1,0]
	v_dot4_i32_iu8 v133, v2, v125, v133 neg_lo:[1,1,0]
	s_delay_alu instid0(VALU_DEP_4) | instskip(NEXT) | instid1(VALU_DEP_4)
	v_dot4_i32_iu8 v134, v2, v173, v137 neg_lo:[1,1,0]
	v_dot4_i32_iu8 v0, v2, v175, v0 neg_lo:[1,1,0]
	ds_load_b128 v[137:140], v119 offset:3088
	v_dot4_i32_iu8 v1, v135, v172, v1 neg_lo:[1,1,0]
	v_dot4_i32_iu8 v2, v135, v126, v133 neg_lo:[1,1,0]
	v_dot4_i32_iu8 v133, v135, v174, v134 neg_lo:[1,1,0]
	v_dot4_i32_iu8 v0, v135, v176, v0 neg_lo:[1,1,0]
	s_delay_alu instid0(VALU_DEP_4) | instskip(NEXT) | instid1(VALU_DEP_4)
	v_dot4_i32_iu8 v134, v3, v177, v1 neg_lo:[1,1,0]
	v_dot4_i32_iu8 v135, v3, v179, v2 neg_lo:[1,1,0]
	s_delay_alu instid0(VALU_DEP_4) | instskip(NEXT) | instid1(VALU_DEP_4)
	v_dot4_i32_iu8 v133, v3, v181, v133 neg_lo:[1,1,0]
	v_dot4_i32_iu8 v189, v3, v183, v0 neg_lo:[1,1,0]
	ds_load_b128 v[0:3], v119 offset:3072
	v_dot4_i32_iu8 v133, v136, v182, v133 neg_lo:[1,1,0]
	;; [unrolled: 42-line block ×5, first 2 shown]
	s_waitcnt lgkmcnt(0)
	v_dot4_i32_iu8 v153, v0, v7, 0 neg_lo:[1,1,0]
	v_dot4_i32_iu8 v154, v0, v159, 0 neg_lo:[1,1,0]
	;; [unrolled: 1-line block ×4, first 2 shown]
	s_delay_alu instid0(VALU_DEP_4) | instskip(NEXT) | instid1(VALU_DEP_4)
	v_dot4_i32_iu8 v153, v149, v8, v153 neg_lo:[1,1,0]
	v_dot4_i32_iu8 v154, v149, v160, v154 neg_lo:[1,1,0]
	s_delay_alu instid0(VALU_DEP_4) | instskip(NEXT) | instid1(VALU_DEP_4)
	v_dot4_i32_iu8 v155, v149, v162, v155 neg_lo:[1,1,0]
	v_dot4_i32_iu8 v0, v149, v164, v0 neg_lo:[1,1,0]
	;; [unrolled: 3-line block ×8, first 2 shown]
	ds_load_b128 v[153:156], v119 offset:7184
	v_dot4_i32_iu8 v1, v151, v172, v1 neg_lo:[1,1,0]
	v_dot4_i32_iu8 v2, v151, v126, v149 neg_lo:[1,1,0]
	;; [unrolled: 1-line block ×4, first 2 shown]
	s_delay_alu instid0(VALU_DEP_4) | instskip(NEXT) | instid1(VALU_DEP_4)
	v_dot4_i32_iu8 v150, v3, v177, v1 neg_lo:[1,1,0]
	v_dot4_i32_iu8 v151, v3, v179, v2 neg_lo:[1,1,0]
	s_delay_alu instid0(VALU_DEP_4) | instskip(NEXT) | instid1(VALU_DEP_4)
	v_dot4_i32_iu8 v149, v3, v181, v149 neg_lo:[1,1,0]
	v_dot4_i32_iu8 v193, v3, v183, v0 neg_lo:[1,1,0]
	ds_load_b128 v[0:3], v119 offset:7168
	v_add_nc_u32_e32 v119, 32, v119
	v_dot4_i32_iu8 v149, v152, v182, v149 neg_lo:[1,1,0]
	s_waitcnt lgkmcnt(0)
	v_dot4_i32_iu8 v7, v0, v7, 0 neg_lo:[1,1,0]
	s_delay_alu instid0(VALU_DEP_1) | instskip(SKIP_3) | instid1(VALU_DEP_4)
	v_dot4_i32_iu8 v7, v153, v8, v7 neg_lo:[1,1,0]
	v_dot4_i32_iu8 v8, v0, v159, 0 neg_lo:[1,1,0]
	;; [unrolled: 1-line block ×5, first 2 shown]
	s_delay_alu instid0(VALU_DEP_4) | instskip(NEXT) | instid1(VALU_DEP_4)
	v_dot4_i32_iu8 v8, v153, v160, v8 neg_lo:[1,1,0]
	v_dot4_i32_iu8 v159, v153, v162, v159 neg_lo:[1,1,0]
	s_delay_alu instid0(VALU_DEP_4) | instskip(NEXT) | instid1(VALU_DEP_4)
	v_dot4_i32_iu8 v0, v153, v164, v0 neg_lo:[1,1,0]
	v_dot4_i32_iu8 v7, v154, v158, v7 neg_lo:[1,1,0]
	;; [unrolled: 3-line block ×7, first 2 shown]
	s_delay_alu instid0(VALU_DEP_4)
	v_dot4_i32_iu8 v0, v2, v175, v0 neg_lo:[1,1,0]
	v_dot4_i32_iu8 v125, v182, v128, v186 neg_lo:[1,1,0]
	v_dot4_i32_iu8 v1, v3, v177, v1 neg_lo:[1,1,0]
	v_dot4_i32_iu8 v7, v155, v126, v7 neg_lo:[1,1,0]
	v_dot4_i32_iu8 v8, v155, v174, v8 neg_lo:[1,1,0]
	v_dot4_i32_iu8 v0, v155, v176, v0 neg_lo:[1,1,0]
	v_dot4_i32_iu8 v126, v184, v128, v187 neg_lo:[1,1,0]
	s_delay_alu instid0(VALU_DEP_4) | instskip(NEXT) | instid1(VALU_DEP_4)
	v_dot4_i32_iu8 v2, v3, v179, v7 neg_lo:[1,1,0]
	v_dot4_i32_iu8 v7, v3, v181, v8 neg_lo:[1,1,0]
	s_delay_alu instid0(VALU_DEP_4)
	v_dot4_i32_iu8 v0, v3, v183, v0 neg_lo:[1,1,0]
	v_dot4_i32_iu8 v3, v178, v128, v185 neg_lo:[1,1,0]
	;; [unrolled: 1-line block ×25, first 2 shown]
	ds_load_b32 v153, v121
	ds_load_b32 v154, v122
	;; [unrolled: 1-line block ×4, first 2 shown]
	ds_load_2addr_b32 v[0:1], v118 offset1:32
	v_cvt_f32_i32_e32 v143, v143
	v_cvt_f32_i32_e32 v3, v3
	;; [unrolled: 1-line block ×10, first 2 shown]
	v_add_nc_u32_e32 v124, 4, v124
	v_add_nc_u32_e32 v123, 4, v123
	v_add_nc_u32_e32 v122, 4, v122
	v_add_nc_u32_e32 v121, 4, v121
	s_waitcnt lgkmcnt(0)
	v_pk_mul_f16 v157, v0, v153
	v_pk_mul_f16 v158, v0, v154
	;; [unrolled: 1-line block ×8, first 2 shown]
	ds_load_2addr_b32 v[0:1], v118 offset0:64 offset1:96
	v_fma_mix_f32 v3, v157, v3, v157 op_sel:[0,0,1] op_sel_hi:[1,0,1]
	v_fma_mix_f32 v127, v161, v127, v161 op_sel:[0,0,1] op_sel_hi:[1,0,1]
	s_delay_alu instid0(VALU_DEP_2)
	v_add_f32_e32 v39, v39, v3
	v_cvt_f32_i32_e32 v3, v8
	v_cvt_f32_i32_e32 v8, v125
	;; [unrolled: 1-line block ×3, first 2 shown]
	v_add_f32_e32 v40, v40, v127
	v_cvt_f32_i32_e32 v126, v128
	v_cvt_f32_i32_e32 v127, v129
	;; [unrolled: 1-line block ×9, first 2 shown]
	s_waitcnt lgkmcnt(0)
	v_pk_mul_f16 v165, v153, v0
	v_pk_mul_f16 v166, v154, v0
	;; [unrolled: 1-line block ×8, first 2 shown]
	ds_load_2addr_b32 v[0:1], v118 offset0:128 offset1:160
	v_fma_mix_f32 v131, v165, v131, v165 op_sel:[0,0,1] op_sel_hi:[1,0,1]
	v_fma_mix_f32 v135, v169, v135, v169 op_sel:[0,0,1] op_sel_hi:[1,0,1]
	v_cvt_f32_i32_e32 v141, v148
	v_cvt_f32_i32_e32 v142, v149
	v_fma_mix_f32 v3, v158, v3, v158 op_sel:[0,0,1] op_sel_hi:[1,0,1]
	v_add_f32_e32 v35, v35, v131
	v_cvt_f32_i32_e32 v131, v134
	v_add_f32_e32 v28, v28, v135
	v_cvt_f32_i32_e32 v134, v138
	v_cvt_f32_i32_e32 v135, v140
	;; [unrolled: 1-line block ×4, first 2 shown]
	v_fma_mix_f32 v8, v159, v8, v159 op_sel:[0,0,1] op_sel_hi:[1,0,1]
	v_fma_mix_f32 v125, v160, v125, v160 op_sel:[0,0,1] op_sel_hi:[1,0,1]
	;; [unrolled: 1-line block ×7, first 2 shown]
	s_waitcnt lgkmcnt(0)
	v_pk_mul_f16 v173, v153, v0
	v_pk_mul_f16 v174, v154, v0
	;; [unrolled: 1-line block ×8, first 2 shown]
	ds_load_2addr_b32 v[0:1], v118 offset0:192 offset1:224
	v_fma_mix_f32 v143, v177, v143, v177 op_sel:[0,0,1] op_sel_hi:[1,0,1]
	v_fma_mix_f32 v139, v173, v139, v173 op_sel:[0,0,1] op_sel_hi:[1,0,1]
	;; [unrolled: 1-line block ×5, first 2 shown]
	v_add_f32_e32 v20, v20, v143
	v_cvt_f32_i32_e32 v143, v150
	v_add_f32_e32 v24, v24, v139
	v_cvt_f32_i32_e32 v139, v145
	v_fma_mix_f32 v134, v172, v134, v172 op_sel:[0,0,1] op_sel_hi:[1,0,1]
	v_fma_mix_f32 v135, v174, v135, v174 op_sel:[0,0,1] op_sel_hi:[1,0,1]
	v_fma_mix_f32 v136, v175, v136, v175 op_sel:[0,0,1] op_sel_hi:[1,0,1]
	v_fma_mix_f32 v137, v176, v137, v176 op_sel:[0,0,1] op_sel_hi:[1,0,1]
	v_fma_mix_f32 v138, v178, v138, v178 op_sel:[0,0,1] op_sel_hi:[1,0,1]
	v_fma_mix_f32 v139, v179, v139, v179 op_sel:[0,0,1] op_sel_hi:[1,0,1]
	v_fma_mix_f32 v140, v180, v140, v180 op_sel:[0,0,1] op_sel_hi:[1,0,1]
	v_add_f32_e32 v46, v46, v3
	v_dual_add_f32 v42, v42, v8 :: v_dual_add_f32 v37, v37, v127
	s_waitcnt lgkmcnt(0)
	v_pk_mul_f16 v181, v153, v0
	v_pk_mul_f16 v182, v154, v0
	;; [unrolled: 1-line block ×8, first 2 shown]
	v_fma_mix_f32 v0, v0, v143, v0 op_sel:[0,0,1] op_sel_hi:[1,0,1]
	v_cvt_f32_i32_e32 v143, v152
	v_fma_mix_f32 v147, v181, v147, v181 op_sel:[0,0,1] op_sel_hi:[1,0,1]
	v_fma_mix_f32 v151, v153, v151, v153 op_sel:[0,0,1] op_sel_hi:[1,0,1]
	;; [unrolled: 1-line block ×7, first 2 shown]
	v_add_f32_e32 v16, v16, v147
	v_dual_add_f32 v12, v12, v151 :: v_dual_add_f32 v41, v41, v125
	v_add_f32_e32 v38, v38, v126
	v_dual_add_f32 v36, v36, v128 :: v_dual_add_f32 v33, v33, v129
	v_dual_add_f32 v32, v32, v130 :: v_dual_add_f32 v31, v31, v131
	;; [unrolled: 1-line block ×7, first 2 shown]
	v_add_f32_e32 v17, v17, v140
	v_add_f32_e32 v15, v15, v141
	v_dual_add_f32 v13, v13, v0 :: v_dual_add_nc_u32 v118, 4, v118
	v_add_f32_e32 v11, v11, v2
	v_add_f32_e32 v9, v9, v1
	s_cbranch_scc1 .LBB163_10
; %bb.11:                               ;   in Loop: Header=BB163_6 Depth=1
	s_barrier
	buffer_gl0_inv
	s_branch .LBB163_5
.LBB163_12:
	v_dual_mov_b32 v1, v29 :: v_dual_mov_b32 v0, v30
.LBB163_13:
	s_mov_b32 s0, exec_lo
	v_cmpx_gt_u32_e64 s4, v34
	s_cbranch_execz .LBB163_64
; %bb.14:
	s_delay_alu instid0(VALU_DEP_2) | instskip(SKIP_1) | instid1(VALU_DEP_2)
	v_add_nc_u32_e32 v0, s10, v0
	v_mul_lo_u32 v5, v34, s6
	v_cmp_gt_u32_e32 vcc_lo, s6, v0
	s_and_saveexec_b32 s1, vcc_lo
	s_cbranch_execz .LBB163_16
; %bb.15:
	v_bfe_u32 v3, v39, 16, 1
	s_delay_alu instid0(VALU_DEP_3) | instskip(SKIP_1) | instid1(VALU_DEP_3)
	v_add_nc_u32_e32 v2, v0, v5
	v_cmp_o_f32_e64 s0, v39, v39
	v_add3_u32 v4, v39, v3, 0x7fff
	v_mov_b32_e32 v3, 0
	s_delay_alu instid0(VALU_DEP_2) | instskip(NEXT) | instid1(VALU_DEP_2)
	v_lshrrev_b32_e32 v4, 16, v4
	v_lshlrev_b64 v[2:3], 1, v[2:3]
	s_delay_alu instid0(VALU_DEP_2) | instskip(SKIP_1) | instid1(VALU_DEP_2)
	v_cndmask_b32_e64 v4, 0x7fc0, v4, s0
	s_waitcnt lgkmcnt(0)
	v_add_co_u32 v2, s0, s8, v2
	s_delay_alu instid0(VALU_DEP_1)
	v_add_co_ci_u32_e64 v3, s0, s9, v3, s0
	global_store_b16 v[2:3], v4, off
.LBB163_16:
	s_or_b32 exec_lo, exec_lo, s1
	v_add_nc_u32_e32 v2, 32, v0
	s_delay_alu instid0(VALU_DEP_1) | instskip(NEXT) | instid1(VALU_DEP_1)
	v_cmp_gt_u32_e64 s0, s6, v2
	s_and_saveexec_b32 s2, s0
	s_cbranch_execz .LBB163_18
; %bb.17:
	v_bfe_u32 v4, v46, 16, 1
	v_add_nc_u32_e32 v3, v2, v5
	v_cmp_o_f32_e64 s1, v46, v46
	s_delay_alu instid0(VALU_DEP_3) | instskip(SKIP_1) | instid1(VALU_DEP_2)
	v_add3_u32 v6, v46, v4, 0x7fff
	v_mov_b32_e32 v4, 0
	v_lshrrev_b32_e32 v6, 16, v6
	s_delay_alu instid0(VALU_DEP_2) | instskip(NEXT) | instid1(VALU_DEP_2)
	v_lshlrev_b64 v[3:4], 1, v[3:4]
	v_cndmask_b32_e64 v6, 0x7fc0, v6, s1
	s_waitcnt lgkmcnt(0)
	s_delay_alu instid0(VALU_DEP_2) | instskip(NEXT) | instid1(VALU_DEP_1)
	v_add_co_u32 v3, s1, s8, v3
	v_add_co_ci_u32_e64 v4, s1, s9, v4, s1
	global_store_b16 v[3:4], v6, off
.LBB163_18:
	s_or_b32 exec_lo, exec_lo, s2
	v_add_nc_u32_e32 v3, 64, v0
	s_delay_alu instid0(VALU_DEP_1) | instskip(NEXT) | instid1(VALU_DEP_1)
	v_cmp_gt_u32_e64 s1, s6, v3
	s_and_saveexec_b32 s3, s1
	s_cbranch_execz .LBB163_20
; %bb.19:
	v_bfe_u32 v4, v42, 16, 1
	v_dual_mov_b32 v7, 0 :: v_dual_add_nc_u32 v6, v3, v5
	v_cmp_o_f32_e64 s2, v42, v42
	s_delay_alu instid0(VALU_DEP_3) | instskip(NEXT) | instid1(VALU_DEP_3)
	v_add3_u32 v4, v42, v4, 0x7fff
	v_lshlrev_b64 v[6:7], 1, v[6:7]
	s_delay_alu instid0(VALU_DEP_2) | instskip(NEXT) | instid1(VALU_DEP_1)
	v_lshrrev_b32_e32 v4, 16, v4
	v_cndmask_b32_e64 v4, 0x7fc0, v4, s2
	s_waitcnt lgkmcnt(0)
	s_delay_alu instid0(VALU_DEP_3) | instskip(NEXT) | instid1(VALU_DEP_1)
	v_add_co_u32 v6, s2, s8, v6
	v_add_co_ci_u32_e64 v7, s2, s9, v7, s2
	global_store_b16 v[6:7], v4, off
.LBB163_20:
	s_or_b32 exec_lo, exec_lo, s3
	v_add_nc_u32_e32 v4, 0x60, v0
	s_delay_alu instid0(VALU_DEP_1) | instskip(NEXT) | instid1(VALU_DEP_1)
	v_cmp_gt_u32_e64 s2, s6, v4
	s_and_saveexec_b32 s5, s2
	s_cbranch_execz .LBB163_22
; %bb.21:
	v_bfe_u32 v6, v41, 16, 1
	v_add_nc_u32_e32 v5, v4, v5
	v_cmp_o_f32_e64 s3, v41, v41
	s_delay_alu instid0(VALU_DEP_3) | instskip(SKIP_1) | instid1(VALU_DEP_2)
	v_add3_u32 v7, v41, v6, 0x7fff
	v_mov_b32_e32 v6, 0
	v_lshrrev_b32_e32 v7, 16, v7
	s_delay_alu instid0(VALU_DEP_2) | instskip(NEXT) | instid1(VALU_DEP_2)
	v_lshlrev_b64 v[5:6], 1, v[5:6]
	v_cndmask_b32_e64 v7, 0x7fc0, v7, s3
	s_waitcnt lgkmcnt(0)
	s_delay_alu instid0(VALU_DEP_2) | instskip(NEXT) | instid1(VALU_DEP_1)
	v_add_co_u32 v5, s3, s8, v5
	v_add_co_ci_u32_e64 v6, s3, s9, v6, s3
	global_store_b16 v[5:6], v7, off
.LBB163_22:
	s_or_b32 exec_lo, exec_lo, s5
	v_add3_u32 v5, v1, s7, 8
	s_delay_alu instid0(VALU_DEP_1) | instskip(NEXT) | instid1(VALU_DEP_1)
	v_cmp_gt_u32_e64 s3, s4, v5
	s_and_b32 exec_lo, exec_lo, s3
	s_cbranch_execz .LBB163_64
; %bb.23:
	v_mul_lo_u32 v5, v5, s6
	s_and_saveexec_b32 s5, vcc_lo
	s_cbranch_execnz .LBB163_65
; %bb.24:
	s_or_b32 exec_lo, exec_lo, s5
	s_and_saveexec_b32 s5, s0
	s_cbranch_execnz .LBB163_66
.LBB163_25:
	s_or_b32 exec_lo, exec_lo, s5
	s_and_saveexec_b32 s5, s1
	s_cbranch_execnz .LBB163_67
.LBB163_26:
	s_or_b32 exec_lo, exec_lo, s5
	s_and_saveexec_b32 s5, s2
	s_cbranch_execz .LBB163_28
.LBB163_27:
	v_bfe_u32 v6, v36, 16, 1
	v_add_nc_u32_e32 v5, v5, v4
	v_cmp_o_f32_e64 s3, v36, v36
	s_delay_alu instid0(VALU_DEP_3) | instskip(SKIP_1) | instid1(VALU_DEP_2)
	v_add3_u32 v7, v36, v6, 0x7fff
	v_mov_b32_e32 v6, 0
	v_lshrrev_b32_e32 v7, 16, v7
	s_delay_alu instid0(VALU_DEP_2) | instskip(NEXT) | instid1(VALU_DEP_2)
	v_lshlrev_b64 v[5:6], 1, v[5:6]
	v_cndmask_b32_e64 v7, 0x7fc0, v7, s3
	s_waitcnt lgkmcnt(0)
	s_delay_alu instid0(VALU_DEP_2) | instskip(NEXT) | instid1(VALU_DEP_1)
	v_add_co_u32 v5, s3, s8, v5
	v_add_co_ci_u32_e64 v6, s3, s9, v6, s3
	global_store_b16 v[5:6], v7, off
.LBB163_28:
	s_or_b32 exec_lo, exec_lo, s5
	v_add3_u32 v5, v1, s7, 16
	s_delay_alu instid0(VALU_DEP_1) | instskip(NEXT) | instid1(VALU_DEP_1)
	v_cmp_gt_u32_e64 s3, s4, v5
	s_and_b32 exec_lo, exec_lo, s3
	s_cbranch_execz .LBB163_64
; %bb.29:
	v_mul_lo_u32 v5, v5, s6
	s_and_saveexec_b32 s5, vcc_lo
	s_cbranch_execnz .LBB163_68
; %bb.30:
	s_or_b32 exec_lo, exec_lo, s5
	s_and_saveexec_b32 s5, s0
	s_cbranch_execnz .LBB163_69
.LBB163_31:
	s_or_b32 exec_lo, exec_lo, s5
	s_and_saveexec_b32 s5, s1
	s_cbranch_execnz .LBB163_70
.LBB163_32:
	s_or_b32 exec_lo, exec_lo, s5
	s_and_saveexec_b32 s5, s2
	s_cbranch_execz .LBB163_34
.LBB163_33:
	v_bfe_u32 v6, v31, 16, 1
	v_add_nc_u32_e32 v5, v5, v4
	v_cmp_o_f32_e64 s3, v31, v31
	s_delay_alu instid0(VALU_DEP_3) | instskip(SKIP_1) | instid1(VALU_DEP_2)
	v_add3_u32 v7, v31, v6, 0x7fff
	v_mov_b32_e32 v6, 0
	v_lshrrev_b32_e32 v7, 16, v7
	s_delay_alu instid0(VALU_DEP_2) | instskip(NEXT) | instid1(VALU_DEP_2)
	v_lshlrev_b64 v[5:6], 1, v[5:6]
	v_cndmask_b32_e64 v7, 0x7fc0, v7, s3
	s_waitcnt lgkmcnt(0)
	s_delay_alu instid0(VALU_DEP_2) | instskip(NEXT) | instid1(VALU_DEP_1)
	v_add_co_u32 v5, s3, s8, v5
	v_add_co_ci_u32_e64 v6, s3, s9, v6, s3
	global_store_b16 v[5:6], v7, off
.LBB163_34:
	s_or_b32 exec_lo, exec_lo, s5
	v_add3_u32 v5, v1, s7, 24
	s_delay_alu instid0(VALU_DEP_1) | instskip(NEXT) | instid1(VALU_DEP_1)
	v_cmp_gt_u32_e64 s3, s4, v5
	s_and_b32 exec_lo, exec_lo, s3
	s_cbranch_execz .LBB163_64
; %bb.35:
	v_mul_lo_u32 v5, v5, s6
	s_and_saveexec_b32 s5, vcc_lo
	s_cbranch_execnz .LBB163_71
; %bb.36:
	s_or_b32 exec_lo, exec_lo, s5
	s_and_saveexec_b32 s5, s0
	s_cbranch_execnz .LBB163_72
.LBB163_37:
	s_or_b32 exec_lo, exec_lo, s5
	s_and_saveexec_b32 s5, s1
	s_cbranch_execnz .LBB163_73
.LBB163_38:
	s_or_b32 exec_lo, exec_lo, s5
	s_and_saveexec_b32 s5, s2
	s_cbranch_execz .LBB163_40
.LBB163_39:
	v_bfe_u32 v6, v25, 16, 1
	v_add_nc_u32_e32 v5, v5, v4
	v_cmp_o_f32_e64 s3, v25, v25
	s_delay_alu instid0(VALU_DEP_3) | instskip(SKIP_1) | instid1(VALU_DEP_2)
	v_add3_u32 v7, v25, v6, 0x7fff
	v_mov_b32_e32 v6, 0
	v_lshrrev_b32_e32 v7, 16, v7
	s_delay_alu instid0(VALU_DEP_2) | instskip(NEXT) | instid1(VALU_DEP_2)
	v_lshlrev_b64 v[5:6], 1, v[5:6]
	v_cndmask_b32_e64 v7, 0x7fc0, v7, s3
	s_waitcnt lgkmcnt(0)
	s_delay_alu instid0(VALU_DEP_2) | instskip(NEXT) | instid1(VALU_DEP_1)
	v_add_co_u32 v5, s3, s8, v5
	v_add_co_ci_u32_e64 v6, s3, s9, v6, s3
	global_store_b16 v[5:6], v7, off
.LBB163_40:
	s_or_b32 exec_lo, exec_lo, s5
	v_add3_u32 v5, v1, s7, 32
	s_delay_alu instid0(VALU_DEP_1) | instskip(NEXT) | instid1(VALU_DEP_1)
	v_cmp_gt_u32_e64 s3, s4, v5
	s_and_b32 exec_lo, exec_lo, s3
	s_cbranch_execz .LBB163_64
; %bb.41:
	v_mul_lo_u32 v5, v5, s6
	s_and_saveexec_b32 s5, vcc_lo
	s_cbranch_execnz .LBB163_74
; %bb.42:
	s_or_b32 exec_lo, exec_lo, s5
	s_and_saveexec_b32 s5, s0
	s_cbranch_execnz .LBB163_75
.LBB163_43:
	s_or_b32 exec_lo, exec_lo, s5
	s_and_saveexec_b32 s5, s1
	s_cbranch_execnz .LBB163_76
.LBB163_44:
	s_or_b32 exec_lo, exec_lo, s5
	s_and_saveexec_b32 s5, s2
	s_cbranch_execz .LBB163_46
.LBB163_45:
	v_bfe_u32 v6, v21, 16, 1
	v_add_nc_u32_e32 v5, v5, v4
	v_cmp_o_f32_e64 s3, v21, v21
	s_delay_alu instid0(VALU_DEP_3) | instskip(SKIP_1) | instid1(VALU_DEP_2)
	v_add3_u32 v7, v21, v6, 0x7fff
	v_mov_b32_e32 v6, 0
	v_lshrrev_b32_e32 v7, 16, v7
	s_delay_alu instid0(VALU_DEP_2) | instskip(NEXT) | instid1(VALU_DEP_2)
	v_lshlrev_b64 v[5:6], 1, v[5:6]
	v_cndmask_b32_e64 v7, 0x7fc0, v7, s3
	s_waitcnt lgkmcnt(0)
	s_delay_alu instid0(VALU_DEP_2) | instskip(NEXT) | instid1(VALU_DEP_1)
	v_add_co_u32 v5, s3, s8, v5
	v_add_co_ci_u32_e64 v6, s3, s9, v6, s3
	global_store_b16 v[5:6], v7, off
.LBB163_46:
	s_or_b32 exec_lo, exec_lo, s5
	v_add3_u32 v5, v1, s7, 40
	s_delay_alu instid0(VALU_DEP_1) | instskip(NEXT) | instid1(VALU_DEP_1)
	v_cmp_gt_u32_e64 s3, s4, v5
	s_and_b32 exec_lo, exec_lo, s3
	s_cbranch_execz .LBB163_64
; %bb.47:
	v_mul_lo_u32 v5, v5, s6
	s_and_saveexec_b32 s5, vcc_lo
	s_cbranch_execnz .LBB163_77
; %bb.48:
	s_or_b32 exec_lo, exec_lo, s5
	s_and_saveexec_b32 s5, s0
	s_cbranch_execnz .LBB163_78
.LBB163_49:
	s_or_b32 exec_lo, exec_lo, s5
	s_and_saveexec_b32 s5, s1
	s_cbranch_execnz .LBB163_79
.LBB163_50:
	s_or_b32 exec_lo, exec_lo, s5
	s_and_saveexec_b32 s5, s2
	s_cbranch_execz .LBB163_52
.LBB163_51:
	v_bfe_u32 v6, v17, 16, 1
	v_add_nc_u32_e32 v5, v5, v4
	v_cmp_o_f32_e64 s3, v17, v17
	s_delay_alu instid0(VALU_DEP_3) | instskip(SKIP_1) | instid1(VALU_DEP_2)
	v_add3_u32 v7, v17, v6, 0x7fff
	v_mov_b32_e32 v6, 0
	v_lshrrev_b32_e32 v7, 16, v7
	s_delay_alu instid0(VALU_DEP_2) | instskip(NEXT) | instid1(VALU_DEP_2)
	v_lshlrev_b64 v[5:6], 1, v[5:6]
	v_cndmask_b32_e64 v7, 0x7fc0, v7, s3
	s_waitcnt lgkmcnt(0)
	s_delay_alu instid0(VALU_DEP_2) | instskip(NEXT) | instid1(VALU_DEP_1)
	v_add_co_u32 v5, s3, s8, v5
	v_add_co_ci_u32_e64 v6, s3, s9, v6, s3
	global_store_b16 v[5:6], v7, off
.LBB163_52:
	s_or_b32 exec_lo, exec_lo, s5
	v_add3_u32 v5, v1, s7, 48
	s_delay_alu instid0(VALU_DEP_1) | instskip(NEXT) | instid1(VALU_DEP_1)
	v_cmp_gt_u32_e64 s3, s4, v5
	s_and_b32 exec_lo, exec_lo, s3
	s_cbranch_execz .LBB163_64
; %bb.53:
	v_mul_lo_u32 v5, v5, s6
	s_and_saveexec_b32 s5, vcc_lo
	s_cbranch_execnz .LBB163_80
; %bb.54:
	s_or_b32 exec_lo, exec_lo, s5
	s_and_saveexec_b32 s5, s0
	s_cbranch_execnz .LBB163_81
.LBB163_55:
	s_or_b32 exec_lo, exec_lo, s5
	s_and_saveexec_b32 s5, s1
	s_cbranch_execnz .LBB163_82
.LBB163_56:
	s_or_b32 exec_lo, exec_lo, s5
	s_and_saveexec_b32 s5, s2
	s_cbranch_execz .LBB163_58
.LBB163_57:
	v_bfe_u32 v6, v13, 16, 1
	v_add_nc_u32_e32 v5, v5, v4
	v_cmp_o_f32_e64 s3, v13, v13
	s_delay_alu instid0(VALU_DEP_3) | instskip(SKIP_1) | instid1(VALU_DEP_2)
	v_add3_u32 v7, v13, v6, 0x7fff
	v_mov_b32_e32 v6, 0
	v_lshrrev_b32_e32 v7, 16, v7
	s_delay_alu instid0(VALU_DEP_2) | instskip(NEXT) | instid1(VALU_DEP_2)
	v_lshlrev_b64 v[5:6], 1, v[5:6]
	v_cndmask_b32_e64 v7, 0x7fc0, v7, s3
	s_waitcnt lgkmcnt(0)
	s_delay_alu instid0(VALU_DEP_2) | instskip(NEXT) | instid1(VALU_DEP_1)
	v_add_co_u32 v5, s3, s8, v5
	v_add_co_ci_u32_e64 v6, s3, s9, v6, s3
	global_store_b16 v[5:6], v7, off
.LBB163_58:
	s_or_b32 exec_lo, exec_lo, s5
	v_add3_u32 v1, v1, s7, 56
	s_delay_alu instid0(VALU_DEP_1) | instskip(NEXT) | instid1(VALU_DEP_1)
	v_cmp_gt_u32_e64 s3, s4, v1
	s_and_b32 exec_lo, exec_lo, s3
	s_cbranch_execz .LBB163_64
; %bb.59:
	v_mul_lo_u32 v1, v1, s6
	s_and_saveexec_b32 s3, vcc_lo
	s_cbranch_execnz .LBB163_83
; %bb.60:
	s_or_b32 exec_lo, exec_lo, s3
	s_and_saveexec_b32 s3, s0
	s_cbranch_execnz .LBB163_84
.LBB163_61:
	s_or_b32 exec_lo, exec_lo, s3
	s_and_saveexec_b32 s0, s1
	s_cbranch_execnz .LBB163_85
.LBB163_62:
	s_or_b32 exec_lo, exec_lo, s0
	s_delay_alu instid0(SALU_CYCLE_1)
	s_and_b32 exec_lo, exec_lo, s2
	s_cbranch_execz .LBB163_64
.LBB163_63:
	v_bfe_u32 v2, v9, 16, 1
	v_dual_mov_b32 v1, 0 :: v_dual_add_nc_u32 v0, v1, v4
	v_cmp_o_f32_e32 vcc_lo, v9, v9
	s_delay_alu instid0(VALU_DEP_3) | instskip(NEXT) | instid1(VALU_DEP_3)
	v_add3_u32 v2, v9, v2, 0x7fff
	v_lshlrev_b64 v[0:1], 1, v[0:1]
	s_delay_alu instid0(VALU_DEP_2) | instskip(NEXT) | instid1(VALU_DEP_1)
	v_lshrrev_b32_e32 v2, 16, v2
	v_cndmask_b32_e32 v2, 0x7fc0, v2, vcc_lo
	s_waitcnt lgkmcnt(0)
	s_delay_alu instid0(VALU_DEP_3) | instskip(NEXT) | instid1(VALU_DEP_4)
	v_add_co_u32 v0, vcc_lo, s8, v0
	v_add_co_ci_u32_e32 v1, vcc_lo, s9, v1, vcc_lo
	global_store_b16 v[0:1], v2, off
.LBB163_64:
	s_nop 0
	s_sendmsg sendmsg(MSG_DEALLOC_VGPRS)
	s_endpgm
.LBB163_65:
	v_bfe_u32 v7, v40, 16, 1
	s_delay_alu instid0(VALU_DEP_2) | instskip(SKIP_1) | instid1(VALU_DEP_3)
	v_add_nc_u32_e32 v6, v5, v0
	v_cmp_o_f32_e64 s3, v40, v40
	v_add3_u32 v8, v40, v7, 0x7fff
	v_mov_b32_e32 v7, 0
	s_delay_alu instid0(VALU_DEP_2) | instskip(NEXT) | instid1(VALU_DEP_2)
	v_lshrrev_b32_e32 v8, 16, v8
	v_lshlrev_b64 v[6:7], 1, v[6:7]
	s_delay_alu instid0(VALU_DEP_2) | instskip(SKIP_1) | instid1(VALU_DEP_2)
	v_cndmask_b32_e64 v8, 0x7fc0, v8, s3
	s_waitcnt lgkmcnt(0)
	v_add_co_u32 v6, s3, s8, v6
	s_delay_alu instid0(VALU_DEP_1)
	v_add_co_ci_u32_e64 v7, s3, s9, v7, s3
	global_store_b16 v[6:7], v8, off
	s_or_b32 exec_lo, exec_lo, s5
	s_and_saveexec_b32 s5, s0
	s_cbranch_execz .LBB163_25
.LBB163_66:
	v_bfe_u32 v7, v38, 16, 1
	s_delay_alu instid0(VALU_DEP_2) | instskip(SKIP_1) | instid1(VALU_DEP_3)
	v_add_nc_u32_e32 v6, v5, v2
	v_cmp_o_f32_e64 s3, v38, v38
	v_add3_u32 v8, v38, v7, 0x7fff
	v_mov_b32_e32 v7, 0
	s_delay_alu instid0(VALU_DEP_2) | instskip(NEXT) | instid1(VALU_DEP_2)
	v_lshrrev_b32_e32 v8, 16, v8
	v_lshlrev_b64 v[6:7], 1, v[6:7]
	s_delay_alu instid0(VALU_DEP_2) | instskip(SKIP_1) | instid1(VALU_DEP_2)
	v_cndmask_b32_e64 v8, 0x7fc0, v8, s3
	s_waitcnt lgkmcnt(0)
	v_add_co_u32 v6, s3, s8, v6
	s_delay_alu instid0(VALU_DEP_1)
	v_add_co_ci_u32_e64 v7, s3, s9, v7, s3
	global_store_b16 v[6:7], v8, off
	s_or_b32 exec_lo, exec_lo, s5
	s_and_saveexec_b32 s5, s1
	s_cbranch_execz .LBB163_26
.LBB163_67:
	v_bfe_u32 v7, v37, 16, 1
	v_add_nc_u32_e32 v6, v5, v3
	v_cmp_o_f32_e64 s3, v37, v37
	s_delay_alu instid0(VALU_DEP_3) | instskip(SKIP_1) | instid1(VALU_DEP_2)
	v_add3_u32 v8, v37, v7, 0x7fff
	v_mov_b32_e32 v7, 0
	v_lshrrev_b32_e32 v8, 16, v8
	s_delay_alu instid0(VALU_DEP_2) | instskip(NEXT) | instid1(VALU_DEP_2)
	v_lshlrev_b64 v[6:7], 1, v[6:7]
	v_cndmask_b32_e64 v8, 0x7fc0, v8, s3
	s_waitcnt lgkmcnt(0)
	s_delay_alu instid0(VALU_DEP_2) | instskip(NEXT) | instid1(VALU_DEP_1)
	v_add_co_u32 v6, s3, s8, v6
	v_add_co_ci_u32_e64 v7, s3, s9, v7, s3
	global_store_b16 v[6:7], v8, off
	s_or_b32 exec_lo, exec_lo, s5
	s_and_saveexec_b32 s5, s2
	s_cbranch_execnz .LBB163_27
	s_branch .LBB163_28
.LBB163_68:
	v_bfe_u32 v7, v35, 16, 1
	s_delay_alu instid0(VALU_DEP_2) | instskip(SKIP_1) | instid1(VALU_DEP_3)
	v_add_nc_u32_e32 v6, v5, v0
	v_cmp_o_f32_e64 s3, v35, v35
	v_add3_u32 v8, v35, v7, 0x7fff
	v_mov_b32_e32 v7, 0
	s_delay_alu instid0(VALU_DEP_2) | instskip(NEXT) | instid1(VALU_DEP_2)
	v_lshrrev_b32_e32 v8, 16, v8
	v_lshlrev_b64 v[6:7], 1, v[6:7]
	s_delay_alu instid0(VALU_DEP_2) | instskip(SKIP_1) | instid1(VALU_DEP_2)
	v_cndmask_b32_e64 v8, 0x7fc0, v8, s3
	s_waitcnt lgkmcnt(0)
	v_add_co_u32 v6, s3, s8, v6
	s_delay_alu instid0(VALU_DEP_1)
	v_add_co_ci_u32_e64 v7, s3, s9, v7, s3
	global_store_b16 v[6:7], v8, off
	s_or_b32 exec_lo, exec_lo, s5
	s_and_saveexec_b32 s5, s0
	s_cbranch_execz .LBB163_31
.LBB163_69:
	v_bfe_u32 v7, v33, 16, 1
	s_delay_alu instid0(VALU_DEP_2) | instskip(SKIP_1) | instid1(VALU_DEP_3)
	v_add_nc_u32_e32 v6, v5, v2
	v_cmp_o_f32_e64 s3, v33, v33
	v_add3_u32 v8, v33, v7, 0x7fff
	v_mov_b32_e32 v7, 0
	s_delay_alu instid0(VALU_DEP_2) | instskip(NEXT) | instid1(VALU_DEP_2)
	v_lshrrev_b32_e32 v8, 16, v8
	v_lshlrev_b64 v[6:7], 1, v[6:7]
	s_delay_alu instid0(VALU_DEP_2) | instskip(SKIP_1) | instid1(VALU_DEP_2)
	v_cndmask_b32_e64 v8, 0x7fc0, v8, s3
	s_waitcnt lgkmcnt(0)
	v_add_co_u32 v6, s3, s8, v6
	s_delay_alu instid0(VALU_DEP_1)
	v_add_co_ci_u32_e64 v7, s3, s9, v7, s3
	global_store_b16 v[6:7], v8, off
	s_or_b32 exec_lo, exec_lo, s5
	s_and_saveexec_b32 s5, s1
	s_cbranch_execz .LBB163_32
.LBB163_70:
	v_bfe_u32 v7, v32, 16, 1
	v_add_nc_u32_e32 v6, v5, v3
	v_cmp_o_f32_e64 s3, v32, v32
	s_delay_alu instid0(VALU_DEP_3) | instskip(SKIP_1) | instid1(VALU_DEP_2)
	v_add3_u32 v8, v32, v7, 0x7fff
	v_mov_b32_e32 v7, 0
	v_lshrrev_b32_e32 v8, 16, v8
	s_delay_alu instid0(VALU_DEP_2) | instskip(NEXT) | instid1(VALU_DEP_2)
	v_lshlrev_b64 v[6:7], 1, v[6:7]
	v_cndmask_b32_e64 v8, 0x7fc0, v8, s3
	s_waitcnt lgkmcnt(0)
	s_delay_alu instid0(VALU_DEP_2) | instskip(NEXT) | instid1(VALU_DEP_1)
	v_add_co_u32 v6, s3, s8, v6
	v_add_co_ci_u32_e64 v7, s3, s9, v7, s3
	global_store_b16 v[6:7], v8, off
	s_or_b32 exec_lo, exec_lo, s5
	s_and_saveexec_b32 s5, s2
	s_cbranch_execnz .LBB163_33
	s_branch .LBB163_34
.LBB163_71:
	v_bfe_u32 v7, v28, 16, 1
	s_delay_alu instid0(VALU_DEP_2) | instskip(SKIP_1) | instid1(VALU_DEP_3)
	v_add_nc_u32_e32 v6, v5, v0
	v_cmp_o_f32_e64 s3, v28, v28
	v_add3_u32 v8, v28, v7, 0x7fff
	v_mov_b32_e32 v7, 0
	s_delay_alu instid0(VALU_DEP_2) | instskip(NEXT) | instid1(VALU_DEP_2)
	v_lshrrev_b32_e32 v8, 16, v8
	v_lshlrev_b64 v[6:7], 1, v[6:7]
	s_delay_alu instid0(VALU_DEP_2) | instskip(SKIP_1) | instid1(VALU_DEP_2)
	v_cndmask_b32_e64 v8, 0x7fc0, v8, s3
	s_waitcnt lgkmcnt(0)
	v_add_co_u32 v6, s3, s8, v6
	s_delay_alu instid0(VALU_DEP_1)
	v_add_co_ci_u32_e64 v7, s3, s9, v7, s3
	global_store_b16 v[6:7], v8, off
	s_or_b32 exec_lo, exec_lo, s5
	s_and_saveexec_b32 s5, s0
	s_cbranch_execz .LBB163_37
.LBB163_72:
	v_bfe_u32 v7, v27, 16, 1
	s_delay_alu instid0(VALU_DEP_2) | instskip(SKIP_1) | instid1(VALU_DEP_3)
	v_add_nc_u32_e32 v6, v5, v2
	v_cmp_o_f32_e64 s3, v27, v27
	v_add3_u32 v8, v27, v7, 0x7fff
	v_mov_b32_e32 v7, 0
	s_delay_alu instid0(VALU_DEP_2) | instskip(NEXT) | instid1(VALU_DEP_2)
	v_lshrrev_b32_e32 v8, 16, v8
	v_lshlrev_b64 v[6:7], 1, v[6:7]
	s_delay_alu instid0(VALU_DEP_2) | instskip(SKIP_1) | instid1(VALU_DEP_2)
	v_cndmask_b32_e64 v8, 0x7fc0, v8, s3
	s_waitcnt lgkmcnt(0)
	v_add_co_u32 v6, s3, s8, v6
	s_delay_alu instid0(VALU_DEP_1)
	v_add_co_ci_u32_e64 v7, s3, s9, v7, s3
	global_store_b16 v[6:7], v8, off
	s_or_b32 exec_lo, exec_lo, s5
	s_and_saveexec_b32 s5, s1
	s_cbranch_execz .LBB163_38
.LBB163_73:
	v_bfe_u32 v7, v26, 16, 1
	v_add_nc_u32_e32 v6, v5, v3
	v_cmp_o_f32_e64 s3, v26, v26
	s_delay_alu instid0(VALU_DEP_3) | instskip(SKIP_1) | instid1(VALU_DEP_2)
	v_add3_u32 v8, v26, v7, 0x7fff
	v_mov_b32_e32 v7, 0
	v_lshrrev_b32_e32 v8, 16, v8
	s_delay_alu instid0(VALU_DEP_2) | instskip(NEXT) | instid1(VALU_DEP_2)
	v_lshlrev_b64 v[6:7], 1, v[6:7]
	v_cndmask_b32_e64 v8, 0x7fc0, v8, s3
	s_waitcnt lgkmcnt(0)
	s_delay_alu instid0(VALU_DEP_2) | instskip(NEXT) | instid1(VALU_DEP_1)
	v_add_co_u32 v6, s3, s8, v6
	v_add_co_ci_u32_e64 v7, s3, s9, v7, s3
	global_store_b16 v[6:7], v8, off
	s_or_b32 exec_lo, exec_lo, s5
	s_and_saveexec_b32 s5, s2
	s_cbranch_execnz .LBB163_39
	s_branch .LBB163_40
.LBB163_74:
	v_bfe_u32 v7, v24, 16, 1
	s_delay_alu instid0(VALU_DEP_2) | instskip(SKIP_1) | instid1(VALU_DEP_3)
	v_add_nc_u32_e32 v6, v5, v0
	v_cmp_o_f32_e64 s3, v24, v24
	v_add3_u32 v8, v24, v7, 0x7fff
	v_mov_b32_e32 v7, 0
	s_delay_alu instid0(VALU_DEP_2) | instskip(NEXT) | instid1(VALU_DEP_2)
	v_lshrrev_b32_e32 v8, 16, v8
	v_lshlrev_b64 v[6:7], 1, v[6:7]
	s_delay_alu instid0(VALU_DEP_2) | instskip(SKIP_1) | instid1(VALU_DEP_2)
	v_cndmask_b32_e64 v8, 0x7fc0, v8, s3
	s_waitcnt lgkmcnt(0)
	v_add_co_u32 v6, s3, s8, v6
	s_delay_alu instid0(VALU_DEP_1)
	v_add_co_ci_u32_e64 v7, s3, s9, v7, s3
	global_store_b16 v[6:7], v8, off
	s_or_b32 exec_lo, exec_lo, s5
	s_and_saveexec_b32 s5, s0
	s_cbranch_execz .LBB163_43
.LBB163_75:
	v_bfe_u32 v7, v23, 16, 1
	s_delay_alu instid0(VALU_DEP_2) | instskip(SKIP_1) | instid1(VALU_DEP_3)
	v_add_nc_u32_e32 v6, v5, v2
	v_cmp_o_f32_e64 s3, v23, v23
	v_add3_u32 v8, v23, v7, 0x7fff
	v_mov_b32_e32 v7, 0
	s_delay_alu instid0(VALU_DEP_2) | instskip(NEXT) | instid1(VALU_DEP_2)
	v_lshrrev_b32_e32 v8, 16, v8
	v_lshlrev_b64 v[6:7], 1, v[6:7]
	s_delay_alu instid0(VALU_DEP_2) | instskip(SKIP_1) | instid1(VALU_DEP_2)
	v_cndmask_b32_e64 v8, 0x7fc0, v8, s3
	s_waitcnt lgkmcnt(0)
	v_add_co_u32 v6, s3, s8, v6
	s_delay_alu instid0(VALU_DEP_1)
	v_add_co_ci_u32_e64 v7, s3, s9, v7, s3
	global_store_b16 v[6:7], v8, off
	s_or_b32 exec_lo, exec_lo, s5
	s_and_saveexec_b32 s5, s1
	s_cbranch_execz .LBB163_44
.LBB163_76:
	v_bfe_u32 v7, v22, 16, 1
	v_add_nc_u32_e32 v6, v5, v3
	v_cmp_o_f32_e64 s3, v22, v22
	s_delay_alu instid0(VALU_DEP_3) | instskip(SKIP_1) | instid1(VALU_DEP_2)
	v_add3_u32 v8, v22, v7, 0x7fff
	v_mov_b32_e32 v7, 0
	v_lshrrev_b32_e32 v8, 16, v8
	s_delay_alu instid0(VALU_DEP_2) | instskip(NEXT) | instid1(VALU_DEP_2)
	v_lshlrev_b64 v[6:7], 1, v[6:7]
	v_cndmask_b32_e64 v8, 0x7fc0, v8, s3
	s_waitcnt lgkmcnt(0)
	s_delay_alu instid0(VALU_DEP_2) | instskip(NEXT) | instid1(VALU_DEP_1)
	v_add_co_u32 v6, s3, s8, v6
	v_add_co_ci_u32_e64 v7, s3, s9, v7, s3
	global_store_b16 v[6:7], v8, off
	s_or_b32 exec_lo, exec_lo, s5
	s_and_saveexec_b32 s5, s2
	s_cbranch_execnz .LBB163_45
	s_branch .LBB163_46
.LBB163_77:
	v_bfe_u32 v7, v20, 16, 1
	s_delay_alu instid0(VALU_DEP_2) | instskip(SKIP_1) | instid1(VALU_DEP_3)
	v_add_nc_u32_e32 v6, v5, v0
	v_cmp_o_f32_e64 s3, v20, v20
	v_add3_u32 v8, v20, v7, 0x7fff
	v_mov_b32_e32 v7, 0
	s_delay_alu instid0(VALU_DEP_2) | instskip(NEXT) | instid1(VALU_DEP_2)
	v_lshrrev_b32_e32 v8, 16, v8
	v_lshlrev_b64 v[6:7], 1, v[6:7]
	s_delay_alu instid0(VALU_DEP_2) | instskip(SKIP_1) | instid1(VALU_DEP_2)
	v_cndmask_b32_e64 v8, 0x7fc0, v8, s3
	s_waitcnt lgkmcnt(0)
	v_add_co_u32 v6, s3, s8, v6
	s_delay_alu instid0(VALU_DEP_1)
	v_add_co_ci_u32_e64 v7, s3, s9, v7, s3
	global_store_b16 v[6:7], v8, off
	s_or_b32 exec_lo, exec_lo, s5
	s_and_saveexec_b32 s5, s0
	s_cbranch_execz .LBB163_49
.LBB163_78:
	v_bfe_u32 v7, v19, 16, 1
	s_delay_alu instid0(VALU_DEP_2) | instskip(SKIP_1) | instid1(VALU_DEP_3)
	v_add_nc_u32_e32 v6, v5, v2
	v_cmp_o_f32_e64 s3, v19, v19
	v_add3_u32 v8, v19, v7, 0x7fff
	v_mov_b32_e32 v7, 0
	s_delay_alu instid0(VALU_DEP_2) | instskip(NEXT) | instid1(VALU_DEP_2)
	v_lshrrev_b32_e32 v8, 16, v8
	v_lshlrev_b64 v[6:7], 1, v[6:7]
	s_delay_alu instid0(VALU_DEP_2) | instskip(SKIP_1) | instid1(VALU_DEP_2)
	v_cndmask_b32_e64 v8, 0x7fc0, v8, s3
	s_waitcnt lgkmcnt(0)
	v_add_co_u32 v6, s3, s8, v6
	s_delay_alu instid0(VALU_DEP_1)
	v_add_co_ci_u32_e64 v7, s3, s9, v7, s3
	global_store_b16 v[6:7], v8, off
	s_or_b32 exec_lo, exec_lo, s5
	s_and_saveexec_b32 s5, s1
	s_cbranch_execz .LBB163_50
.LBB163_79:
	v_bfe_u32 v7, v18, 16, 1
	v_add_nc_u32_e32 v6, v5, v3
	v_cmp_o_f32_e64 s3, v18, v18
	s_delay_alu instid0(VALU_DEP_3) | instskip(SKIP_1) | instid1(VALU_DEP_2)
	v_add3_u32 v8, v18, v7, 0x7fff
	v_mov_b32_e32 v7, 0
	v_lshrrev_b32_e32 v8, 16, v8
	s_delay_alu instid0(VALU_DEP_2) | instskip(NEXT) | instid1(VALU_DEP_2)
	v_lshlrev_b64 v[6:7], 1, v[6:7]
	v_cndmask_b32_e64 v8, 0x7fc0, v8, s3
	s_waitcnt lgkmcnt(0)
	s_delay_alu instid0(VALU_DEP_2) | instskip(NEXT) | instid1(VALU_DEP_1)
	v_add_co_u32 v6, s3, s8, v6
	v_add_co_ci_u32_e64 v7, s3, s9, v7, s3
	global_store_b16 v[6:7], v8, off
	s_or_b32 exec_lo, exec_lo, s5
	s_and_saveexec_b32 s5, s2
	s_cbranch_execnz .LBB163_51
	s_branch .LBB163_52
.LBB163_80:
	v_bfe_u32 v7, v16, 16, 1
	s_delay_alu instid0(VALU_DEP_2) | instskip(SKIP_1) | instid1(VALU_DEP_3)
	v_add_nc_u32_e32 v6, v5, v0
	v_cmp_o_f32_e64 s3, v16, v16
	v_add3_u32 v8, v16, v7, 0x7fff
	v_mov_b32_e32 v7, 0
	s_delay_alu instid0(VALU_DEP_2) | instskip(NEXT) | instid1(VALU_DEP_2)
	v_lshrrev_b32_e32 v8, 16, v8
	v_lshlrev_b64 v[6:7], 1, v[6:7]
	s_delay_alu instid0(VALU_DEP_2) | instskip(SKIP_1) | instid1(VALU_DEP_2)
	v_cndmask_b32_e64 v8, 0x7fc0, v8, s3
	s_waitcnt lgkmcnt(0)
	v_add_co_u32 v6, s3, s8, v6
	s_delay_alu instid0(VALU_DEP_1)
	v_add_co_ci_u32_e64 v7, s3, s9, v7, s3
	global_store_b16 v[6:7], v8, off
	s_or_b32 exec_lo, exec_lo, s5
	s_and_saveexec_b32 s5, s0
	s_cbranch_execz .LBB163_55
.LBB163_81:
	v_bfe_u32 v7, v15, 16, 1
	s_delay_alu instid0(VALU_DEP_2) | instskip(SKIP_1) | instid1(VALU_DEP_3)
	v_add_nc_u32_e32 v6, v5, v2
	v_cmp_o_f32_e64 s3, v15, v15
	v_add3_u32 v8, v15, v7, 0x7fff
	v_mov_b32_e32 v7, 0
	s_delay_alu instid0(VALU_DEP_2) | instskip(NEXT) | instid1(VALU_DEP_2)
	v_lshrrev_b32_e32 v8, 16, v8
	v_lshlrev_b64 v[6:7], 1, v[6:7]
	s_delay_alu instid0(VALU_DEP_2) | instskip(SKIP_1) | instid1(VALU_DEP_2)
	v_cndmask_b32_e64 v8, 0x7fc0, v8, s3
	s_waitcnt lgkmcnt(0)
	v_add_co_u32 v6, s3, s8, v6
	s_delay_alu instid0(VALU_DEP_1)
	v_add_co_ci_u32_e64 v7, s3, s9, v7, s3
	global_store_b16 v[6:7], v8, off
	s_or_b32 exec_lo, exec_lo, s5
	s_and_saveexec_b32 s5, s1
	s_cbranch_execz .LBB163_56
.LBB163_82:
	v_bfe_u32 v7, v14, 16, 1
	v_add_nc_u32_e32 v6, v5, v3
	v_cmp_o_f32_e64 s3, v14, v14
	s_delay_alu instid0(VALU_DEP_3) | instskip(SKIP_1) | instid1(VALU_DEP_2)
	v_add3_u32 v8, v14, v7, 0x7fff
	v_mov_b32_e32 v7, 0
	v_lshrrev_b32_e32 v8, 16, v8
	s_delay_alu instid0(VALU_DEP_2) | instskip(NEXT) | instid1(VALU_DEP_2)
	v_lshlrev_b64 v[6:7], 1, v[6:7]
	v_cndmask_b32_e64 v8, 0x7fc0, v8, s3
	s_waitcnt lgkmcnt(0)
	s_delay_alu instid0(VALU_DEP_2) | instskip(NEXT) | instid1(VALU_DEP_1)
	v_add_co_u32 v6, s3, s8, v6
	v_add_co_ci_u32_e64 v7, s3, s9, v7, s3
	global_store_b16 v[6:7], v8, off
	s_or_b32 exec_lo, exec_lo, s5
	s_and_saveexec_b32 s5, s2
	s_cbranch_execnz .LBB163_57
	s_branch .LBB163_58
.LBB163_83:
	v_bfe_u32 v6, v12, 16, 1
	s_delay_alu instid0(VALU_DEP_2) | instskip(SKIP_1) | instid1(VALU_DEP_3)
	v_add_nc_u32_e32 v5, v1, v0
	v_cmp_o_f32_e32 vcc_lo, v12, v12
	v_add3_u32 v0, v12, v6, 0x7fff
	v_mov_b32_e32 v6, 0
	s_delay_alu instid0(VALU_DEP_2) | instskip(NEXT) | instid1(VALU_DEP_2)
	v_lshrrev_b32_e32 v0, 16, v0
	v_lshlrev_b64 v[5:6], 1, v[5:6]
	s_delay_alu instid0(VALU_DEP_2) | instskip(SKIP_1) | instid1(VALU_DEP_2)
	v_cndmask_b32_e32 v0, 0x7fc0, v0, vcc_lo
	s_waitcnt lgkmcnt(0)
	v_add_co_u32 v5, vcc_lo, s8, v5
	s_delay_alu instid0(VALU_DEP_3)
	v_add_co_ci_u32_e32 v6, vcc_lo, s9, v6, vcc_lo
	global_store_b16 v[5:6], v0, off
	s_or_b32 exec_lo, exec_lo, s3
	s_and_saveexec_b32 s3, s0
	s_cbranch_execz .LBB163_61
.LBB163_84:
	v_bfe_u32 v0, v11, 16, 1
	s_delay_alu instid0(VALU_DEP_2) | instskip(SKIP_1) | instid1(VALU_DEP_3)
	v_dual_mov_b32 v6, 0 :: v_dual_add_nc_u32 v5, v1, v2
	v_cmp_o_f32_e32 vcc_lo, v11, v11
	v_add3_u32 v0, v11, v0, 0x7fff
	s_delay_alu instid0(VALU_DEP_3) | instskip(NEXT) | instid1(VALU_DEP_2)
	v_lshlrev_b64 v[5:6], 1, v[5:6]
	v_lshrrev_b32_e32 v0, 16, v0
	s_delay_alu instid0(VALU_DEP_1) | instskip(SKIP_1) | instid1(VALU_DEP_3)
	v_cndmask_b32_e32 v0, 0x7fc0, v0, vcc_lo
	s_waitcnt lgkmcnt(0)
	v_add_co_u32 v5, vcc_lo, s8, v5
	s_delay_alu instid0(VALU_DEP_4)
	v_add_co_ci_u32_e32 v6, vcc_lo, s9, v6, vcc_lo
	global_store_b16 v[5:6], v0, off
	s_or_b32 exec_lo, exec_lo, s3
	s_and_saveexec_b32 s0, s1
	s_cbranch_execz .LBB163_62
.LBB163_85:
	v_bfe_u32 v0, v10, 16, 1
	v_dual_mov_b32 v3, 0 :: v_dual_add_nc_u32 v2, v1, v3
	v_cmp_o_f32_e32 vcc_lo, v10, v10
	s_delay_alu instid0(VALU_DEP_3) | instskip(NEXT) | instid1(VALU_DEP_3)
	v_add3_u32 v0, v10, v0, 0x7fff
	v_lshlrev_b64 v[2:3], 1, v[2:3]
	s_delay_alu instid0(VALU_DEP_2) | instskip(NEXT) | instid1(VALU_DEP_1)
	v_lshrrev_b32_e32 v0, 16, v0
	v_cndmask_b32_e32 v0, 0x7fc0, v0, vcc_lo
	s_waitcnt lgkmcnt(0)
	s_delay_alu instid0(VALU_DEP_3) | instskip(NEXT) | instid1(VALU_DEP_4)
	v_add_co_u32 v2, vcc_lo, s8, v2
	v_add_co_ci_u32_e32 v3, vcc_lo, s9, v3, vcc_lo
	global_store_b16 v[2:3], v0, off
	s_or_b32 exec_lo, exec_lo, s0
	s_delay_alu instid0(SALU_CYCLE_1)
	s_and_b32 exec_lo, exec_lo, s2
	s_cbranch_execnz .LBB163_63
	s_branch .LBB163_64
	.section	.rodata,"a",@progbits
	.p2align	6, 0x0
	.amdhsa_kernel _ZL12mul_mat_q5_1IN3c108BFloat16ELb0EEvPKvS3_PT_iiiii
		.amdhsa_group_segment_fixed_size 46720
		.amdhsa_private_segment_fixed_size 0
		.amdhsa_kernarg_size 44
		.amdhsa_user_sgpr_count 14
		.amdhsa_user_sgpr_dispatch_ptr 0
		.amdhsa_user_sgpr_queue_ptr 0
		.amdhsa_user_sgpr_kernarg_segment_ptr 1
		.amdhsa_user_sgpr_dispatch_id 0
		.amdhsa_user_sgpr_private_segment_size 0
		.amdhsa_wavefront_size32 1
		.amdhsa_uses_dynamic_stack 0
		.amdhsa_enable_private_segment 0
		.amdhsa_system_sgpr_workgroup_id_x 1
		.amdhsa_system_sgpr_workgroup_id_y 1
		.amdhsa_system_sgpr_workgroup_id_z 0
		.amdhsa_system_sgpr_workgroup_info 0
		.amdhsa_system_vgpr_workitem_id 1
		.amdhsa_next_free_vgpr 221
		.amdhsa_next_free_sgpr 16
		.amdhsa_reserve_vcc 1
		.amdhsa_float_round_mode_32 0
		.amdhsa_float_round_mode_16_64 0
		.amdhsa_float_denorm_mode_32 3
		.amdhsa_float_denorm_mode_16_64 3
		.amdhsa_dx10_clamp 1
		.amdhsa_ieee_mode 1
		.amdhsa_fp16_overflow 0
		.amdhsa_workgroup_processor_mode 1
		.amdhsa_memory_ordered 1
		.amdhsa_forward_progress 0
		.amdhsa_shared_vgpr_count 0
		.amdhsa_exception_fp_ieee_invalid_op 0
		.amdhsa_exception_fp_denorm_src 0
		.amdhsa_exception_fp_ieee_div_zero 0
		.amdhsa_exception_fp_ieee_overflow 0
		.amdhsa_exception_fp_ieee_underflow 0
		.amdhsa_exception_fp_ieee_inexact 0
		.amdhsa_exception_int_div_zero 0
	.end_amdhsa_kernel
	.section	.text._ZL12mul_mat_q5_1IN3c108BFloat16ELb0EEvPKvS3_PT_iiiii,"axG",@progbits,_ZL12mul_mat_q5_1IN3c108BFloat16ELb0EEvPKvS3_PT_iiiii,comdat
.Lfunc_end163:
	.size	_ZL12mul_mat_q5_1IN3c108BFloat16ELb0EEvPKvS3_PT_iiiii, .Lfunc_end163-_ZL12mul_mat_q5_1IN3c108BFloat16ELb0EEvPKvS3_PT_iiiii
                                        ; -- End function
	.section	.AMDGPU.csdata,"",@progbits
; Kernel info:
; codeLenInByte = 17036
; NumSgprs: 18
; NumVgprs: 221
; ScratchSize: 0
; MemoryBound: 0
; FloatMode: 240
; IeeeMode: 1
; LDSByteSize: 46720 bytes/workgroup (compile time only)
; SGPRBlocks: 2
; VGPRBlocks: 27
; NumSGPRsForWavesPerEU: 18
; NumVGPRsForWavesPerEU: 221
; Occupancy: 4
; WaveLimiterHint : 0
; COMPUTE_PGM_RSRC2:SCRATCH_EN: 0
; COMPUTE_PGM_RSRC2:USER_SGPR: 14
; COMPUTE_PGM_RSRC2:TRAP_HANDLER: 0
; COMPUTE_PGM_RSRC2:TGID_X_EN: 1
; COMPUTE_PGM_RSRC2:TGID_Y_EN: 1
; COMPUTE_PGM_RSRC2:TGID_Z_EN: 0
; COMPUTE_PGM_RSRC2:TIDIG_COMP_CNT: 1
	.section	.text._ZL12mul_mat_q5_1IN3c108BFloat16ELb1EEvPKvS3_PT_iiiii,"axG",@progbits,_ZL12mul_mat_q5_1IN3c108BFloat16ELb1EEvPKvS3_PT_iiiii,comdat
	.globl	_ZL12mul_mat_q5_1IN3c108BFloat16ELb1EEvPKvS3_PT_iiiii ; -- Begin function _ZL12mul_mat_q5_1IN3c108BFloat16ELb1EEvPKvS3_PT_iiiii
	.p2align	8
	.type	_ZL12mul_mat_q5_1IN3c108BFloat16ELb1EEvPKvS3_PT_iiiii,@function
_ZL12mul_mat_q5_1IN3c108BFloat16ELb1EEvPKvS3_PT_iiiii: ; @_ZL12mul_mat_q5_1IN3c108BFloat16ELb1EEvPKvS3_PT_iiiii
; %bb.0:
	s_clause 0x1
	s_load_b128 s[4:7], s[0:1], 0x18
	s_load_b32 s10, s[0:1], 0x28
	v_bfe_u32 v42, v0, 10, 10
	v_and_b32_e32 v43, 0x3ff, v0
	s_lshl_b32 s11, s15, 6
	s_waitcnt lgkmcnt(0)
	s_cmp_gt_i32 s4, 31
	s_cbranch_scc1 .LBB164_2
; %bb.1:
	v_bfe_u32 v1, v0, 10, 10
	v_and_b32_e32 v0, 0x3ff, v0
	s_mov_b32 s2, 0
	s_mov_b32 s3, 0
	s_delay_alu instid0(VALU_DEP_2)
	v_add_nc_u32_e32 v51, s11, v1
	s_branch .LBB164_3
.LBB164_2:
	s_mov_b32 s2, -1
                                        ; implicit-def: $sgpr3
                                        ; implicit-def: $vgpr1
                                        ; implicit-def: $vgpr0
                                        ; implicit-def: $vgpr51
.LBB164_3:
	s_load_b64 s[8:9], s[0:1], 0x10
	v_dual_mov_b32 v25, s3 :: v_dual_mov_b32 v48, s3
	v_dual_mov_b32 v29, s3 :: v_dual_mov_b32 v70, s3
	;; [unrolled: 1-line block ×14, first 2 shown]
	v_mov_b32_e32 v36, s3
	v_mov_b32_e32 v40, s3
	;; [unrolled: 1-line block ×4, first 2 shown]
	s_and_not1_b32 vcc_lo, exec_lo, s2
	s_lshl_b32 s12, s14, 7
	s_cbranch_vccnz .LBB164_13
; %bb.4:
	s_load_b128 s[0:3], s[0:1], 0x0
	s_ashr_i32 s13, s4, 31
	s_ashr_i32 s14, s7, 31
	s_lshr_b32 s13, s13, 27
	v_add_nc_u32_e32 v37, 8, v42
	s_add_i32 s4, s4, s13
	s_lshr_b32 s13, s14, 27
	s_ashr_i32 s4, s4, 5
	s_add_i32 s7, s7, s13
	s_mul_i32 s13, s4, s12
	s_ashr_i32 s14, s7, 5
	s_mul_i32 s7, s13, 24
	s_mul_hi_i32 s13, s13, 24
	v_dual_mov_b32 v68, 0 :: v_dual_lshlrev_b32 v1, 3, v43
	v_add_nc_u32_e32 v38, 16, v42
	v_add_nc_u32_e32 v39, 24, v42
	v_dual_mov_b32 v67, 0 :: v_dual_add_nc_u32 v40, 32, v42
	v_add_nc_u32_e32 v41, 40, v42
	s_waitcnt lgkmcnt(0)
	s_add_u32 s7, s0, s7
	s_addc_u32 s13, s1, s13
	s_not_b32 s0, s12
	v_add_nc_u32_e32 v44, 48, v42
	s_add_i32 s0, s0, s5
	v_add_nc_u32_e32 v46, 56, v42
	v_min_i32_e32 v2, s0, v42
	v_min_i32_e32 v3, s0, v37
	;; [unrolled: 1-line block ×3, first 2 shown]
	v_add_nc_u32_e32 v12, 0x48, v42
	v_min_i32_e32 v13, s0, v46
	v_mad_u64_u32 v[4:5], null, 0x104, v2, v[1:2]
	v_mul_lo_u32 v54, v2, s4
	v_mad_u64_u32 v[5:6], null, 0x104, v3, v[1:2]
	v_min_i32_e32 v2, s0, v39
	v_mul_lo_u32 v55, v3, s4
	v_mul_lo_u32 v56, v8, s4
	v_min_i32_e32 v3, s0, v40
	v_mul_lo_u32 v62, v13, s4
	v_mad_u64_u32 v[6:7], null, 0x104, v8, v[1:2]
	v_mul_lo_u32 v57, v2, s4
	v_mad_u64_u32 v[7:8], null, 0x104, v2, v[1:2]
	v_min_i32_e32 v2, s0, v41
	v_mul_lo_u32 v59, v3, s4
	s_add_i32 s1, s6, -1
	v_dual_mov_b32 v76, 0 :: v_dual_add_nc_u32 v51, s11, v42
	s_delay_alu instid0(VALU_DEP_3) | instskip(SKIP_4) | instid1(VALU_DEP_4)
	v_mad_u64_u32 v[8:9], null, 0x104, v3, v[1:2]
	v_min_i32_e32 v3, s0, v44
	v_mul_lo_u32 v60, v2, s4
	v_mad_u64_u32 v[9:10], null, 0x104, v2, v[1:2]
	v_add_nc_u32_e32 v2, 64, v42
	v_mul_lo_u32 v61, v3, s4
	v_mov_b32_e32 v71, 0
	v_add_nc_u32_e32 v15, 16, v51
	v_add_nc_u32_e32 v27, 32, v51
	v_mad_u64_u32 v[10:11], null, 0x104, v3, v[1:2]
	v_min_i32_e32 v2, s0, v2
	v_min_i32_e32 v3, s0, v12
	v_cvt_f64_u32_e32 v[23:24], v15
	v_cvt_f64_u32_e32 v[27:28], v27
	v_add_nc_u32_e32 v17, 0x58, v42
	v_mad_u64_u32 v[11:12], null, 0x104, v13, v[1:2]
	v_mul_lo_u32 v64, v2, s4
	v_mad_u64_u32 v[12:13], null, 0x104, v2, v[1:2]
	v_add_nc_u32_e32 v2, 0x50, v42
	v_mul_lo_u32 v65, v3, s4
	v_add_nc_u32_e32 v35, 0x68, v42
	v_add_nc_u32_e32 v36, 0x70, v42
	v_min_i32_e32 v17, s0, v17
	v_mad_u64_u32 v[13:14], null, 0x104, v3, v[1:2]
	v_min_i32_e32 v16, s0, v2
	v_cvt_f64_i32_e32 v[2:3], s1
	v_add_nc_u32_e32 v14, 8, v51
	v_min_i32_e32 v35, s0, v35
	v_mul_lo_u32 v72, v17, s4
	v_mul_lo_u32 v69, v16, s4
	v_lshrrev_b32_e32 v74, 3, v43
	v_cvt_f64_u32_e32 v[21:22], v14
	v_mul_lo_u32 v75, v35, s4
	v_add_nc_u32_e32 v50, 0x78, v42
	v_and_b32_e32 v79, 7, v43
	v_lshl_add_u32 v48, v42, 2, v74
	v_lshrrev_b32_e32 v49, 2, v43
	v_dual_mov_b32 v45, 0 :: v_dual_and_b32 v0, 3, v43
	v_mul_u32_u24_e32 v101, 0x104, v43
	s_delay_alu instid0(VALU_DEP_4) | instskip(SKIP_1) | instid1(VALU_DEP_4)
	v_min_i32_e32 v52, s0, v48
	v_add_nc_u32_e32 v58, 64, v48
	v_lshlrev_b32_e32 v53, 2, v0
	v_lshl_add_u32 v108, v42, 4, 0xb280
	s_mov_b32 s5, 0
	v_mul_lo_u32 v80, v52, s4
	v_min_i32_e32 v58, s0, v58
	v_mov_b32_e32 v70, 0
	s_delay_alu instid0(VALU_DEP_2)
	v_mul_lo_u32 v82, v58, s4
	v_mad_u64_u32 v[14:15], null, 0x104, v16, v[1:2]
	v_add_nc_u32_e32 v15, 40, v51
	v_min_f64 v[27:28], v[27:28], v[2:3]
	v_min_f64 v[23:24], v[23:24], v[2:3]
	;; [unrolled: 1-line block ×3, first 2 shown]
	s_delay_alu instid0(VALU_DEP_4) | instskip(NEXT) | instid1(VALU_DEP_4)
	v_cvt_f64_u32_e32 v[29:30], v15
	v_cvt_i32_f64_e32 v27, v[27:28]
	s_delay_alu instid0(VALU_DEP_4) | instskip(SKIP_1) | instid1(VALU_DEP_4)
	v_cvt_i32_f64_e32 v24, v[23:24]
	v_lshlrev_b32_e32 v23, 2, v43
	v_min_f64 v[29:30], v[29:30], v[2:3]
	s_delay_alu instid0(VALU_DEP_4) | instskip(NEXT) | instid1(VALU_DEP_4)
	v_mul_lo_u32 v93, s14, v27
	v_mul_lo_u32 v89, s14, v24
	v_and_b32_e32 v27, 0xfc, v43
	s_delay_alu instid0(VALU_DEP_4) | instskip(NEXT) | instid1(VALU_DEP_1)
	v_cvt_i32_f64_e32 v28, v[29:30]
	v_mul_lo_u32 v95, s14, v28
	v_mov_b32_e32 v28, 0
	v_add_nc_u32_e32 v16, 48, v51
	v_add_nc_u32_e32 v18, 24, v51
	;; [unrolled: 1-line block ×3, first 2 shown]
	v_cvt_f64_u32_e32 v[19:20], v51
	s_delay_alu instid0(VALU_DEP_4) | instskip(NEXT) | instid1(VALU_DEP_4)
	v_cvt_f64_u32_e32 v[31:32], v16
	v_cvt_f64_u32_e32 v[25:26], v18
	s_delay_alu instid0(VALU_DEP_4) | instskip(SKIP_2) | instid1(VALU_DEP_2)
	v_cvt_f64_u32_e32 v[33:34], v15
	v_add_nc_u32_e32 v18, 0x60, v42
	v_mad_u64_u32 v[15:16], null, 0x104, v17, v[1:2]
	v_min_i32_e32 v18, s0, v18
	s_delay_alu instid0(VALU_DEP_1) | instskip(SKIP_4) | instid1(VALU_DEP_2)
	v_mad_u64_u32 v[16:17], null, 0x104, v18, v[1:2]
	v_mul_lo_u32 v73, v18, s4
	v_mad_u64_u32 v[17:18], null, 0x104, v35, v[1:2]
	v_min_f64 v[31:32], v[31:32], v[2:3]
	v_min_f64 v[25:26], v[25:26], v[2:3]
	v_cvt_i32_f64_e32 v29, v[31:32]
	s_delay_alu instid0(VALU_DEP_2) | instskip(SKIP_1) | instid1(VALU_DEP_3)
	v_cvt_i32_f64_e32 v25, v[25:26]
	v_lshlrev_b32_e32 v26, 5, v58
	v_mul_lo_u32 v97, s14, v29
	v_mov_b32_e32 v29, 0
	v_min_i32_e32 v47, s0, v36
	v_min_f64 v[35:36], v[19:20], v[2:3]
	v_ashrrev_i32_e32 v20, 31, v52
	v_mul_lo_u32 v91, s14, v25
	s_delay_alu instid0(VALU_DEP_4)
	v_mad_u64_u32 v[18:19], null, 0x104, v47, v[1:2]
	v_min_f64 v[2:3], v[33:34], v[2:3]
	v_add_nc_u32_e32 v19, 32, v48
	v_mul_lo_u32 v77, v47, s4
	v_min_i32_e32 v47, s0, v50
	v_ashrrev_i32_e32 v33, 31, v58
	s_delay_alu instid0(VALU_DEP_4) | instskip(SKIP_1) | instid1(VALU_DEP_4)
	v_min_i32_e32 v50, s0, v19
	v_lshrrev_b32_e32 v19, 30, v20
	v_mul_lo_u32 v78, v47, s4
	s_delay_alu instid0(VALU_DEP_4) | instskip(NEXT) | instid1(VALU_DEP_4)
	v_lshrrev_b32_e32 v33, 30, v33
	v_ashrrev_i32_e32 v20, 31, v50
	s_delay_alu instid0(VALU_DEP_4) | instskip(SKIP_1) | instid1(VALU_DEP_4)
	v_add_nc_u32_e32 v63, v52, v19
	v_mul_lo_u32 v81, v50, s4
	v_add_nc_u32_e32 v33, v58, v33
	s_delay_alu instid0(VALU_DEP_4) | instskip(NEXT) | instid1(VALU_DEP_2)
	v_lshrrev_b32_e32 v66, 30, v20
	v_and_b32_e32 v33, -4, v33
	s_delay_alu instid0(VALU_DEP_2) | instskip(SKIP_1) | instid1(VALU_DEP_2)
	v_add_nc_u32_e32 v34, v50, v66
	v_mov_b32_e32 v66, 0
	v_and_b32_e32 v34, -4, v34
	v_cvt_i32_f64_e32 v35, v[35:36]
	v_lshlrev_b32_e32 v36, 5, v50
	v_cvt_i32_f64_e32 v50, v[21:22]
	v_lshl_add_u32 v22, v42, 3, v49
	v_mad_u64_u32 v[19:20], null, 0x104, v47, v[1:2]
	v_add_nc_u32_e32 v47, 0x60, v48
	v_lshlrev_b32_e32 v48, 5, v52
	v_lshlrev_b32_e32 v20, 2, v79
	v_cvt_i32_f64_e32 v2, v[2:3]
	v_and_b32_e32 v1, -4, v63
	v_min_i32_e32 v47, s0, v47
	v_and_b32_e32 v22, 63, v22
	v_add3_u32 v33, v33, v20, 0xa200
	v_add3_u32 v34, v34, v20, 0xa200
	v_mov_b32_e32 v63, 0
	v_ashrrev_i32_e32 v52, 31, v47
	v_or_b32_e32 v30, s11, v22
	v_add_nc_u32_e32 v116, v33, v26
	v_mov_b32_e32 v26, 0
	v_add3_u32 v1, v1, v20, 0xa200
	v_lshrrev_b32_e32 v21, 30, v52
	v_mul_lo_u32 v83, v47, s4
	v_lshlrev_b32_e32 v31, 5, v47
	v_lshlrev_b32_e32 v52, 7, v42
	v_min_i32_e32 v30, s1, v30
	v_add_nc_u32_e32 v21, v47, v21
	v_dual_mov_b32 v36, 0 :: v_dual_add_nc_u32 v115, v34, v36
	v_lshl_or_b32 v32, v22, 4, v53
	v_add_nc_u32_e32 v107, 0x8200, v52
	s_delay_alu instid0(VALU_DEP_4)
	v_and_b32_e32 v21, -4, v21
	v_add_nc_u32_e32 v114, v1, v48
	v_mov_b32_e32 v34, 0
	v_add_nc_u32_e32 v84, 0xb280, v32
	v_mov_b32_e32 v32, 0
	v_add3_u32 v3, v21, v20, 0xa200
	v_and_b32_e32 v20, 31, v43
	v_and_b32_e32 v21, 28, v23
	v_mad_u64_u32 v[22:23], null, v30, s14, v[0:1]
	v_mul_lo_u32 v85, s14, v35
	s_delay_alu instid0(VALU_DEP_4) | instskip(SKIP_3) | instid1(VALU_DEP_4)
	v_lshlrev_b32_e32 v47, 2, v20
	v_mov_b32_e32 v35, 0
	v_add_co_u32 v20, s0, s2, v21
	v_mul_lo_u32 v87, s14, v50
	v_or_b32_e32 v58, v52, v47
	v_lshl_or_b32 v23, v38, 7, v47
	v_mul_lo_u32 v99, s14, v2
	v_add_nc_u32_e32 v2, 0x60, v43
	v_add_co_ci_u32_e64 v21, null, s3, 0, s0
	v_add_nc_u32_e32 v86, 0x8200, v58
	v_mov_b32_e32 v58, 0
	v_lshl_or_b32 v0, v37, 7, v47
	v_add_nc_u32_e32 v90, 0x8200, v23
	v_lshl_or_b32 v23, v40, 7, v47
	v_mov_b32_e32 v40, 0
	v_and_b32_e32 v2, 0x1fc, v2
	v_add_nc_u32_e32 v88, 0x8200, v0
	v_lshl_or_b32 v0, v39, 7, v47
	v_mov_b32_e32 v39, 0
	v_lshl_or_b32 v24, v44, 7, v47
	v_add_nc_u32_e32 v94, 0x8200, v23
	v_add_nc_u32_e32 v23, 64, v43
	;; [unrolled: 1-line block ×3, first 2 shown]
	v_lshl_or_b32 v0, v41, 7, v47
	v_add_nc_u32_e32 v98, 0x8200, v24
	v_add_nc_u32_e32 v24, 32, v43
	v_and_b32_e32 v23, 0x1fc, v23
	s_movk_i32 s0, 0x80
	v_add_nc_u32_e32 v96, 0x8200, v0
	v_lshl_or_b32 v0, v46, 7, v47
	v_and_b32_e32 v25, 0x1fc, v24
	v_lshrrev_b32_e32 v102, 3, v24
	v_mad_u32_u24 v113, 0x104, v43, s0
	v_add_nc_u32_e32 v117, v3, v31
	v_add_nc_u32_e32 v100, 0x8200, v0
	v_dual_mov_b32 v47, 0 :: v_dual_lshlrev_b32 v0, 5, v43
	v_mov_b32_e32 v52, 0
	v_dual_mov_b32 v46, 0 :: v_dual_mov_b32 v31, 0
	s_delay_alu instid0(VALU_DEP_3) | instskip(SKIP_3) | instid1(VALU_DEP_4)
	v_add_nc_u32_e32 v2, v0, v2
	v_add_nc_u32_e32 v23, v0, v23
	;; [unrolled: 1-line block ×3, first 2 shown]
	v_dual_mov_b32 v27, 0 :: v_dual_add_nc_u32 v0, v0, v27
	v_add_nc_u32_e32 v103, 0xae00, v2
	s_delay_alu instid0(VALU_DEP_4) | instskip(NEXT) | instid1(VALU_DEP_4)
	v_add_nc_u32_e32 v104, 0xaa00, v23
	v_add_nc_u32_e32 v105, 0xa600, v25
	s_delay_alu instid0(VALU_DEP_4)
	v_add_nc_u32_e32 v106, 0xa200, v0
	v_add_nc_u32_e32 v109, 0xae10, v2
	;; [unrolled: 1-line block ×5, first 2 shown]
	v_mov_b32_e32 v50, 0
	v_mov_b32_e32 v44, 0
	v_mov_b32_e32 v38, 0
	v_mov_b32_e32 v30, 0
	v_dual_mov_b32 v48, 0 :: v_dual_mov_b32 v41, 0
	v_mov_b32_e32 v37, 0
	v_mov_b32_e32 v33, 0
	;; [unrolled: 1-line block ×3, first 2 shown]
	s_branch .LBB164_6
.LBB164_5:                              ;   in Loop: Header=BB164_6 Depth=1
	s_add_i32 s5, s5, 8
	s_delay_alu instid0(SALU_CYCLE_1)
	s_cmp_ge_i32 s5, s4
	s_cbranch_scc1 .LBB164_12
.LBB164_6:                              ; =>This Loop Header: Depth=1
                                        ;     Child Loop BB164_7 Depth 2
                                        ;     Child Loop BB164_10 Depth 2
	s_mul_i32 s0, s5, 24
	s_mul_hi_u32 s1, s5, 24
	s_add_u32 s0, s7, s0
	s_addc_u32 s1, s13, s1
	s_delay_alu instid0(SALU_CYCLE_1) | instskip(NEXT) | instid1(VALU_DEP_1)
	v_mad_u64_u32 v[0:1], null, v49, 24, s[0:1]
	v_mad_i64_i32 v[122:123], null, v54, 24, v[0:1]
	v_mad_i64_i32 v[118:119], null, v56, 24, v[0:1]
	;; [unrolled: 1-line block ×4, first 2 shown]
	s_delay_alu instid0(VALU_DEP_4)
	v_add_co_u32 v124, vcc_lo, v122, v53
	v_add_co_ci_u32_e32 v125, vcc_lo, 0, v123, vcc_lo
	v_add_co_u32 v126, vcc_lo, v118, v53
	v_add_co_ci_u32_e32 v127, vcc_lo, 0, v119, vcc_lo
	;; [unrolled: 2-line block ×4, first 2 shown]
	s_clause 0x7
	global_load_b32 v2, v[2:3], off offset:8
	global_load_b32 v3, v[23:24], off offset:4
	;; [unrolled: 1-line block ×8, first 2 shown]
	v_mad_i64_i32 v[123:124], null, v60, 24, v[0:1]
	v_mad_i64_i32 v[125:126], null, v59, 24, v[0:1]
	;; [unrolled: 1-line block ×4, first 2 shown]
	s_delay_alu instid0(VALU_DEP_4)
	v_add_co_u32 v131, vcc_lo, v123, v53
	v_add_co_ci_u32_e32 v132, vcc_lo, 0, v124, vcc_lo
	v_add_co_u32 v133, vcc_lo, v125, v53
	v_add_co_ci_u32_e32 v134, vcc_lo, 0, v126, vcc_lo
	s_clause 0x5
	global_load_b32 v150, v[129:130], off offset:4
	global_load_b32 v151, v[127:128], off offset:4
	;; [unrolled: 1-line block ×6, first 2 shown]
	v_add_co_u32 v123, vcc_lo, v127, v53
	v_add_co_ci_u32_e32 v124, vcc_lo, 0, v128, vcc_lo
	v_add_co_u32 v125, vcc_lo, v129, v53
	v_add_co_ci_u32_e32 v126, vcc_lo, 0, v130, vcc_lo
	s_clause 0x1
	global_load_b32 v156, v[123:124], off offset:8
	global_load_b32 v157, v[125:126], off offset:8
	v_mad_i64_i32 v[126:127], null, v72, 24, v[0:1]
	v_mad_i64_i32 v[128:129], null, v69, 24, v[0:1]
	;; [unrolled: 1-line block ×4, first 2 shown]
	s_clause 0x3
	global_load_b32 v123, v[126:127], off offset:4
	global_load_b32 v158, v[128:129], off offset:4
	;; [unrolled: 1-line block ×4, first 2 shown]
	v_mad_i64_i32 v[140:141], null, v77, 24, v[0:1]
	v_add_co_u32 v130, vcc_lo, v130, v53
	v_add_co_ci_u32_e32 v131, vcc_lo, 0, v131, vcc_lo
	v_add_co_u32 v124, vcc_lo, v124, v53
	v_add_co_ci_u32_e32 v125, vcc_lo, 0, v125, vcc_lo
	global_load_b32 v161, v[130:131], off offset:8
	v_mad_i64_i32 v[142:143], null, v78, 24, v[0:1]
	global_load_b32 v162, v[124:125], off offset:8
	v_add_co_u32 v124, vcc_lo, v128, v53
	v_add_co_ci_u32_e32 v125, vcc_lo, 0, v129, vcc_lo
	v_add_nc_u32_e32 v128, s5, v74
	v_add_co_u32 v126, vcc_lo, v126, v53
	global_load_b32 v163, v[124:125], off offset:8
	v_add_co_ci_u32_e32 v127, vcc_lo, 0, v127, vcc_lo
	v_add_nc_u32_e32 v130, v128, v85
	v_add_nc_u32_e32 v132, v128, v87
	;; [unrolled: 1-line block ×8, first 2 shown]
	v_mad_i64_i32 v[128:129], null, v130, 36, v[20:21]
	v_mad_i64_i32 v[130:131], null, v132, 36, v[20:21]
	;; [unrolled: 1-line block ×6, first 2 shown]
	global_load_b32 v164, v[126:127], off offset:8
	v_add_nc_u32_e32 v118, s5, v22
	v_mad_u64_u32 v[124:125], null, v79, 24, s[0:1]
	v_add_co_u32 v0, vcc_lo, v136, v53
	v_add_co_ci_u32_e32 v1, vcc_lo, 0, v137, vcc_lo
	v_add_co_u32 v144, vcc_lo, v140, v53
	v_add_co_ci_u32_e32 v145, vcc_lo, 0, v141, vcc_lo
	;; [unrolled: 2-line block ×4, first 2 shown]
	s_clause 0x7
	global_load_b32 v169, v[146:147], off offset:8
	global_load_b32 v170, v[142:143], off offset:4
	;; [unrolled: 1-line block ×8, first 2 shown]
	v_mad_u64_u32 v[126:127], null, v118, 36, s[2:3]
	v_mad_i64_i32 v[0:1], null, v165, 36, v[20:21]
	v_mad_i64_i32 v[136:137], null, v166, 36, v[20:21]
	;; [unrolled: 1-line block ×8, first 2 shown]
	s_clause 0x8
	global_load_b32 v124, v[126:127], off
	global_load_b32 v125, v[128:129], off offset:4
	global_load_b32 v126, v[130:131], off offset:4
	;; [unrolled: 1-line block ×8, first 2 shown]
	s_clause 0x3
	global_load_b32 v131, v[142:143], off
	global_load_b32 v132, v[144:145], off
	;; [unrolled: 1-line block ×4, first 2 shown]
	s_mov_b32 s0, -4
	s_waitcnt vmcnt(44)
	v_and_b32_e32 v138, 0xf0f0f0f, v2
	s_waitcnt vmcnt(43)
	v_ashrrev_i32_e32 v3, v53, v3
	s_waitcnt vmcnt(42)
	v_and_b32_e32 v137, 0xf0f0f0f, v23
	s_waitcnt vmcnt(41)
	v_ashrrev_i32_e32 v24, v53, v24
	;; [unrolled: 4-line block ×4, first 2 shown]
	v_lshrrev_b32_e32 v121, 4, v121
	v_lshrrev_b32_e32 v119, 4, v119
	v_lshlrev_b32_e32 v165, 4, v120
	v_lshlrev_b32_e32 v166, 11, v120
	v_lshrrev_b32_e32 v177, 12, v120
	v_lshrrev_b32_e32 v178, 5, v120
	;; [unrolled: 1-line block ×3, first 2 shown]
	v_lshlrev_b32_e32 v180, 4, v24
	v_lshlrev_b32_e32 v181, 11, v24
	v_lshrrev_b32_e32 v184, 12, v24
	v_lshrrev_b32_e32 v185, 5, v24
	;; [unrolled: 1-line block ×3, first 2 shown]
	s_waitcnt vmcnt(35)
	v_ashrrev_i32_e32 v145, v53, v151
	s_waitcnt vmcnt(34)
	v_and_b32_e32 v143, 0xf0f0f0f, v152
	s_waitcnt vmcnt(33)
	v_ashrrev_i32_e32 v142, v53, v153
	v_lshrrev_b32_e32 v144, 4, v152
	s_waitcnt vmcnt(31)
	v_ashrrev_i32_e32 v139, v53, v155
	v_lshlrev_b32_e32 v151, 4, v122
	v_lshlrev_b32_e32 v152, 11, v122
	v_lshrrev_b32_e32 v155, 12, v122
	v_lshlrev_b32_e32 v187, 4, v3
	v_lshlrev_b32_e32 v188, 11, v3
	v_lshrrev_b32_e32 v191, 12, v3
	v_lshrrev_b32_e32 v192, 5, v3
	;; [unrolled: 1-line block ×3, first 2 shown]
	v_lshlrev_b32_e32 v194, 4, v139
	s_waitcnt vmcnt(30)
	v_and_b32_e32 v146, 0xf0f0f0f, v156
	v_lshrrev_b32_e32 v147, 4, v156
	v_lshrrev_b32_e32 v156, 5, v122
	v_lshlrev_b32_e32 v195, 11, v139
	v_lshrrev_b32_e32 v198, 12, v139
	v_lshrrev_b32_e32 v199, 5, v139
	v_and_b32_e32 v140, 0xf0f0f0f, v154
	v_ashrrev_i32_e32 v148, v53, v150
	s_waitcnt vmcnt(29)
	v_and_b32_e32 v149, 0xf0f0f0f, v157
	v_lshrrev_b32_e32 v150, 4, v157
	v_lshlrev_b32_e32 v153, 18, v122
	v_lshlrev_b32_e32 v154, 25, v122
	v_and_b32_e32 v121, 0xf0f0f0f, v121
	v_lshlrev_b32_e32 v157, 2, v122
	v_lshlrev_b32_e32 v122, 9, v122
	;; [unrolled: 1-line block ×4, first 2 shown]
	v_lshrrev_b32_e32 v205, 12, v142
	v_lshrrev_b32_e32 v206, 5, v142
	v_and_b32_e32 v151, 16, v151
	v_and_b32_e32 v152, 0x1000, v152
	v_and_b32_e32 v155, 16, v155
	v_and_b32_e32 v156, 0x1000, v156
	v_lshlrev_b32_e32 v167, 18, v120
	v_lshlrev_b32_e32 v168, 25, v120
	v_and_b32_e32 v119, 0xf0f0f0f, v119
	v_lshlrev_b32_e32 v179, 2, v120
	v_lshlrev_b32_e32 v120, 9, v120
	v_and_b32_e32 v165, 16, v165
	v_and_b32_e32 v166, 0x1000, v166
	v_and_b32_e32 v177, 16, v177
	v_and_b32_e32 v178, 0x1000, v178
	v_lshlrev_b32_e32 v182, 18, v24
	v_lshlrev_b32_e32 v183, 25, v24
	v_and_b32_e32 v23, 0xf0f0f0f, v23
	v_lshlrev_b32_e32 v186, 2, v24
	v_lshlrev_b32_e32 v24, 9, v24
	;; [unrolled: 9-line block ×5, first 2 shown]
	v_and_b32_e32 v153, 0x100000, v153
	v_and_b32_e32 v154, 0x10000000, v154
	;; [unrolled: 1-line block ×8, first 2 shown]
	v_or3_b32 v135, v151, v135, v152
	v_or3_b32 v121, v155, v121, v156
	v_and_b32_e32 v167, 0x100000, v167
	v_and_b32_e32 v168, 0x10000000, v168
	v_and_b32_e32 v179, 0x100000, v179
	v_and_b32_e32 v120, 0x10000000, v120
	v_or3_b32 v136, v165, v136, v166
	v_or3_b32 v119, v177, v119, v178
	v_and_b32_e32 v182, 0x100000, v182
	v_and_b32_e32 v183, 0x10000000, v183
	v_and_b32_e32 v186, 0x100000, v186
	v_and_b32_e32 v24, 0x10000000, v24
	;; [unrolled: 6-line block ×4, first 2 shown]
	v_or3_b32 v140, v194, v140, v195
	v_or3_b32 v141, v198, v141, v199
	v_lshrrev_b32_e32 v219, 12, v148
	v_lshrrev_b32_e32 v220, 5, v148
	v_and_b32_e32 v203, 0x100000, v203
	v_and_b32_e32 v204, 0x10000000, v204
	;; [unrolled: 1-line block ×4, first 2 shown]
	v_or3_b32 v143, v201, v143, v202
	v_or3_b32 v144, v205, v144, v206
	v_or3_b32 v135, v135, v153, v154
	v_or3_b32 v121, v121, v157, v122
	v_or3_b32 v122, v136, v167, v168
	v_or3_b32 v119, v119, v179, v120
	v_or3_b32 v120, v137, v182, v183
	v_or3_b32 v23, v23, v186, v24
	v_or3_b32 v24, v138, v189, v190
	v_or3_b32 v2, v2, v193, v3
	v_or3_b32 v3, v140, v196, v197
	v_or3_b32 v136, v141, v200, v139
	v_or3_b32 v137, v143, v203, v204
	v_or3_b32 v138, v144, v207, v142
	ds_store_2addr_b32 v4, v135, v121 offset1:1
	ds_store_2addr_b32 v5, v122, v119 offset1:1
	;; [unrolled: 1-line block ×6, first 2 shown]
	v_and_b32_e32 v2, 0xf0f0f0f, v150
	v_and_b32_e32 v3, 16, v219
	;; [unrolled: 1-line block ×3, first 2 shown]
	s_waitcnt vmcnt(25)
	v_ashrrev_i32_e32 v24, v53, v160
	v_lshlrev_b32_e32 v120, 2, v148
	v_lshlrev_b32_e32 v121, 9, v148
	s_waitcnt vmcnt(24)
	v_and_b32_e32 v122, 0xf0f0f0f, v161
	v_or3_b32 v2, v3, v2, v23
	v_lshlrev_b32_e32 v3, 4, v24
	v_lshlrev_b32_e32 v23, 11, v24
	v_and_b32_e32 v120, 0x100000, v120
	v_and_b32_e32 v121, 0x10000000, v121
	v_lshlrev_b32_e32 v208, 4, v145
	v_and_b32_e32 v3, 16, v3
	v_and_b32_e32 v23, 0x1000, v23
	v_lshlrev_b32_e32 v209, 11, v145
	v_lshrrev_b32_e32 v212, 12, v145
	v_lshrrev_b32_e32 v213, 5, v145
	v_lshlrev_b32_e32 v215, 4, v148
	v_lshlrev_b32_e32 v216, 11, v148
	v_or3_b32 v2, v2, v120, v121
	v_or3_b32 v3, v3, v122, v23
	v_lshrrev_b32_e32 v23, 4, v161
	v_lshrrev_b32_e32 v121, 12, v24
	;; [unrolled: 1-line block ×3, first 2 shown]
	v_lshlrev_b32_e32 v210, 18, v145
	v_lshlrev_b32_e32 v211, 25, v145
	v_and_b32_e32 v147, 0xf0f0f0f, v147
	v_lshlrev_b32_e32 v214, 2, v145
	v_lshlrev_b32_e32 v145, 9, v145
	;; [unrolled: 1-line block ×4, first 2 shown]
	v_and_b32_e32 v208, 16, v208
	v_and_b32_e32 v209, 0x1000, v209
	;; [unrolled: 1-line block ×9, first 2 shown]
	v_ashrrev_i32_e32 v136, v53, v159
	v_and_b32_e32 v210, 0x100000, v210
	v_and_b32_e32 v211, 0x10000000, v211
	;; [unrolled: 1-line block ×5, first 2 shown]
	v_or3_b32 v146, v208, v146, v209
	v_or3_b32 v147, v212, v147, v213
	;; [unrolled: 1-line block ×3, first 2 shown]
	v_and_b32_e32 v119, 0x10000000, v218
	v_lshlrev_b32_e32 v120, 18, v24
	v_lshlrev_b32_e32 v135, 25, v24
	;; [unrolled: 1-line block ×4, first 2 shown]
	v_or3_b32 v23, v121, v23, v122
	v_lshlrev_b32_e32 v121, 4, v136
	v_lshlrev_b32_e32 v122, 11, v136
	v_or3_b32 v139, v146, v210, v211
	v_or3_b32 v140, v147, v214, v145
	;; [unrolled: 1-line block ×3, first 2 shown]
	v_and_b32_e32 v120, 0x100000, v120
	v_and_b32_e32 v135, 0x10000000, v135
	;; [unrolled: 1-line block ×4, first 2 shown]
	s_waitcnt vmcnt(23)
	v_and_b32_e32 v138, 0xf0f0f0f, v162
	v_and_b32_e32 v121, 16, v121
	;; [unrolled: 1-line block ×3, first 2 shown]
	ds_store_2addr_b32 v10, v139, v140 offset1:1
	ds_store_2addr_b32 v11, v119, v2 offset1:1
	v_or3_b32 v2, v3, v120, v135
	v_or3_b32 v3, v23, v137, v24
	;; [unrolled: 1-line block ×3, first 2 shown]
	v_lshrrev_b32_e32 v119, 4, v162
	v_lshrrev_b32_e32 v120, 12, v136
	;; [unrolled: 1-line block ×3, first 2 shown]
	v_ashrrev_i32_e32 v135, v53, v158
	v_lshlrev_b32_e32 v23, 18, v136
	v_and_b32_e32 v119, 0xf0f0f0f, v119
	v_and_b32_e32 v120, 16, v120
	;; [unrolled: 1-line block ×3, first 2 shown]
	v_lshlrev_b32_e32 v122, 25, v136
	v_lshlrev_b32_e32 v137, 2, v136
	;; [unrolled: 1-line block ×3, first 2 shown]
	v_and_b32_e32 v23, 0x100000, v23
	v_or3_b32 v119, v120, v119, v121
	v_lshlrev_b32_e32 v120, 4, v135
	v_lshlrev_b32_e32 v121, 11, v135
	v_and_b32_e32 v122, 0x10000000, v122
	v_and_b32_e32 v137, 0x100000, v137
	;; [unrolled: 1-line block ×3, first 2 shown]
	s_waitcnt vmcnt(22)
	v_and_b32_e32 v138, 0xf0f0f0f, v163
	v_and_b32_e32 v120, 16, v120
	;; [unrolled: 1-line block ×3, first 2 shown]
	ds_store_2addr_b32 v12, v2, v3 offset1:1
	v_or3_b32 v2, v24, v23, v122
	v_or3_b32 v3, v119, v137, v136
	v_lshrrev_b32_e32 v119, 4, v163
	v_or3_b32 v24, v120, v138, v121
	v_lshrrev_b32_e32 v120, 12, v135
	v_lshrrev_b32_e32 v121, 5, v135
	v_ashrrev_i32_e32 v123, v53, v123
	v_and_b32_e32 v119, 0xf0f0f0f, v119
	v_lshlrev_b32_e32 v23, 18, v135
	v_and_b32_e32 v120, 16, v120
	v_and_b32_e32 v121, 0x1000, v121
	v_lshlrev_b32_e32 v122, 25, v135
	v_lshlrev_b32_e32 v136, 2, v135
	;; [unrolled: 1-line block ×3, first 2 shown]
	v_and_b32_e32 v23, 0x100000, v23
	v_or3_b32 v119, v120, v119, v121
	v_lshlrev_b32_e32 v120, 4, v123
	v_lshlrev_b32_e32 v121, 11, v123
	v_and_b32_e32 v122, 0x10000000, v122
	v_and_b32_e32 v136, 0x100000, v136
	;; [unrolled: 1-line block ×3, first 2 shown]
	s_waitcnt vmcnt(21)
	v_and_b32_e32 v137, 0xf0f0f0f, v164
	v_and_b32_e32 v120, 16, v120
	;; [unrolled: 1-line block ×3, first 2 shown]
	ds_store_2addr_b32 v13, v2, v3 offset1:1
	v_or3_b32 v2, v24, v23, v122
	v_or3_b32 v3, v119, v136, v135
	v_lshrrev_b32_e32 v119, 4, v164
	v_or3_b32 v24, v120, v137, v121
	v_lshrrev_b32_e32 v120, 12, v123
	v_lshrrev_b32_e32 v121, 5, v123
	s_waitcnt vmcnt(13)
	v_ashrrev_i32_e32 v135, v53, v176
	v_and_b32_e32 v119, 0xf0f0f0f, v119
	v_lshlrev_b32_e32 v23, 18, v123
	v_and_b32_e32 v120, 16, v120
	v_and_b32_e32 v121, 0x1000, v121
	v_lshlrev_b32_e32 v122, 25, v123
	v_lshlrev_b32_e32 v136, 2, v123
	;; [unrolled: 1-line block ×3, first 2 shown]
	v_and_b32_e32 v23, 0x100000, v23
	v_or3_b32 v119, v120, v119, v121
	v_lshlrev_b32_e32 v120, 4, v135
	v_lshlrev_b32_e32 v121, 11, v135
	v_and_b32_e32 v122, 0x10000000, v122
	v_and_b32_e32 v136, 0x100000, v136
	;; [unrolled: 1-line block ×6, first 2 shown]
	ds_store_2addr_b32 v14, v2, v3 offset1:1
	v_or3_b32 v2, v24, v23, v122
	v_or3_b32 v3, v119, v136, v123
	v_lshrrev_b32_e32 v119, 4, v175
	v_or3_b32 v24, v120, v137, v121
	v_lshrrev_b32_e32 v120, 12, v135
	v_lshrrev_b32_e32 v121, 5, v135
	v_ashrrev_i32_e32 v123, v53, v174
	v_and_b32_e32 v119, 0xf0f0f0f, v119
	v_lshlrev_b32_e32 v23, 18, v135
	v_and_b32_e32 v120, 16, v120
	v_and_b32_e32 v121, 0x1000, v121
	v_lshlrev_b32_e32 v122, 25, v135
	v_lshlrev_b32_e32 v136, 2, v135
	;; [unrolled: 1-line block ×3, first 2 shown]
	v_and_b32_e32 v23, 0x100000, v23
	v_or3_b32 v119, v120, v119, v121
	v_lshlrev_b32_e32 v120, 4, v123
	v_lshlrev_b32_e32 v121, 11, v123
	v_and_b32_e32 v122, 0x10000000, v122
	v_and_b32_e32 v136, 0x100000, v136
	;; [unrolled: 1-line block ×6, first 2 shown]
	v_lshlrev_b32_e32 v138, 18, v123
	v_lshlrev_b32_e32 v139, 25, v123
	v_or3_b32 v23, v24, v23, v122
	v_or3_b32 v24, v119, v136, v135
	;; [unrolled: 1-line block ×3, first 2 shown]
	v_and_b32_e32 v120, 0x100000, v138
	v_and_b32_e32 v121, 0x10000000, v139
	v_lshrrev_b32_e32 v122, 4, v173
	v_lshrrev_b32_e32 v135, 12, v123
	;; [unrolled: 1-line block ×3, first 2 shown]
	v_ashrrev_i32_e32 v137, v53, v172
	v_or3_b32 v119, v119, v120, v121
	v_and_b32_e32 v120, 0xf0f0f0f, v122
	v_and_b32_e32 v121, 16, v135
	;; [unrolled: 1-line block ×3, first 2 shown]
	v_lshlrev_b32_e32 v135, 4, v137
	v_lshlrev_b32_e32 v136, 11, v137
	;; [unrolled: 1-line block ×4, first 2 shown]
	v_and_b32_e32 v139, 0xf0f0f0f, v171
	v_and_b32_e32 v135, 16, v135
	;; [unrolled: 1-line block ×3, first 2 shown]
	v_lshlrev_b32_e32 v140, 18, v137
	v_or3_b32 v120, v121, v120, v122
	v_and_b32_e32 v122, 0x10000000, v123
	v_and_b32_e32 v121, 0x100000, v138
	v_or3_b32 v123, v135, v139, v136
	v_and_b32_e32 v135, 0x100000, v140
	v_ashrrev_i32_e32 v140, v53, v170
	v_lshrrev_b32_e32 v136, 4, v171
	v_lshrrev_b32_e32 v138, 12, v137
	;; [unrolled: 1-line block ×3, first 2 shown]
	v_lshlrev_b32_e32 v144, 2, v137
	v_lshlrev_b32_e32 v142, 4, v140
	v_lshlrev_b32_e32 v143, 11, v140
	v_and_b32_e32 v136, 0xf0f0f0f, v136
	v_and_b32_e32 v138, 16, v138
	v_and_b32_e32 v139, 0x1000, v139
	v_and_b32_e32 v145, 0xf0f0f0f, v169
	v_and_b32_e32 v142, 16, v142
	v_and_b32_e32 v143, 0x1000, v143
	v_lshlrev_b32_e32 v141, 25, v137
	v_or3_b32 v136, v138, v136, v139
	v_and_b32_e32 v138, 0x100000, v144
	v_lshrrev_b32_e32 v144, 5, v140
	v_or3_b32 v139, v142, v145, v143
	v_lshrrev_b32_e32 v142, 4, v169
	v_lshrrev_b32_e32 v143, 12, v140
	v_lshlrev_b32_e32 v137, 9, v137
	v_lshlrev_b32_e32 v145, 18, v140
	;; [unrolled: 1-line block ×3, first 2 shown]
	v_and_b32_e32 v142, 0xf0f0f0f, v142
	v_and_b32_e32 v143, 16, v143
	v_and_b32_e32 v144, 0x1000, v144
	v_lshlrev_b32_e32 v147, 2, v140
	v_lshlrev_b32_e32 v140, 9, v140
	v_and_b32_e32 v141, 0x10000000, v141
	v_and_b32_e32 v137, 0x10000000, v137
	;; [unrolled: 1-line block ×4, first 2 shown]
	v_or3_b32 v142, v143, v142, v144
	v_and_b32_e32 v143, 0x100000, v147
	v_and_b32_e32 v140, 0x10000000, v140
	v_or3_b32 v120, v120, v121, v122
	v_or3_b32 v121, v123, v135, v141
	;; [unrolled: 1-line block ×5, first 2 shown]
	ds_store_2addr_b32 v15, v2, v3 offset1:1
	ds_store_2addr_b32 v16, v23, v24 offset1:1
	;; [unrolled: 1-line block ×5, first 2 shown]
	s_waitcnt vmcnt(3)
	ds_store_b32 v114, v131
	s_waitcnt vmcnt(2)
	ds_store_b32 v115, v132
	;; [unrolled: 2-line block ×4, first 2 shown]
	ds_store_b32 v86, v125
	ds_store_b32 v88, v126
	;; [unrolled: 1-line block ×9, first 2 shown]
	v_mov_b32_e32 v124, v104
	v_dual_mov_b32 v119, v108 :: v_dual_mov_b32 v120, v101
	v_dual_mov_b32 v121, v107 :: v_dual_mov_b32 v122, v106
	v_mov_b32_e32 v123, v105
	v_mov_b32_e32 v125, v103
	s_waitcnt lgkmcnt(0)
	s_barrier
	buffer_gl0_inv
.LBB164_7:                              ;   Parent Loop BB164_6 Depth=1
                                        ; =>  This Inner Loop Header: Depth=2
	ds_load_2addr_b32 v[23:24], v120 offset1:1
	ds_load_b128 v[0:3], v121
	ds_load_b128 v[126:129], v121 offset:16
	v_add_nc_u32_e32 v131, 0x2080, v120
	v_add_nc_u32_e32 v132, 0x4100, v120
	;; [unrolled: 1-line block ×3, first 2 shown]
	ds_load_2addr_b32 v[158:159], v120 offset0:2 offset1:3
	ds_load_2addr_b32 v[172:173], v120 offset0:4 offset1:5
	;; [unrolled: 1-line block ×3, first 2 shown]
	ds_load_2addr_b32 v[160:161], v131 offset1:1
	ds_load_2addr_b32 v[162:163], v132 offset1:1
	;; [unrolled: 1-line block ×3, first 2 shown]
	s_add_i32 s0, s0, 4
	s_delay_alu instid0(SALU_CYCLE_1) | instskip(SKIP_3) | instid1(VALU_DEP_1)
	s_cmp_lt_u32 s0, 12
	s_waitcnt lgkmcnt(7)
	v_dot4_i32_iu8 v130, v23, v0, 0 neg_lo:[1,1,0]
	s_waitcnt lgkmcnt(6)
	v_dot4_i32_iu8 v130, v24, v126, v130 neg_lo:[1,1,0]
	s_waitcnt lgkmcnt(2)
	v_dot4_i32_iu8 v131, v160, v0, 0 neg_lo:[1,1,0]
	s_waitcnt lgkmcnt(1)
	v_dot4_i32_iu8 v132, v162, v0, 0 neg_lo:[1,1,0]
	v_dot4_i32_iu8 v130, v158, v1, v130 neg_lo:[1,1,0]
	s_waitcnt lgkmcnt(0)
	v_dot4_i32_iu8 v0, v164, v0, 0 neg_lo:[1,1,0]
	v_dot4_i32_iu8 v131, v161, v126, v131 neg_lo:[1,1,0]
	v_dot4_i32_iu8 v132, v163, v126, v132 neg_lo:[1,1,0]
	s_delay_alu instid0(VALU_DEP_3)
	v_dot4_i32_iu8 v0, v165, v126, v0 neg_lo:[1,1,0]
	v_dot4_i32_iu8 v126, v159, v127, v130 neg_lo:[1,1,0]
	v_add_nc_u32_e32 v130, 0x2088, v120
	ds_load_2addr_b32 v[166:167], v130 offset1:1
	s_waitcnt lgkmcnt(0)
	v_dot4_i32_iu8 v130, v166, v1, v131 neg_lo:[1,1,0]
	v_add_nc_u32_e32 v131, 0x4108, v120
	s_delay_alu instid0(VALU_DEP_2) | instskip(SKIP_4) | instid1(VALU_DEP_2)
	v_dot4_i32_iu8 v130, v167, v127, v130 neg_lo:[1,1,0]
	ds_load_2addr_b32 v[168:169], v131 offset1:1
	s_waitcnt lgkmcnt(0)
	v_dot4_i32_iu8 v131, v168, v1, v132 neg_lo:[1,1,0]
	v_add_nc_u32_e32 v132, 0x6188, v120
	v_dot4_i32_iu8 v131, v169, v127, v131 neg_lo:[1,1,0]
	ds_load_2addr_b32 v[170:171], v132 offset1:1
	v_add_nc_u32_e32 v132, 0x4110, v120
	ds_load_2addr_b32 v[174:175], v132 offset1:1
	v_add_nc_u32_e32 v132, 0x6190, v120
	ds_load_2addr_b32 v[176:177], v132 offset1:1
	s_waitcnt lgkmcnt(2)
	v_dot4_i32_iu8 v0, v170, v1, v0 neg_lo:[1,1,0]
	v_dot4_i32_iu8 v1, v172, v2, v126 neg_lo:[1,1,0]
	v_add_nc_u32_e32 v126, 0x2090, v120
	s_delay_alu instid0(VALU_DEP_3) | instskip(NEXT) | instid1(VALU_DEP_3)
	v_dot4_i32_iu8 v0, v171, v127, v0 neg_lo:[1,1,0]
	v_dot4_i32_iu8 v1, v173, v128, v1 neg_lo:[1,1,0]
	ds_load_2addr_b32 v[126:127], v126 offset1:1
	s_waitcnt lgkmcnt(2)
	v_dot4_i32_iu8 v131, v174, v2, v131 neg_lo:[1,1,0]
	v_dot4_i32_iu8 v186, v178, v3, v1 neg_lo:[1,1,0]
	s_waitcnt lgkmcnt(1)
	v_dot4_i32_iu8 v0, v176, v2, v0 neg_lo:[1,1,0]
	s_delay_alu instid0(VALU_DEP_1) | instskip(SKIP_3) | instid1(VALU_DEP_2)
	v_dot4_i32_iu8 v0, v177, v128, v0 neg_lo:[1,1,0]
	s_waitcnt lgkmcnt(0)
	v_dot4_i32_iu8 v130, v126, v2, v130 neg_lo:[1,1,0]
	v_dot4_i32_iu8 v2, v175, v128, v131 neg_lo:[1,1,0]
	;; [unrolled: 1-line block ×3, first 2 shown]
	v_add_nc_u32_e32 v128, 0x2098, v120
	ds_load_b128 v[130:133], v121 offset:1040
	ds_load_2addr_b32 v[180:181], v128 offset1:1
	s_waitcnt lgkmcnt(0)
	v_dot4_i32_iu8 v128, v180, v3, v1 neg_lo:[1,1,0]
	v_add_nc_u32_e32 v1, 0x4118, v120
	ds_load_2addr_b32 v[182:183], v1 offset1:1
	v_add_nc_u32_e32 v1, 0x6198, v120
	v_add_nc_u32_e32 v120, 32, v120
	ds_load_2addr_b32 v[184:185], v1 offset1:1
	s_waitcnt lgkmcnt(1)
	v_dot4_i32_iu8 v187, v182, v3, v2 neg_lo:[1,1,0]
	s_waitcnt lgkmcnt(0)
	v_dot4_i32_iu8 v188, v184, v3, v0 neg_lo:[1,1,0]
	ds_load_b128 v[0:3], v121 offset:1024
	s_waitcnt lgkmcnt(0)
	v_dot4_i32_iu8 v134, v0, v23, 0 neg_lo:[1,1,0]
	v_dot4_i32_iu8 v135, v0, v160, 0 neg_lo:[1,1,0]
	v_dot4_i32_iu8 v136, v0, v162, 0 neg_lo:[1,1,0]
	v_dot4_i32_iu8 v0, v0, v164, 0 neg_lo:[1,1,0]
	s_delay_alu instid0(VALU_DEP_4) | instskip(NEXT) | instid1(VALU_DEP_4)
	v_dot4_i32_iu8 v134, v130, v24, v134 neg_lo:[1,1,0]
	v_dot4_i32_iu8 v135, v130, v161, v135 neg_lo:[1,1,0]
	s_delay_alu instid0(VALU_DEP_4) | instskip(NEXT) | instid1(VALU_DEP_4)
	v_dot4_i32_iu8 v136, v130, v163, v136 neg_lo:[1,1,0]
	v_dot4_i32_iu8 v0, v130, v165, v0 neg_lo:[1,1,0]
	s_delay_alu instid0(VALU_DEP_4) | instskip(NEXT) | instid1(VALU_DEP_4)
	v_dot4_i32_iu8 v130, v1, v158, v134 neg_lo:[1,1,0]
	v_dot4_i32_iu8 v134, v1, v166, v135 neg_lo:[1,1,0]
	s_delay_alu instid0(VALU_DEP_4) | instskip(NEXT) | instid1(VALU_DEP_4)
	v_dot4_i32_iu8 v135, v1, v168, v136 neg_lo:[1,1,0]
	v_dot4_i32_iu8 v0, v1, v170, v0 neg_lo:[1,1,0]
	s_delay_alu instid0(VALU_DEP_4) | instskip(NEXT) | instid1(VALU_DEP_4)
	v_dot4_i32_iu8 v1, v131, v159, v130 neg_lo:[1,1,0]
	v_dot4_i32_iu8 v130, v131, v167, v134 neg_lo:[1,1,0]
	s_delay_alu instid0(VALU_DEP_4) | instskip(NEXT) | instid1(VALU_DEP_4)
	v_dot4_i32_iu8 v134, v131, v169, v135 neg_lo:[1,1,0]
	v_dot4_i32_iu8 v0, v131, v171, v0 neg_lo:[1,1,0]
	s_delay_alu instid0(VALU_DEP_4) | instskip(NEXT) | instid1(VALU_DEP_4)
	v_dot4_i32_iu8 v1, v2, v172, v1 neg_lo:[1,1,0]
	v_dot4_i32_iu8 v130, v2, v126, v130 neg_lo:[1,1,0]
	s_delay_alu instid0(VALU_DEP_4) | instskip(NEXT) | instid1(VALU_DEP_4)
	v_dot4_i32_iu8 v131, v2, v174, v134 neg_lo:[1,1,0]
	v_dot4_i32_iu8 v0, v2, v176, v0 neg_lo:[1,1,0]
	ds_load_b128 v[134:137], v121 offset:2064
	v_dot4_i32_iu8 v1, v132, v173, v1 neg_lo:[1,1,0]
	v_dot4_i32_iu8 v2, v132, v127, v130 neg_lo:[1,1,0]
	v_dot4_i32_iu8 v130, v132, v175, v131 neg_lo:[1,1,0]
	v_dot4_i32_iu8 v0, v132, v177, v0 neg_lo:[1,1,0]
	s_delay_alu instid0(VALU_DEP_4) | instskip(NEXT) | instid1(VALU_DEP_4)
	v_dot4_i32_iu8 v131, v3, v178, v1 neg_lo:[1,1,0]
	v_dot4_i32_iu8 v132, v3, v180, v2 neg_lo:[1,1,0]
	s_delay_alu instid0(VALU_DEP_4) | instskip(NEXT) | instid1(VALU_DEP_4)
	v_dot4_i32_iu8 v130, v3, v182, v130 neg_lo:[1,1,0]
	v_dot4_i32_iu8 v189, v3, v184, v0 neg_lo:[1,1,0]
	ds_load_b128 v[0:3], v121 offset:2048
	v_dot4_i32_iu8 v130, v133, v183, v130 neg_lo:[1,1,0]
	s_waitcnt lgkmcnt(0)
	v_dot4_i32_iu8 v138, v0, v23, 0 neg_lo:[1,1,0]
	v_dot4_i32_iu8 v139, v0, v160, 0 neg_lo:[1,1,0]
	v_dot4_i32_iu8 v140, v0, v162, 0 neg_lo:[1,1,0]
	v_dot4_i32_iu8 v0, v0, v164, 0 neg_lo:[1,1,0]
	s_delay_alu instid0(VALU_DEP_4) | instskip(NEXT) | instid1(VALU_DEP_4)
	v_dot4_i32_iu8 v138, v134, v24, v138 neg_lo:[1,1,0]
	v_dot4_i32_iu8 v139, v134, v161, v139 neg_lo:[1,1,0]
	s_delay_alu instid0(VALU_DEP_4) | instskip(NEXT) | instid1(VALU_DEP_4)
	v_dot4_i32_iu8 v140, v134, v163, v140 neg_lo:[1,1,0]
	v_dot4_i32_iu8 v0, v134, v165, v0 neg_lo:[1,1,0]
	s_delay_alu instid0(VALU_DEP_4) | instskip(NEXT) | instid1(VALU_DEP_4)
	v_dot4_i32_iu8 v134, v1, v158, v138 neg_lo:[1,1,0]
	v_dot4_i32_iu8 v138, v1, v166, v139 neg_lo:[1,1,0]
	s_delay_alu instid0(VALU_DEP_4) | instskip(NEXT) | instid1(VALU_DEP_4)
	v_dot4_i32_iu8 v139, v1, v168, v140 neg_lo:[1,1,0]
	v_dot4_i32_iu8 v0, v1, v170, v0 neg_lo:[1,1,0]
	s_delay_alu instid0(VALU_DEP_4) | instskip(NEXT) | instid1(VALU_DEP_4)
	v_dot4_i32_iu8 v1, v135, v159, v134 neg_lo:[1,1,0]
	v_dot4_i32_iu8 v134, v135, v167, v138 neg_lo:[1,1,0]
	s_delay_alu instid0(VALU_DEP_4) | instskip(NEXT) | instid1(VALU_DEP_4)
	v_dot4_i32_iu8 v138, v135, v169, v139 neg_lo:[1,1,0]
	v_dot4_i32_iu8 v0, v135, v171, v0 neg_lo:[1,1,0]
	s_delay_alu instid0(VALU_DEP_4) | instskip(NEXT) | instid1(VALU_DEP_4)
	v_dot4_i32_iu8 v1, v2, v172, v1 neg_lo:[1,1,0]
	v_dot4_i32_iu8 v134, v2, v126, v134 neg_lo:[1,1,0]
	s_delay_alu instid0(VALU_DEP_4) | instskip(NEXT) | instid1(VALU_DEP_4)
	v_dot4_i32_iu8 v135, v2, v174, v138 neg_lo:[1,1,0]
	v_dot4_i32_iu8 v0, v2, v176, v0 neg_lo:[1,1,0]
	ds_load_b128 v[138:141], v121 offset:3088
	v_dot4_i32_iu8 v1, v136, v173, v1 neg_lo:[1,1,0]
	v_dot4_i32_iu8 v2, v136, v127, v134 neg_lo:[1,1,0]
	v_dot4_i32_iu8 v134, v136, v175, v135 neg_lo:[1,1,0]
	v_dot4_i32_iu8 v0, v136, v177, v0 neg_lo:[1,1,0]
	s_delay_alu instid0(VALU_DEP_4) | instskip(NEXT) | instid1(VALU_DEP_4)
	v_dot4_i32_iu8 v135, v3, v178, v1 neg_lo:[1,1,0]
	v_dot4_i32_iu8 v136, v3, v180, v2 neg_lo:[1,1,0]
	s_delay_alu instid0(VALU_DEP_4) | instskip(NEXT) | instid1(VALU_DEP_4)
	v_dot4_i32_iu8 v134, v3, v182, v134 neg_lo:[1,1,0]
	v_dot4_i32_iu8 v190, v3, v184, v0 neg_lo:[1,1,0]
	ds_load_b128 v[0:3], v121 offset:3072
	v_dot4_i32_iu8 v134, v137, v183, v134 neg_lo:[1,1,0]
	;; [unrolled: 42-line block ×5, first 2 shown]
	s_waitcnt lgkmcnt(0)
	v_dot4_i32_iu8 v154, v0, v23, 0 neg_lo:[1,1,0]
	v_dot4_i32_iu8 v155, v0, v160, 0 neg_lo:[1,1,0]
	;; [unrolled: 1-line block ×4, first 2 shown]
	s_delay_alu instid0(VALU_DEP_4) | instskip(NEXT) | instid1(VALU_DEP_4)
	v_dot4_i32_iu8 v154, v150, v24, v154 neg_lo:[1,1,0]
	v_dot4_i32_iu8 v155, v150, v161, v155 neg_lo:[1,1,0]
	s_delay_alu instid0(VALU_DEP_4) | instskip(NEXT) | instid1(VALU_DEP_4)
	v_dot4_i32_iu8 v156, v150, v163, v156 neg_lo:[1,1,0]
	v_dot4_i32_iu8 v0, v150, v165, v0 neg_lo:[1,1,0]
	;; [unrolled: 3-line block ×8, first 2 shown]
	ds_load_b128 v[154:157], v121 offset:7184
	v_dot4_i32_iu8 v1, v152, v173, v1 neg_lo:[1,1,0]
	v_dot4_i32_iu8 v2, v152, v127, v150 neg_lo:[1,1,0]
	;; [unrolled: 1-line block ×4, first 2 shown]
	s_delay_alu instid0(VALU_DEP_4) | instskip(NEXT) | instid1(VALU_DEP_4)
	v_dot4_i32_iu8 v151, v3, v178, v1 neg_lo:[1,1,0]
	v_dot4_i32_iu8 v152, v3, v180, v2 neg_lo:[1,1,0]
	s_delay_alu instid0(VALU_DEP_4) | instskip(NEXT) | instid1(VALU_DEP_4)
	v_dot4_i32_iu8 v150, v3, v182, v150 neg_lo:[1,1,0]
	v_dot4_i32_iu8 v194, v3, v184, v0 neg_lo:[1,1,0]
	ds_load_b128 v[0:3], v121 offset:7168
	v_add_nc_u32_e32 v121, 32, v121
	v_dot4_i32_iu8 v150, v153, v183, v150 neg_lo:[1,1,0]
	s_waitcnt lgkmcnt(0)
	v_dot4_i32_iu8 v23, v0, v23, 0 neg_lo:[1,1,0]
	s_delay_alu instid0(VALU_DEP_1) | instskip(SKIP_3) | instid1(VALU_DEP_4)
	v_dot4_i32_iu8 v23, v154, v24, v23 neg_lo:[1,1,0]
	v_dot4_i32_iu8 v24, v0, v160, 0 neg_lo:[1,1,0]
	v_dot4_i32_iu8 v160, v0, v162, 0 neg_lo:[1,1,0]
	v_dot4_i32_iu8 v0, v0, v164, 0 neg_lo:[1,1,0]
	v_dot4_i32_iu8 v23, v1, v158, v23 neg_lo:[1,1,0]
	s_delay_alu instid0(VALU_DEP_4) | instskip(NEXT) | instid1(VALU_DEP_4)
	v_dot4_i32_iu8 v24, v154, v161, v24 neg_lo:[1,1,0]
	v_dot4_i32_iu8 v160, v154, v163, v160 neg_lo:[1,1,0]
	s_delay_alu instid0(VALU_DEP_4) | instskip(NEXT) | instid1(VALU_DEP_4)
	v_dot4_i32_iu8 v0, v154, v165, v0 neg_lo:[1,1,0]
	v_dot4_i32_iu8 v23, v155, v159, v23 neg_lo:[1,1,0]
	;; [unrolled: 3-line block ×7, first 2 shown]
	s_delay_alu instid0(VALU_DEP_4)
	v_dot4_i32_iu8 v0, v2, v176, v0 neg_lo:[1,1,0]
	v_dot4_i32_iu8 v126, v183, v129, v187 neg_lo:[1,1,0]
	;; [unrolled: 1-line block ×7, first 2 shown]
	s_delay_alu instid0(VALU_DEP_4) | instskip(NEXT) | instid1(VALU_DEP_4)
	v_dot4_i32_iu8 v2, v3, v180, v23 neg_lo:[1,1,0]
	v_dot4_i32_iu8 v23, v3, v182, v24 neg_lo:[1,1,0]
	s_delay_alu instid0(VALU_DEP_4)
	v_dot4_i32_iu8 v0, v3, v184, v0 neg_lo:[1,1,0]
	v_dot4_i32_iu8 v3, v179, v129, v186 neg_lo:[1,1,0]
	;; [unrolled: 1-line block ×25, first 2 shown]
	ds_load_b32 v154, v122
	ds_load_b32 v155, v123
	;; [unrolled: 1-line block ×4, first 2 shown]
	ds_load_2addr_b32 v[0:1], v119 offset1:32
	v_cvt_f32_i32_e32 v144, v144
	v_cvt_f32_i32_e32 v3, v3
	;; [unrolled: 1-line block ×10, first 2 shown]
	v_add_nc_u32_e32 v125, 4, v125
	v_add_nc_u32_e32 v124, 4, v124
	;; [unrolled: 1-line block ×4, first 2 shown]
	s_waitcnt lgkmcnt(0)
	v_pk_mul_f16 v158, v0, v154
	v_pk_mul_f16 v159, v0, v155
	;; [unrolled: 1-line block ×8, first 2 shown]
	ds_load_2addr_b32 v[0:1], v119 offset0:64 offset1:96
	v_fma_mix_f32 v3, v158, v3, v158 op_sel:[0,0,1] op_sel_hi:[1,0,1]
	v_fma_mix_f32 v128, v162, v128, v162 op_sel:[0,0,1] op_sel_hi:[1,0,1]
	s_delay_alu instid0(VALU_DEP_2)
	v_add_f32_e32 v45, v45, v3
	v_cvt_f32_i32_e32 v3, v24
	v_cvt_f32_i32_e32 v24, v126
	;; [unrolled: 1-line block ×7, first 2 shown]
	v_add_f32_e32 v68, v68, v128
	v_cvt_f32_i32_e32 v128, v130
	v_cvt_f32_i32_e32 v130, v133
	v_cvt_f32_i32_e32 v133, v137
	v_cvt_f32_i32_e32 v137, v142
	v_cvt_f32_i32_e32 v138, v143
	s_waitcnt lgkmcnt(0)
	v_pk_mul_f16 v166, v154, v0
	v_pk_mul_f16 v167, v155, v0
	;; [unrolled: 1-line block ×8, first 2 shown]
	ds_load_2addr_b32 v[0:1], v119 offset0:128 offset1:160
	v_fma_mix_f32 v132, v166, v132, v166 op_sel:[0,0,1] op_sel_hi:[1,0,1]
	v_fma_mix_f32 v136, v170, v136, v170 op_sel:[0,0,1] op_sel_hi:[1,0,1]
	;; [unrolled: 1-line block ×3, first 2 shown]
	v_cvt_f32_i32_e32 v142, v149
	v_cvt_f32_i32_e32 v143, v150
	v_fma_mix_f32 v3, v159, v3, v159 op_sel:[0,0,1] op_sel_hi:[1,0,1]
	s_delay_alu instid0(VALU_DEP_4)
	v_dual_add_f32 v47, v47, v136 :: v_dual_add_f32 v44, v44, v134
	v_cvt_f32_i32_e32 v136, v141
	v_cvt_f32_i32_e32 v141, v147
	v_fma_mix_f32 v24, v160, v24, v160 op_sel:[0,0,1] op_sel_hi:[1,0,1]
	v_fma_mix_f32 v126, v161, v126, v161 op_sel:[0,0,1] op_sel_hi:[1,0,1]
	;; [unrolled: 1-line block ×8, first 2 shown]
	v_add_f32_e32 v76, v76, v3
	s_waitcnt lgkmcnt(0)
	v_pk_mul_f16 v174, v154, v0
	v_pk_mul_f16 v175, v155, v0
	;; [unrolled: 1-line block ×8, first 2 shown]
	ds_load_2addr_b32 v[0:1], v119 offset0:192 offset1:224
	v_fma_mix_f32 v144, v178, v144, v178 op_sel:[0,0,1] op_sel_hi:[1,0,1]
	v_fma_mix_f32 v140, v174, v140, v174 op_sel:[0,0,1] op_sel_hi:[1,0,1]
	;; [unrolled: 1-line block ×5, first 2 shown]
	v_add_f32_e32 v36, v36, v144
	v_cvt_f32_i32_e32 v144, v151
	v_fma_mix_f32 v141, v181, v141, v181 op_sel:[0,0,1] op_sel_hi:[1,0,1]
	v_dual_add_f32 v71, v71, v24 :: v_dual_add_f32 v38, v38, v137
	v_dual_add_f32 v70, v70, v126 :: v_dual_add_f32 v67, v67, v127
	v_dual_add_f32 v66, v66, v128 :: v_dual_add_nc_u32 v119, 4, v119
	v_dual_add_f32 v63, v63, v129 :: v_dual_add_f32 v52, v52, v130
	v_add_f32_e32 v50, v50, v131
	v_dual_add_f32 v46, v46, v133 :: v_dual_add_f32 v37, v37, v138
	s_waitcnt lgkmcnt(0)
	v_pk_mul_f16 v182, v154, v0
	v_pk_mul_f16 v183, v155, v0
	;; [unrolled: 1-line block ×8, first 2 shown]
	v_fma_mix_f32 v0, v0, v144, v0 op_sel:[0,0,1] op_sel_hi:[1,0,1]
	v_cvt_f32_i32_e32 v144, v153
	v_fma_mix_f32 v2, v155, v2, v155 op_sel:[0,0,1] op_sel_hi:[1,0,1]
	v_add_f32_e32 v58, v58, v132
	v_cvt_f32_i32_e32 v132, v135
	v_cvt_f32_i32_e32 v135, v139
	;; [unrolled: 1-line block ×3, first 2 shown]
	v_add_f32_e32 v27, v27, v2
	v_fma_mix_f32 v1, v1, v144, v1 op_sel:[0,0,1] op_sel_hi:[1,0,1]
	v_add_f32_e32 v40, v40, v140
	v_cvt_f32_i32_e32 v140, v146
	v_fma_mix_f32 v148, v182, v148, v182 op_sel:[0,0,1] op_sel_hi:[1,0,1]
	v_fma_mix_f32 v152, v154, v152, v154 op_sel:[0,0,1] op_sel_hi:[1,0,1]
	v_add_f32_e32 v25, v25, v1
	v_fma_mix_f32 v132, v169, v132, v169 op_sel:[0,0,1] op_sel_hi:[1,0,1]
	v_fma_mix_f32 v135, v173, v135, v173 op_sel:[0,0,1] op_sel_hi:[1,0,1]
	v_fma_mix_f32 v139, v179, v139, v179 op_sel:[0,0,1] op_sel_hi:[1,0,1]
	v_fma_mix_f32 v140, v180, v140, v180 op_sel:[0,0,1] op_sel_hi:[1,0,1]
	v_fma_mix_f32 v142, v183, v142, v183 op_sel:[0,0,1] op_sel_hi:[1,0,1]
	v_fma_mix_f32 v143, v184, v143, v184 op_sel:[0,0,1] op_sel_hi:[1,0,1]
	v_fma_mix_f32 v23, v156, v23, v156 op_sel:[0,0,1] op_sel_hi:[1,0,1]
	v_add_f32_e32 v32, v32, v148
	v_add_f32_e32 v28, v28, v152
	v_dual_add_f32 v48, v48, v132 :: v_dual_add_f32 v41, v41, v135
	v_dual_add_f32 v39, v39, v136 :: v_dual_add_f32 v30, v30, v143
	;; [unrolled: 1-line block ×3, first 2 shown]
	v_add_f32_e32 v33, v33, v141
	v_add_f32_e32 v31, v31, v142
	v_dual_add_f32 v29, v29, v0 :: v_dual_add_f32 v26, v26, v23
	s_cbranch_scc1 .LBB164_7
; %bb.8:                                ;   in Loop: Header=BB164_6 Depth=1
	s_or_b32 s0, s5, 4
	s_delay_alu instid0(SALU_CYCLE_1)
	s_cmp_ge_i32 s0, s4
	s_barrier
	buffer_gl0_inv
	s_cbranch_scc1 .LBB164_5
; %bb.9:                                ;   in Loop: Header=BB164_6 Depth=1
	v_add_nc_u32_e32 v125, s5, v102
	v_add_nc_u32_e32 v118, 4, v118
	s_mov_b32 s0, 12
	s_delay_alu instid0(VALU_DEP_2)
	v_add_nc_u32_e32 v2, v125, v85
	v_add_nc_u32_e32 v23, v125, v87
	;; [unrolled: 1-line block ×5, first 2 shown]
	v_mad_i64_i32 v[0:1], null, v2, 36, v[20:21]
	v_add_nc_u32_e32 v126, v125, v95
	v_mad_i64_i32 v[2:3], null, v23, 36, v[20:21]
	v_add_nc_u32_e32 v127, v125, v97
	;; [unrolled: 2-line block ×3, first 2 shown]
	v_mad_i64_i32 v[119:120], null, v121, 36, v[20:21]
	v_mad_i64_i32 v[121:122], null, v123, 36, v[20:21]
	;; [unrolled: 1-line block ×5, first 2 shown]
	v_mad_u64_u32 v[129:130], null, v118, 36, s[2:3]
	s_clause 0x8
	global_load_b32 v0, v[0:1], off offset:4
	global_load_b32 v1, v[2:3], off offset:4
	;; [unrolled: 1-line block ×8, first 2 shown]
	global_load_b32 v127, v[129:130], off
	v_mov_b32_e32 v121, v112
	v_dual_mov_b32 v118, v108 :: v_dual_mov_b32 v119, v107
	v_mov_b32_e32 v120, v113
	v_dual_mov_b32 v122, v111 :: v_dual_mov_b32 v123, v110
	v_mov_b32_e32 v124, v109
	s_waitcnt vmcnt(8)
	ds_store_b32 v86, v0
	s_waitcnt vmcnt(7)
	ds_store_b32 v88, v1
	s_waitcnt vmcnt(6)
	ds_store_b32 v90, v2
	s_waitcnt vmcnt(5)
	ds_store_b32 v92, v3
	s_waitcnt vmcnt(4)
	ds_store_b32 v94, v23
	s_waitcnt vmcnt(3)
	ds_store_b32 v96, v24
	s_waitcnt vmcnt(2)
	ds_store_b32 v98, v125
	s_waitcnt vmcnt(1)
	ds_store_b32 v100, v126
	s_waitcnt vmcnt(0)
	ds_store_b32 v84, v127
	s_waitcnt lgkmcnt(0)
	s_barrier
	buffer_gl0_inv
.LBB164_10:                             ;   Parent Loop BB164_6 Depth=1
                                        ; =>  This Inner Loop Header: Depth=2
	ds_load_2addr_b32 v[23:24], v120 offset1:1
	ds_load_b128 v[0:3], v119
	ds_load_b128 v[125:128], v119 offset:16
	ds_load_2addr_b32 v[157:158], v120 offset0:2 offset1:3
	v_add_nc_u32_e32 v130, 0x2080, v120
	v_add_nc_u32_e32 v131, 0x4100, v120
	;; [unrolled: 1-line block ×3, first 2 shown]
	ds_load_2addr_b32 v[171:172], v120 offset0:4 offset1:5
	ds_load_2addr_b32 v[177:178], v120 offset0:6 offset1:7
	ds_load_2addr_b32 v[159:160], v130 offset1:1
	ds_load_2addr_b32 v[161:162], v131 offset1:1
	;; [unrolled: 1-line block ×3, first 2 shown]
	s_add_i32 s0, s0, 4
	s_delay_alu instid0(SALU_CYCLE_1) | instskip(SKIP_3) | instid1(VALU_DEP_1)
	s_cmp_lt_u32 s0, 28
	s_waitcnt lgkmcnt(7)
	v_dot4_i32_iu8 v129, v23, v0, 0 neg_lo:[1,1,0]
	s_waitcnt lgkmcnt(6)
	v_dot4_i32_iu8 v129, v24, v125, v129 neg_lo:[1,1,0]
	;; [unrolled: 2-line block ×4, first 2 shown]
	v_dot4_i32_iu8 v129, v157, v1, v129 neg_lo:[1,1,0]
	s_waitcnt lgkmcnt(0)
	v_dot4_i32_iu8 v0, v163, v0, 0 neg_lo:[1,1,0]
	v_dot4_i32_iu8 v130, v160, v125, v130 neg_lo:[1,1,0]
	;; [unrolled: 1-line block ×3, first 2 shown]
	s_delay_alu instid0(VALU_DEP_3)
	v_dot4_i32_iu8 v0, v164, v125, v0 neg_lo:[1,1,0]
	v_dot4_i32_iu8 v125, v158, v126, v129 neg_lo:[1,1,0]
	v_add_nc_u32_e32 v129, 0x2088, v120
	ds_load_2addr_b32 v[165:166], v129 offset1:1
	s_waitcnt lgkmcnt(0)
	v_dot4_i32_iu8 v129, v165, v1, v130 neg_lo:[1,1,0]
	v_add_nc_u32_e32 v130, 0x4108, v120
	s_delay_alu instid0(VALU_DEP_2) | instskip(SKIP_4) | instid1(VALU_DEP_2)
	v_dot4_i32_iu8 v129, v166, v126, v129 neg_lo:[1,1,0]
	ds_load_2addr_b32 v[167:168], v130 offset1:1
	s_waitcnt lgkmcnt(0)
	v_dot4_i32_iu8 v130, v167, v1, v131 neg_lo:[1,1,0]
	v_add_nc_u32_e32 v131, 0x6188, v120
	v_dot4_i32_iu8 v130, v168, v126, v130 neg_lo:[1,1,0]
	ds_load_2addr_b32 v[169:170], v131 offset1:1
	v_add_nc_u32_e32 v131, 0x4110, v120
	ds_load_2addr_b32 v[173:174], v131 offset1:1
	v_add_nc_u32_e32 v131, 0x6190, v120
	ds_load_2addr_b32 v[175:176], v131 offset1:1
	s_waitcnt lgkmcnt(2)
	v_dot4_i32_iu8 v0, v169, v1, v0 neg_lo:[1,1,0]
	v_dot4_i32_iu8 v1, v171, v2, v125 neg_lo:[1,1,0]
	v_add_nc_u32_e32 v125, 0x2090, v120
	s_delay_alu instid0(VALU_DEP_3) | instskip(NEXT) | instid1(VALU_DEP_3)
	v_dot4_i32_iu8 v0, v170, v126, v0 neg_lo:[1,1,0]
	v_dot4_i32_iu8 v1, v172, v127, v1 neg_lo:[1,1,0]
	ds_load_2addr_b32 v[125:126], v125 offset1:1
	s_waitcnt lgkmcnt(2)
	v_dot4_i32_iu8 v130, v173, v2, v130 neg_lo:[1,1,0]
	v_dot4_i32_iu8 v185, v177, v3, v1 neg_lo:[1,1,0]
	s_waitcnt lgkmcnt(1)
	v_dot4_i32_iu8 v0, v175, v2, v0 neg_lo:[1,1,0]
	s_delay_alu instid0(VALU_DEP_1) | instskip(SKIP_3) | instid1(VALU_DEP_2)
	v_dot4_i32_iu8 v0, v176, v127, v0 neg_lo:[1,1,0]
	s_waitcnt lgkmcnt(0)
	v_dot4_i32_iu8 v129, v125, v2, v129 neg_lo:[1,1,0]
	v_dot4_i32_iu8 v2, v174, v127, v130 neg_lo:[1,1,0]
	;; [unrolled: 1-line block ×3, first 2 shown]
	v_add_nc_u32_e32 v127, 0x2098, v120
	ds_load_b128 v[129:132], v119 offset:1040
	ds_load_2addr_b32 v[179:180], v127 offset1:1
	s_waitcnt lgkmcnt(0)
	v_dot4_i32_iu8 v127, v179, v3, v1 neg_lo:[1,1,0]
	v_add_nc_u32_e32 v1, 0x4118, v120
	ds_load_2addr_b32 v[181:182], v1 offset1:1
	v_add_nc_u32_e32 v1, 0x6198, v120
	v_add_nc_u32_e32 v120, 32, v120
	ds_load_2addr_b32 v[183:184], v1 offset1:1
	s_waitcnt lgkmcnt(1)
	v_dot4_i32_iu8 v186, v181, v3, v2 neg_lo:[1,1,0]
	s_waitcnt lgkmcnt(0)
	v_dot4_i32_iu8 v187, v183, v3, v0 neg_lo:[1,1,0]
	ds_load_b128 v[0:3], v119 offset:1024
	s_waitcnt lgkmcnt(0)
	v_dot4_i32_iu8 v133, v0, v23, 0 neg_lo:[1,1,0]
	v_dot4_i32_iu8 v134, v0, v159, 0 neg_lo:[1,1,0]
	v_dot4_i32_iu8 v135, v0, v161, 0 neg_lo:[1,1,0]
	v_dot4_i32_iu8 v0, v0, v163, 0 neg_lo:[1,1,0]
	s_delay_alu instid0(VALU_DEP_4) | instskip(NEXT) | instid1(VALU_DEP_4)
	v_dot4_i32_iu8 v133, v129, v24, v133 neg_lo:[1,1,0]
	v_dot4_i32_iu8 v134, v129, v160, v134 neg_lo:[1,1,0]
	s_delay_alu instid0(VALU_DEP_4) | instskip(NEXT) | instid1(VALU_DEP_4)
	v_dot4_i32_iu8 v135, v129, v162, v135 neg_lo:[1,1,0]
	v_dot4_i32_iu8 v0, v129, v164, v0 neg_lo:[1,1,0]
	s_delay_alu instid0(VALU_DEP_4) | instskip(NEXT) | instid1(VALU_DEP_4)
	v_dot4_i32_iu8 v129, v1, v157, v133 neg_lo:[1,1,0]
	v_dot4_i32_iu8 v133, v1, v165, v134 neg_lo:[1,1,0]
	s_delay_alu instid0(VALU_DEP_4) | instskip(NEXT) | instid1(VALU_DEP_4)
	v_dot4_i32_iu8 v134, v1, v167, v135 neg_lo:[1,1,0]
	v_dot4_i32_iu8 v0, v1, v169, v0 neg_lo:[1,1,0]
	s_delay_alu instid0(VALU_DEP_4) | instskip(NEXT) | instid1(VALU_DEP_4)
	v_dot4_i32_iu8 v1, v130, v158, v129 neg_lo:[1,1,0]
	v_dot4_i32_iu8 v129, v130, v166, v133 neg_lo:[1,1,0]
	s_delay_alu instid0(VALU_DEP_4) | instskip(NEXT) | instid1(VALU_DEP_4)
	v_dot4_i32_iu8 v133, v130, v168, v134 neg_lo:[1,1,0]
	v_dot4_i32_iu8 v0, v130, v170, v0 neg_lo:[1,1,0]
	s_delay_alu instid0(VALU_DEP_4) | instskip(NEXT) | instid1(VALU_DEP_4)
	v_dot4_i32_iu8 v1, v2, v171, v1 neg_lo:[1,1,0]
	v_dot4_i32_iu8 v129, v2, v125, v129 neg_lo:[1,1,0]
	s_delay_alu instid0(VALU_DEP_4) | instskip(NEXT) | instid1(VALU_DEP_4)
	v_dot4_i32_iu8 v130, v2, v173, v133 neg_lo:[1,1,0]
	v_dot4_i32_iu8 v0, v2, v175, v0 neg_lo:[1,1,0]
	ds_load_b128 v[133:136], v119 offset:2064
	v_dot4_i32_iu8 v1, v131, v172, v1 neg_lo:[1,1,0]
	v_dot4_i32_iu8 v2, v131, v126, v129 neg_lo:[1,1,0]
	v_dot4_i32_iu8 v129, v131, v174, v130 neg_lo:[1,1,0]
	v_dot4_i32_iu8 v0, v131, v176, v0 neg_lo:[1,1,0]
	s_delay_alu instid0(VALU_DEP_4) | instskip(NEXT) | instid1(VALU_DEP_4)
	v_dot4_i32_iu8 v130, v3, v177, v1 neg_lo:[1,1,0]
	v_dot4_i32_iu8 v131, v3, v179, v2 neg_lo:[1,1,0]
	s_delay_alu instid0(VALU_DEP_4) | instskip(NEXT) | instid1(VALU_DEP_4)
	v_dot4_i32_iu8 v129, v3, v181, v129 neg_lo:[1,1,0]
	v_dot4_i32_iu8 v188, v3, v183, v0 neg_lo:[1,1,0]
	ds_load_b128 v[0:3], v119 offset:2048
	v_dot4_i32_iu8 v129, v132, v182, v129 neg_lo:[1,1,0]
	s_waitcnt lgkmcnt(0)
	v_dot4_i32_iu8 v137, v0, v23, 0 neg_lo:[1,1,0]
	v_dot4_i32_iu8 v138, v0, v159, 0 neg_lo:[1,1,0]
	v_dot4_i32_iu8 v139, v0, v161, 0 neg_lo:[1,1,0]
	v_dot4_i32_iu8 v0, v0, v163, 0 neg_lo:[1,1,0]
	s_delay_alu instid0(VALU_DEP_4) | instskip(NEXT) | instid1(VALU_DEP_4)
	v_dot4_i32_iu8 v137, v133, v24, v137 neg_lo:[1,1,0]
	v_dot4_i32_iu8 v138, v133, v160, v138 neg_lo:[1,1,0]
	s_delay_alu instid0(VALU_DEP_4) | instskip(NEXT) | instid1(VALU_DEP_4)
	v_dot4_i32_iu8 v139, v133, v162, v139 neg_lo:[1,1,0]
	v_dot4_i32_iu8 v0, v133, v164, v0 neg_lo:[1,1,0]
	s_delay_alu instid0(VALU_DEP_4) | instskip(NEXT) | instid1(VALU_DEP_4)
	v_dot4_i32_iu8 v133, v1, v157, v137 neg_lo:[1,1,0]
	v_dot4_i32_iu8 v137, v1, v165, v138 neg_lo:[1,1,0]
	s_delay_alu instid0(VALU_DEP_4) | instskip(NEXT) | instid1(VALU_DEP_4)
	v_dot4_i32_iu8 v138, v1, v167, v139 neg_lo:[1,1,0]
	v_dot4_i32_iu8 v0, v1, v169, v0 neg_lo:[1,1,0]
	s_delay_alu instid0(VALU_DEP_4) | instskip(NEXT) | instid1(VALU_DEP_4)
	v_dot4_i32_iu8 v1, v134, v158, v133 neg_lo:[1,1,0]
	v_dot4_i32_iu8 v133, v134, v166, v137 neg_lo:[1,1,0]
	s_delay_alu instid0(VALU_DEP_4) | instskip(NEXT) | instid1(VALU_DEP_4)
	v_dot4_i32_iu8 v137, v134, v168, v138 neg_lo:[1,1,0]
	v_dot4_i32_iu8 v0, v134, v170, v0 neg_lo:[1,1,0]
	s_delay_alu instid0(VALU_DEP_4) | instskip(NEXT) | instid1(VALU_DEP_4)
	v_dot4_i32_iu8 v1, v2, v171, v1 neg_lo:[1,1,0]
	v_dot4_i32_iu8 v133, v2, v125, v133 neg_lo:[1,1,0]
	s_delay_alu instid0(VALU_DEP_4) | instskip(NEXT) | instid1(VALU_DEP_4)
	v_dot4_i32_iu8 v134, v2, v173, v137 neg_lo:[1,1,0]
	v_dot4_i32_iu8 v0, v2, v175, v0 neg_lo:[1,1,0]
	ds_load_b128 v[137:140], v119 offset:3088
	v_dot4_i32_iu8 v1, v135, v172, v1 neg_lo:[1,1,0]
	v_dot4_i32_iu8 v2, v135, v126, v133 neg_lo:[1,1,0]
	v_dot4_i32_iu8 v133, v135, v174, v134 neg_lo:[1,1,0]
	v_dot4_i32_iu8 v0, v135, v176, v0 neg_lo:[1,1,0]
	s_delay_alu instid0(VALU_DEP_4) | instskip(NEXT) | instid1(VALU_DEP_4)
	v_dot4_i32_iu8 v134, v3, v177, v1 neg_lo:[1,1,0]
	v_dot4_i32_iu8 v135, v3, v179, v2 neg_lo:[1,1,0]
	s_delay_alu instid0(VALU_DEP_4) | instskip(NEXT) | instid1(VALU_DEP_4)
	v_dot4_i32_iu8 v133, v3, v181, v133 neg_lo:[1,1,0]
	v_dot4_i32_iu8 v189, v3, v183, v0 neg_lo:[1,1,0]
	ds_load_b128 v[0:3], v119 offset:3072
	v_dot4_i32_iu8 v133, v136, v182, v133 neg_lo:[1,1,0]
	;; [unrolled: 42-line block ×5, first 2 shown]
	s_waitcnt lgkmcnt(0)
	v_dot4_i32_iu8 v153, v0, v23, 0 neg_lo:[1,1,0]
	v_dot4_i32_iu8 v154, v0, v159, 0 neg_lo:[1,1,0]
	;; [unrolled: 1-line block ×4, first 2 shown]
	s_delay_alu instid0(VALU_DEP_4) | instskip(NEXT) | instid1(VALU_DEP_4)
	v_dot4_i32_iu8 v153, v149, v24, v153 neg_lo:[1,1,0]
	v_dot4_i32_iu8 v154, v149, v160, v154 neg_lo:[1,1,0]
	s_delay_alu instid0(VALU_DEP_4) | instskip(NEXT) | instid1(VALU_DEP_4)
	v_dot4_i32_iu8 v155, v149, v162, v155 neg_lo:[1,1,0]
	v_dot4_i32_iu8 v0, v149, v164, v0 neg_lo:[1,1,0]
	;; [unrolled: 3-line block ×8, first 2 shown]
	ds_load_b128 v[153:156], v119 offset:7184
	v_dot4_i32_iu8 v1, v151, v172, v1 neg_lo:[1,1,0]
	v_dot4_i32_iu8 v2, v151, v126, v149 neg_lo:[1,1,0]
	v_dot4_i32_iu8 v149, v151, v174, v150 neg_lo:[1,1,0]
	v_dot4_i32_iu8 v0, v151, v176, v0 neg_lo:[1,1,0]
	s_delay_alu instid0(VALU_DEP_4) | instskip(NEXT) | instid1(VALU_DEP_4)
	v_dot4_i32_iu8 v150, v3, v177, v1 neg_lo:[1,1,0]
	v_dot4_i32_iu8 v151, v3, v179, v2 neg_lo:[1,1,0]
	s_delay_alu instid0(VALU_DEP_4) | instskip(NEXT) | instid1(VALU_DEP_4)
	v_dot4_i32_iu8 v149, v3, v181, v149 neg_lo:[1,1,0]
	v_dot4_i32_iu8 v193, v3, v183, v0 neg_lo:[1,1,0]
	ds_load_b128 v[0:3], v119 offset:7168
	v_add_nc_u32_e32 v119, 32, v119
	v_dot4_i32_iu8 v149, v152, v182, v149 neg_lo:[1,1,0]
	s_waitcnt lgkmcnt(0)
	v_dot4_i32_iu8 v23, v0, v23, 0 neg_lo:[1,1,0]
	s_delay_alu instid0(VALU_DEP_1) | instskip(SKIP_3) | instid1(VALU_DEP_4)
	v_dot4_i32_iu8 v23, v153, v24, v23 neg_lo:[1,1,0]
	v_dot4_i32_iu8 v24, v0, v159, 0 neg_lo:[1,1,0]
	;; [unrolled: 1-line block ×5, first 2 shown]
	s_delay_alu instid0(VALU_DEP_4) | instskip(NEXT) | instid1(VALU_DEP_4)
	v_dot4_i32_iu8 v24, v153, v160, v24 neg_lo:[1,1,0]
	v_dot4_i32_iu8 v159, v153, v162, v159 neg_lo:[1,1,0]
	s_delay_alu instid0(VALU_DEP_4) | instskip(NEXT) | instid1(VALU_DEP_4)
	v_dot4_i32_iu8 v0, v153, v164, v0 neg_lo:[1,1,0]
	v_dot4_i32_iu8 v23, v154, v158, v23 neg_lo:[1,1,0]
	;; [unrolled: 3-line block ×7, first 2 shown]
	s_delay_alu instid0(VALU_DEP_4)
	v_dot4_i32_iu8 v0, v2, v175, v0 neg_lo:[1,1,0]
	v_dot4_i32_iu8 v125, v182, v128, v186 neg_lo:[1,1,0]
	;; [unrolled: 1-line block ×7, first 2 shown]
	s_delay_alu instid0(VALU_DEP_4) | instskip(NEXT) | instid1(VALU_DEP_4)
	v_dot4_i32_iu8 v2, v3, v179, v23 neg_lo:[1,1,0]
	v_dot4_i32_iu8 v23, v3, v181, v24 neg_lo:[1,1,0]
	s_delay_alu instid0(VALU_DEP_4)
	v_dot4_i32_iu8 v0, v3, v183, v0 neg_lo:[1,1,0]
	v_dot4_i32_iu8 v3, v178, v128, v185 neg_lo:[1,1,0]
	;; [unrolled: 1-line block ×25, first 2 shown]
	ds_load_b32 v153, v121
	ds_load_b32 v154, v122
	;; [unrolled: 1-line block ×4, first 2 shown]
	ds_load_2addr_b32 v[0:1], v118 offset1:32
	v_cvt_f32_i32_e32 v143, v143
	v_cvt_f32_i32_e32 v3, v3
	;; [unrolled: 1-line block ×10, first 2 shown]
	v_add_nc_u32_e32 v123, 4, v123
	v_add_nc_u32_e32 v121, 4, v121
	;; [unrolled: 1-line block ×4, first 2 shown]
	s_waitcnt lgkmcnt(0)
	v_pk_mul_f16 v157, v0, v153
	v_pk_mul_f16 v158, v0, v154
	;; [unrolled: 1-line block ×8, first 2 shown]
	ds_load_2addr_b32 v[0:1], v118 offset0:64 offset1:96
	v_fma_mix_f32 v3, v157, v3, v157 op_sel:[0,0,1] op_sel_hi:[1,0,1]
	v_fma_mix_f32 v127, v161, v127, v161 op_sel:[0,0,1] op_sel_hi:[1,0,1]
	s_delay_alu instid0(VALU_DEP_2)
	v_add_f32_e32 v45, v45, v3
	v_cvt_f32_i32_e32 v3, v24
	v_cvt_f32_i32_e32 v24, v125
	;; [unrolled: 1-line block ×3, first 2 shown]
	v_add_f32_e32 v68, v68, v127
	v_cvt_f32_i32_e32 v126, v128
	v_cvt_f32_i32_e32 v127, v129
	;; [unrolled: 1-line block ×9, first 2 shown]
	s_waitcnt lgkmcnt(0)
	v_pk_mul_f16 v165, v153, v0
	v_pk_mul_f16 v166, v154, v0
	v_pk_mul_f16 v167, v155, v0
	v_pk_mul_f16 v168, v156, v0
	v_pk_mul_f16 v169, v153, v1
	v_pk_mul_f16 v170, v154, v1
	v_pk_mul_f16 v171, v155, v1
	v_pk_mul_f16 v172, v156, v1
	ds_load_2addr_b32 v[0:1], v118 offset0:128 offset1:160
	v_fma_mix_f32 v131, v165, v131, v165 op_sel:[0,0,1] op_sel_hi:[1,0,1]
	v_fma_mix_f32 v135, v169, v135, v169 op_sel:[0,0,1] op_sel_hi:[1,0,1]
	v_cvt_f32_i32_e32 v141, v148
	v_cvt_f32_i32_e32 v142, v149
	v_fma_mix_f32 v3, v158, v3, v158 op_sel:[0,0,1] op_sel_hi:[1,0,1]
	v_add_f32_e32 v58, v58, v131
	v_cvt_f32_i32_e32 v131, v134
	v_add_f32_e32 v47, v47, v135
	v_cvt_f32_i32_e32 v134, v138
	v_cvt_f32_i32_e32 v135, v140
	v_cvt_f32_i32_e32 v138, v144
	v_cvt_f32_i32_e32 v140, v146
	v_fma_mix_f32 v24, v159, v24, v159 op_sel:[0,0,1] op_sel_hi:[1,0,1]
	v_fma_mix_f32 v125, v160, v125, v160 op_sel:[0,0,1] op_sel_hi:[1,0,1]
	;; [unrolled: 1-line block ×7, first 2 shown]
	s_waitcnt lgkmcnt(0)
	v_pk_mul_f16 v173, v153, v0
	v_pk_mul_f16 v174, v154, v0
	;; [unrolled: 1-line block ×8, first 2 shown]
	ds_load_2addr_b32 v[0:1], v118 offset0:192 offset1:224
	v_fma_mix_f32 v143, v177, v143, v177 op_sel:[0,0,1] op_sel_hi:[1,0,1]
	v_fma_mix_f32 v139, v173, v139, v173 op_sel:[0,0,1] op_sel_hi:[1,0,1]
	;; [unrolled: 1-line block ×5, first 2 shown]
	v_add_f32_e32 v36, v36, v143
	v_cvt_f32_i32_e32 v143, v150
	v_add_f32_e32 v40, v40, v139
	v_cvt_f32_i32_e32 v139, v145
	v_fma_mix_f32 v134, v172, v134, v172 op_sel:[0,0,1] op_sel_hi:[1,0,1]
	v_fma_mix_f32 v135, v174, v135, v174 op_sel:[0,0,1] op_sel_hi:[1,0,1]
	;; [unrolled: 1-line block ×7, first 2 shown]
	v_dual_add_f32 v76, v76, v3 :: v_dual_add_f32 v71, v71, v24
	v_add_f32_e32 v52, v52, v129
	s_waitcnt lgkmcnt(0)
	v_pk_mul_f16 v181, v153, v0
	v_pk_mul_f16 v182, v154, v0
	;; [unrolled: 1-line block ×8, first 2 shown]
	v_fma_mix_f32 v0, v0, v143, v0 op_sel:[0,0,1] op_sel_hi:[1,0,1]
	v_cvt_f32_i32_e32 v143, v152
	v_fma_mix_f32 v147, v181, v147, v181 op_sel:[0,0,1] op_sel_hi:[1,0,1]
	v_fma_mix_f32 v151, v153, v151, v153 op_sel:[0,0,1] op_sel_hi:[1,0,1]
	;; [unrolled: 1-line block ×7, first 2 shown]
	v_add_f32_e32 v32, v32, v147
	v_add_f32_e32 v28, v28, v151
	v_dual_add_f32 v70, v70, v125 :: v_dual_add_f32 v67, v67, v126
	v_dual_add_f32 v66, v66, v127 :: v_dual_add_f32 v63, v63, v128
	v_add_f32_e32 v50, v50, v130
	v_dual_add_f32 v48, v48, v131 :: v_dual_add_f32 v41, v41, v134
	v_dual_add_f32 v46, v46, v132 :: v_dual_add_f32 v39, v39, v135
	;; [unrolled: 1-line block ×7, first 2 shown]
	v_add_f32_e32 v27, v27, v2
	v_dual_add_f32 v25, v25, v1 :: v_dual_add_nc_u32 v118, 4, v118
	s_cbranch_scc1 .LBB164_10
; %bb.11:                               ;   in Loop: Header=BB164_6 Depth=1
	s_barrier
	buffer_gl0_inv
	s_branch .LBB164_5
.LBB164_12:
	v_dual_mov_b32 v1, v42 :: v_dual_mov_b32 v0, v43
.LBB164_13:
	s_mov_b32 s0, exec_lo
	v_cmpx_gt_u32_e64 s6, v51
	s_cbranch_execz .LBB164_64
; %bb.14:
	s_delay_alu instid0(VALU_DEP_2) | instskip(SKIP_1) | instid1(VALU_DEP_2)
	v_add_nc_u32_e32 v0, s12, v0
	v_mul_lo_u32 v5, v51, s10
	v_cmp_gt_u32_e32 vcc_lo, s10, v0
	s_and_saveexec_b32 s1, vcc_lo
	s_cbranch_execz .LBB164_16
; %bb.15:
	v_bfe_u32 v3, v45, 16, 1
	s_delay_alu instid0(VALU_DEP_3) | instskip(SKIP_1) | instid1(VALU_DEP_3)
	v_add_nc_u32_e32 v2, v0, v5
	v_cmp_o_f32_e64 s0, v45, v45
	v_add3_u32 v4, v45, v3, 0x7fff
	v_mov_b32_e32 v3, 0
	s_delay_alu instid0(VALU_DEP_2) | instskip(NEXT) | instid1(VALU_DEP_2)
	v_lshrrev_b32_e32 v4, 16, v4
	v_lshlrev_b64 v[2:3], 1, v[2:3]
	s_delay_alu instid0(VALU_DEP_2) | instskip(SKIP_1) | instid1(VALU_DEP_2)
	v_cndmask_b32_e64 v4, 0x7fc0, v4, s0
	s_waitcnt lgkmcnt(0)
	v_add_co_u32 v2, s0, s8, v2
	s_delay_alu instid0(VALU_DEP_1)
	v_add_co_ci_u32_e64 v3, s0, s9, v3, s0
	global_store_b16 v[2:3], v4, off
.LBB164_16:
	s_or_b32 exec_lo, exec_lo, s1
	v_add_nc_u32_e32 v2, 32, v0
	s_delay_alu instid0(VALU_DEP_1) | instskip(NEXT) | instid1(VALU_DEP_1)
	v_cmp_gt_u32_e64 s0, s10, v2
	s_and_saveexec_b32 s2, s0
	s_cbranch_execz .LBB164_18
; %bb.17:
	v_bfe_u32 v4, v76, 16, 1
	v_add_nc_u32_e32 v3, v2, v5
	v_cmp_o_f32_e64 s1, v76, v76
	s_delay_alu instid0(VALU_DEP_3) | instskip(SKIP_1) | instid1(VALU_DEP_2)
	v_add3_u32 v6, v76, v4, 0x7fff
	v_mov_b32_e32 v4, 0
	v_lshrrev_b32_e32 v6, 16, v6
	s_delay_alu instid0(VALU_DEP_2) | instskip(NEXT) | instid1(VALU_DEP_2)
	v_lshlrev_b64 v[3:4], 1, v[3:4]
	v_cndmask_b32_e64 v6, 0x7fc0, v6, s1
	s_waitcnt lgkmcnt(0)
	s_delay_alu instid0(VALU_DEP_2) | instskip(NEXT) | instid1(VALU_DEP_1)
	v_add_co_u32 v3, s1, s8, v3
	v_add_co_ci_u32_e64 v4, s1, s9, v4, s1
	global_store_b16 v[3:4], v6, off
.LBB164_18:
	s_or_b32 exec_lo, exec_lo, s2
	v_add_nc_u32_e32 v3, 64, v0
	s_delay_alu instid0(VALU_DEP_1) | instskip(NEXT) | instid1(VALU_DEP_1)
	v_cmp_gt_u32_e64 s1, s10, v3
	s_and_saveexec_b32 s3, s1
	s_cbranch_execz .LBB164_20
; %bb.19:
	v_bfe_u32 v4, v71, 16, 1
	v_dual_mov_b32 v7, 0 :: v_dual_add_nc_u32 v6, v3, v5
	v_cmp_o_f32_e64 s2, v71, v71
	s_delay_alu instid0(VALU_DEP_3) | instskip(NEXT) | instid1(VALU_DEP_3)
	v_add3_u32 v4, v71, v4, 0x7fff
	v_lshlrev_b64 v[6:7], 1, v[6:7]
	s_delay_alu instid0(VALU_DEP_2) | instskip(NEXT) | instid1(VALU_DEP_1)
	v_lshrrev_b32_e32 v4, 16, v4
	v_cndmask_b32_e64 v4, 0x7fc0, v4, s2
	s_waitcnt lgkmcnt(0)
	s_delay_alu instid0(VALU_DEP_3) | instskip(NEXT) | instid1(VALU_DEP_1)
	v_add_co_u32 v6, s2, s8, v6
	v_add_co_ci_u32_e64 v7, s2, s9, v7, s2
	global_store_b16 v[6:7], v4, off
.LBB164_20:
	s_or_b32 exec_lo, exec_lo, s3
	v_add_nc_u32_e32 v4, 0x60, v0
	s_delay_alu instid0(VALU_DEP_1) | instskip(NEXT) | instid1(VALU_DEP_1)
	v_cmp_gt_u32_e64 s2, s10, v4
	s_and_saveexec_b32 s4, s2
	s_cbranch_execz .LBB164_22
; %bb.21:
	v_bfe_u32 v6, v70, 16, 1
	v_add_nc_u32_e32 v5, v4, v5
	v_cmp_o_f32_e64 s3, v70, v70
	s_delay_alu instid0(VALU_DEP_3) | instskip(SKIP_1) | instid1(VALU_DEP_2)
	v_add3_u32 v7, v70, v6, 0x7fff
	v_mov_b32_e32 v6, 0
	v_lshrrev_b32_e32 v7, 16, v7
	s_delay_alu instid0(VALU_DEP_2) | instskip(NEXT) | instid1(VALU_DEP_2)
	v_lshlrev_b64 v[5:6], 1, v[5:6]
	v_cndmask_b32_e64 v7, 0x7fc0, v7, s3
	s_waitcnt lgkmcnt(0)
	s_delay_alu instid0(VALU_DEP_2) | instskip(NEXT) | instid1(VALU_DEP_1)
	v_add_co_u32 v5, s3, s8, v5
	v_add_co_ci_u32_e64 v6, s3, s9, v6, s3
	global_store_b16 v[5:6], v7, off
.LBB164_22:
	s_or_b32 exec_lo, exec_lo, s4
	v_add3_u32 v5, v1, s11, 8
	s_delay_alu instid0(VALU_DEP_1) | instskip(NEXT) | instid1(VALU_DEP_1)
	v_cmp_gt_u32_e64 s3, s6, v5
	s_and_b32 exec_lo, exec_lo, s3
	s_cbranch_execz .LBB164_64
; %bb.23:
	v_mul_lo_u32 v5, v5, s10
	s_and_saveexec_b32 s4, vcc_lo
	s_cbranch_execnz .LBB164_65
; %bb.24:
	s_or_b32 exec_lo, exec_lo, s4
	s_and_saveexec_b32 s4, s0
	s_cbranch_execnz .LBB164_66
.LBB164_25:
	s_or_b32 exec_lo, exec_lo, s4
	s_and_saveexec_b32 s4, s1
	s_cbranch_execnz .LBB164_67
.LBB164_26:
	s_or_b32 exec_lo, exec_lo, s4
	s_and_saveexec_b32 s4, s2
	s_cbranch_execz .LBB164_28
.LBB164_27:
	v_bfe_u32 v6, v63, 16, 1
	v_add_nc_u32_e32 v5, v5, v4
	v_cmp_o_f32_e64 s3, v63, v63
	s_delay_alu instid0(VALU_DEP_3) | instskip(SKIP_1) | instid1(VALU_DEP_2)
	v_add3_u32 v7, v63, v6, 0x7fff
	v_mov_b32_e32 v6, 0
	v_lshrrev_b32_e32 v7, 16, v7
	s_delay_alu instid0(VALU_DEP_2) | instskip(NEXT) | instid1(VALU_DEP_2)
	v_lshlrev_b64 v[5:6], 1, v[5:6]
	v_cndmask_b32_e64 v7, 0x7fc0, v7, s3
	s_waitcnt lgkmcnt(0)
	s_delay_alu instid0(VALU_DEP_2) | instskip(NEXT) | instid1(VALU_DEP_1)
	v_add_co_u32 v5, s3, s8, v5
	v_add_co_ci_u32_e64 v6, s3, s9, v6, s3
	global_store_b16 v[5:6], v7, off
.LBB164_28:
	s_or_b32 exec_lo, exec_lo, s4
	v_add3_u32 v5, v1, s11, 16
	s_delay_alu instid0(VALU_DEP_1) | instskip(NEXT) | instid1(VALU_DEP_1)
	v_cmp_gt_u32_e64 s3, s6, v5
	s_and_b32 exec_lo, exec_lo, s3
	s_cbranch_execz .LBB164_64
; %bb.29:
	v_mul_lo_u32 v5, v5, s10
	s_and_saveexec_b32 s4, vcc_lo
	s_cbranch_execnz .LBB164_68
; %bb.30:
	s_or_b32 exec_lo, exec_lo, s4
	s_and_saveexec_b32 s4, s0
	s_cbranch_execnz .LBB164_69
.LBB164_31:
	s_or_b32 exec_lo, exec_lo, s4
	s_and_saveexec_b32 s4, s1
	s_cbranch_execnz .LBB164_70
.LBB164_32:
	s_or_b32 exec_lo, exec_lo, s4
	s_and_saveexec_b32 s4, s2
	s_cbranch_execz .LBB164_34
.LBB164_33:
	v_bfe_u32 v6, v48, 16, 1
	v_add_nc_u32_e32 v5, v5, v4
	v_cmp_o_f32_e64 s3, v48, v48
	s_delay_alu instid0(VALU_DEP_3) | instskip(SKIP_1) | instid1(VALU_DEP_2)
	v_add3_u32 v7, v48, v6, 0x7fff
	v_mov_b32_e32 v6, 0
	v_lshrrev_b32_e32 v7, 16, v7
	s_delay_alu instid0(VALU_DEP_2) | instskip(NEXT) | instid1(VALU_DEP_2)
	v_lshlrev_b64 v[5:6], 1, v[5:6]
	v_cndmask_b32_e64 v7, 0x7fc0, v7, s3
	s_waitcnt lgkmcnt(0)
	s_delay_alu instid0(VALU_DEP_2) | instskip(NEXT) | instid1(VALU_DEP_1)
	v_add_co_u32 v5, s3, s8, v5
	v_add_co_ci_u32_e64 v6, s3, s9, v6, s3
	global_store_b16 v[5:6], v7, off
.LBB164_34:
	s_or_b32 exec_lo, exec_lo, s4
	v_add3_u32 v5, v1, s11, 24
	s_delay_alu instid0(VALU_DEP_1) | instskip(NEXT) | instid1(VALU_DEP_1)
	v_cmp_gt_u32_e64 s3, s6, v5
	s_and_b32 exec_lo, exec_lo, s3
	s_cbranch_execz .LBB164_64
; %bb.35:
	v_mul_lo_u32 v5, v5, s10
	s_and_saveexec_b32 s4, vcc_lo
	s_cbranch_execnz .LBB164_71
; %bb.36:
	s_or_b32 exec_lo, exec_lo, s4
	s_and_saveexec_b32 s4, s0
	s_cbranch_execnz .LBB164_72
.LBB164_37:
	s_or_b32 exec_lo, exec_lo, s4
	s_and_saveexec_b32 s4, s1
	s_cbranch_execnz .LBB164_73
.LBB164_38:
	s_or_b32 exec_lo, exec_lo, s4
	s_and_saveexec_b32 s4, s2
	s_cbranch_execz .LBB164_40
.LBB164_39:
	v_bfe_u32 v6, v41, 16, 1
	v_add_nc_u32_e32 v5, v5, v4
	v_cmp_o_f32_e64 s3, v41, v41
	s_delay_alu instid0(VALU_DEP_3) | instskip(SKIP_1) | instid1(VALU_DEP_2)
	v_add3_u32 v7, v41, v6, 0x7fff
	v_mov_b32_e32 v6, 0
	v_lshrrev_b32_e32 v7, 16, v7
	s_delay_alu instid0(VALU_DEP_2) | instskip(NEXT) | instid1(VALU_DEP_2)
	v_lshlrev_b64 v[5:6], 1, v[5:6]
	v_cndmask_b32_e64 v7, 0x7fc0, v7, s3
	s_waitcnt lgkmcnt(0)
	s_delay_alu instid0(VALU_DEP_2) | instskip(NEXT) | instid1(VALU_DEP_1)
	v_add_co_u32 v5, s3, s8, v5
	v_add_co_ci_u32_e64 v6, s3, s9, v6, s3
	global_store_b16 v[5:6], v7, off
.LBB164_40:
	s_or_b32 exec_lo, exec_lo, s4
	v_add3_u32 v5, v1, s11, 32
	s_delay_alu instid0(VALU_DEP_1) | instskip(NEXT) | instid1(VALU_DEP_1)
	v_cmp_gt_u32_e64 s3, s6, v5
	s_and_b32 exec_lo, exec_lo, s3
	s_cbranch_execz .LBB164_64
; %bb.41:
	v_mul_lo_u32 v5, v5, s10
	s_and_saveexec_b32 s4, vcc_lo
	s_cbranch_execnz .LBB164_74
; %bb.42:
	s_or_b32 exec_lo, exec_lo, s4
	s_and_saveexec_b32 s4, s0
	s_cbranch_execnz .LBB164_75
.LBB164_43:
	s_or_b32 exec_lo, exec_lo, s4
	s_and_saveexec_b32 s4, s1
	s_cbranch_execnz .LBB164_76
.LBB164_44:
	s_or_b32 exec_lo, exec_lo, s4
	s_and_saveexec_b32 s4, s2
	s_cbranch_execz .LBB164_46
.LBB164_45:
	v_bfe_u32 v6, v37, 16, 1
	v_add_nc_u32_e32 v5, v5, v4
	v_cmp_o_f32_e64 s3, v37, v37
	s_delay_alu instid0(VALU_DEP_3) | instskip(SKIP_1) | instid1(VALU_DEP_2)
	v_add3_u32 v7, v37, v6, 0x7fff
	v_mov_b32_e32 v6, 0
	v_lshrrev_b32_e32 v7, 16, v7
	s_delay_alu instid0(VALU_DEP_2) | instskip(NEXT) | instid1(VALU_DEP_2)
	v_lshlrev_b64 v[5:6], 1, v[5:6]
	v_cndmask_b32_e64 v7, 0x7fc0, v7, s3
	s_waitcnt lgkmcnt(0)
	s_delay_alu instid0(VALU_DEP_2) | instskip(NEXT) | instid1(VALU_DEP_1)
	v_add_co_u32 v5, s3, s8, v5
	v_add_co_ci_u32_e64 v6, s3, s9, v6, s3
	global_store_b16 v[5:6], v7, off
.LBB164_46:
	s_or_b32 exec_lo, exec_lo, s4
	v_add3_u32 v5, v1, s11, 40
	s_delay_alu instid0(VALU_DEP_1) | instskip(NEXT) | instid1(VALU_DEP_1)
	v_cmp_gt_u32_e64 s3, s6, v5
	s_and_b32 exec_lo, exec_lo, s3
	s_cbranch_execz .LBB164_64
; %bb.47:
	v_mul_lo_u32 v5, v5, s10
	s_and_saveexec_b32 s4, vcc_lo
	s_cbranch_execnz .LBB164_77
; %bb.48:
	s_or_b32 exec_lo, exec_lo, s4
	s_and_saveexec_b32 s4, s0
	s_cbranch_execnz .LBB164_78
.LBB164_49:
	s_or_b32 exec_lo, exec_lo, s4
	s_and_saveexec_b32 s4, s1
	s_cbranch_execnz .LBB164_79
.LBB164_50:
	s_or_b32 exec_lo, exec_lo, s4
	s_and_saveexec_b32 s4, s2
	s_cbranch_execz .LBB164_52
.LBB164_51:
	v_bfe_u32 v6, v33, 16, 1
	v_add_nc_u32_e32 v5, v5, v4
	v_cmp_o_f32_e64 s3, v33, v33
	s_delay_alu instid0(VALU_DEP_3) | instskip(SKIP_1) | instid1(VALU_DEP_2)
	v_add3_u32 v7, v33, v6, 0x7fff
	v_mov_b32_e32 v6, 0
	v_lshrrev_b32_e32 v7, 16, v7
	s_delay_alu instid0(VALU_DEP_2) | instskip(NEXT) | instid1(VALU_DEP_2)
	v_lshlrev_b64 v[5:6], 1, v[5:6]
	v_cndmask_b32_e64 v7, 0x7fc0, v7, s3
	s_waitcnt lgkmcnt(0)
	s_delay_alu instid0(VALU_DEP_2) | instskip(NEXT) | instid1(VALU_DEP_1)
	v_add_co_u32 v5, s3, s8, v5
	v_add_co_ci_u32_e64 v6, s3, s9, v6, s3
	global_store_b16 v[5:6], v7, off
.LBB164_52:
	s_or_b32 exec_lo, exec_lo, s4
	v_add3_u32 v5, v1, s11, 48
	s_delay_alu instid0(VALU_DEP_1) | instskip(NEXT) | instid1(VALU_DEP_1)
	v_cmp_gt_u32_e64 s3, s6, v5
	s_and_b32 exec_lo, exec_lo, s3
	s_cbranch_execz .LBB164_64
; %bb.53:
	v_mul_lo_u32 v5, v5, s10
	s_and_saveexec_b32 s4, vcc_lo
	s_cbranch_execnz .LBB164_80
; %bb.54:
	s_or_b32 exec_lo, exec_lo, s4
	s_and_saveexec_b32 s4, s0
	s_cbranch_execnz .LBB164_81
.LBB164_55:
	s_or_b32 exec_lo, exec_lo, s4
	s_and_saveexec_b32 s4, s1
	s_cbranch_execnz .LBB164_82
.LBB164_56:
	s_or_b32 exec_lo, exec_lo, s4
	s_and_saveexec_b32 s4, s2
	s_cbranch_execz .LBB164_58
.LBB164_57:
	v_bfe_u32 v6, v29, 16, 1
	v_add_nc_u32_e32 v5, v5, v4
	v_cmp_o_f32_e64 s3, v29, v29
	s_delay_alu instid0(VALU_DEP_3) | instskip(SKIP_1) | instid1(VALU_DEP_2)
	v_add3_u32 v7, v29, v6, 0x7fff
	v_mov_b32_e32 v6, 0
	v_lshrrev_b32_e32 v7, 16, v7
	s_delay_alu instid0(VALU_DEP_2) | instskip(NEXT) | instid1(VALU_DEP_2)
	v_lshlrev_b64 v[5:6], 1, v[5:6]
	v_cndmask_b32_e64 v7, 0x7fc0, v7, s3
	s_waitcnt lgkmcnt(0)
	s_delay_alu instid0(VALU_DEP_2) | instskip(NEXT) | instid1(VALU_DEP_1)
	v_add_co_u32 v5, s3, s8, v5
	v_add_co_ci_u32_e64 v6, s3, s9, v6, s3
	global_store_b16 v[5:6], v7, off
.LBB164_58:
	s_or_b32 exec_lo, exec_lo, s4
	v_add3_u32 v1, v1, s11, 56
	s_delay_alu instid0(VALU_DEP_1) | instskip(NEXT) | instid1(VALU_DEP_1)
	v_cmp_gt_u32_e64 s3, s6, v1
	s_and_b32 exec_lo, exec_lo, s3
	s_cbranch_execz .LBB164_64
; %bb.59:
	v_mul_lo_u32 v1, v1, s10
	s_and_saveexec_b32 s3, vcc_lo
	s_cbranch_execnz .LBB164_83
; %bb.60:
	s_or_b32 exec_lo, exec_lo, s3
	s_and_saveexec_b32 s3, s0
	s_cbranch_execnz .LBB164_84
.LBB164_61:
	s_or_b32 exec_lo, exec_lo, s3
	s_and_saveexec_b32 s0, s1
	s_cbranch_execnz .LBB164_85
.LBB164_62:
	s_or_b32 exec_lo, exec_lo, s0
	s_delay_alu instid0(SALU_CYCLE_1)
	s_and_b32 exec_lo, exec_lo, s2
	s_cbranch_execz .LBB164_64
.LBB164_63:
	v_bfe_u32 v2, v25, 16, 1
	v_dual_mov_b32 v1, 0 :: v_dual_add_nc_u32 v0, v1, v4
	v_cmp_o_f32_e32 vcc_lo, v25, v25
	s_delay_alu instid0(VALU_DEP_3) | instskip(NEXT) | instid1(VALU_DEP_3)
	v_add3_u32 v2, v25, v2, 0x7fff
	v_lshlrev_b64 v[0:1], 1, v[0:1]
	s_delay_alu instid0(VALU_DEP_2) | instskip(NEXT) | instid1(VALU_DEP_1)
	v_lshrrev_b32_e32 v2, 16, v2
	v_cndmask_b32_e32 v2, 0x7fc0, v2, vcc_lo
	s_waitcnt lgkmcnt(0)
	s_delay_alu instid0(VALU_DEP_3) | instskip(NEXT) | instid1(VALU_DEP_4)
	v_add_co_u32 v0, vcc_lo, s8, v0
	v_add_co_ci_u32_e32 v1, vcc_lo, s9, v1, vcc_lo
	global_store_b16 v[0:1], v2, off
.LBB164_64:
	s_nop 0
	s_sendmsg sendmsg(MSG_DEALLOC_VGPRS)
	s_endpgm
.LBB164_65:
	v_bfe_u32 v7, v68, 16, 1
	s_delay_alu instid0(VALU_DEP_2) | instskip(SKIP_1) | instid1(VALU_DEP_3)
	v_add_nc_u32_e32 v6, v5, v0
	v_cmp_o_f32_e64 s3, v68, v68
	v_add3_u32 v8, v68, v7, 0x7fff
	v_mov_b32_e32 v7, 0
	s_delay_alu instid0(VALU_DEP_2) | instskip(NEXT) | instid1(VALU_DEP_2)
	v_lshrrev_b32_e32 v8, 16, v8
	v_lshlrev_b64 v[6:7], 1, v[6:7]
	s_delay_alu instid0(VALU_DEP_2) | instskip(SKIP_1) | instid1(VALU_DEP_2)
	v_cndmask_b32_e64 v8, 0x7fc0, v8, s3
	s_waitcnt lgkmcnt(0)
	v_add_co_u32 v6, s3, s8, v6
	s_delay_alu instid0(VALU_DEP_1)
	v_add_co_ci_u32_e64 v7, s3, s9, v7, s3
	global_store_b16 v[6:7], v8, off
	s_or_b32 exec_lo, exec_lo, s4
	s_and_saveexec_b32 s4, s0
	s_cbranch_execz .LBB164_25
.LBB164_66:
	v_bfe_u32 v7, v67, 16, 1
	s_delay_alu instid0(VALU_DEP_2) | instskip(SKIP_1) | instid1(VALU_DEP_3)
	v_add_nc_u32_e32 v6, v5, v2
	v_cmp_o_f32_e64 s3, v67, v67
	v_add3_u32 v8, v67, v7, 0x7fff
	v_mov_b32_e32 v7, 0
	s_delay_alu instid0(VALU_DEP_2) | instskip(NEXT) | instid1(VALU_DEP_2)
	v_lshrrev_b32_e32 v8, 16, v8
	v_lshlrev_b64 v[6:7], 1, v[6:7]
	s_delay_alu instid0(VALU_DEP_2) | instskip(SKIP_1) | instid1(VALU_DEP_2)
	v_cndmask_b32_e64 v8, 0x7fc0, v8, s3
	s_waitcnt lgkmcnt(0)
	v_add_co_u32 v6, s3, s8, v6
	s_delay_alu instid0(VALU_DEP_1)
	v_add_co_ci_u32_e64 v7, s3, s9, v7, s3
	global_store_b16 v[6:7], v8, off
	s_or_b32 exec_lo, exec_lo, s4
	s_and_saveexec_b32 s4, s1
	s_cbranch_execz .LBB164_26
.LBB164_67:
	v_bfe_u32 v7, v66, 16, 1
	v_add_nc_u32_e32 v6, v5, v3
	v_cmp_o_f32_e64 s3, v66, v66
	s_delay_alu instid0(VALU_DEP_3) | instskip(SKIP_1) | instid1(VALU_DEP_2)
	v_add3_u32 v8, v66, v7, 0x7fff
	v_mov_b32_e32 v7, 0
	v_lshrrev_b32_e32 v8, 16, v8
	s_delay_alu instid0(VALU_DEP_2) | instskip(NEXT) | instid1(VALU_DEP_2)
	v_lshlrev_b64 v[6:7], 1, v[6:7]
	v_cndmask_b32_e64 v8, 0x7fc0, v8, s3
	s_waitcnt lgkmcnt(0)
	s_delay_alu instid0(VALU_DEP_2) | instskip(NEXT) | instid1(VALU_DEP_1)
	v_add_co_u32 v6, s3, s8, v6
	v_add_co_ci_u32_e64 v7, s3, s9, v7, s3
	global_store_b16 v[6:7], v8, off
	s_or_b32 exec_lo, exec_lo, s4
	s_and_saveexec_b32 s4, s2
	s_cbranch_execnz .LBB164_27
	s_branch .LBB164_28
.LBB164_68:
	v_bfe_u32 v7, v58, 16, 1
	s_delay_alu instid0(VALU_DEP_2) | instskip(SKIP_1) | instid1(VALU_DEP_3)
	v_add_nc_u32_e32 v6, v5, v0
	v_cmp_o_f32_e64 s3, v58, v58
	v_add3_u32 v8, v58, v7, 0x7fff
	v_mov_b32_e32 v7, 0
	s_delay_alu instid0(VALU_DEP_2) | instskip(NEXT) | instid1(VALU_DEP_2)
	v_lshrrev_b32_e32 v8, 16, v8
	v_lshlrev_b64 v[6:7], 1, v[6:7]
	s_delay_alu instid0(VALU_DEP_2) | instskip(SKIP_1) | instid1(VALU_DEP_2)
	v_cndmask_b32_e64 v8, 0x7fc0, v8, s3
	s_waitcnt lgkmcnt(0)
	v_add_co_u32 v6, s3, s8, v6
	s_delay_alu instid0(VALU_DEP_1)
	v_add_co_ci_u32_e64 v7, s3, s9, v7, s3
	global_store_b16 v[6:7], v8, off
	s_or_b32 exec_lo, exec_lo, s4
	s_and_saveexec_b32 s4, s0
	s_cbranch_execz .LBB164_31
.LBB164_69:
	v_bfe_u32 v7, v52, 16, 1
	s_delay_alu instid0(VALU_DEP_2) | instskip(SKIP_1) | instid1(VALU_DEP_3)
	v_add_nc_u32_e32 v6, v5, v2
	v_cmp_o_f32_e64 s3, v52, v52
	v_add3_u32 v8, v52, v7, 0x7fff
	v_mov_b32_e32 v7, 0
	s_delay_alu instid0(VALU_DEP_2) | instskip(NEXT) | instid1(VALU_DEP_2)
	v_lshrrev_b32_e32 v8, 16, v8
	v_lshlrev_b64 v[6:7], 1, v[6:7]
	s_delay_alu instid0(VALU_DEP_2) | instskip(SKIP_1) | instid1(VALU_DEP_2)
	v_cndmask_b32_e64 v8, 0x7fc0, v8, s3
	s_waitcnt lgkmcnt(0)
	v_add_co_u32 v6, s3, s8, v6
	s_delay_alu instid0(VALU_DEP_1)
	v_add_co_ci_u32_e64 v7, s3, s9, v7, s3
	global_store_b16 v[6:7], v8, off
	s_or_b32 exec_lo, exec_lo, s4
	s_and_saveexec_b32 s4, s1
	s_cbranch_execz .LBB164_32
.LBB164_70:
	v_bfe_u32 v7, v50, 16, 1
	v_add_nc_u32_e32 v6, v5, v3
	v_cmp_o_f32_e64 s3, v50, v50
	s_delay_alu instid0(VALU_DEP_3) | instskip(SKIP_1) | instid1(VALU_DEP_2)
	v_add3_u32 v8, v50, v7, 0x7fff
	v_mov_b32_e32 v7, 0
	v_lshrrev_b32_e32 v8, 16, v8
	s_delay_alu instid0(VALU_DEP_2) | instskip(NEXT) | instid1(VALU_DEP_2)
	v_lshlrev_b64 v[6:7], 1, v[6:7]
	v_cndmask_b32_e64 v8, 0x7fc0, v8, s3
	s_waitcnt lgkmcnt(0)
	s_delay_alu instid0(VALU_DEP_2) | instskip(NEXT) | instid1(VALU_DEP_1)
	v_add_co_u32 v6, s3, s8, v6
	v_add_co_ci_u32_e64 v7, s3, s9, v7, s3
	global_store_b16 v[6:7], v8, off
	s_or_b32 exec_lo, exec_lo, s4
	s_and_saveexec_b32 s4, s2
	s_cbranch_execnz .LBB164_33
	s_branch .LBB164_34
.LBB164_71:
	v_bfe_u32 v7, v47, 16, 1
	s_delay_alu instid0(VALU_DEP_2) | instskip(SKIP_1) | instid1(VALU_DEP_3)
	v_add_nc_u32_e32 v6, v5, v0
	v_cmp_o_f32_e64 s3, v47, v47
	v_add3_u32 v8, v47, v7, 0x7fff
	v_mov_b32_e32 v7, 0
	s_delay_alu instid0(VALU_DEP_2) | instskip(NEXT) | instid1(VALU_DEP_2)
	v_lshrrev_b32_e32 v8, 16, v8
	v_lshlrev_b64 v[6:7], 1, v[6:7]
	s_delay_alu instid0(VALU_DEP_2) | instskip(SKIP_1) | instid1(VALU_DEP_2)
	v_cndmask_b32_e64 v8, 0x7fc0, v8, s3
	s_waitcnt lgkmcnt(0)
	v_add_co_u32 v6, s3, s8, v6
	s_delay_alu instid0(VALU_DEP_1)
	v_add_co_ci_u32_e64 v7, s3, s9, v7, s3
	global_store_b16 v[6:7], v8, off
	s_or_b32 exec_lo, exec_lo, s4
	s_and_saveexec_b32 s4, s0
	s_cbranch_execz .LBB164_37
.LBB164_72:
	v_bfe_u32 v7, v46, 16, 1
	s_delay_alu instid0(VALU_DEP_2) | instskip(SKIP_1) | instid1(VALU_DEP_3)
	v_add_nc_u32_e32 v6, v5, v2
	v_cmp_o_f32_e64 s3, v46, v46
	v_add3_u32 v8, v46, v7, 0x7fff
	v_mov_b32_e32 v7, 0
	s_delay_alu instid0(VALU_DEP_2) | instskip(NEXT) | instid1(VALU_DEP_2)
	v_lshrrev_b32_e32 v8, 16, v8
	v_lshlrev_b64 v[6:7], 1, v[6:7]
	s_delay_alu instid0(VALU_DEP_2) | instskip(SKIP_1) | instid1(VALU_DEP_2)
	v_cndmask_b32_e64 v8, 0x7fc0, v8, s3
	s_waitcnt lgkmcnt(0)
	v_add_co_u32 v6, s3, s8, v6
	s_delay_alu instid0(VALU_DEP_1)
	v_add_co_ci_u32_e64 v7, s3, s9, v7, s3
	global_store_b16 v[6:7], v8, off
	s_or_b32 exec_lo, exec_lo, s4
	s_and_saveexec_b32 s4, s1
	s_cbranch_execz .LBB164_38
.LBB164_73:
	v_bfe_u32 v7, v44, 16, 1
	v_add_nc_u32_e32 v6, v5, v3
	v_cmp_o_f32_e64 s3, v44, v44
	s_delay_alu instid0(VALU_DEP_3) | instskip(SKIP_1) | instid1(VALU_DEP_2)
	v_add3_u32 v8, v44, v7, 0x7fff
	v_mov_b32_e32 v7, 0
	v_lshrrev_b32_e32 v8, 16, v8
	s_delay_alu instid0(VALU_DEP_2) | instskip(NEXT) | instid1(VALU_DEP_2)
	v_lshlrev_b64 v[6:7], 1, v[6:7]
	v_cndmask_b32_e64 v8, 0x7fc0, v8, s3
	s_waitcnt lgkmcnt(0)
	s_delay_alu instid0(VALU_DEP_2) | instskip(NEXT) | instid1(VALU_DEP_1)
	v_add_co_u32 v6, s3, s8, v6
	v_add_co_ci_u32_e64 v7, s3, s9, v7, s3
	global_store_b16 v[6:7], v8, off
	s_or_b32 exec_lo, exec_lo, s4
	s_and_saveexec_b32 s4, s2
	s_cbranch_execnz .LBB164_39
	s_branch .LBB164_40
.LBB164_74:
	v_bfe_u32 v7, v40, 16, 1
	s_delay_alu instid0(VALU_DEP_2) | instskip(SKIP_1) | instid1(VALU_DEP_3)
	v_add_nc_u32_e32 v6, v5, v0
	v_cmp_o_f32_e64 s3, v40, v40
	v_add3_u32 v8, v40, v7, 0x7fff
	v_mov_b32_e32 v7, 0
	s_delay_alu instid0(VALU_DEP_2) | instskip(NEXT) | instid1(VALU_DEP_2)
	v_lshrrev_b32_e32 v8, 16, v8
	v_lshlrev_b64 v[6:7], 1, v[6:7]
	s_delay_alu instid0(VALU_DEP_2) | instskip(SKIP_1) | instid1(VALU_DEP_2)
	v_cndmask_b32_e64 v8, 0x7fc0, v8, s3
	s_waitcnt lgkmcnt(0)
	v_add_co_u32 v6, s3, s8, v6
	s_delay_alu instid0(VALU_DEP_1)
	v_add_co_ci_u32_e64 v7, s3, s9, v7, s3
	global_store_b16 v[6:7], v8, off
	s_or_b32 exec_lo, exec_lo, s4
	s_and_saveexec_b32 s4, s0
	s_cbranch_execz .LBB164_43
.LBB164_75:
	v_bfe_u32 v7, v39, 16, 1
	s_delay_alu instid0(VALU_DEP_2) | instskip(SKIP_1) | instid1(VALU_DEP_3)
	v_add_nc_u32_e32 v6, v5, v2
	v_cmp_o_f32_e64 s3, v39, v39
	v_add3_u32 v8, v39, v7, 0x7fff
	v_mov_b32_e32 v7, 0
	s_delay_alu instid0(VALU_DEP_2) | instskip(NEXT) | instid1(VALU_DEP_2)
	v_lshrrev_b32_e32 v8, 16, v8
	v_lshlrev_b64 v[6:7], 1, v[6:7]
	s_delay_alu instid0(VALU_DEP_2) | instskip(SKIP_1) | instid1(VALU_DEP_2)
	v_cndmask_b32_e64 v8, 0x7fc0, v8, s3
	s_waitcnt lgkmcnt(0)
	v_add_co_u32 v6, s3, s8, v6
	s_delay_alu instid0(VALU_DEP_1)
	v_add_co_ci_u32_e64 v7, s3, s9, v7, s3
	global_store_b16 v[6:7], v8, off
	s_or_b32 exec_lo, exec_lo, s4
	s_and_saveexec_b32 s4, s1
	s_cbranch_execz .LBB164_44
.LBB164_76:
	v_bfe_u32 v7, v38, 16, 1
	v_add_nc_u32_e32 v6, v5, v3
	v_cmp_o_f32_e64 s3, v38, v38
	s_delay_alu instid0(VALU_DEP_3) | instskip(SKIP_1) | instid1(VALU_DEP_2)
	v_add3_u32 v8, v38, v7, 0x7fff
	v_mov_b32_e32 v7, 0
	v_lshrrev_b32_e32 v8, 16, v8
	s_delay_alu instid0(VALU_DEP_2) | instskip(NEXT) | instid1(VALU_DEP_2)
	v_lshlrev_b64 v[6:7], 1, v[6:7]
	v_cndmask_b32_e64 v8, 0x7fc0, v8, s3
	s_waitcnt lgkmcnt(0)
	s_delay_alu instid0(VALU_DEP_2) | instskip(NEXT) | instid1(VALU_DEP_1)
	v_add_co_u32 v6, s3, s8, v6
	v_add_co_ci_u32_e64 v7, s3, s9, v7, s3
	global_store_b16 v[6:7], v8, off
	s_or_b32 exec_lo, exec_lo, s4
	s_and_saveexec_b32 s4, s2
	s_cbranch_execnz .LBB164_45
	s_branch .LBB164_46
.LBB164_77:
	v_bfe_u32 v7, v36, 16, 1
	s_delay_alu instid0(VALU_DEP_2) | instskip(SKIP_1) | instid1(VALU_DEP_3)
	v_add_nc_u32_e32 v6, v5, v0
	v_cmp_o_f32_e64 s3, v36, v36
	v_add3_u32 v8, v36, v7, 0x7fff
	v_mov_b32_e32 v7, 0
	s_delay_alu instid0(VALU_DEP_2) | instskip(NEXT) | instid1(VALU_DEP_2)
	v_lshrrev_b32_e32 v8, 16, v8
	v_lshlrev_b64 v[6:7], 1, v[6:7]
	s_delay_alu instid0(VALU_DEP_2) | instskip(SKIP_1) | instid1(VALU_DEP_2)
	v_cndmask_b32_e64 v8, 0x7fc0, v8, s3
	s_waitcnt lgkmcnt(0)
	v_add_co_u32 v6, s3, s8, v6
	s_delay_alu instid0(VALU_DEP_1)
	v_add_co_ci_u32_e64 v7, s3, s9, v7, s3
	global_store_b16 v[6:7], v8, off
	s_or_b32 exec_lo, exec_lo, s4
	s_and_saveexec_b32 s4, s0
	s_cbranch_execz .LBB164_49
.LBB164_78:
	v_bfe_u32 v7, v35, 16, 1
	s_delay_alu instid0(VALU_DEP_2) | instskip(SKIP_1) | instid1(VALU_DEP_3)
	v_add_nc_u32_e32 v6, v5, v2
	v_cmp_o_f32_e64 s3, v35, v35
	v_add3_u32 v8, v35, v7, 0x7fff
	v_mov_b32_e32 v7, 0
	s_delay_alu instid0(VALU_DEP_2) | instskip(NEXT) | instid1(VALU_DEP_2)
	v_lshrrev_b32_e32 v8, 16, v8
	v_lshlrev_b64 v[6:7], 1, v[6:7]
	s_delay_alu instid0(VALU_DEP_2) | instskip(SKIP_1) | instid1(VALU_DEP_2)
	v_cndmask_b32_e64 v8, 0x7fc0, v8, s3
	s_waitcnt lgkmcnt(0)
	v_add_co_u32 v6, s3, s8, v6
	s_delay_alu instid0(VALU_DEP_1)
	v_add_co_ci_u32_e64 v7, s3, s9, v7, s3
	global_store_b16 v[6:7], v8, off
	s_or_b32 exec_lo, exec_lo, s4
	s_and_saveexec_b32 s4, s1
	s_cbranch_execz .LBB164_50
.LBB164_79:
	v_bfe_u32 v7, v34, 16, 1
	v_add_nc_u32_e32 v6, v5, v3
	v_cmp_o_f32_e64 s3, v34, v34
	s_delay_alu instid0(VALU_DEP_3) | instskip(SKIP_1) | instid1(VALU_DEP_2)
	v_add3_u32 v8, v34, v7, 0x7fff
	v_mov_b32_e32 v7, 0
	v_lshrrev_b32_e32 v8, 16, v8
	s_delay_alu instid0(VALU_DEP_2) | instskip(NEXT) | instid1(VALU_DEP_2)
	v_lshlrev_b64 v[6:7], 1, v[6:7]
	v_cndmask_b32_e64 v8, 0x7fc0, v8, s3
	s_waitcnt lgkmcnt(0)
	s_delay_alu instid0(VALU_DEP_2) | instskip(NEXT) | instid1(VALU_DEP_1)
	v_add_co_u32 v6, s3, s8, v6
	v_add_co_ci_u32_e64 v7, s3, s9, v7, s3
	global_store_b16 v[6:7], v8, off
	s_or_b32 exec_lo, exec_lo, s4
	s_and_saveexec_b32 s4, s2
	s_cbranch_execnz .LBB164_51
	s_branch .LBB164_52
.LBB164_80:
	v_bfe_u32 v7, v32, 16, 1
	s_delay_alu instid0(VALU_DEP_2) | instskip(SKIP_1) | instid1(VALU_DEP_3)
	v_add_nc_u32_e32 v6, v5, v0
	v_cmp_o_f32_e64 s3, v32, v32
	v_add3_u32 v8, v32, v7, 0x7fff
	v_mov_b32_e32 v7, 0
	s_delay_alu instid0(VALU_DEP_2) | instskip(NEXT) | instid1(VALU_DEP_2)
	v_lshrrev_b32_e32 v8, 16, v8
	v_lshlrev_b64 v[6:7], 1, v[6:7]
	s_delay_alu instid0(VALU_DEP_2) | instskip(SKIP_1) | instid1(VALU_DEP_2)
	v_cndmask_b32_e64 v8, 0x7fc0, v8, s3
	s_waitcnt lgkmcnt(0)
	v_add_co_u32 v6, s3, s8, v6
	s_delay_alu instid0(VALU_DEP_1)
	v_add_co_ci_u32_e64 v7, s3, s9, v7, s3
	global_store_b16 v[6:7], v8, off
	s_or_b32 exec_lo, exec_lo, s4
	s_and_saveexec_b32 s4, s0
	s_cbranch_execz .LBB164_55
.LBB164_81:
	v_bfe_u32 v7, v31, 16, 1
	s_delay_alu instid0(VALU_DEP_2) | instskip(SKIP_1) | instid1(VALU_DEP_3)
	v_add_nc_u32_e32 v6, v5, v2
	v_cmp_o_f32_e64 s3, v31, v31
	v_add3_u32 v8, v31, v7, 0x7fff
	v_mov_b32_e32 v7, 0
	s_delay_alu instid0(VALU_DEP_2) | instskip(NEXT) | instid1(VALU_DEP_2)
	v_lshrrev_b32_e32 v8, 16, v8
	v_lshlrev_b64 v[6:7], 1, v[6:7]
	s_delay_alu instid0(VALU_DEP_2) | instskip(SKIP_1) | instid1(VALU_DEP_2)
	v_cndmask_b32_e64 v8, 0x7fc0, v8, s3
	s_waitcnt lgkmcnt(0)
	v_add_co_u32 v6, s3, s8, v6
	s_delay_alu instid0(VALU_DEP_1)
	v_add_co_ci_u32_e64 v7, s3, s9, v7, s3
	global_store_b16 v[6:7], v8, off
	s_or_b32 exec_lo, exec_lo, s4
	s_and_saveexec_b32 s4, s1
	s_cbranch_execz .LBB164_56
.LBB164_82:
	v_bfe_u32 v7, v30, 16, 1
	v_add_nc_u32_e32 v6, v5, v3
	v_cmp_o_f32_e64 s3, v30, v30
	s_delay_alu instid0(VALU_DEP_3) | instskip(SKIP_1) | instid1(VALU_DEP_2)
	v_add3_u32 v8, v30, v7, 0x7fff
	v_mov_b32_e32 v7, 0
	v_lshrrev_b32_e32 v8, 16, v8
	s_delay_alu instid0(VALU_DEP_2) | instskip(NEXT) | instid1(VALU_DEP_2)
	v_lshlrev_b64 v[6:7], 1, v[6:7]
	v_cndmask_b32_e64 v8, 0x7fc0, v8, s3
	s_waitcnt lgkmcnt(0)
	s_delay_alu instid0(VALU_DEP_2) | instskip(NEXT) | instid1(VALU_DEP_1)
	v_add_co_u32 v6, s3, s8, v6
	v_add_co_ci_u32_e64 v7, s3, s9, v7, s3
	global_store_b16 v[6:7], v8, off
	s_or_b32 exec_lo, exec_lo, s4
	s_and_saveexec_b32 s4, s2
	s_cbranch_execnz .LBB164_57
	s_branch .LBB164_58
.LBB164_83:
	v_bfe_u32 v6, v28, 16, 1
	s_delay_alu instid0(VALU_DEP_2) | instskip(SKIP_1) | instid1(VALU_DEP_3)
	v_add_nc_u32_e32 v5, v1, v0
	v_cmp_o_f32_e32 vcc_lo, v28, v28
	v_add3_u32 v0, v28, v6, 0x7fff
	v_mov_b32_e32 v6, 0
	s_delay_alu instid0(VALU_DEP_2) | instskip(NEXT) | instid1(VALU_DEP_2)
	v_lshrrev_b32_e32 v0, 16, v0
	v_lshlrev_b64 v[5:6], 1, v[5:6]
	s_delay_alu instid0(VALU_DEP_2) | instskip(SKIP_1) | instid1(VALU_DEP_2)
	v_cndmask_b32_e32 v0, 0x7fc0, v0, vcc_lo
	s_waitcnt lgkmcnt(0)
	v_add_co_u32 v5, vcc_lo, s8, v5
	s_delay_alu instid0(VALU_DEP_3)
	v_add_co_ci_u32_e32 v6, vcc_lo, s9, v6, vcc_lo
	global_store_b16 v[5:6], v0, off
	s_or_b32 exec_lo, exec_lo, s3
	s_and_saveexec_b32 s3, s0
	s_cbranch_execz .LBB164_61
.LBB164_84:
	v_bfe_u32 v0, v27, 16, 1
	s_delay_alu instid0(VALU_DEP_2) | instskip(SKIP_1) | instid1(VALU_DEP_3)
	v_dual_mov_b32 v6, 0 :: v_dual_add_nc_u32 v5, v1, v2
	v_cmp_o_f32_e32 vcc_lo, v27, v27
	v_add3_u32 v0, v27, v0, 0x7fff
	s_delay_alu instid0(VALU_DEP_3) | instskip(NEXT) | instid1(VALU_DEP_2)
	v_lshlrev_b64 v[5:6], 1, v[5:6]
	v_lshrrev_b32_e32 v0, 16, v0
	s_delay_alu instid0(VALU_DEP_1) | instskip(SKIP_1) | instid1(VALU_DEP_3)
	v_cndmask_b32_e32 v0, 0x7fc0, v0, vcc_lo
	s_waitcnt lgkmcnt(0)
	v_add_co_u32 v5, vcc_lo, s8, v5
	s_delay_alu instid0(VALU_DEP_4)
	v_add_co_ci_u32_e32 v6, vcc_lo, s9, v6, vcc_lo
	global_store_b16 v[5:6], v0, off
	s_or_b32 exec_lo, exec_lo, s3
	s_and_saveexec_b32 s0, s1
	s_cbranch_execz .LBB164_62
.LBB164_85:
	v_bfe_u32 v0, v26, 16, 1
	v_dual_mov_b32 v3, 0 :: v_dual_add_nc_u32 v2, v1, v3
	v_cmp_o_f32_e32 vcc_lo, v26, v26
	s_delay_alu instid0(VALU_DEP_3) | instskip(NEXT) | instid1(VALU_DEP_3)
	v_add3_u32 v0, v26, v0, 0x7fff
	v_lshlrev_b64 v[2:3], 1, v[2:3]
	s_delay_alu instid0(VALU_DEP_2) | instskip(NEXT) | instid1(VALU_DEP_1)
	v_lshrrev_b32_e32 v0, 16, v0
	v_cndmask_b32_e32 v0, 0x7fc0, v0, vcc_lo
	s_waitcnt lgkmcnt(0)
	s_delay_alu instid0(VALU_DEP_3) | instskip(NEXT) | instid1(VALU_DEP_4)
	v_add_co_u32 v2, vcc_lo, s8, v2
	v_add_co_ci_u32_e32 v3, vcc_lo, s9, v3, vcc_lo
	global_store_b16 v[2:3], v0, off
	s_or_b32 exec_lo, exec_lo, s0
	s_delay_alu instid0(SALU_CYCLE_1)
	s_and_b32 exec_lo, exec_lo, s2
	s_cbranch_execnz .LBB164_63
	s_branch .LBB164_64
	.section	.rodata,"a",@progbits
	.p2align	6, 0x0
	.amdhsa_kernel _ZL12mul_mat_q5_1IN3c108BFloat16ELb1EEvPKvS3_PT_iiiii
		.amdhsa_group_segment_fixed_size 46720
		.amdhsa_private_segment_fixed_size 0
		.amdhsa_kernarg_size 44
		.amdhsa_user_sgpr_count 14
		.amdhsa_user_sgpr_dispatch_ptr 0
		.amdhsa_user_sgpr_queue_ptr 0
		.amdhsa_user_sgpr_kernarg_segment_ptr 1
		.amdhsa_user_sgpr_dispatch_id 0
		.amdhsa_user_sgpr_private_segment_size 0
		.amdhsa_wavefront_size32 1
		.amdhsa_uses_dynamic_stack 0
		.amdhsa_enable_private_segment 0
		.amdhsa_system_sgpr_workgroup_id_x 1
		.amdhsa_system_sgpr_workgroup_id_y 1
		.amdhsa_system_sgpr_workgroup_id_z 0
		.amdhsa_system_sgpr_workgroup_info 0
		.amdhsa_system_vgpr_workitem_id 1
		.amdhsa_next_free_vgpr 221
		.amdhsa_next_free_sgpr 16
		.amdhsa_reserve_vcc 1
		.amdhsa_float_round_mode_32 0
		.amdhsa_float_round_mode_16_64 0
		.amdhsa_float_denorm_mode_32 3
		.amdhsa_float_denorm_mode_16_64 3
		.amdhsa_dx10_clamp 1
		.amdhsa_ieee_mode 1
		.amdhsa_fp16_overflow 0
		.amdhsa_workgroup_processor_mode 1
		.amdhsa_memory_ordered 1
		.amdhsa_forward_progress 0
		.amdhsa_shared_vgpr_count 0
		.amdhsa_exception_fp_ieee_invalid_op 0
		.amdhsa_exception_fp_denorm_src 0
		.amdhsa_exception_fp_ieee_div_zero 0
		.amdhsa_exception_fp_ieee_overflow 0
		.amdhsa_exception_fp_ieee_underflow 0
		.amdhsa_exception_fp_ieee_inexact 0
		.amdhsa_exception_int_div_zero 0
	.end_amdhsa_kernel
	.section	.text._ZL12mul_mat_q5_1IN3c108BFloat16ELb1EEvPKvS3_PT_iiiii,"axG",@progbits,_ZL12mul_mat_q5_1IN3c108BFloat16ELb1EEvPKvS3_PT_iiiii,comdat
.Lfunc_end164:
	.size	_ZL12mul_mat_q5_1IN3c108BFloat16ELb1EEvPKvS3_PT_iiiii, .Lfunc_end164-_ZL12mul_mat_q5_1IN3c108BFloat16ELb1EEvPKvS3_PT_iiiii
                                        ; -- End function
	.section	.AMDGPU.csdata,"",@progbits
; Kernel info:
; codeLenInByte = 17456
; NumSgprs: 18
; NumVgprs: 221
; ScratchSize: 0
; MemoryBound: 0
; FloatMode: 240
; IeeeMode: 1
; LDSByteSize: 46720 bytes/workgroup (compile time only)
; SGPRBlocks: 2
; VGPRBlocks: 27
; NumSGPRsForWavesPerEU: 18
; NumVGPRsForWavesPerEU: 221
; Occupancy: 4
; WaveLimiterHint : 0
; COMPUTE_PGM_RSRC2:SCRATCH_EN: 0
; COMPUTE_PGM_RSRC2:USER_SGPR: 14
; COMPUTE_PGM_RSRC2:TRAP_HANDLER: 0
; COMPUTE_PGM_RSRC2:TGID_X_EN: 1
; COMPUTE_PGM_RSRC2:TGID_Y_EN: 1
; COMPUTE_PGM_RSRC2:TGID_Z_EN: 0
; COMPUTE_PGM_RSRC2:TIDIG_COMP_CNT: 1
	.section	.text._ZL12mul_mat_q8_0IN3c108BFloat16ELb0EEvPKvS3_PT_iiiii,"axG",@progbits,_ZL12mul_mat_q8_0IN3c108BFloat16ELb0EEvPKvS3_PT_iiiii,comdat
	.globl	_ZL12mul_mat_q8_0IN3c108BFloat16ELb0EEvPKvS3_PT_iiiii ; -- Begin function _ZL12mul_mat_q8_0IN3c108BFloat16ELb0EEvPKvS3_PT_iiiii
	.p2align	8
	.type	_ZL12mul_mat_q8_0IN3c108BFloat16ELb0EEvPKvS3_PT_iiiii,@function
_ZL12mul_mat_q8_0IN3c108BFloat16ELb0EEvPKvS3_PT_iiiii: ; @_ZL12mul_mat_q8_0IN3c108BFloat16ELb0EEvPKvS3_PT_iiiii
; %bb.0:
	s_clause 0x1
	s_load_b32 s11, s[0:1], 0x18
	s_load_b128 s[4:7], s[0:1], 0x20
	v_bfe_u32 v57, v0, 10, 10
	v_and_b32_e32 v58, 0x3ff, v0
	s_waitcnt lgkmcnt(0)
	s_lshl_b32 s7, s15, 6
	s_cmp_gt_i32 s11, 31
	s_cbranch_scc1 .LBB165_2
; %bb.1:
	v_bfe_u32 v1, v0, 10, 10
	v_and_b32_e32 v0, 0x3ff, v0
	s_mov_b32 s2, 0
	s_mov_b32 s3, 0
	s_delay_alu instid0(VALU_DEP_2)
	v_add_nc_u32_e32 v61, s7, v1
	s_branch .LBB165_3
.LBB165_2:
	s_mov_b32 s2, -1
                                        ; implicit-def: $sgpr3
                                        ; implicit-def: $vgpr1
                                        ; implicit-def: $vgpr0
                                        ; implicit-def: $vgpr61
.LBB165_3:
	s_load_b64 s[8:9], s[0:1], 0x10
	v_dual_mov_b32 v36, s3 :: v_dual_mov_b32 v63, s3
	v_dual_mov_b32 v40, s3 :: v_dual_mov_b32 v37, s3
	;; [unrolled: 1-line block ×15, first 2 shown]
	v_mov_b32_e32 v62, s3
	v_mov_b32_e32 v66, s3
	s_and_not1_b32 vcc_lo, exec_lo, s2
	s_lshl_b32 s10, s14, 7
	s_cbranch_vccnz .LBB165_9
; %bb.4:
	s_load_b128 s[0:3], s[0:1], 0x0
	s_ashr_i32 s12, s11, 31
	v_dual_mov_b32 v66, 0 :: v_dual_add_nc_u32 v61, s7, v57
	s_ashr_i32 s13, s5, 31
	s_lshr_b32 s12, s12, 27
	s_lshr_b32 s13, s13, 27
	s_add_i32 s11, s11, s12
	v_dual_mov_b32 v67, 0 :: v_dual_add_nc_u32 v0, 8, v61
	s_add_i32 s12, s5, s13
	s_ashr_i32 s5, s11, 5
	v_dual_mov_b32 v62, 0 :: v_dual_add_nc_u32 v5, 16, v61
	s_mul_i32 s11, s5, s10
	v_dual_mov_b32 v70, 0 :: v_dual_add_nc_u32 v9, 24, v61
	v_dual_mov_b32 v60, 0 :: v_dual_add_nc_u32 v11, 32, v61
	s_mul_hi_i32 s13, s11, 34
	s_mul_i32 s11, s11, 34
	v_cvt_f64_u32_e32 v[3:4], v0
	v_dual_mov_b32 v55, 0 :: v_dual_add_nc_u32 v0, 40, v61
	v_dual_mov_b32 v54, 0 :: v_dual_add_nc_u32 v15, 48, v61
	;; [unrolled: 1-line block ×3, first 2 shown]
	s_ashr_i32 s12, s12, 5
	s_waitcnt lgkmcnt(0)
	s_add_u32 s0, s0, s11
	s_addc_u32 s1, s1, s13
	s_add_i32 s11, s4, -1
	v_cvt_f64_u32_e32 v[1:2], v61
	v_cvt_f64_u32_e32 v[5:6], v5
	v_cvt_f64_i32_e32 v[7:8], s11
	v_cvt_f64_u32_e32 v[9:10], v9
	v_cvt_f64_u32_e32 v[11:12], v11
	;; [unrolled: 1-line block ×5, first 2 shown]
	v_mul_lo_u32 v72, s5, v57
	s_lshl_b32 s13, s5, 3
	v_dual_mov_b32 v38, 0 :: v_dual_mov_b32 v59, 0
	v_mov_b32_e32 v52, 0
	v_dual_mov_b32 v48, 0 :: v_dual_mov_b32 v41, 0
	v_dual_mov_b32 v46, 0 :: v_dual_lshlrev_b32 v19, 2, v58
	v_add_nc_u32_e32 v73, s13, v72
	v_dual_mov_b32 v47, 0 :: v_dual_lshlrev_b32 v20, 3, v57
	v_lshrrev_b32_e32 v21, 2, v58
	v_dual_mov_b32 v64, 0 :: v_dual_add_nc_u32 v25, 64, v58
	s_delay_alu instid0(VALU_DEP_4) | instskip(SKIP_2) | instid1(VALU_DEP_3)
	v_add_nc_u32_e32 v76, s13, v73
	v_dual_mov_b32 v65, 0 :: v_dual_add_nc_u32 v26, 0x60, v58
	v_dual_mov_b32 v69, 0 :: v_dual_and_b32 v74, 28, v19
	v_add_nc_u32_e32 v77, s13, v76
	v_mad_u32_u24 v75, 0x84, v57, v19
	v_dual_mov_b32 v68, 0 :: v_dual_add_nc_u32 v19, v21, v20
	v_add_nc_u16 v20, v21, v20
	s_delay_alu instid0(VALU_DEP_4) | instskip(SKIP_1) | instid1(VALU_DEP_4)
	v_add_nc_u32_e32 v79, s13, v77
	v_dual_mov_b32 v51, 0 :: v_dual_and_b32 v0, 3, v58
	v_mul_lo_u32 v97, s5, v19
	s_delay_alu instid0(VALU_DEP_4) | instskip(NEXT) | instid1(VALU_DEP_4)
	v_lshrrev_b16 v20, 1, v20
	v_add_nc_u32_e32 v84, s13, v79
	s_delay_alu instid0(VALU_DEP_4)
	v_dual_mov_b32 v56, 0 :: v_dual_lshlrev_b32 v21, 2, v0
	v_min_f64 v[1:2], v[1:2], v[7:8]
	v_min_f64 v[3:4], v[3:4], v[7:8]
	;; [unrolled: 1-line block ×8, first 2 shown]
	v_add_nc_u32_e32 v89, s13, v84
	v_lshrrev_b32_e32 v17, 1, v26
	v_lshrrev_b32_e32 v18, 1, v25
	v_lshlrev_b32_e32 v25, 4, v19
	v_add_nc_u32_e32 v26, 64, v19
	v_add_nc_u32_e32 v94, s13, v89
	v_and_b32_e32 v19, 63, v19
	v_dual_mov_b32 v39, 0 :: v_dual_add_nc_u32 v24, 32, v58
	v_lshrrev_b32_e32 v71, 3, v58
	s_delay_alu instid0(VALU_DEP_4) | instskip(SKIP_2) | instid1(VALU_DEP_3)
	v_add_nc_u32_e32 v98, s13, v94
	v_dual_mov_b32 v43, 0 :: v_dual_and_b32 v22, 31, v58
	v_dual_mov_b32 v42, 0 :: v_dual_lshlrev_b32 v23, 7, v57
	v_add_nc_u32_e32 v100, s13, v98
	v_lshrrev_b32_e32 v24, 1, v24
	v_dual_mov_b32 v53, 0 :: v_dual_add_nc_u32 v78, 0x420, v75
	s_delay_alu instid0(VALU_DEP_4) | instskip(NEXT) | instid1(VALU_DEP_4)
	v_lshl_or_b32 v22, v22, 2, v23
	v_add_nc_u32_e32 v104, s13, v100
	v_dual_mov_b32 v49, 0 :: v_dual_add_nc_u32 v80, 0x840, v75
	v_dual_mov_b32 v44, 0 :: v_dual_add_nc_u32 v81, 0xc60, v75
	s_delay_alu instid0(VALU_DEP_3)
	v_add_nc_u32_e32 v109, s13, v104
	v_dual_mov_b32 v45, 0 :: v_dual_add_nc_u32 v82, 0x1080, v75
	v_dual_mov_b32 v40, 0 :: v_dual_add_nc_u32 v83, 0x14a0, v75
	v_cvt_i32_f64_e32 v27, v[1:2]
	v_cvt_i32_f64_e32 v28, v[3:4]
	;; [unrolled: 1-line block ×8, first 2 shown]
	v_and_b32_e32 v1, 0x7fc, v20
	v_or_b32_e32 v3, s7, v19
	v_lshrrev_b32_e32 v2, 1, v26
	v_add_nc_u32_e32 v110, s13, v109
	v_lshl_or_b32 v4, v19, 4, v21
	v_add3_u32 v12, v1, v21, 0x6200
	v_add_co_u32 v1, s14, s2, v74
	v_min_i32_e32 v14, s11, v3
	v_and_b32_e32 v13, 0xffc, v2
	v_add_nc_u32_e32 v112, s13, v110
	v_add_nc_u32_e32 v114, 0x6a40, v4
	v_lshlrev_b32_e32 v8, 4, v26
	v_mad_u64_u32 v[3:4], null, v14, s12, v[0:1]
	s_delay_alu instid0(VALU_DEP_4)
	v_add_nc_u32_e32 v113, s13, v112
	v_add3_u32 v13, v13, v21, 0x6200
	v_lshlrev_b32_e32 v4, 4, v58
	v_dual_mov_b32 v36, 0 :: v_dual_add_nc_u32 v85, 0x18c0, v75
	v_dual_mov_b32 v37, 0 :: v_dual_add_nc_u32 v86, 0x1ce0, v75
	v_add_nc_u32_e32 v87, 0x2100, v75
	v_dual_mov_b32 v63, 0 :: v_dual_add_nc_u32 v88, 0x2520, v75
	v_add_nc_u32_e32 v90, 0x2940, v75
	v_add_nc_u32_e32 v91, 0x2d60, v75
	;; [unrolled: 1-line block ×5, first 2 shown]
	v_mul_lo_u32 v116, s12, v27
	v_mul_lo_u32 v117, s12, v28
	v_mul_lo_u32 v118, s12, v5
	v_mul_lo_u32 v119, s12, v6
	v_mul_lo_u32 v120, s12, v9
	v_and_b32_e32 v5, 0xfc, v17
	v_and_b32_e32 v6, 0xfc, v18
	v_mul_lo_u32 v123, s12, v7
	v_and_b32_e32 v7, 0xfc, v24
	v_lshlrev_b32_e32 v9, 2, v71
	v_mul_lo_u32 v121, s12, v10
	v_mul_lo_u32 v122, s12, v11
	v_add_nc_u32_e32 v96, 0x3de0, v75
	v_add_nc_u32_e32 v99, 0x4200, v22
	;; [unrolled: 1-line block ×9, first 2 shown]
	v_lshl_add_u32 v111, s5, 6, v97
	v_add_co_ci_u32_e64 v2, null, s3, 0, s14
	v_add_nc_u32_e32 v115, s13, v113
	v_mul_u32_u24_e32 v124, 0x84, v58
	v_add_nc_u32_e32 v125, 0x4200, v23
	v_add3_u32 v126, v4, v5, 0x6800
	v_add3_u32 v127, v4, v6, 0x6600
	;; [unrolled: 1-line block ×4, first 2 shown]
	v_lshl_add_u32 v130, v57, 4, 0x6a40
	v_add_nc_u32_e32 v131, v12, v25
	v_add_nc_u32_e32 v132, v13, v8
	s_mov_b32 s11, 0
.LBB165_5:                              ; =>This Loop Header: Depth=1
                                        ;     Child Loop BB165_6 Depth 2
	s_delay_alu instid0(SALU_CYCLE_1)
	s_mul_i32 s12, s11, 34
	s_mul_hi_u32 s13, s11, 34
	s_add_u32 s12, s0, s12
	s_addc_u32 s13, s1, s13
	v_mov_b32_e32 v135, v128
	v_mad_u64_u32 v[4:5], null, v71, 34, s[12:13]
	v_dual_mov_b32 v139, v124 :: v_dual_mov_b32 v134, v129
	v_mov_b32_e32 v133, v130
	v_dual_mov_b32 v137, v126 :: v_dual_mov_b32 v136, v127
	v_mov_b32_e32 v138, v125
	v_add_co_u32 v4, vcc_lo, v4, v74
	v_add_co_ci_u32_e32 v5, vcc_lo, 0, v5, vcc_lo
	s_delay_alu instid0(VALU_DEP_2) | instskip(NEXT) | instid1(VALU_DEP_2)
	v_add_co_u32 v4, vcc_lo, v4, 2
	v_add_co_ci_u32_e32 v5, vcc_lo, 0, v5, vcc_lo
	s_delay_alu instid0(VALU_DEP_1)
	v_mad_u64_u32 v[6:7], null, v72, 34, v[4:5]
	v_mad_u64_u32 v[8:9], null, v73, 34, v[4:5]
	;; [unrolled: 1-line block ×8, first 2 shown]
	s_clause 0x7
	global_load_b32 v26, v[6:7], off
	global_load_b32 v27, v[8:9], off
	;; [unrolled: 1-line block ×8, first 2 shown]
	v_mad_u64_u32 v[16:17], null, v0, 34, s[12:13]
	v_mad_u64_u32 v[6:7], null, v98, 34, v[4:5]
	;; [unrolled: 1-line block ×11, first 2 shown]
	v_add_nc_u32_e32 v17, s11, v3
	v_add_nc_u32_e32 v16, s11, v71
	s_clause 0x9
	global_load_b32 v34, v[6:7], off
	global_load_b32 v35, v[8:9], off
	;; [unrolled: 1-line block ×8, first 2 shown]
	global_load_u16 v22, v[4:5], off
	global_load_u16 v23, v[24:25], off
	v_mad_u64_u32 v[6:7], null, v17, 36, s[2:3]
	v_add_nc_u32_e32 v8, v16, v117
	v_add_nc_u32_e32 v9, v16, v118
	;; [unrolled: 1-line block ×5, first 2 shown]
	v_mad_i64_i32 v[4:5], null, v8, 36, v[1:2]
	v_add_nc_u32_e32 v17, v16, v122
	global_load_b32 v25, v[6:7], off
	v_mad_i64_i32 v[6:7], null, v9, 36, v[1:2]
	v_add_nc_u32_e32 v18, v16, v123
	v_add_nc_u32_e32 v24, v16, v116
	v_mad_i64_i32 v[8:9], null, v10, 36, v[1:2]
	v_mad_i64_i32 v[10:11], null, v12, 36, v[1:2]
	;; [unrolled: 1-line block ×6, first 2 shown]
	s_clause 0x7
	global_load_b32 v4, v[4:5], off offset:4
	global_load_b32 v5, v[6:7], off offset:4
	;; [unrolled: 1-line block ×8, first 2 shown]
	s_mov_b32 s12, -8
	s_waitcnt vmcnt(10)
	v_cvt_f32_f16_e32 v12, v22
	s_waitcnt vmcnt(9)
	v_cvt_f32_f16_e32 v13, v23
	;; [unrolled: 2-line block ×3, first 2 shown]
	ds_store_b32 v131, v12
	ds_store_b32 v132, v13
	;; [unrolled: 1-line block ×18, first 2 shown]
	s_waitcnt vmcnt(7)
	ds_store_b32 v101, v4
	s_waitcnt vmcnt(6)
	ds_store_b32 v102, v5
	;; [unrolled: 2-line block ×8, first 2 shown]
	ds_store_b32 v114, v14
	s_waitcnt lgkmcnt(0)
	s_barrier
	buffer_gl0_inv
.LBB165_6:                              ;   Parent Loop BB165_5 Depth=1
                                        ; =>  This Inner Loop Header: Depth=2
	ds_load_2addr_b32 v[151:152], v133 offset1:32
	ds_load_b128 v[30:33], v138
	ds_load_b128 v[144:147], v138 offset:16
	ds_load_b32 v140, v134
	ds_load_2addr_b32 v[4:5], v139 offset1:1
	s_add_i32 s12, s12, 8
	v_add_nc_u32_e32 v19, 0x1098, v139
	s_cmp_lt_u32 s12, 24
	s_waitcnt lgkmcnt(1)
	v_dual_mul_f32 v13, v151, v140 :: v_dual_add_nc_u32 v134, 4, v134
	s_waitcnt lgkmcnt(0)
	v_dot4_i32_iu8 v6, v4, v30, 0 neg_lo:[1,1,0]
	v_mul_f32_e32 v154, v140, v152
	s_delay_alu instid0(VALU_DEP_2) | instskip(SKIP_3) | instid1(VALU_DEP_1)
	v_dot4_i32_iu8 v8, v5, v31, v6 neg_lo:[1,1,0]
	ds_load_2addr_b32 v[6:7], v139 offset0:2 offset1:3
	s_waitcnt lgkmcnt(0)
	v_dot4_i32_iu8 v8, v6, v32, v8 neg_lo:[1,1,0]
	v_dot4_i32_iu8 v10, v7, v33, v8 neg_lo:[1,1,0]
	ds_load_2addr_b32 v[8:9], v139 offset0:4 offset1:5
	s_waitcnt lgkmcnt(0)
	v_dot4_i32_iu8 v10, v8, v144, v10 neg_lo:[1,1,0]
	s_delay_alu instid0(VALU_DEP_1) | instskip(SKIP_3) | instid1(VALU_DEP_1)
	v_dot4_i32_iu8 v12, v9, v145, v10 neg_lo:[1,1,0]
	ds_load_2addr_b32 v[10:11], v139 offset0:6 offset1:7
	s_waitcnt lgkmcnt(0)
	v_dot4_i32_iu8 v12, v10, v146, v12 neg_lo:[1,1,0]
	v_dot4_i32_iu8 v12, v11, v147, v12 neg_lo:[1,1,0]
	s_delay_alu instid0(VALU_DEP_1) | instskip(NEXT) | instid1(VALU_DEP_1)
	v_cvt_f32_i32_e32 v12, v12
	v_fmac_f32_e32 v66, v13, v12
	v_add_nc_u32_e32 v12, 0x1080, v139
	ds_load_b32 v141, v135
	ds_load_2addr_b32 v[12:13], v12 offset1:1
	ds_load_2addr_b32 v[20:21], v19 offset1:1
	v_add_nc_u32_e32 v135, 4, v135
	s_waitcnt lgkmcnt(2)
	v_mul_f32_e32 v19, v151, v141
	s_waitcnt lgkmcnt(1)
	v_dot4_i32_iu8 v14, v12, v30, 0 neg_lo:[1,1,0]
	s_delay_alu instid0(VALU_DEP_1) | instskip(SKIP_4) | instid1(VALU_DEP_1)
	v_dot4_i32_iu8 v16, v13, v31, v14 neg_lo:[1,1,0]
	v_add_nc_u32_e32 v14, 0x1088, v139
	ds_load_2addr_b32 v[14:15], v14 offset1:1
	s_waitcnt lgkmcnt(0)
	v_dot4_i32_iu8 v16, v14, v32, v16 neg_lo:[1,1,0]
	v_dot4_i32_iu8 v18, v15, v33, v16 neg_lo:[1,1,0]
	v_add_nc_u32_e32 v16, 0x1090, v139
	ds_load_2addr_b32 v[16:17], v16 offset1:1
	s_waitcnt lgkmcnt(0)
	v_dot4_i32_iu8 v18, v16, v144, v18 neg_lo:[1,1,0]
	s_delay_alu instid0(VALU_DEP_1) | instskip(NEXT) | instid1(VALU_DEP_1)
	v_dot4_i32_iu8 v18, v17, v145, v18 neg_lo:[1,1,0]
	v_dot4_i32_iu8 v18, v20, v146, v18 neg_lo:[1,1,0]
	s_delay_alu instid0(VALU_DEP_1) | instskip(NEXT) | instid1(VALU_DEP_1)
	v_dot4_i32_iu8 v18, v21, v147, v18 neg_lo:[1,1,0]
	v_cvt_f32_i32_e32 v18, v18
	s_delay_alu instid0(VALU_DEP_1)
	v_fmac_f32_e32 v70, v19, v18
	v_add_nc_u32_e32 v18, 0x2100, v139
	ds_load_b32 v142, v136
	ds_load_2addr_b32 v[18:19], v18 offset1:1
	s_waitcnt lgkmcnt(1)
	v_dual_mul_f32 v29, v151, v142 :: v_dual_add_nc_u32 v136, 4, v136
	s_waitcnt lgkmcnt(0)
	v_dot4_i32_iu8 v22, v18, v30, 0 neg_lo:[1,1,0]
	s_delay_alu instid0(VALU_DEP_1) | instskip(SKIP_4) | instid1(VALU_DEP_1)
	v_dot4_i32_iu8 v24, v19, v31, v22 neg_lo:[1,1,0]
	v_add_nc_u32_e32 v22, 0x2108, v139
	ds_load_2addr_b32 v[22:23], v22 offset1:1
	s_waitcnt lgkmcnt(0)
	v_dot4_i32_iu8 v24, v22, v32, v24 neg_lo:[1,1,0]
	v_dot4_i32_iu8 v26, v23, v33, v24 neg_lo:[1,1,0]
	v_add_nc_u32_e32 v24, 0x2110, v139
	ds_load_2addr_b32 v[24:25], v24 offset1:1
	s_waitcnt lgkmcnt(0)
	v_dot4_i32_iu8 v26, v24, v144, v26 neg_lo:[1,1,0]
	s_delay_alu instid0(VALU_DEP_1) | instskip(SKIP_4) | instid1(VALU_DEP_1)
	v_dot4_i32_iu8 v28, v25, v145, v26 neg_lo:[1,1,0]
	v_add_nc_u32_e32 v26, 0x2118, v139
	ds_load_2addr_b32 v[26:27], v26 offset1:1
	s_waitcnt lgkmcnt(0)
	v_dot4_i32_iu8 v28, v26, v146, v28 neg_lo:[1,1,0]
	v_dot4_i32_iu8 v28, v27, v147, v28 neg_lo:[1,1,0]
	s_delay_alu instid0(VALU_DEP_1) | instskip(NEXT) | instid1(VALU_DEP_1)
	v_cvt_f32_i32_e32 v28, v28
	v_dual_fmac_f32 v69, v29, v28 :: v_dual_add_nc_u32 v28, 0x3180, v139
	ds_load_b32 v143, v137
	ds_load_2addr_b32 v[28:29], v28 offset1:1
	v_add_nc_u32_e32 v137, 4, v137
	s_waitcnt lgkmcnt(0)
	v_dot4_i32_iu8 v30, v28, v30, 0 neg_lo:[1,1,0]
	s_delay_alu instid0(VALU_DEP_1) | instskip(SKIP_4) | instid1(VALU_DEP_1)
	v_dot4_i32_iu8 v34, v29, v31, v30 neg_lo:[1,1,0]
	v_add_nc_u32_e32 v30, 0x3188, v139
	ds_load_2addr_b32 v[30:31], v30 offset1:1
	s_waitcnt lgkmcnt(0)
	v_dot4_i32_iu8 v32, v30, v32, v34 neg_lo:[1,1,0]
	v_dot4_i32_iu8 v34, v31, v33, v32 neg_lo:[1,1,0]
	v_add_nc_u32_e32 v32, 0x3190, v139
	ds_load_2addr_b32 v[32:33], v32 offset1:1
	s_waitcnt lgkmcnt(0)
	v_dot4_i32_iu8 v34, v32, v144, v34 neg_lo:[1,1,0]
	s_delay_alu instid0(VALU_DEP_1)
	v_dot4_i32_iu8 v144, v33, v145, v34 neg_lo:[1,1,0]
	v_add_nc_u32_e32 v34, 0x3198, v139
	v_mul_f32_e32 v145, v151, v143
	v_add_nc_u32_e32 v139, 32, v139
	ds_load_2addr_b32 v[34:35], v34 offset1:1
	s_waitcnt lgkmcnt(0)
	v_dot4_i32_iu8 v144, v34, v146, v144 neg_lo:[1,1,0]
	s_delay_alu instid0(VALU_DEP_1) | instskip(NEXT) | instid1(VALU_DEP_1)
	v_dot4_i32_iu8 v144, v35, v147, v144 neg_lo:[1,1,0]
	v_cvt_f32_i32_e32 v144, v144
	s_delay_alu instid0(VALU_DEP_1) | instskip(SKIP_4) | instid1(VALU_DEP_1)
	v_fmac_f32_e32 v68, v145, v144
	ds_load_b128 v[144:147], v138 offset:1024
	ds_load_b128 v[148:151], v138 offset:1040
	s_waitcnt lgkmcnt(1)
	v_dot4_i32_iu8 v153, v144, v4, 0 neg_lo:[1,1,0]
	v_dot4_i32_iu8 v153, v145, v5, v153 neg_lo:[1,1,0]
	s_delay_alu instid0(VALU_DEP_1) | instskip(NEXT) | instid1(VALU_DEP_1)
	v_dot4_i32_iu8 v153, v146, v6, v153 neg_lo:[1,1,0]
	v_dot4_i32_iu8 v153, v147, v7, v153 neg_lo:[1,1,0]
	s_waitcnt lgkmcnt(0)
	s_delay_alu instid0(VALU_DEP_1) | instskip(NEXT) | instid1(VALU_DEP_1)
	v_dot4_i32_iu8 v153, v148, v8, v153 neg_lo:[1,1,0]
	v_dot4_i32_iu8 v153, v149, v9, v153 neg_lo:[1,1,0]
	s_delay_alu instid0(VALU_DEP_1) | instskip(NEXT) | instid1(VALU_DEP_1)
	v_dot4_i32_iu8 v153, v150, v10, v153 neg_lo:[1,1,0]
	v_dot4_i32_iu8 v153, v151, v11, v153 neg_lo:[1,1,0]
	s_delay_alu instid0(VALU_DEP_1) | instskip(NEXT) | instid1(VALU_DEP_1)
	v_cvt_f32_i32_e32 v153, v153
	v_fmac_f32_e32 v67, v154, v153
	v_dot4_i32_iu8 v153, v144, v12, 0 neg_lo:[1,1,0]
	v_mul_f32_e32 v154, v141, v152
	s_delay_alu instid0(VALU_DEP_2) | instskip(NEXT) | instid1(VALU_DEP_1)
	v_dot4_i32_iu8 v153, v145, v13, v153 neg_lo:[1,1,0]
	v_dot4_i32_iu8 v153, v146, v14, v153 neg_lo:[1,1,0]
	s_delay_alu instid0(VALU_DEP_1) | instskip(NEXT) | instid1(VALU_DEP_1)
	v_dot4_i32_iu8 v153, v147, v15, v153 neg_lo:[1,1,0]
	v_dot4_i32_iu8 v153, v148, v16, v153 neg_lo:[1,1,0]
	s_delay_alu instid0(VALU_DEP_1) | instskip(NEXT) | instid1(VALU_DEP_1)
	;; [unrolled: 3-line block ×3, first 2 shown]
	v_dot4_i32_iu8 v153, v151, v21, v153 neg_lo:[1,1,0]
	v_cvt_f32_i32_e32 v153, v153
	s_delay_alu instid0(VALU_DEP_1) | instskip(SKIP_3) | instid1(VALU_DEP_3)
	v_fmac_f32_e32 v65, v154, v153
	v_dot4_i32_iu8 v153, v144, v18, 0 neg_lo:[1,1,0]
	v_dot4_i32_iu8 v144, v144, v28, 0 neg_lo:[1,1,0]
	v_mul_f32_e32 v154, v142, v152
	v_dot4_i32_iu8 v153, v145, v19, v153 neg_lo:[1,1,0]
	s_delay_alu instid0(VALU_DEP_3) | instskip(SKIP_1) | instid1(VALU_DEP_3)
	v_dot4_i32_iu8 v144, v145, v29, v144 neg_lo:[1,1,0]
	v_mul_f32_e32 v145, v143, v152
	v_dot4_i32_iu8 v153, v146, v22, v153 neg_lo:[1,1,0]
	s_delay_alu instid0(VALU_DEP_3) | instskip(NEXT) | instid1(VALU_DEP_2)
	v_dot4_i32_iu8 v144, v146, v30, v144 neg_lo:[1,1,0]
	v_dot4_i32_iu8 v153, v147, v23, v153 neg_lo:[1,1,0]
	s_delay_alu instid0(VALU_DEP_2) | instskip(NEXT) | instid1(VALU_DEP_2)
	v_dot4_i32_iu8 v144, v147, v31, v144 neg_lo:[1,1,0]
	v_dot4_i32_iu8 v153, v148, v24, v153 neg_lo:[1,1,0]
	s_delay_alu instid0(VALU_DEP_2) | instskip(NEXT) | instid1(VALU_DEP_2)
	;; [unrolled: 3-line block ×5, first 2 shown]
	v_dot4_i32_iu8 v144, v151, v35, v144 neg_lo:[1,1,0]
	v_cvt_f32_i32_e32 v153, v153
	s_delay_alu instid0(VALU_DEP_2) | instskip(NEXT) | instid1(VALU_DEP_1)
	v_cvt_f32_i32_e32 v144, v144
	v_dual_fmac_f32 v64, v154, v153 :: v_dual_fmac_f32 v63, v145, v144
	ds_load_2addr_b32 v[152:153], v133 offset0:64 offset1:96
	ds_load_b128 v[144:147], v138 offset:2048
	ds_load_b128 v[148:151], v138 offset:2064
	s_waitcnt lgkmcnt(2)
	v_mul_f32_e32 v155, v140, v152
	s_waitcnt lgkmcnt(1)
	v_dot4_i32_iu8 v154, v144, v4, 0 neg_lo:[1,1,0]
	s_delay_alu instid0(VALU_DEP_1) | instskip(NEXT) | instid1(VALU_DEP_1)
	v_dot4_i32_iu8 v154, v145, v5, v154 neg_lo:[1,1,0]
	v_dot4_i32_iu8 v154, v146, v6, v154 neg_lo:[1,1,0]
	s_delay_alu instid0(VALU_DEP_1) | instskip(SKIP_1) | instid1(VALU_DEP_1)
	v_dot4_i32_iu8 v154, v147, v7, v154 neg_lo:[1,1,0]
	s_waitcnt lgkmcnt(0)
	v_dot4_i32_iu8 v154, v148, v8, v154 neg_lo:[1,1,0]
	s_delay_alu instid0(VALU_DEP_1) | instskip(NEXT) | instid1(VALU_DEP_1)
	v_dot4_i32_iu8 v154, v149, v9, v154 neg_lo:[1,1,0]
	v_dot4_i32_iu8 v154, v150, v10, v154 neg_lo:[1,1,0]
	s_delay_alu instid0(VALU_DEP_1) | instskip(NEXT) | instid1(VALU_DEP_1)
	v_dot4_i32_iu8 v154, v151, v11, v154 neg_lo:[1,1,0]
	v_cvt_f32_i32_e32 v154, v154
	s_delay_alu instid0(VALU_DEP_1) | instskip(SKIP_2) | instid1(VALU_DEP_2)
	v_fmac_f32_e32 v62, v155, v154
	v_dot4_i32_iu8 v154, v144, v12, 0 neg_lo:[1,1,0]
	v_mul_f32_e32 v155, v141, v152
	v_dot4_i32_iu8 v154, v145, v13, v154 neg_lo:[1,1,0]
	s_delay_alu instid0(VALU_DEP_1) | instskip(NEXT) | instid1(VALU_DEP_1)
	v_dot4_i32_iu8 v154, v146, v14, v154 neg_lo:[1,1,0]
	v_dot4_i32_iu8 v154, v147, v15, v154 neg_lo:[1,1,0]
	s_delay_alu instid0(VALU_DEP_1) | instskip(NEXT) | instid1(VALU_DEP_1)
	v_dot4_i32_iu8 v154, v148, v16, v154 neg_lo:[1,1,0]
	;; [unrolled: 3-line block ×3, first 2 shown]
	v_dot4_i32_iu8 v154, v151, v21, v154 neg_lo:[1,1,0]
	s_delay_alu instid0(VALU_DEP_1) | instskip(NEXT) | instid1(VALU_DEP_1)
	v_cvt_f32_i32_e32 v154, v154
	v_fmac_f32_e32 v60, v155, v154
	v_dot4_i32_iu8 v154, v144, v18, 0 neg_lo:[1,1,0]
	v_dot4_i32_iu8 v144, v144, v28, 0 neg_lo:[1,1,0]
	v_mul_f32_e32 v155, v142, v152
	s_delay_alu instid0(VALU_DEP_3) | instskip(NEXT) | instid1(VALU_DEP_3)
	v_dot4_i32_iu8 v154, v145, v19, v154 neg_lo:[1,1,0]
	v_dot4_i32_iu8 v144, v145, v29, v144 neg_lo:[1,1,0]
	v_mul_f32_e32 v145, v143, v152
	s_delay_alu instid0(VALU_DEP_3) | instskip(NEXT) | instid1(VALU_DEP_3)
	v_dot4_i32_iu8 v154, v146, v22, v154 neg_lo:[1,1,0]
	v_dot4_i32_iu8 v144, v146, v30, v144 neg_lo:[1,1,0]
	s_delay_alu instid0(VALU_DEP_2) | instskip(NEXT) | instid1(VALU_DEP_2)
	v_dot4_i32_iu8 v154, v147, v23, v154 neg_lo:[1,1,0]
	v_dot4_i32_iu8 v144, v147, v31, v144 neg_lo:[1,1,0]
	s_delay_alu instid0(VALU_DEP_2) | instskip(NEXT) | instid1(VALU_DEP_2)
	;; [unrolled: 3-line block ×6, first 2 shown]
	v_cvt_f32_i32_e32 v154, v154
	v_cvt_f32_i32_e32 v144, v144
	s_delay_alu instid0(VALU_DEP_1)
	v_dual_fmac_f32 v59, v155, v154 :: v_dual_fmac_f32 v56, v145, v144
	ds_load_b128 v[144:147], v138 offset:3072
	ds_load_b128 v[148:151], v138 offset:3088
	v_mul_f32_e32 v154, v140, v153
	s_waitcnt lgkmcnt(1)
	v_dot4_i32_iu8 v152, v144, v4, 0 neg_lo:[1,1,0]
	s_delay_alu instid0(VALU_DEP_1) | instskip(NEXT) | instid1(VALU_DEP_1)
	v_dot4_i32_iu8 v152, v145, v5, v152 neg_lo:[1,1,0]
	v_dot4_i32_iu8 v152, v146, v6, v152 neg_lo:[1,1,0]
	s_delay_alu instid0(VALU_DEP_1) | instskip(SKIP_1) | instid1(VALU_DEP_1)
	v_dot4_i32_iu8 v152, v147, v7, v152 neg_lo:[1,1,0]
	s_waitcnt lgkmcnt(0)
	v_dot4_i32_iu8 v152, v148, v8, v152 neg_lo:[1,1,0]
	s_delay_alu instid0(VALU_DEP_1) | instskip(NEXT) | instid1(VALU_DEP_1)
	v_dot4_i32_iu8 v152, v149, v9, v152 neg_lo:[1,1,0]
	v_dot4_i32_iu8 v152, v150, v10, v152 neg_lo:[1,1,0]
	s_delay_alu instid0(VALU_DEP_1) | instskip(NEXT) | instid1(VALU_DEP_1)
	v_dot4_i32_iu8 v152, v151, v11, v152 neg_lo:[1,1,0]
	v_cvt_f32_i32_e32 v152, v152
	s_delay_alu instid0(VALU_DEP_1) | instskip(SKIP_2) | instid1(VALU_DEP_2)
	v_fmac_f32_e32 v55, v154, v152
	v_dot4_i32_iu8 v152, v144, v12, 0 neg_lo:[1,1,0]
	v_mul_f32_e32 v154, v141, v153
	v_dot4_i32_iu8 v152, v145, v13, v152 neg_lo:[1,1,0]
	s_delay_alu instid0(VALU_DEP_1) | instskip(NEXT) | instid1(VALU_DEP_1)
	v_dot4_i32_iu8 v152, v146, v14, v152 neg_lo:[1,1,0]
	v_dot4_i32_iu8 v152, v147, v15, v152 neg_lo:[1,1,0]
	s_delay_alu instid0(VALU_DEP_1) | instskip(NEXT) | instid1(VALU_DEP_1)
	v_dot4_i32_iu8 v152, v148, v16, v152 neg_lo:[1,1,0]
	;; [unrolled: 3-line block ×3, first 2 shown]
	v_dot4_i32_iu8 v152, v151, v21, v152 neg_lo:[1,1,0]
	s_delay_alu instid0(VALU_DEP_1) | instskip(NEXT) | instid1(VALU_DEP_1)
	v_cvt_f32_i32_e32 v152, v152
	v_fmac_f32_e32 v54, v154, v152
	v_dot4_i32_iu8 v152, v144, v18, 0 neg_lo:[1,1,0]
	v_dot4_i32_iu8 v144, v144, v28, 0 neg_lo:[1,1,0]
	v_mul_f32_e32 v154, v142, v153
	s_delay_alu instid0(VALU_DEP_3) | instskip(NEXT) | instid1(VALU_DEP_3)
	v_dot4_i32_iu8 v152, v145, v19, v152 neg_lo:[1,1,0]
	v_dot4_i32_iu8 v144, v145, v29, v144 neg_lo:[1,1,0]
	v_mul_f32_e32 v145, v143, v153
	s_delay_alu instid0(VALU_DEP_3) | instskip(NEXT) | instid1(VALU_DEP_3)
	v_dot4_i32_iu8 v152, v146, v22, v152 neg_lo:[1,1,0]
	v_dot4_i32_iu8 v144, v146, v30, v144 neg_lo:[1,1,0]
	s_delay_alu instid0(VALU_DEP_2) | instskip(NEXT) | instid1(VALU_DEP_2)
	v_dot4_i32_iu8 v152, v147, v23, v152 neg_lo:[1,1,0]
	v_dot4_i32_iu8 v144, v147, v31, v144 neg_lo:[1,1,0]
	s_delay_alu instid0(VALU_DEP_2) | instskip(NEXT) | instid1(VALU_DEP_2)
	v_dot4_i32_iu8 v152, v148, v24, v152 neg_lo:[1,1,0]
	v_dot4_i32_iu8 v144, v148, v32, v144 neg_lo:[1,1,0]
	s_delay_alu instid0(VALU_DEP_2) | instskip(NEXT) | instid1(VALU_DEP_2)
	v_dot4_i32_iu8 v152, v149, v25, v152 neg_lo:[1,1,0]
	v_dot4_i32_iu8 v144, v149, v33, v144 neg_lo:[1,1,0]
	s_delay_alu instid0(VALU_DEP_2) | instskip(NEXT) | instid1(VALU_DEP_2)
	v_dot4_i32_iu8 v152, v150, v26, v152 neg_lo:[1,1,0]
	v_dot4_i32_iu8 v144, v150, v34, v144 neg_lo:[1,1,0]
	s_delay_alu instid0(VALU_DEP_2) | instskip(NEXT) | instid1(VALU_DEP_2)
	v_dot4_i32_iu8 v152, v151, v27, v152 neg_lo:[1,1,0]
	v_dot4_i32_iu8 v144, v151, v35, v144 neg_lo:[1,1,0]
	s_delay_alu instid0(VALU_DEP_2) | instskip(NEXT) | instid1(VALU_DEP_2)
	v_cvt_f32_i32_e32 v152, v152
	v_cvt_f32_i32_e32 v144, v144
	s_delay_alu instid0(VALU_DEP_2) | instskip(NEXT) | instid1(VALU_DEP_2)
	v_fmac_f32_e32 v53, v154, v152
	v_fmac_f32_e32 v52, v145, v144
	ds_load_2addr_b32 v[152:153], v133 offset0:128 offset1:160
	ds_load_b128 v[144:147], v138 offset:4096
	ds_load_b128 v[148:151], v138 offset:4112
	s_waitcnt lgkmcnt(2)
	v_mul_f32_e32 v155, v140, v152
	s_waitcnt lgkmcnt(1)
	v_dot4_i32_iu8 v154, v144, v4, 0 neg_lo:[1,1,0]
	s_delay_alu instid0(VALU_DEP_1) | instskip(NEXT) | instid1(VALU_DEP_1)
	v_dot4_i32_iu8 v154, v145, v5, v154 neg_lo:[1,1,0]
	v_dot4_i32_iu8 v154, v146, v6, v154 neg_lo:[1,1,0]
	s_delay_alu instid0(VALU_DEP_1) | instskip(SKIP_1) | instid1(VALU_DEP_1)
	v_dot4_i32_iu8 v154, v147, v7, v154 neg_lo:[1,1,0]
	s_waitcnt lgkmcnt(0)
	v_dot4_i32_iu8 v154, v148, v8, v154 neg_lo:[1,1,0]
	s_delay_alu instid0(VALU_DEP_1) | instskip(NEXT) | instid1(VALU_DEP_1)
	v_dot4_i32_iu8 v154, v149, v9, v154 neg_lo:[1,1,0]
	v_dot4_i32_iu8 v154, v150, v10, v154 neg_lo:[1,1,0]
	s_delay_alu instid0(VALU_DEP_1) | instskip(NEXT) | instid1(VALU_DEP_1)
	v_dot4_i32_iu8 v154, v151, v11, v154 neg_lo:[1,1,0]
	v_cvt_f32_i32_e32 v154, v154
	s_delay_alu instid0(VALU_DEP_1) | instskip(SKIP_2) | instid1(VALU_DEP_2)
	v_fmac_f32_e32 v51, v155, v154
	v_dot4_i32_iu8 v154, v144, v12, 0 neg_lo:[1,1,0]
	v_mul_f32_e32 v155, v141, v152
	v_dot4_i32_iu8 v154, v145, v13, v154 neg_lo:[1,1,0]
	s_delay_alu instid0(VALU_DEP_1) | instskip(NEXT) | instid1(VALU_DEP_1)
	v_dot4_i32_iu8 v154, v146, v14, v154 neg_lo:[1,1,0]
	v_dot4_i32_iu8 v154, v147, v15, v154 neg_lo:[1,1,0]
	s_delay_alu instid0(VALU_DEP_1) | instskip(NEXT) | instid1(VALU_DEP_1)
	v_dot4_i32_iu8 v154, v148, v16, v154 neg_lo:[1,1,0]
	;; [unrolled: 3-line block ×3, first 2 shown]
	v_dot4_i32_iu8 v154, v151, v21, v154 neg_lo:[1,1,0]
	s_delay_alu instid0(VALU_DEP_1) | instskip(NEXT) | instid1(VALU_DEP_1)
	v_cvt_f32_i32_e32 v154, v154
	v_dual_fmac_f32 v50, v155, v154 :: v_dual_mul_f32 v155, v142, v152
	v_dot4_i32_iu8 v154, v144, v18, 0 neg_lo:[1,1,0]
	v_dot4_i32_iu8 v144, v144, v28, 0 neg_lo:[1,1,0]
	s_delay_alu instid0(VALU_DEP_2) | instskip(NEXT) | instid1(VALU_DEP_2)
	v_dot4_i32_iu8 v154, v145, v19, v154 neg_lo:[1,1,0]
	v_dot4_i32_iu8 v144, v145, v29, v144 neg_lo:[1,1,0]
	v_mul_f32_e32 v145, v143, v152
	s_delay_alu instid0(VALU_DEP_3) | instskip(NEXT) | instid1(VALU_DEP_3)
	v_dot4_i32_iu8 v154, v146, v22, v154 neg_lo:[1,1,0]
	v_dot4_i32_iu8 v144, v146, v30, v144 neg_lo:[1,1,0]
	s_delay_alu instid0(VALU_DEP_2) | instskip(NEXT) | instid1(VALU_DEP_2)
	v_dot4_i32_iu8 v154, v147, v23, v154 neg_lo:[1,1,0]
	v_dot4_i32_iu8 v144, v147, v31, v144 neg_lo:[1,1,0]
	s_delay_alu instid0(VALU_DEP_2) | instskip(NEXT) | instid1(VALU_DEP_2)
	;; [unrolled: 3-line block ×6, first 2 shown]
	v_cvt_f32_i32_e32 v154, v154
	v_cvt_f32_i32_e32 v144, v144
	s_delay_alu instid0(VALU_DEP_1)
	v_dual_fmac_f32 v49, v155, v154 :: v_dual_fmac_f32 v48, v145, v144
	ds_load_b128 v[144:147], v138 offset:5120
	ds_load_b128 v[148:151], v138 offset:5136
	v_mul_f32_e32 v154, v140, v153
	s_waitcnt lgkmcnt(1)
	v_dot4_i32_iu8 v152, v144, v4, 0 neg_lo:[1,1,0]
	s_delay_alu instid0(VALU_DEP_1) | instskip(NEXT) | instid1(VALU_DEP_1)
	v_dot4_i32_iu8 v152, v145, v5, v152 neg_lo:[1,1,0]
	v_dot4_i32_iu8 v152, v146, v6, v152 neg_lo:[1,1,0]
	s_delay_alu instid0(VALU_DEP_1) | instskip(SKIP_1) | instid1(VALU_DEP_1)
	v_dot4_i32_iu8 v152, v147, v7, v152 neg_lo:[1,1,0]
	s_waitcnt lgkmcnt(0)
	v_dot4_i32_iu8 v152, v148, v8, v152 neg_lo:[1,1,0]
	s_delay_alu instid0(VALU_DEP_1) | instskip(NEXT) | instid1(VALU_DEP_1)
	v_dot4_i32_iu8 v152, v149, v9, v152 neg_lo:[1,1,0]
	v_dot4_i32_iu8 v152, v150, v10, v152 neg_lo:[1,1,0]
	s_delay_alu instid0(VALU_DEP_1) | instskip(NEXT) | instid1(VALU_DEP_1)
	v_dot4_i32_iu8 v152, v151, v11, v152 neg_lo:[1,1,0]
	v_cvt_f32_i32_e32 v152, v152
	s_delay_alu instid0(VALU_DEP_1) | instskip(SKIP_1) | instid1(VALU_DEP_1)
	v_dual_fmac_f32 v47, v154, v152 :: v_dual_mul_f32 v154, v141, v153
	v_dot4_i32_iu8 v152, v144, v12, 0 neg_lo:[1,1,0]
	v_dot4_i32_iu8 v152, v145, v13, v152 neg_lo:[1,1,0]
	s_delay_alu instid0(VALU_DEP_1) | instskip(NEXT) | instid1(VALU_DEP_1)
	v_dot4_i32_iu8 v152, v146, v14, v152 neg_lo:[1,1,0]
	v_dot4_i32_iu8 v152, v147, v15, v152 neg_lo:[1,1,0]
	s_delay_alu instid0(VALU_DEP_1) | instskip(NEXT) | instid1(VALU_DEP_1)
	;; [unrolled: 3-line block ×4, first 2 shown]
	v_cvt_f32_i32_e32 v152, v152
	v_fmac_f32_e32 v46, v154, v152
	v_dot4_i32_iu8 v152, v144, v18, 0 neg_lo:[1,1,0]
	v_dot4_i32_iu8 v144, v144, v28, 0 neg_lo:[1,1,0]
	v_mul_f32_e32 v154, v142, v153
	s_delay_alu instid0(VALU_DEP_3) | instskip(NEXT) | instid1(VALU_DEP_3)
	v_dot4_i32_iu8 v152, v145, v19, v152 neg_lo:[1,1,0]
	v_dot4_i32_iu8 v144, v145, v29, v144 neg_lo:[1,1,0]
	v_mul_f32_e32 v145, v143, v153
	s_delay_alu instid0(VALU_DEP_3) | instskip(NEXT) | instid1(VALU_DEP_3)
	v_dot4_i32_iu8 v152, v146, v22, v152 neg_lo:[1,1,0]
	v_dot4_i32_iu8 v144, v146, v30, v144 neg_lo:[1,1,0]
	s_delay_alu instid0(VALU_DEP_2) | instskip(NEXT) | instid1(VALU_DEP_2)
	v_dot4_i32_iu8 v152, v147, v23, v152 neg_lo:[1,1,0]
	v_dot4_i32_iu8 v144, v147, v31, v144 neg_lo:[1,1,0]
	s_delay_alu instid0(VALU_DEP_2) | instskip(NEXT) | instid1(VALU_DEP_2)
	;; [unrolled: 3-line block ×6, first 2 shown]
	v_cvt_f32_i32_e32 v152, v152
	v_cvt_f32_i32_e32 v144, v144
	s_delay_alu instid0(VALU_DEP_2) | instskip(NEXT) | instid1(VALU_DEP_2)
	v_fmac_f32_e32 v45, v154, v152
	v_fmac_f32_e32 v44, v145, v144
	ds_load_2addr_b32 v[152:153], v133 offset0:192 offset1:224
	ds_load_b128 v[144:147], v138 offset:6144
	ds_load_b128 v[148:151], v138 offset:6160
	v_add_nc_u32_e32 v133, 4, v133
	s_waitcnt lgkmcnt(2)
	v_mul_f32_e32 v155, v140, v152
	s_waitcnt lgkmcnt(1)
	v_dot4_i32_iu8 v154, v144, v4, 0 neg_lo:[1,1,0]
	s_delay_alu instid0(VALU_DEP_1) | instskip(NEXT) | instid1(VALU_DEP_1)
	v_dot4_i32_iu8 v154, v145, v5, v154 neg_lo:[1,1,0]
	v_dot4_i32_iu8 v154, v146, v6, v154 neg_lo:[1,1,0]
	s_delay_alu instid0(VALU_DEP_1) | instskip(SKIP_1) | instid1(VALU_DEP_1)
	v_dot4_i32_iu8 v154, v147, v7, v154 neg_lo:[1,1,0]
	s_waitcnt lgkmcnt(0)
	v_dot4_i32_iu8 v154, v148, v8, v154 neg_lo:[1,1,0]
	s_delay_alu instid0(VALU_DEP_1) | instskip(NEXT) | instid1(VALU_DEP_1)
	v_dot4_i32_iu8 v154, v149, v9, v154 neg_lo:[1,1,0]
	v_dot4_i32_iu8 v154, v150, v10, v154 neg_lo:[1,1,0]
	s_delay_alu instid0(VALU_DEP_1) | instskip(NEXT) | instid1(VALU_DEP_1)
	v_dot4_i32_iu8 v154, v151, v11, v154 neg_lo:[1,1,0]
	v_cvt_f32_i32_e32 v154, v154
	s_delay_alu instid0(VALU_DEP_1) | instskip(SKIP_2) | instid1(VALU_DEP_2)
	v_fmac_f32_e32 v43, v155, v154
	v_dot4_i32_iu8 v154, v144, v12, 0 neg_lo:[1,1,0]
	v_mul_f32_e32 v155, v141, v152
	v_dot4_i32_iu8 v154, v145, v13, v154 neg_lo:[1,1,0]
	s_delay_alu instid0(VALU_DEP_1) | instskip(NEXT) | instid1(VALU_DEP_1)
	v_dot4_i32_iu8 v154, v146, v14, v154 neg_lo:[1,1,0]
	v_dot4_i32_iu8 v154, v147, v15, v154 neg_lo:[1,1,0]
	s_delay_alu instid0(VALU_DEP_1) | instskip(NEXT) | instid1(VALU_DEP_1)
	v_dot4_i32_iu8 v154, v148, v16, v154 neg_lo:[1,1,0]
	;; [unrolled: 3-line block ×3, first 2 shown]
	v_dot4_i32_iu8 v154, v151, v21, v154 neg_lo:[1,1,0]
	s_delay_alu instid0(VALU_DEP_1) | instskip(NEXT) | instid1(VALU_DEP_1)
	v_cvt_f32_i32_e32 v154, v154
	v_fmac_f32_e32 v42, v155, v154
	v_dot4_i32_iu8 v154, v144, v18, 0 neg_lo:[1,1,0]
	v_dot4_i32_iu8 v144, v144, v28, 0 neg_lo:[1,1,0]
	v_mul_f32_e32 v155, v142, v152
	s_delay_alu instid0(VALU_DEP_3) | instskip(NEXT) | instid1(VALU_DEP_3)
	v_dot4_i32_iu8 v154, v145, v19, v154 neg_lo:[1,1,0]
	v_dot4_i32_iu8 v144, v145, v29, v144 neg_lo:[1,1,0]
	v_mul_f32_e32 v145, v143, v152
	s_delay_alu instid0(VALU_DEP_3) | instskip(NEXT) | instid1(VALU_DEP_3)
	v_dot4_i32_iu8 v154, v146, v22, v154 neg_lo:[1,1,0]
	v_dot4_i32_iu8 v144, v146, v30, v144 neg_lo:[1,1,0]
	s_delay_alu instid0(VALU_DEP_2) | instskip(NEXT) | instid1(VALU_DEP_2)
	v_dot4_i32_iu8 v154, v147, v23, v154 neg_lo:[1,1,0]
	v_dot4_i32_iu8 v144, v147, v31, v144 neg_lo:[1,1,0]
	s_delay_alu instid0(VALU_DEP_2) | instskip(NEXT) | instid1(VALU_DEP_2)
	;; [unrolled: 3-line block ×6, first 2 shown]
	v_cvt_f32_i32_e32 v154, v154
	v_cvt_f32_i32_e32 v144, v144
	s_delay_alu instid0(VALU_DEP_1)
	v_fmac_f32_e32 v40, v145, v144
	ds_load_b128 v[144:147], v138 offset:7168
	ds_load_b128 v[148:151], v138 offset:7184
	v_add_nc_u32_e32 v138, 32, v138
	v_fmac_f32_e32 v41, v155, v154
	s_waitcnt lgkmcnt(1)
	v_dot4_i32_iu8 v4, v144, v4, 0 neg_lo:[1,1,0]
	s_delay_alu instid0(VALU_DEP_1) | instskip(SKIP_1) | instid1(VALU_DEP_2)
	v_dot4_i32_iu8 v4, v145, v5, v4 neg_lo:[1,1,0]
	v_mul_f32_e32 v5, v140, v153
	v_dot4_i32_iu8 v4, v146, v6, v4 neg_lo:[1,1,0]
	s_delay_alu instid0(VALU_DEP_1) | instskip(SKIP_1) | instid1(VALU_DEP_1)
	v_dot4_i32_iu8 v4, v147, v7, v4 neg_lo:[1,1,0]
	s_waitcnt lgkmcnt(0)
	v_dot4_i32_iu8 v4, v148, v8, v4 neg_lo:[1,1,0]
	s_delay_alu instid0(VALU_DEP_1) | instskip(NEXT) | instid1(VALU_DEP_1)
	v_dot4_i32_iu8 v4, v149, v9, v4 neg_lo:[1,1,0]
	v_dot4_i32_iu8 v4, v150, v10, v4 neg_lo:[1,1,0]
	s_delay_alu instid0(VALU_DEP_1) | instskip(NEXT) | instid1(VALU_DEP_1)
	v_dot4_i32_iu8 v4, v151, v11, v4 neg_lo:[1,1,0]
	v_cvt_f32_i32_e32 v4, v4
	s_delay_alu instid0(VALU_DEP_1) | instskip(SKIP_2) | instid1(VALU_DEP_2)
	v_fmac_f32_e32 v39, v5, v4
	v_dot4_i32_iu8 v4, v144, v12, 0 neg_lo:[1,1,0]
	v_mul_f32_e32 v5, v141, v153
	v_dot4_i32_iu8 v4, v145, v13, v4 neg_lo:[1,1,0]
	s_delay_alu instid0(VALU_DEP_1) | instskip(NEXT) | instid1(VALU_DEP_1)
	v_dot4_i32_iu8 v4, v146, v14, v4 neg_lo:[1,1,0]
	v_dot4_i32_iu8 v4, v147, v15, v4 neg_lo:[1,1,0]
	s_delay_alu instid0(VALU_DEP_1) | instskip(NEXT) | instid1(VALU_DEP_1)
	v_dot4_i32_iu8 v4, v148, v16, v4 neg_lo:[1,1,0]
	;; [unrolled: 3-line block ×3, first 2 shown]
	v_dot4_i32_iu8 v4, v151, v21, v4 neg_lo:[1,1,0]
	s_delay_alu instid0(VALU_DEP_1) | instskip(NEXT) | instid1(VALU_DEP_1)
	v_cvt_f32_i32_e32 v4, v4
	v_fmac_f32_e32 v38, v5, v4
	v_dot4_i32_iu8 v4, v144, v18, 0 neg_lo:[1,1,0]
	v_mul_f32_e32 v5, v142, v153
	s_delay_alu instid0(VALU_DEP_2) | instskip(NEXT) | instid1(VALU_DEP_1)
	v_dot4_i32_iu8 v4, v145, v19, v4 neg_lo:[1,1,0]
	v_dot4_i32_iu8 v4, v146, v22, v4 neg_lo:[1,1,0]
	s_delay_alu instid0(VALU_DEP_1) | instskip(NEXT) | instid1(VALU_DEP_1)
	v_dot4_i32_iu8 v4, v147, v23, v4 neg_lo:[1,1,0]
	v_dot4_i32_iu8 v4, v148, v24, v4 neg_lo:[1,1,0]
	s_delay_alu instid0(VALU_DEP_1) | instskip(NEXT) | instid1(VALU_DEP_1)
	;; [unrolled: 3-line block ×3, first 2 shown]
	v_dot4_i32_iu8 v4, v151, v27, v4 neg_lo:[1,1,0]
	v_cvt_f32_i32_e32 v4, v4
	s_delay_alu instid0(VALU_DEP_1) | instskip(SKIP_2) | instid1(VALU_DEP_2)
	v_fmac_f32_e32 v37, v5, v4
	v_dot4_i32_iu8 v4, v144, v28, 0 neg_lo:[1,1,0]
	v_mul_f32_e32 v5, v143, v153
	v_dot4_i32_iu8 v4, v145, v29, v4 neg_lo:[1,1,0]
	s_delay_alu instid0(VALU_DEP_1) | instskip(NEXT) | instid1(VALU_DEP_1)
	v_dot4_i32_iu8 v4, v146, v30, v4 neg_lo:[1,1,0]
	v_dot4_i32_iu8 v4, v147, v31, v4 neg_lo:[1,1,0]
	s_delay_alu instid0(VALU_DEP_1) | instskip(NEXT) | instid1(VALU_DEP_1)
	v_dot4_i32_iu8 v4, v148, v32, v4 neg_lo:[1,1,0]
	;; [unrolled: 3-line block ×3, first 2 shown]
	v_dot4_i32_iu8 v4, v151, v35, v4 neg_lo:[1,1,0]
	s_delay_alu instid0(VALU_DEP_1) | instskip(NEXT) | instid1(VALU_DEP_1)
	v_cvt_f32_i32_e32 v4, v4
	v_fmac_f32_e32 v36, v5, v4
	s_cbranch_scc1 .LBB165_6
; %bb.7:                                ;   in Loop: Header=BB165_5 Depth=1
	s_add_i32 s11, s11, 4
	s_delay_alu instid0(SALU_CYCLE_1)
	s_cmp_ge_i32 s11, s5
	s_barrier
	buffer_gl0_inv
	s_cbranch_scc0 .LBB165_5
; %bb.8:
	v_dual_mov_b32 v1, v57 :: v_dual_mov_b32 v0, v58
.LBB165_9:
	s_mov_b32 s0, exec_lo
	v_cmpx_gt_u32_e64 s4, v61
	s_cbranch_execz .LBB165_60
; %bb.10:
	s_delay_alu instid0(VALU_DEP_2) | instskip(SKIP_1) | instid1(VALU_DEP_2)
	v_add_nc_u32_e32 v0, s10, v0
	v_mul_lo_u32 v5, v61, s6
	v_cmp_gt_u32_e32 vcc_lo, s6, v0
	s_and_saveexec_b32 s1, vcc_lo
	s_cbranch_execz .LBB165_12
; %bb.11:
	v_bfe_u32 v3, v66, 16, 1
	s_delay_alu instid0(VALU_DEP_3) | instskip(SKIP_1) | instid1(VALU_DEP_3)
	v_add_nc_u32_e32 v2, v0, v5
	v_cmp_o_f32_e64 s0, v66, v66
	v_add3_u32 v4, v66, v3, 0x7fff
	v_mov_b32_e32 v3, 0
	s_delay_alu instid0(VALU_DEP_2) | instskip(NEXT) | instid1(VALU_DEP_2)
	v_lshrrev_b32_e32 v4, 16, v4
	v_lshlrev_b64 v[2:3], 1, v[2:3]
	s_delay_alu instid0(VALU_DEP_2) | instskip(SKIP_1) | instid1(VALU_DEP_2)
	v_cndmask_b32_e64 v4, 0x7fc0, v4, s0
	s_waitcnt lgkmcnt(0)
	v_add_co_u32 v2, s0, s8, v2
	s_delay_alu instid0(VALU_DEP_1)
	v_add_co_ci_u32_e64 v3, s0, s9, v3, s0
	global_store_b16 v[2:3], v4, off
.LBB165_12:
	s_or_b32 exec_lo, exec_lo, s1
	v_add_nc_u32_e32 v2, 32, v0
	s_delay_alu instid0(VALU_DEP_1) | instskip(NEXT) | instid1(VALU_DEP_1)
	v_cmp_gt_u32_e64 s0, s6, v2
	s_and_saveexec_b32 s2, s0
	s_cbranch_execz .LBB165_14
; %bb.13:
	v_bfe_u32 v4, v70, 16, 1
	v_add_nc_u32_e32 v3, v2, v5
	v_cmp_o_f32_e64 s1, v70, v70
	s_delay_alu instid0(VALU_DEP_3) | instskip(SKIP_1) | instid1(VALU_DEP_2)
	v_add3_u32 v6, v70, v4, 0x7fff
	v_mov_b32_e32 v4, 0
	v_lshrrev_b32_e32 v6, 16, v6
	s_delay_alu instid0(VALU_DEP_2) | instskip(NEXT) | instid1(VALU_DEP_2)
	v_lshlrev_b64 v[3:4], 1, v[3:4]
	v_cndmask_b32_e64 v6, 0x7fc0, v6, s1
	s_waitcnt lgkmcnt(0)
	s_delay_alu instid0(VALU_DEP_2) | instskip(NEXT) | instid1(VALU_DEP_1)
	v_add_co_u32 v3, s1, s8, v3
	v_add_co_ci_u32_e64 v4, s1, s9, v4, s1
	global_store_b16 v[3:4], v6, off
.LBB165_14:
	s_or_b32 exec_lo, exec_lo, s2
	v_add_nc_u32_e32 v3, 64, v0
	s_delay_alu instid0(VALU_DEP_1) | instskip(NEXT) | instid1(VALU_DEP_1)
	v_cmp_gt_u32_e64 s1, s6, v3
	s_and_saveexec_b32 s3, s1
	s_cbranch_execz .LBB165_16
; %bb.15:
	v_bfe_u32 v4, v69, 16, 1
	v_dual_mov_b32 v7, 0 :: v_dual_add_nc_u32 v6, v3, v5
	v_cmp_o_f32_e64 s2, v69, v69
	s_delay_alu instid0(VALU_DEP_3) | instskip(NEXT) | instid1(VALU_DEP_3)
	v_add3_u32 v4, v69, v4, 0x7fff
	v_lshlrev_b64 v[6:7], 1, v[6:7]
	s_delay_alu instid0(VALU_DEP_2) | instskip(NEXT) | instid1(VALU_DEP_1)
	v_lshrrev_b32_e32 v4, 16, v4
	v_cndmask_b32_e64 v4, 0x7fc0, v4, s2
	s_waitcnt lgkmcnt(0)
	s_delay_alu instid0(VALU_DEP_3) | instskip(NEXT) | instid1(VALU_DEP_1)
	v_add_co_u32 v6, s2, s8, v6
	v_add_co_ci_u32_e64 v7, s2, s9, v7, s2
	global_store_b16 v[6:7], v4, off
.LBB165_16:
	s_or_b32 exec_lo, exec_lo, s3
	v_add_nc_u32_e32 v4, 0x60, v0
	s_delay_alu instid0(VALU_DEP_1) | instskip(NEXT) | instid1(VALU_DEP_1)
	v_cmp_gt_u32_e64 s2, s6, v4
	s_and_saveexec_b32 s5, s2
	s_cbranch_execz .LBB165_18
; %bb.17:
	v_bfe_u32 v6, v68, 16, 1
	v_add_nc_u32_e32 v5, v4, v5
	v_cmp_o_f32_e64 s3, v68, v68
	s_delay_alu instid0(VALU_DEP_3) | instskip(SKIP_1) | instid1(VALU_DEP_2)
	v_add3_u32 v7, v68, v6, 0x7fff
	v_mov_b32_e32 v6, 0
	v_lshrrev_b32_e32 v7, 16, v7
	s_delay_alu instid0(VALU_DEP_2) | instskip(NEXT) | instid1(VALU_DEP_2)
	v_lshlrev_b64 v[5:6], 1, v[5:6]
	v_cndmask_b32_e64 v7, 0x7fc0, v7, s3
	s_waitcnt lgkmcnt(0)
	s_delay_alu instid0(VALU_DEP_2) | instskip(NEXT) | instid1(VALU_DEP_1)
	v_add_co_u32 v5, s3, s8, v5
	v_add_co_ci_u32_e64 v6, s3, s9, v6, s3
	global_store_b16 v[5:6], v7, off
.LBB165_18:
	s_or_b32 exec_lo, exec_lo, s5
	v_add3_u32 v5, v1, s7, 8
	s_delay_alu instid0(VALU_DEP_1) | instskip(NEXT) | instid1(VALU_DEP_1)
	v_cmp_gt_u32_e64 s3, s4, v5
	s_and_b32 exec_lo, exec_lo, s3
	s_cbranch_execz .LBB165_60
; %bb.19:
	v_mul_lo_u32 v5, v5, s6
	s_and_saveexec_b32 s5, vcc_lo
	s_cbranch_execnz .LBB165_61
; %bb.20:
	s_or_b32 exec_lo, exec_lo, s5
	s_and_saveexec_b32 s5, s0
	s_cbranch_execnz .LBB165_62
.LBB165_21:
	s_or_b32 exec_lo, exec_lo, s5
	s_and_saveexec_b32 s5, s1
	s_cbranch_execnz .LBB165_63
.LBB165_22:
	s_or_b32 exec_lo, exec_lo, s5
	s_and_saveexec_b32 s5, s2
	s_cbranch_execz .LBB165_24
.LBB165_23:
	v_bfe_u32 v6, v63, 16, 1
	v_add_nc_u32_e32 v5, v5, v4
	v_cmp_o_f32_e64 s3, v63, v63
	s_delay_alu instid0(VALU_DEP_3) | instskip(SKIP_1) | instid1(VALU_DEP_2)
	v_add3_u32 v7, v63, v6, 0x7fff
	v_mov_b32_e32 v6, 0
	v_lshrrev_b32_e32 v7, 16, v7
	s_delay_alu instid0(VALU_DEP_2) | instskip(NEXT) | instid1(VALU_DEP_2)
	v_lshlrev_b64 v[5:6], 1, v[5:6]
	v_cndmask_b32_e64 v7, 0x7fc0, v7, s3
	s_waitcnt lgkmcnt(0)
	s_delay_alu instid0(VALU_DEP_2) | instskip(NEXT) | instid1(VALU_DEP_1)
	v_add_co_u32 v5, s3, s8, v5
	v_add_co_ci_u32_e64 v6, s3, s9, v6, s3
	global_store_b16 v[5:6], v7, off
.LBB165_24:
	s_or_b32 exec_lo, exec_lo, s5
	v_add3_u32 v5, v1, s7, 16
	s_delay_alu instid0(VALU_DEP_1) | instskip(NEXT) | instid1(VALU_DEP_1)
	v_cmp_gt_u32_e64 s3, s4, v5
	s_and_b32 exec_lo, exec_lo, s3
	s_cbranch_execz .LBB165_60
; %bb.25:
	v_mul_lo_u32 v5, v5, s6
	s_and_saveexec_b32 s5, vcc_lo
	s_cbranch_execnz .LBB165_64
; %bb.26:
	s_or_b32 exec_lo, exec_lo, s5
	s_and_saveexec_b32 s5, s0
	s_cbranch_execnz .LBB165_65
.LBB165_27:
	s_or_b32 exec_lo, exec_lo, s5
	s_and_saveexec_b32 s5, s1
	s_cbranch_execnz .LBB165_66
.LBB165_28:
	s_or_b32 exec_lo, exec_lo, s5
	s_and_saveexec_b32 s5, s2
	s_cbranch_execz .LBB165_30
.LBB165_29:
	v_bfe_u32 v6, v56, 16, 1
	v_add_nc_u32_e32 v5, v5, v4
	v_cmp_o_f32_e64 s3, v56, v56
	s_delay_alu instid0(VALU_DEP_3) | instskip(SKIP_1) | instid1(VALU_DEP_2)
	v_add3_u32 v7, v56, v6, 0x7fff
	v_mov_b32_e32 v6, 0
	v_lshrrev_b32_e32 v7, 16, v7
	s_delay_alu instid0(VALU_DEP_2) | instskip(NEXT) | instid1(VALU_DEP_2)
	v_lshlrev_b64 v[5:6], 1, v[5:6]
	v_cndmask_b32_e64 v7, 0x7fc0, v7, s3
	s_waitcnt lgkmcnt(0)
	s_delay_alu instid0(VALU_DEP_2) | instskip(NEXT) | instid1(VALU_DEP_1)
	v_add_co_u32 v5, s3, s8, v5
	v_add_co_ci_u32_e64 v6, s3, s9, v6, s3
	global_store_b16 v[5:6], v7, off
.LBB165_30:
	s_or_b32 exec_lo, exec_lo, s5
	v_add3_u32 v5, v1, s7, 24
	s_delay_alu instid0(VALU_DEP_1) | instskip(NEXT) | instid1(VALU_DEP_1)
	v_cmp_gt_u32_e64 s3, s4, v5
	s_and_b32 exec_lo, exec_lo, s3
	s_cbranch_execz .LBB165_60
; %bb.31:
	v_mul_lo_u32 v5, v5, s6
	s_and_saveexec_b32 s5, vcc_lo
	s_cbranch_execnz .LBB165_67
; %bb.32:
	s_or_b32 exec_lo, exec_lo, s5
	s_and_saveexec_b32 s5, s0
	s_cbranch_execnz .LBB165_68
.LBB165_33:
	s_or_b32 exec_lo, exec_lo, s5
	s_and_saveexec_b32 s5, s1
	s_cbranch_execnz .LBB165_69
.LBB165_34:
	s_or_b32 exec_lo, exec_lo, s5
	s_and_saveexec_b32 s5, s2
	s_cbranch_execz .LBB165_36
.LBB165_35:
	v_bfe_u32 v6, v52, 16, 1
	v_add_nc_u32_e32 v5, v5, v4
	v_cmp_o_f32_e64 s3, v52, v52
	s_delay_alu instid0(VALU_DEP_3) | instskip(SKIP_1) | instid1(VALU_DEP_2)
	v_add3_u32 v7, v52, v6, 0x7fff
	v_mov_b32_e32 v6, 0
	v_lshrrev_b32_e32 v7, 16, v7
	s_delay_alu instid0(VALU_DEP_2) | instskip(NEXT) | instid1(VALU_DEP_2)
	v_lshlrev_b64 v[5:6], 1, v[5:6]
	v_cndmask_b32_e64 v7, 0x7fc0, v7, s3
	s_waitcnt lgkmcnt(0)
	s_delay_alu instid0(VALU_DEP_2) | instskip(NEXT) | instid1(VALU_DEP_1)
	v_add_co_u32 v5, s3, s8, v5
	v_add_co_ci_u32_e64 v6, s3, s9, v6, s3
	global_store_b16 v[5:6], v7, off
.LBB165_36:
	s_or_b32 exec_lo, exec_lo, s5
	v_add3_u32 v5, v1, s7, 32
	s_delay_alu instid0(VALU_DEP_1) | instskip(NEXT) | instid1(VALU_DEP_1)
	v_cmp_gt_u32_e64 s3, s4, v5
	s_and_b32 exec_lo, exec_lo, s3
	s_cbranch_execz .LBB165_60
; %bb.37:
	v_mul_lo_u32 v5, v5, s6
	s_and_saveexec_b32 s5, vcc_lo
	s_cbranch_execnz .LBB165_70
; %bb.38:
	s_or_b32 exec_lo, exec_lo, s5
	s_and_saveexec_b32 s5, s0
	s_cbranch_execnz .LBB165_71
.LBB165_39:
	s_or_b32 exec_lo, exec_lo, s5
	s_and_saveexec_b32 s5, s1
	s_cbranch_execnz .LBB165_72
.LBB165_40:
	s_or_b32 exec_lo, exec_lo, s5
	s_and_saveexec_b32 s5, s2
	s_cbranch_execz .LBB165_42
.LBB165_41:
	v_bfe_u32 v6, v48, 16, 1
	v_add_nc_u32_e32 v5, v5, v4
	v_cmp_o_f32_e64 s3, v48, v48
	s_delay_alu instid0(VALU_DEP_3) | instskip(SKIP_1) | instid1(VALU_DEP_2)
	v_add3_u32 v7, v48, v6, 0x7fff
	v_mov_b32_e32 v6, 0
	v_lshrrev_b32_e32 v7, 16, v7
	s_delay_alu instid0(VALU_DEP_2) | instskip(NEXT) | instid1(VALU_DEP_2)
	v_lshlrev_b64 v[5:6], 1, v[5:6]
	v_cndmask_b32_e64 v7, 0x7fc0, v7, s3
	s_waitcnt lgkmcnt(0)
	s_delay_alu instid0(VALU_DEP_2) | instskip(NEXT) | instid1(VALU_DEP_1)
	v_add_co_u32 v5, s3, s8, v5
	v_add_co_ci_u32_e64 v6, s3, s9, v6, s3
	global_store_b16 v[5:6], v7, off
.LBB165_42:
	s_or_b32 exec_lo, exec_lo, s5
	v_add3_u32 v5, v1, s7, 40
	s_delay_alu instid0(VALU_DEP_1) | instskip(NEXT) | instid1(VALU_DEP_1)
	v_cmp_gt_u32_e64 s3, s4, v5
	s_and_b32 exec_lo, exec_lo, s3
	s_cbranch_execz .LBB165_60
; %bb.43:
	v_mul_lo_u32 v5, v5, s6
	s_and_saveexec_b32 s5, vcc_lo
	s_cbranch_execnz .LBB165_73
; %bb.44:
	s_or_b32 exec_lo, exec_lo, s5
	s_and_saveexec_b32 s5, s0
	s_cbranch_execnz .LBB165_74
.LBB165_45:
	s_or_b32 exec_lo, exec_lo, s5
	s_and_saveexec_b32 s5, s1
	s_cbranch_execnz .LBB165_75
.LBB165_46:
	s_or_b32 exec_lo, exec_lo, s5
	s_and_saveexec_b32 s5, s2
	s_cbranch_execz .LBB165_48
.LBB165_47:
	v_bfe_u32 v6, v44, 16, 1
	v_add_nc_u32_e32 v5, v5, v4
	v_cmp_o_f32_e64 s3, v44, v44
	s_delay_alu instid0(VALU_DEP_3) | instskip(SKIP_1) | instid1(VALU_DEP_2)
	v_add3_u32 v7, v44, v6, 0x7fff
	v_mov_b32_e32 v6, 0
	v_lshrrev_b32_e32 v7, 16, v7
	s_delay_alu instid0(VALU_DEP_2) | instskip(NEXT) | instid1(VALU_DEP_2)
	v_lshlrev_b64 v[5:6], 1, v[5:6]
	v_cndmask_b32_e64 v7, 0x7fc0, v7, s3
	s_waitcnt lgkmcnt(0)
	s_delay_alu instid0(VALU_DEP_2) | instskip(NEXT) | instid1(VALU_DEP_1)
	v_add_co_u32 v5, s3, s8, v5
	v_add_co_ci_u32_e64 v6, s3, s9, v6, s3
	global_store_b16 v[5:6], v7, off
.LBB165_48:
	s_or_b32 exec_lo, exec_lo, s5
	v_add3_u32 v5, v1, s7, 48
	s_delay_alu instid0(VALU_DEP_1) | instskip(NEXT) | instid1(VALU_DEP_1)
	v_cmp_gt_u32_e64 s3, s4, v5
	s_and_b32 exec_lo, exec_lo, s3
	s_cbranch_execz .LBB165_60
; %bb.49:
	v_mul_lo_u32 v5, v5, s6
	s_and_saveexec_b32 s5, vcc_lo
	s_cbranch_execnz .LBB165_76
; %bb.50:
	s_or_b32 exec_lo, exec_lo, s5
	s_and_saveexec_b32 s5, s0
	s_cbranch_execnz .LBB165_77
.LBB165_51:
	s_or_b32 exec_lo, exec_lo, s5
	s_and_saveexec_b32 s5, s1
	s_cbranch_execnz .LBB165_78
.LBB165_52:
	s_or_b32 exec_lo, exec_lo, s5
	s_and_saveexec_b32 s5, s2
	s_cbranch_execz .LBB165_54
.LBB165_53:
	v_bfe_u32 v6, v40, 16, 1
	v_add_nc_u32_e32 v5, v5, v4
	v_cmp_o_f32_e64 s3, v40, v40
	s_delay_alu instid0(VALU_DEP_3) | instskip(SKIP_1) | instid1(VALU_DEP_2)
	v_add3_u32 v7, v40, v6, 0x7fff
	v_mov_b32_e32 v6, 0
	v_lshrrev_b32_e32 v7, 16, v7
	s_delay_alu instid0(VALU_DEP_2) | instskip(NEXT) | instid1(VALU_DEP_2)
	v_lshlrev_b64 v[5:6], 1, v[5:6]
	v_cndmask_b32_e64 v7, 0x7fc0, v7, s3
	s_waitcnt lgkmcnt(0)
	s_delay_alu instid0(VALU_DEP_2) | instskip(NEXT) | instid1(VALU_DEP_1)
	v_add_co_u32 v5, s3, s8, v5
	v_add_co_ci_u32_e64 v6, s3, s9, v6, s3
	global_store_b16 v[5:6], v7, off
.LBB165_54:
	s_or_b32 exec_lo, exec_lo, s5
	v_add3_u32 v1, v1, s7, 56
	s_delay_alu instid0(VALU_DEP_1) | instskip(NEXT) | instid1(VALU_DEP_1)
	v_cmp_gt_u32_e64 s3, s4, v1
	s_and_b32 exec_lo, exec_lo, s3
	s_cbranch_execz .LBB165_60
; %bb.55:
	v_mul_lo_u32 v1, v1, s6
	s_and_saveexec_b32 s3, vcc_lo
	s_cbranch_execnz .LBB165_79
; %bb.56:
	s_or_b32 exec_lo, exec_lo, s3
	s_and_saveexec_b32 s3, s0
	s_cbranch_execnz .LBB165_80
.LBB165_57:
	s_or_b32 exec_lo, exec_lo, s3
	s_and_saveexec_b32 s0, s1
	s_cbranch_execnz .LBB165_81
.LBB165_58:
	s_or_b32 exec_lo, exec_lo, s0
	s_delay_alu instid0(SALU_CYCLE_1)
	s_and_b32 exec_lo, exec_lo, s2
	s_cbranch_execz .LBB165_60
.LBB165_59:
	v_bfe_u32 v2, v36, 16, 1
	v_dual_mov_b32 v1, 0 :: v_dual_add_nc_u32 v0, v1, v4
	v_cmp_o_f32_e32 vcc_lo, v36, v36
	s_delay_alu instid0(VALU_DEP_3) | instskip(NEXT) | instid1(VALU_DEP_3)
	v_add3_u32 v2, v36, v2, 0x7fff
	v_lshlrev_b64 v[0:1], 1, v[0:1]
	s_delay_alu instid0(VALU_DEP_2) | instskip(NEXT) | instid1(VALU_DEP_1)
	v_lshrrev_b32_e32 v2, 16, v2
	v_cndmask_b32_e32 v2, 0x7fc0, v2, vcc_lo
	s_waitcnt lgkmcnt(0)
	s_delay_alu instid0(VALU_DEP_3) | instskip(NEXT) | instid1(VALU_DEP_4)
	v_add_co_u32 v0, vcc_lo, s8, v0
	v_add_co_ci_u32_e32 v1, vcc_lo, s9, v1, vcc_lo
	global_store_b16 v[0:1], v2, off
.LBB165_60:
	s_nop 0
	s_sendmsg sendmsg(MSG_DEALLOC_VGPRS)
	s_endpgm
.LBB165_61:
	v_bfe_u32 v7, v67, 16, 1
	s_delay_alu instid0(VALU_DEP_2) | instskip(SKIP_1) | instid1(VALU_DEP_3)
	v_add_nc_u32_e32 v6, v5, v0
	v_cmp_o_f32_e64 s3, v67, v67
	v_add3_u32 v8, v67, v7, 0x7fff
	v_mov_b32_e32 v7, 0
	s_delay_alu instid0(VALU_DEP_2) | instskip(NEXT) | instid1(VALU_DEP_2)
	v_lshrrev_b32_e32 v8, 16, v8
	v_lshlrev_b64 v[6:7], 1, v[6:7]
	s_delay_alu instid0(VALU_DEP_2) | instskip(SKIP_1) | instid1(VALU_DEP_2)
	v_cndmask_b32_e64 v8, 0x7fc0, v8, s3
	s_waitcnt lgkmcnt(0)
	v_add_co_u32 v6, s3, s8, v6
	s_delay_alu instid0(VALU_DEP_1)
	v_add_co_ci_u32_e64 v7, s3, s9, v7, s3
	global_store_b16 v[6:7], v8, off
	s_or_b32 exec_lo, exec_lo, s5
	s_and_saveexec_b32 s5, s0
	s_cbranch_execz .LBB165_21
.LBB165_62:
	v_bfe_u32 v7, v65, 16, 1
	s_delay_alu instid0(VALU_DEP_2) | instskip(SKIP_1) | instid1(VALU_DEP_3)
	v_add_nc_u32_e32 v6, v5, v2
	v_cmp_o_f32_e64 s3, v65, v65
	v_add3_u32 v8, v65, v7, 0x7fff
	v_mov_b32_e32 v7, 0
	s_delay_alu instid0(VALU_DEP_2) | instskip(NEXT) | instid1(VALU_DEP_2)
	v_lshrrev_b32_e32 v8, 16, v8
	v_lshlrev_b64 v[6:7], 1, v[6:7]
	s_delay_alu instid0(VALU_DEP_2) | instskip(SKIP_1) | instid1(VALU_DEP_2)
	v_cndmask_b32_e64 v8, 0x7fc0, v8, s3
	s_waitcnt lgkmcnt(0)
	v_add_co_u32 v6, s3, s8, v6
	s_delay_alu instid0(VALU_DEP_1)
	v_add_co_ci_u32_e64 v7, s3, s9, v7, s3
	global_store_b16 v[6:7], v8, off
	s_or_b32 exec_lo, exec_lo, s5
	s_and_saveexec_b32 s5, s1
	s_cbranch_execz .LBB165_22
.LBB165_63:
	v_bfe_u32 v7, v64, 16, 1
	v_add_nc_u32_e32 v6, v5, v3
	v_cmp_o_f32_e64 s3, v64, v64
	s_delay_alu instid0(VALU_DEP_3) | instskip(SKIP_1) | instid1(VALU_DEP_2)
	v_add3_u32 v8, v64, v7, 0x7fff
	v_mov_b32_e32 v7, 0
	v_lshrrev_b32_e32 v8, 16, v8
	s_delay_alu instid0(VALU_DEP_2) | instskip(NEXT) | instid1(VALU_DEP_2)
	v_lshlrev_b64 v[6:7], 1, v[6:7]
	v_cndmask_b32_e64 v8, 0x7fc0, v8, s3
	s_waitcnt lgkmcnt(0)
	s_delay_alu instid0(VALU_DEP_2) | instskip(NEXT) | instid1(VALU_DEP_1)
	v_add_co_u32 v6, s3, s8, v6
	v_add_co_ci_u32_e64 v7, s3, s9, v7, s3
	global_store_b16 v[6:7], v8, off
	s_or_b32 exec_lo, exec_lo, s5
	s_and_saveexec_b32 s5, s2
	s_cbranch_execnz .LBB165_23
	s_branch .LBB165_24
.LBB165_64:
	v_bfe_u32 v7, v62, 16, 1
	s_delay_alu instid0(VALU_DEP_2) | instskip(SKIP_1) | instid1(VALU_DEP_3)
	v_add_nc_u32_e32 v6, v5, v0
	v_cmp_o_f32_e64 s3, v62, v62
	v_add3_u32 v8, v62, v7, 0x7fff
	v_mov_b32_e32 v7, 0
	s_delay_alu instid0(VALU_DEP_2) | instskip(NEXT) | instid1(VALU_DEP_2)
	v_lshrrev_b32_e32 v8, 16, v8
	v_lshlrev_b64 v[6:7], 1, v[6:7]
	s_delay_alu instid0(VALU_DEP_2) | instskip(SKIP_1) | instid1(VALU_DEP_2)
	v_cndmask_b32_e64 v8, 0x7fc0, v8, s3
	s_waitcnt lgkmcnt(0)
	v_add_co_u32 v6, s3, s8, v6
	s_delay_alu instid0(VALU_DEP_1)
	v_add_co_ci_u32_e64 v7, s3, s9, v7, s3
	global_store_b16 v[6:7], v8, off
	s_or_b32 exec_lo, exec_lo, s5
	s_and_saveexec_b32 s5, s0
	s_cbranch_execz .LBB165_27
.LBB165_65:
	v_bfe_u32 v7, v60, 16, 1
	s_delay_alu instid0(VALU_DEP_2) | instskip(SKIP_1) | instid1(VALU_DEP_3)
	v_add_nc_u32_e32 v6, v5, v2
	v_cmp_o_f32_e64 s3, v60, v60
	v_add3_u32 v8, v60, v7, 0x7fff
	v_mov_b32_e32 v7, 0
	s_delay_alu instid0(VALU_DEP_2) | instskip(NEXT) | instid1(VALU_DEP_2)
	v_lshrrev_b32_e32 v8, 16, v8
	v_lshlrev_b64 v[6:7], 1, v[6:7]
	s_delay_alu instid0(VALU_DEP_2) | instskip(SKIP_1) | instid1(VALU_DEP_2)
	v_cndmask_b32_e64 v8, 0x7fc0, v8, s3
	s_waitcnt lgkmcnt(0)
	v_add_co_u32 v6, s3, s8, v6
	s_delay_alu instid0(VALU_DEP_1)
	v_add_co_ci_u32_e64 v7, s3, s9, v7, s3
	global_store_b16 v[6:7], v8, off
	s_or_b32 exec_lo, exec_lo, s5
	s_and_saveexec_b32 s5, s1
	s_cbranch_execz .LBB165_28
.LBB165_66:
	v_bfe_u32 v7, v59, 16, 1
	v_add_nc_u32_e32 v6, v5, v3
	v_cmp_o_f32_e64 s3, v59, v59
	s_delay_alu instid0(VALU_DEP_3) | instskip(SKIP_1) | instid1(VALU_DEP_2)
	v_add3_u32 v8, v59, v7, 0x7fff
	v_mov_b32_e32 v7, 0
	v_lshrrev_b32_e32 v8, 16, v8
	s_delay_alu instid0(VALU_DEP_2) | instskip(NEXT) | instid1(VALU_DEP_2)
	v_lshlrev_b64 v[6:7], 1, v[6:7]
	v_cndmask_b32_e64 v8, 0x7fc0, v8, s3
	s_waitcnt lgkmcnt(0)
	s_delay_alu instid0(VALU_DEP_2) | instskip(NEXT) | instid1(VALU_DEP_1)
	v_add_co_u32 v6, s3, s8, v6
	v_add_co_ci_u32_e64 v7, s3, s9, v7, s3
	global_store_b16 v[6:7], v8, off
	s_or_b32 exec_lo, exec_lo, s5
	s_and_saveexec_b32 s5, s2
	s_cbranch_execnz .LBB165_29
	s_branch .LBB165_30
.LBB165_67:
	v_bfe_u32 v7, v55, 16, 1
	s_delay_alu instid0(VALU_DEP_2) | instskip(SKIP_1) | instid1(VALU_DEP_3)
	v_add_nc_u32_e32 v6, v5, v0
	v_cmp_o_f32_e64 s3, v55, v55
	v_add3_u32 v8, v55, v7, 0x7fff
	v_mov_b32_e32 v7, 0
	s_delay_alu instid0(VALU_DEP_2) | instskip(NEXT) | instid1(VALU_DEP_2)
	v_lshrrev_b32_e32 v8, 16, v8
	v_lshlrev_b64 v[6:7], 1, v[6:7]
	s_delay_alu instid0(VALU_DEP_2) | instskip(SKIP_1) | instid1(VALU_DEP_2)
	v_cndmask_b32_e64 v8, 0x7fc0, v8, s3
	s_waitcnt lgkmcnt(0)
	v_add_co_u32 v6, s3, s8, v6
	s_delay_alu instid0(VALU_DEP_1)
	v_add_co_ci_u32_e64 v7, s3, s9, v7, s3
	global_store_b16 v[6:7], v8, off
	s_or_b32 exec_lo, exec_lo, s5
	s_and_saveexec_b32 s5, s0
	s_cbranch_execz .LBB165_33
.LBB165_68:
	v_bfe_u32 v7, v54, 16, 1
	s_delay_alu instid0(VALU_DEP_2) | instskip(SKIP_1) | instid1(VALU_DEP_3)
	v_add_nc_u32_e32 v6, v5, v2
	v_cmp_o_f32_e64 s3, v54, v54
	v_add3_u32 v8, v54, v7, 0x7fff
	v_mov_b32_e32 v7, 0
	s_delay_alu instid0(VALU_DEP_2) | instskip(NEXT) | instid1(VALU_DEP_2)
	v_lshrrev_b32_e32 v8, 16, v8
	v_lshlrev_b64 v[6:7], 1, v[6:7]
	s_delay_alu instid0(VALU_DEP_2) | instskip(SKIP_1) | instid1(VALU_DEP_2)
	v_cndmask_b32_e64 v8, 0x7fc0, v8, s3
	s_waitcnt lgkmcnt(0)
	v_add_co_u32 v6, s3, s8, v6
	s_delay_alu instid0(VALU_DEP_1)
	v_add_co_ci_u32_e64 v7, s3, s9, v7, s3
	global_store_b16 v[6:7], v8, off
	s_or_b32 exec_lo, exec_lo, s5
	s_and_saveexec_b32 s5, s1
	s_cbranch_execz .LBB165_34
.LBB165_69:
	v_bfe_u32 v7, v53, 16, 1
	v_add_nc_u32_e32 v6, v5, v3
	v_cmp_o_f32_e64 s3, v53, v53
	s_delay_alu instid0(VALU_DEP_3) | instskip(SKIP_1) | instid1(VALU_DEP_2)
	v_add3_u32 v8, v53, v7, 0x7fff
	v_mov_b32_e32 v7, 0
	v_lshrrev_b32_e32 v8, 16, v8
	s_delay_alu instid0(VALU_DEP_2) | instskip(NEXT) | instid1(VALU_DEP_2)
	v_lshlrev_b64 v[6:7], 1, v[6:7]
	v_cndmask_b32_e64 v8, 0x7fc0, v8, s3
	s_waitcnt lgkmcnt(0)
	s_delay_alu instid0(VALU_DEP_2) | instskip(NEXT) | instid1(VALU_DEP_1)
	v_add_co_u32 v6, s3, s8, v6
	v_add_co_ci_u32_e64 v7, s3, s9, v7, s3
	global_store_b16 v[6:7], v8, off
	s_or_b32 exec_lo, exec_lo, s5
	s_and_saveexec_b32 s5, s2
	s_cbranch_execnz .LBB165_35
	s_branch .LBB165_36
.LBB165_70:
	v_bfe_u32 v7, v51, 16, 1
	s_delay_alu instid0(VALU_DEP_2) | instskip(SKIP_1) | instid1(VALU_DEP_3)
	v_add_nc_u32_e32 v6, v5, v0
	v_cmp_o_f32_e64 s3, v51, v51
	v_add3_u32 v8, v51, v7, 0x7fff
	v_mov_b32_e32 v7, 0
	s_delay_alu instid0(VALU_DEP_2) | instskip(NEXT) | instid1(VALU_DEP_2)
	v_lshrrev_b32_e32 v8, 16, v8
	v_lshlrev_b64 v[6:7], 1, v[6:7]
	s_delay_alu instid0(VALU_DEP_2) | instskip(SKIP_1) | instid1(VALU_DEP_2)
	v_cndmask_b32_e64 v8, 0x7fc0, v8, s3
	s_waitcnt lgkmcnt(0)
	v_add_co_u32 v6, s3, s8, v6
	s_delay_alu instid0(VALU_DEP_1)
	v_add_co_ci_u32_e64 v7, s3, s9, v7, s3
	global_store_b16 v[6:7], v8, off
	s_or_b32 exec_lo, exec_lo, s5
	s_and_saveexec_b32 s5, s0
	s_cbranch_execz .LBB165_39
.LBB165_71:
	v_bfe_u32 v7, v50, 16, 1
	s_delay_alu instid0(VALU_DEP_2) | instskip(SKIP_1) | instid1(VALU_DEP_3)
	v_add_nc_u32_e32 v6, v5, v2
	v_cmp_o_f32_e64 s3, v50, v50
	v_add3_u32 v8, v50, v7, 0x7fff
	v_mov_b32_e32 v7, 0
	s_delay_alu instid0(VALU_DEP_2) | instskip(NEXT) | instid1(VALU_DEP_2)
	v_lshrrev_b32_e32 v8, 16, v8
	v_lshlrev_b64 v[6:7], 1, v[6:7]
	s_delay_alu instid0(VALU_DEP_2) | instskip(SKIP_1) | instid1(VALU_DEP_2)
	v_cndmask_b32_e64 v8, 0x7fc0, v8, s3
	s_waitcnt lgkmcnt(0)
	v_add_co_u32 v6, s3, s8, v6
	s_delay_alu instid0(VALU_DEP_1)
	v_add_co_ci_u32_e64 v7, s3, s9, v7, s3
	global_store_b16 v[6:7], v8, off
	s_or_b32 exec_lo, exec_lo, s5
	s_and_saveexec_b32 s5, s1
	s_cbranch_execz .LBB165_40
.LBB165_72:
	v_bfe_u32 v7, v49, 16, 1
	v_add_nc_u32_e32 v6, v5, v3
	v_cmp_o_f32_e64 s3, v49, v49
	s_delay_alu instid0(VALU_DEP_3) | instskip(SKIP_1) | instid1(VALU_DEP_2)
	v_add3_u32 v8, v49, v7, 0x7fff
	v_mov_b32_e32 v7, 0
	v_lshrrev_b32_e32 v8, 16, v8
	s_delay_alu instid0(VALU_DEP_2) | instskip(NEXT) | instid1(VALU_DEP_2)
	v_lshlrev_b64 v[6:7], 1, v[6:7]
	v_cndmask_b32_e64 v8, 0x7fc0, v8, s3
	s_waitcnt lgkmcnt(0)
	s_delay_alu instid0(VALU_DEP_2) | instskip(NEXT) | instid1(VALU_DEP_1)
	v_add_co_u32 v6, s3, s8, v6
	v_add_co_ci_u32_e64 v7, s3, s9, v7, s3
	global_store_b16 v[6:7], v8, off
	s_or_b32 exec_lo, exec_lo, s5
	s_and_saveexec_b32 s5, s2
	s_cbranch_execnz .LBB165_41
	s_branch .LBB165_42
.LBB165_73:
	v_bfe_u32 v7, v47, 16, 1
	s_delay_alu instid0(VALU_DEP_2) | instskip(SKIP_1) | instid1(VALU_DEP_3)
	v_add_nc_u32_e32 v6, v5, v0
	v_cmp_o_f32_e64 s3, v47, v47
	v_add3_u32 v8, v47, v7, 0x7fff
	v_mov_b32_e32 v7, 0
	s_delay_alu instid0(VALU_DEP_2) | instskip(NEXT) | instid1(VALU_DEP_2)
	v_lshrrev_b32_e32 v8, 16, v8
	v_lshlrev_b64 v[6:7], 1, v[6:7]
	s_delay_alu instid0(VALU_DEP_2) | instskip(SKIP_1) | instid1(VALU_DEP_2)
	v_cndmask_b32_e64 v8, 0x7fc0, v8, s3
	s_waitcnt lgkmcnt(0)
	v_add_co_u32 v6, s3, s8, v6
	s_delay_alu instid0(VALU_DEP_1)
	v_add_co_ci_u32_e64 v7, s3, s9, v7, s3
	global_store_b16 v[6:7], v8, off
	s_or_b32 exec_lo, exec_lo, s5
	s_and_saveexec_b32 s5, s0
	s_cbranch_execz .LBB165_45
.LBB165_74:
	v_bfe_u32 v7, v46, 16, 1
	s_delay_alu instid0(VALU_DEP_2) | instskip(SKIP_1) | instid1(VALU_DEP_3)
	v_add_nc_u32_e32 v6, v5, v2
	v_cmp_o_f32_e64 s3, v46, v46
	v_add3_u32 v8, v46, v7, 0x7fff
	v_mov_b32_e32 v7, 0
	s_delay_alu instid0(VALU_DEP_2) | instskip(NEXT) | instid1(VALU_DEP_2)
	v_lshrrev_b32_e32 v8, 16, v8
	v_lshlrev_b64 v[6:7], 1, v[6:7]
	s_delay_alu instid0(VALU_DEP_2) | instskip(SKIP_1) | instid1(VALU_DEP_2)
	v_cndmask_b32_e64 v8, 0x7fc0, v8, s3
	s_waitcnt lgkmcnt(0)
	v_add_co_u32 v6, s3, s8, v6
	s_delay_alu instid0(VALU_DEP_1)
	v_add_co_ci_u32_e64 v7, s3, s9, v7, s3
	global_store_b16 v[6:7], v8, off
	s_or_b32 exec_lo, exec_lo, s5
	s_and_saveexec_b32 s5, s1
	s_cbranch_execz .LBB165_46
.LBB165_75:
	v_bfe_u32 v7, v45, 16, 1
	v_add_nc_u32_e32 v6, v5, v3
	v_cmp_o_f32_e64 s3, v45, v45
	s_delay_alu instid0(VALU_DEP_3) | instskip(SKIP_1) | instid1(VALU_DEP_2)
	v_add3_u32 v8, v45, v7, 0x7fff
	v_mov_b32_e32 v7, 0
	v_lshrrev_b32_e32 v8, 16, v8
	s_delay_alu instid0(VALU_DEP_2) | instskip(NEXT) | instid1(VALU_DEP_2)
	v_lshlrev_b64 v[6:7], 1, v[6:7]
	v_cndmask_b32_e64 v8, 0x7fc0, v8, s3
	s_waitcnt lgkmcnt(0)
	s_delay_alu instid0(VALU_DEP_2) | instskip(NEXT) | instid1(VALU_DEP_1)
	v_add_co_u32 v6, s3, s8, v6
	v_add_co_ci_u32_e64 v7, s3, s9, v7, s3
	global_store_b16 v[6:7], v8, off
	s_or_b32 exec_lo, exec_lo, s5
	s_and_saveexec_b32 s5, s2
	s_cbranch_execnz .LBB165_47
	s_branch .LBB165_48
.LBB165_76:
	v_bfe_u32 v7, v43, 16, 1
	s_delay_alu instid0(VALU_DEP_2) | instskip(SKIP_1) | instid1(VALU_DEP_3)
	v_add_nc_u32_e32 v6, v5, v0
	v_cmp_o_f32_e64 s3, v43, v43
	v_add3_u32 v8, v43, v7, 0x7fff
	v_mov_b32_e32 v7, 0
	s_delay_alu instid0(VALU_DEP_2) | instskip(NEXT) | instid1(VALU_DEP_2)
	v_lshrrev_b32_e32 v8, 16, v8
	v_lshlrev_b64 v[6:7], 1, v[6:7]
	s_delay_alu instid0(VALU_DEP_2) | instskip(SKIP_1) | instid1(VALU_DEP_2)
	v_cndmask_b32_e64 v8, 0x7fc0, v8, s3
	s_waitcnt lgkmcnt(0)
	v_add_co_u32 v6, s3, s8, v6
	s_delay_alu instid0(VALU_DEP_1)
	v_add_co_ci_u32_e64 v7, s3, s9, v7, s3
	global_store_b16 v[6:7], v8, off
	s_or_b32 exec_lo, exec_lo, s5
	s_and_saveexec_b32 s5, s0
	s_cbranch_execz .LBB165_51
.LBB165_77:
	v_bfe_u32 v7, v42, 16, 1
	s_delay_alu instid0(VALU_DEP_2) | instskip(SKIP_1) | instid1(VALU_DEP_3)
	v_add_nc_u32_e32 v6, v5, v2
	v_cmp_o_f32_e64 s3, v42, v42
	v_add3_u32 v8, v42, v7, 0x7fff
	v_mov_b32_e32 v7, 0
	s_delay_alu instid0(VALU_DEP_2) | instskip(NEXT) | instid1(VALU_DEP_2)
	v_lshrrev_b32_e32 v8, 16, v8
	v_lshlrev_b64 v[6:7], 1, v[6:7]
	s_delay_alu instid0(VALU_DEP_2) | instskip(SKIP_1) | instid1(VALU_DEP_2)
	v_cndmask_b32_e64 v8, 0x7fc0, v8, s3
	s_waitcnt lgkmcnt(0)
	v_add_co_u32 v6, s3, s8, v6
	s_delay_alu instid0(VALU_DEP_1)
	v_add_co_ci_u32_e64 v7, s3, s9, v7, s3
	global_store_b16 v[6:7], v8, off
	s_or_b32 exec_lo, exec_lo, s5
	s_and_saveexec_b32 s5, s1
	s_cbranch_execz .LBB165_52
.LBB165_78:
	v_bfe_u32 v7, v41, 16, 1
	v_add_nc_u32_e32 v6, v5, v3
	v_cmp_o_f32_e64 s3, v41, v41
	s_delay_alu instid0(VALU_DEP_3) | instskip(SKIP_1) | instid1(VALU_DEP_2)
	v_add3_u32 v8, v41, v7, 0x7fff
	v_mov_b32_e32 v7, 0
	v_lshrrev_b32_e32 v8, 16, v8
	s_delay_alu instid0(VALU_DEP_2) | instskip(NEXT) | instid1(VALU_DEP_2)
	v_lshlrev_b64 v[6:7], 1, v[6:7]
	v_cndmask_b32_e64 v8, 0x7fc0, v8, s3
	s_waitcnt lgkmcnt(0)
	s_delay_alu instid0(VALU_DEP_2) | instskip(NEXT) | instid1(VALU_DEP_1)
	v_add_co_u32 v6, s3, s8, v6
	v_add_co_ci_u32_e64 v7, s3, s9, v7, s3
	global_store_b16 v[6:7], v8, off
	s_or_b32 exec_lo, exec_lo, s5
	s_and_saveexec_b32 s5, s2
	s_cbranch_execnz .LBB165_53
	s_branch .LBB165_54
.LBB165_79:
	v_bfe_u32 v6, v39, 16, 1
	s_delay_alu instid0(VALU_DEP_2) | instskip(SKIP_1) | instid1(VALU_DEP_3)
	v_add_nc_u32_e32 v5, v1, v0
	v_cmp_o_f32_e32 vcc_lo, v39, v39
	v_add3_u32 v0, v39, v6, 0x7fff
	v_mov_b32_e32 v6, 0
	s_delay_alu instid0(VALU_DEP_2) | instskip(NEXT) | instid1(VALU_DEP_2)
	v_lshrrev_b32_e32 v0, 16, v0
	v_lshlrev_b64 v[5:6], 1, v[5:6]
	s_delay_alu instid0(VALU_DEP_2) | instskip(SKIP_1) | instid1(VALU_DEP_2)
	v_cndmask_b32_e32 v0, 0x7fc0, v0, vcc_lo
	s_waitcnt lgkmcnt(0)
	v_add_co_u32 v5, vcc_lo, s8, v5
	s_delay_alu instid0(VALU_DEP_3)
	v_add_co_ci_u32_e32 v6, vcc_lo, s9, v6, vcc_lo
	global_store_b16 v[5:6], v0, off
	s_or_b32 exec_lo, exec_lo, s3
	s_and_saveexec_b32 s3, s0
	s_cbranch_execz .LBB165_57
.LBB165_80:
	v_bfe_u32 v0, v38, 16, 1
	s_delay_alu instid0(VALU_DEP_2) | instskip(SKIP_1) | instid1(VALU_DEP_3)
	v_dual_mov_b32 v6, 0 :: v_dual_add_nc_u32 v5, v1, v2
	v_cmp_o_f32_e32 vcc_lo, v38, v38
	v_add3_u32 v0, v38, v0, 0x7fff
	s_delay_alu instid0(VALU_DEP_3) | instskip(NEXT) | instid1(VALU_DEP_2)
	v_lshlrev_b64 v[5:6], 1, v[5:6]
	v_lshrrev_b32_e32 v0, 16, v0
	s_delay_alu instid0(VALU_DEP_1) | instskip(SKIP_1) | instid1(VALU_DEP_3)
	v_cndmask_b32_e32 v0, 0x7fc0, v0, vcc_lo
	s_waitcnt lgkmcnt(0)
	v_add_co_u32 v5, vcc_lo, s8, v5
	s_delay_alu instid0(VALU_DEP_4)
	v_add_co_ci_u32_e32 v6, vcc_lo, s9, v6, vcc_lo
	global_store_b16 v[5:6], v0, off
	s_or_b32 exec_lo, exec_lo, s3
	s_and_saveexec_b32 s0, s1
	s_cbranch_execz .LBB165_58
.LBB165_81:
	v_bfe_u32 v0, v37, 16, 1
	v_dual_mov_b32 v3, 0 :: v_dual_add_nc_u32 v2, v1, v3
	v_cmp_o_f32_e32 vcc_lo, v37, v37
	s_delay_alu instid0(VALU_DEP_3) | instskip(NEXT) | instid1(VALU_DEP_3)
	v_add3_u32 v0, v37, v0, 0x7fff
	v_lshlrev_b64 v[2:3], 1, v[2:3]
	s_delay_alu instid0(VALU_DEP_2) | instskip(NEXT) | instid1(VALU_DEP_1)
	v_lshrrev_b32_e32 v0, 16, v0
	v_cndmask_b32_e32 v0, 0x7fc0, v0, vcc_lo
	s_waitcnt lgkmcnt(0)
	s_delay_alu instid0(VALU_DEP_3) | instskip(NEXT) | instid1(VALU_DEP_4)
	v_add_co_u32 v2, vcc_lo, s8, v2
	v_add_co_ci_u32_e32 v3, vcc_lo, s9, v3, vcc_lo
	global_store_b16 v[2:3], v0, off
	s_or_b32 exec_lo, exec_lo, s0
	s_delay_alu instid0(SALU_CYCLE_1)
	s_and_b32 exec_lo, exec_lo, s2
	s_cbranch_execnz .LBB165_59
	s_branch .LBB165_60
	.section	.rodata,"a",@progbits
	.p2align	6, 0x0
	.amdhsa_kernel _ZL12mul_mat_q8_0IN3c108BFloat16ELb0EEvPKvS3_PT_iiiii
		.amdhsa_group_segment_fixed_size 28224
		.amdhsa_private_segment_fixed_size 0
		.amdhsa_kernarg_size 44
		.amdhsa_user_sgpr_count 14
		.amdhsa_user_sgpr_dispatch_ptr 0
		.amdhsa_user_sgpr_queue_ptr 0
		.amdhsa_user_sgpr_kernarg_segment_ptr 1
		.amdhsa_user_sgpr_dispatch_id 0
		.amdhsa_user_sgpr_private_segment_size 0
		.amdhsa_wavefront_size32 1
		.amdhsa_uses_dynamic_stack 0
		.amdhsa_enable_private_segment 0
		.amdhsa_system_sgpr_workgroup_id_x 1
		.amdhsa_system_sgpr_workgroup_id_y 1
		.amdhsa_system_sgpr_workgroup_id_z 0
		.amdhsa_system_sgpr_workgroup_info 0
		.amdhsa_system_vgpr_workitem_id 1
		.amdhsa_next_free_vgpr 156
		.amdhsa_next_free_sgpr 16
		.amdhsa_reserve_vcc 1
		.amdhsa_float_round_mode_32 0
		.amdhsa_float_round_mode_16_64 0
		.amdhsa_float_denorm_mode_32 3
		.amdhsa_float_denorm_mode_16_64 3
		.amdhsa_dx10_clamp 1
		.amdhsa_ieee_mode 1
		.amdhsa_fp16_overflow 0
		.amdhsa_workgroup_processor_mode 1
		.amdhsa_memory_ordered 1
		.amdhsa_forward_progress 0
		.amdhsa_shared_vgpr_count 0
		.amdhsa_exception_fp_ieee_invalid_op 0
		.amdhsa_exception_fp_denorm_src 0
		.amdhsa_exception_fp_ieee_div_zero 0
		.amdhsa_exception_fp_ieee_overflow 0
		.amdhsa_exception_fp_ieee_underflow 0
		.amdhsa_exception_fp_ieee_inexact 0
		.amdhsa_exception_int_div_zero 0
	.end_amdhsa_kernel
	.section	.text._ZL12mul_mat_q8_0IN3c108BFloat16ELb0EEvPKvS3_PT_iiiii,"axG",@progbits,_ZL12mul_mat_q8_0IN3c108BFloat16ELb0EEvPKvS3_PT_iiiii,comdat
.Lfunc_end165:
	.size	_ZL12mul_mat_q8_0IN3c108BFloat16ELb0EEvPKvS3_PT_iiiii, .Lfunc_end165-_ZL12mul_mat_q8_0IN3c108BFloat16ELb0EEvPKvS3_PT_iiiii
                                        ; -- End function
	.section	.AMDGPU.csdata,"",@progbits
; Kernel info:
; codeLenInByte = 10024
; NumSgprs: 18
; NumVgprs: 156
; ScratchSize: 0
; MemoryBound: 0
; FloatMode: 240
; IeeeMode: 1
; LDSByteSize: 28224 bytes/workgroup (compile time only)
; SGPRBlocks: 2
; VGPRBlocks: 19
; NumSGPRsForWavesPerEU: 18
; NumVGPRsForWavesPerEU: 156
; Occupancy: 8
; WaveLimiterHint : 0
; COMPUTE_PGM_RSRC2:SCRATCH_EN: 0
; COMPUTE_PGM_RSRC2:USER_SGPR: 14
; COMPUTE_PGM_RSRC2:TRAP_HANDLER: 0
; COMPUTE_PGM_RSRC2:TGID_X_EN: 1
; COMPUTE_PGM_RSRC2:TGID_Y_EN: 1
; COMPUTE_PGM_RSRC2:TGID_Z_EN: 0
; COMPUTE_PGM_RSRC2:TIDIG_COMP_CNT: 1
	.section	.text._ZL12mul_mat_q8_0IN3c108BFloat16ELb1EEvPKvS3_PT_iiiii,"axG",@progbits,_ZL12mul_mat_q8_0IN3c108BFloat16ELb1EEvPKvS3_PT_iiiii,comdat
	.globl	_ZL12mul_mat_q8_0IN3c108BFloat16ELb1EEvPKvS3_PT_iiiii ; -- Begin function _ZL12mul_mat_q8_0IN3c108BFloat16ELb1EEvPKvS3_PT_iiiii
	.p2align	8
	.type	_ZL12mul_mat_q8_0IN3c108BFloat16ELb1EEvPKvS3_PT_iiiii,@function
_ZL12mul_mat_q8_0IN3c108BFloat16ELb1EEvPKvS3_PT_iiiii: ; @_ZL12mul_mat_q8_0IN3c108BFloat16ELb1EEvPKvS3_PT_iiiii
; %bb.0:
	s_clause 0x1
	s_load_b128 s[4:7], s[0:1], 0x18
	s_load_b32 s10, s[0:1], 0x28
	v_bfe_u32 v71, v0, 10, 10
	v_and_b32_e32 v72, 0x3ff, v0
	s_lshl_b32 s11, s15, 6
	s_waitcnt lgkmcnt(0)
	s_cmp_gt_i32 s4, 31
	s_cbranch_scc1 .LBB166_2
; %bb.1:
	v_bfe_u32 v1, v0, 10, 10
	v_and_b32_e32 v0, 0x3ff, v0
	s_mov_b32 s2, 0
	s_mov_b32 s3, 0
	s_delay_alu instid0(VALU_DEP_2)
	v_add_nc_u32_e32 v78, s11, v1
	s_branch .LBB166_3
.LBB166_2:
	s_mov_b32 s2, -1
                                        ; implicit-def: $sgpr3
                                        ; implicit-def: $vgpr1
                                        ; implicit-def: $vgpr0
                                        ; implicit-def: $vgpr78
.LBB166_3:
	s_load_b64 s[8:9], s[0:1], 0x10
	v_dual_mov_b32 v52, s3 :: v_dual_mov_b32 v75, s3
	v_dual_mov_b32 v56, s3 :: v_dual_mov_b32 v93, s3
	;; [unrolled: 1-line block ×15, first 2 shown]
	v_mov_b32_e32 v80, s3
	v_mov_b32_e32 v74, s3
	s_and_not1_b32 vcc_lo, exec_lo, s2
	s_lshl_b32 s12, s14, 7
	s_cbranch_vccnz .LBB166_9
; %bb.4:
	s_load_b128 s[0:3], s[0:1], 0x0
	s_ashr_i32 s13, s4, 31
	s_ashr_i32 s14, s7, 31
	s_lshr_b32 s13, s13, 27
	v_dual_mov_b32 v74, 0 :: v_dual_add_nc_u32 v33, 8, v71
	s_add_i32 s4, s4, s13
	s_lshr_b32 s13, s14, 27
	s_ashr_i32 s4, s4, 5
	s_add_i32 s7, s7, s13
	s_mul_i32 s13, s4, s12
	s_ashr_i32 s7, s7, 5
	s_mul_i32 s14, s13, 34
	s_mul_hi_i32 s13, s13, 34
	v_dual_mov_b32 v73, 0 :: v_dual_add_nc_u32 v34, 16, v71
	v_dual_mov_b32 v80, 0 :: v_dual_add_nc_u32 v35, 24, v71
	;; [unrolled: 1-line block ×3, first 2 shown]
	s_waitcnt lgkmcnt(0)
	s_add_u32 s0, s0, s14
	s_addc_u32 s1, s1, s13
	s_not_b32 s13, s12
	v_dual_mov_b32 v91, 0 :: v_dual_lshlrev_b32 v18, 2, v72
	s_add_i32 s5, s13, s5
	v_dual_mov_b32 v90, 0 :: v_dual_add_nc_u32 v37, 40, v71
	v_min_i32_e32 v2, s5, v71
	v_min_i32_e32 v3, s5, v33
	;; [unrolled: 1-line block ×5, first 2 shown]
	v_mad_u64_u32 v[0:1], null, 0x84, v2, v[18:19]
	v_min_i32_e32 v7, s5, v37
	v_mul_lo_u32 v82, v2, s4
	v_mad_u64_u32 v[1:2], null, 0x84, v3, v[18:19]
	v_dual_mov_b32 v63, 0 :: v_dual_add_nc_u32 v38, 48, v71
	v_dual_mov_b32 v59, 0 :: v_dual_add_nc_u32 v78, s11, v71
	v_mul_lo_u32 v83, v3, s4
	v_mad_u64_u32 v[2:3], null, 0x84, v4, v[18:19]
	v_mul_lo_u32 v85, v4, s4
	v_mad_u64_u32 v[3:4], null, 0x84, v5, v[18:19]
	;; [unrolled: 2-line block ×4, first 2 shown]
	v_min_i32_e32 v8, s5, v38
	v_dual_mov_b32 v55, 0 :: v_dual_add_nc_u32 v6, 8, v78
	v_dual_mov_b32 v66, 0 :: v_dual_add_nc_u32 v9, 16, v78
	v_mul_lo_u32 v88, v7, s4
	s_delay_alu instid0(VALU_DEP_3) | instskip(SKIP_1) | instid1(VALU_DEP_4)
	v_cvt_f64_u32_e32 v[16:17], v6
	v_mad_u64_u32 v[6:7], null, 0x84, v8, v[18:19]
	v_cvt_f64_u32_e32 v[19:20], v9
	s_add_i32 s13, s6, -1
	v_dual_mov_b32 v77, 0 :: v_dual_add_nc_u32 v10, 24, v78
	v_cvt_f64_i32_e32 v[14:15], s13
	v_dual_mov_b32 v62, 0 :: v_dual_add_nc_u32 v7, 32, v78
	s_delay_alu instid0(VALU_DEP_3)
	v_cvt_f64_u32_e32 v[21:22], v10
	v_dual_mov_b32 v69, 0 :: v_dual_add_nc_u32 v10, 40, v78
	v_dual_mov_b32 v58, 0 :: v_dual_add_nc_u32 v11, 48, v78
	;; [unrolled: 1-line block ×3, first 2 shown]
	v_mul_lo_u32 v92, v8, s4
	v_dual_mov_b32 v89, 0 :: v_dual_add_nc_u32 v8, 64, v71
	v_cvt_f64_u32_e32 v[23:24], v7
	v_cvt_f64_u32_e32 v[25:26], v10
	;; [unrolled: 1-line block ×3, first 2 shown]
	v_dual_mov_b32 v65, 0 :: v_dual_add_nc_u32 v10, 0x48, v71
	v_dual_mov_b32 v54, 0 :: v_dual_add_nc_u32 v11, 56, v78
	;; [unrolled: 1-line block ×3, first 2 shown]
	v_min_i32_e32 v9, s5, v39
	v_min_i32_e32 v31, s5, v8
	s_delay_alu instid0(VALU_DEP_4)
	v_cvt_f64_u32_e32 v[29:30], v11
	v_min_i32_e32 v11, s5, v10
	v_min_i32_e32 v32, s5, v32
	v_cvt_f64_u32_e32 v[12:13], v78
	v_mul_lo_u32 v95, v9, s4
	v_mul_lo_u32 v97, v31, s4
	;; [unrolled: 1-line block ×3, first 2 shown]
	v_lshrrev_b32_e32 v42, 2, v72
	v_mov_b32_e32 v94, 0
	v_mul_lo_u32 v99, v32, s4
	v_mad_u64_u32 v[7:8], null, 0x84, v9, v[18:19]
	v_mad_u64_u32 v[8:9], null, 0x84, v31, v[18:19]
	;; [unrolled: 1-line block ×4, first 2 shown]
	v_min_f64 v[19:20], v[19:20], v[14:15]
	v_min_f64 v[21:22], v[21:22], v[14:15]
	v_add_nc_u32_e32 v31, 0x58, v71
	v_min_f64 v[16:17], v[16:17], v[14:15]
	v_dual_mov_b32 v76, 0 :: v_dual_add_nc_u32 v41, 0x60, v71
	v_mov_b32_e32 v84, 0
	s_delay_alu instid0(VALU_DEP_4) | instskip(SKIP_3) | instid1(VALU_DEP_4)
	v_min_i32_e32 v40, s5, v31
	v_dual_mov_b32 v68, 0 :: v_dual_add_nc_u32 v43, 0x70, v71
	v_min_f64 v[23:24], v[23:24], v[14:15]
	v_min_f64 v[25:26], v[25:26], v[14:15]
	v_mul_lo_u32 v100, v40, s4
	v_min_i32_e32 v41, s5, v41
	v_min_f64 v[27:28], v[27:28], v[14:15]
	v_mov_b32_e32 v64, 0
	v_min_i32_e32 v43, s5, v43
	v_dual_mov_b32 v96, 0 :: v_dual_and_b32 v81, 28, v18
	v_mul_lo_u32 v101, v41, s4
	v_min_f64 v[29:30], v[29:30], v[14:15]
	s_delay_alu instid0(VALU_DEP_4)
	v_mul_lo_u32 v103, v43, s4
	v_lshrrev_b32_e32 v79, 3, v72
	v_min_f64 v[31:32], v[12:13], v[14:15]
	v_add_nc_u32_e32 v13, 0x68, v71
	v_mov_b32_e32 v57, 0
	v_mul_u32_u24_e32 v124, 0x84, v72
	v_lshl_add_u32 v130, v71, 4, 0x6a40
	v_mov_b32_e32 v60, 0
	v_dual_mov_b32 v56, 0 :: v_dual_mov_b32 v93, 0
	v_dual_mov_b32 v52, 0 :: v_dual_mov_b32 v75, 0
	v_mov_b32_e32 v53, 0
	v_mad_u64_u32 v[11:12], null, 0x84, v40, v[18:19]
	v_lshl_add_u32 v40, v71, 3, v42
	v_min_i32_e32 v42, s5, v13
	v_mad_u64_u32 v[12:13], null, 0x84, v41, v[18:19]
	v_cvt_i32_f64_e32 v21, v[21:22]
	s_delay_alu instid0(VALU_DEP_4)
	v_min_i32_e32 v44, s5, v40
	v_add_nc_u32_e32 v41, 64, v40
	v_mul_lo_u32 v102, v42, s4
	v_cvt_i32_f64_e32 v22, v[23:24]
	v_cvt_i32_f64_e32 v24, v[25:26]
	v_ashrrev_i32_e32 v13, 31, v44
	v_min_i32_e32 v41, s5, v41
	v_cvt_i32_f64_e32 v25, v[27:28]
	v_cvt_i32_f64_e32 v47, v[19:20]
	v_lshlrev_b32_e32 v26, 4, v44
	v_lshrrev_b32_e32 v15, 29, v13
	v_ashrrev_i32_e32 v46, 31, v41
	v_mad_u64_u32 v[13:14], null, 0x84, v42, v[18:19]
	v_add_nc_u32_e32 v42, 0x78, v71
	s_delay_alu instid0(VALU_DEP_4) | instskip(SKIP_2) | instid1(VALU_DEP_4)
	v_add_nc_u32_e32 v45, v44, v15
	v_mad_u64_u32 v[14:15], null, 0x84, v43, v[18:19]
	v_cvt_i32_f64_e32 v31, v[31:32]
	v_min_i32_e32 v42, s5, v42
	s_delay_alu instid0(VALU_DEP_4)
	v_ashrrev_i32_e32 v43, 3, v45
	v_lshrrev_b32_e32 v45, 29, v46
	v_and_b32_e32 v15, 3, v72
	v_cvt_i32_f64_e32 v28, v[29:30]
	v_mul_lo_u32 v106, v41, s4
	v_lshlrev_b32_e32 v32, 2, v43
	v_add_nc_u32_e32 v45, v41, v45
	v_cvt_i32_f64_e32 v43, v[16:17]
	v_mad_u64_u32 v[16:17], null, 0x84, v42, v[18:19]
	v_and_b32_e32 v18, 63, v40
	s_delay_alu instid0(VALU_DEP_4)
	v_ashrrev_i32_e32 v17, 3, v45
	v_lshlrev_b32_e32 v46, 2, v15
	v_lshlrev_b32_e32 v29, 4, v41
	;; [unrolled: 1-line block ×3, first 2 shown]
	v_or_b32_e32 v19, s11, v18
	v_lshlrev_b32_e32 v17, 2, v17
	v_mul_lo_u32 v114, s7, v21
	v_mul_lo_u32 v104, v42, s4
	v_add3_u32 v23, v32, v46, 0x6200
	v_min_i32_e32 v30, s13, v19
	v_add3_u32 v27, v17, v46, 0x6200
	v_and_b32_e32 v17, 31, v72
	v_mul_lo_u32 v116, s7, v22
	v_mul_lo_u32 v118, s7, v24
	v_mad_u64_u32 v[19:20], null, v30, s7, v[15:16]
	s_delay_alu instid0(VALU_DEP_4)
	v_lshlrev_b32_e32 v40, 2, v17
	v_add_nc_u32_e32 v24, 32, v72
	v_lshl_or_b32 v32, v18, 4, v46
	v_mul_lo_u32 v120, s7, v25
	v_lshlrev_b32_e32 v25, 2, v79
	v_lshl_or_b32 v20, v33, 7, v40
	v_lshl_or_b32 v21, v36, 7, v40
	;; [unrolled: 1-line block ×3, first 2 shown]
	v_or_b32_e32 v42, v41, v40
	v_lshl_or_b32 v30, v34, 7, v40
	v_add_nc_u32_e32 v111, 0x4200, v20
	v_lshl_or_b32 v20, v35, 7, v40
	v_add_nc_u32_e32 v117, 0x4200, v21
	v_add_nc_u32_e32 v121, 0x4200, v22
	;; [unrolled: 1-line block ×5, first 2 shown]
	v_lshl_or_b32 v20, v37, 7, v40
	v_mul_lo_u32 v105, v44, s4
	v_mul_lo_u32 v108, s7, v31
	;; [unrolled: 1-line block ×4, first 2 shown]
	v_add_nc_u32_e32 v119, 0x4200, v20
	v_lshl_or_b32 v20, v39, 7, v40
	v_mul_lo_u32 v122, s7, v28
	v_add_co_u32 v17, s5, s2, v81
	s_delay_alu instid0(VALU_DEP_1) | instskip(NEXT) | instid1(VALU_DEP_4)
	v_add_co_ci_u32_e64 v18, null, s3, 0, s5
	v_add_nc_u32_e32 v123, 0x4200, v20
	v_lshrrev_b32_e32 v20, 1, v21
	v_lshrrev_b32_e32 v21, 1, v22
	;; [unrolled: 1-line block ×3, first 2 shown]
	v_lshlrev_b32_e32 v24, 4, v72
	v_add_nc_u32_e32 v107, 0x6a40, v32
	v_and_b32_e32 v20, 0xfc, v20
	v_and_b32_e32 v21, 0xfc, v21
	;; [unrolled: 1-line block ×3, first 2 shown]
	v_add_nc_u32_e32 v109, 0x4200, v42
	v_add_nc_u32_e32 v113, 0x4200, v30
	;; [unrolled: 1-line block ×3, first 2 shown]
	v_add3_u32 v126, v24, v20, 0x6800
	v_add3_u32 v127, v24, v21, 0x6600
	;; [unrolled: 1-line block ×4, first 2 shown]
	v_add_nc_u32_e32 v131, v23, v26
	v_add_nc_u32_e32 v132, v27, v29
	s_mov_b32 s5, 0
.LBB166_5:                              ; =>This Loop Header: Depth=1
                                        ;     Child Loop BB166_6 Depth 2
	s_delay_alu instid0(SALU_CYCLE_1)
	s_mul_i32 s7, s5, 34
	s_mul_hi_u32 s13, s5, 34
	s_add_u32 s14, s0, s7
	s_addc_u32 s15, s1, s13
	v_dual_mov_b32 v133, v130 :: v_dual_add_nc_u32 v50, s5, v19
	v_mad_u64_u32 v[20:21], null, v79, 34, s[14:15]
	v_dual_mov_b32 v134, v129 :: v_dual_add_nc_u32 v51, s5, v79
	v_mov_b32_e32 v136, v127
	v_mov_b32_e32 v138, v125
	s_mov_b32 s7, -8
	v_mov_b32_e32 v135, v128
	v_add_co_u32 v20, vcc_lo, v20, v81
	v_add_co_ci_u32_e32 v21, vcc_lo, 0, v21, vcc_lo
	v_mov_b32_e32 v139, v124
	s_delay_alu instid0(VALU_DEP_3) | instskip(NEXT) | instid1(VALU_DEP_3)
	v_add_co_u32 v20, vcc_lo, v20, 2
	v_add_co_ci_u32_e32 v21, vcc_lo, 0, v21, vcc_lo
	v_mov_b32_e32 v137, v126
	s_delay_alu instid0(VALU_DEP_2)
	v_mad_i64_i32 v[22:23], null, v82, 34, v[20:21]
	v_mad_i64_i32 v[24:25], null, v83, 34, v[20:21]
	;; [unrolled: 1-line block ×8, first 2 shown]
	s_clause 0x7
	global_load_b32 v42, v[22:23], off
	global_load_b32 v43, v[24:25], off
	;; [unrolled: 1-line block ×8, first 2 shown]
	v_mad_u64_u32 v[32:33], null, v15, 34, s[14:15]
	v_mad_i64_i32 v[22:23], null, v97, 34, v[20:21]
	v_mad_i64_i32 v[24:25], null, v98, 34, v[20:21]
	;; [unrolled: 1-line block ×10, first 2 shown]
	v_mad_u64_u32 v[32:33], null, v50, 36, s[2:3]
	s_clause 0x9
	global_load_b32 v50, v[22:23], off
	global_load_b32 v140, v[24:25], off
	;; [unrolled: 1-line block ×8, first 2 shown]
	global_load_u16 v38, v[20:21], off
	global_load_u16 v39, v[40:41], off
	v_add_nc_u32_e32 v22, v51, v110
	v_add_nc_u32_e32 v24, v51, v112
	;; [unrolled: 1-line block ×5, first 2 shown]
	global_load_b32 v41, v[32:33], off
	v_mad_i64_i32 v[20:21], null, v22, 36, v[17:18]
	v_add_nc_u32_e32 v32, v51, v120
	v_mad_i64_i32 v[22:23], null, v24, 36, v[17:18]
	v_add_nc_u32_e32 v34, v51, v122
	v_add_nc_u32_e32 v40, v51, v108
	v_mad_i64_i32 v[24:25], null, v26, 36, v[17:18]
	v_mad_i64_i32 v[26:27], null, v28, 36, v[17:18]
	;; [unrolled: 1-line block ×6, first 2 shown]
	s_clause 0x7
	global_load_b32 v20, v[20:21], off offset:4
	global_load_b32 v21, v[22:23], off offset:4
	;; [unrolled: 1-line block ×8, first 2 shown]
	s_waitcnt vmcnt(10)
	v_cvt_f32_f16_e32 v29, v38
	s_waitcnt vmcnt(9)
	v_cvt_f32_f16_e32 v30, v39
	;; [unrolled: 2-line block ×3, first 2 shown]
	ds_store_b32 v0, v42
	ds_store_b32 v1, v43
	;; [unrolled: 1-line block ×18, first 2 shown]
	s_waitcnt vmcnt(7)
	ds_store_b32 v111, v20
	s_waitcnt vmcnt(6)
	ds_store_b32 v113, v21
	;; [unrolled: 2-line block ×8, first 2 shown]
	ds_store_b32 v107, v28
	s_waitcnt lgkmcnt(0)
	s_barrier
	buffer_gl0_inv
.LBB166_6:                              ;   Parent Loop BB166_5 Depth=1
                                        ; =>  This Inner Loop Header: Depth=2
	ds_load_2addr_b32 v[151:152], v133 offset1:32
	ds_load_b128 v[46:49], v138
	ds_load_b128 v[144:147], v138 offset:16
	ds_load_b32 v140, v134
	ds_load_2addr_b32 v[20:21], v139 offset1:1
	s_add_i32 s7, s7, 8
	v_add_nc_u32_e32 v35, 0x1098, v139
	s_cmp_lt_u32 s7, 24
	s_waitcnt lgkmcnt(1)
	v_dual_mul_f32 v29, v151, v140 :: v_dual_add_nc_u32 v134, 4, v134
	s_waitcnt lgkmcnt(0)
	v_dot4_i32_iu8 v22, v20, v46, 0 neg_lo:[1,1,0]
	v_mul_f32_e32 v154, v140, v152
	s_delay_alu instid0(VALU_DEP_2) | instskip(SKIP_3) | instid1(VALU_DEP_1)
	v_dot4_i32_iu8 v24, v21, v47, v22 neg_lo:[1,1,0]
	ds_load_2addr_b32 v[22:23], v139 offset0:2 offset1:3
	s_waitcnt lgkmcnt(0)
	v_dot4_i32_iu8 v24, v22, v48, v24 neg_lo:[1,1,0]
	v_dot4_i32_iu8 v26, v23, v49, v24 neg_lo:[1,1,0]
	ds_load_2addr_b32 v[24:25], v139 offset0:4 offset1:5
	s_waitcnt lgkmcnt(0)
	v_dot4_i32_iu8 v26, v24, v144, v26 neg_lo:[1,1,0]
	s_delay_alu instid0(VALU_DEP_1) | instskip(SKIP_3) | instid1(VALU_DEP_1)
	v_dot4_i32_iu8 v28, v25, v145, v26 neg_lo:[1,1,0]
	ds_load_2addr_b32 v[26:27], v139 offset0:6 offset1:7
	s_waitcnt lgkmcnt(0)
	v_dot4_i32_iu8 v28, v26, v146, v28 neg_lo:[1,1,0]
	v_dot4_i32_iu8 v28, v27, v147, v28 neg_lo:[1,1,0]
	s_delay_alu instid0(VALU_DEP_1) | instskip(NEXT) | instid1(VALU_DEP_1)
	v_cvt_f32_i32_e32 v28, v28
	v_fmac_f32_e32 v74, v29, v28
	v_add_nc_u32_e32 v28, 0x1080, v139
	ds_load_b32 v141, v135
	ds_load_2addr_b32 v[28:29], v28 offset1:1
	ds_load_2addr_b32 v[36:37], v35 offset1:1
	v_add_nc_u32_e32 v135, 4, v135
	s_waitcnt lgkmcnt(2)
	v_mul_f32_e32 v35, v151, v141
	s_waitcnt lgkmcnt(1)
	v_dot4_i32_iu8 v30, v28, v46, 0 neg_lo:[1,1,0]
	s_delay_alu instid0(VALU_DEP_1) | instskip(SKIP_4) | instid1(VALU_DEP_1)
	v_dot4_i32_iu8 v32, v29, v47, v30 neg_lo:[1,1,0]
	v_add_nc_u32_e32 v30, 0x1088, v139
	ds_load_2addr_b32 v[30:31], v30 offset1:1
	s_waitcnt lgkmcnt(0)
	v_dot4_i32_iu8 v32, v30, v48, v32 neg_lo:[1,1,0]
	v_dot4_i32_iu8 v34, v31, v49, v32 neg_lo:[1,1,0]
	v_add_nc_u32_e32 v32, 0x1090, v139
	ds_load_2addr_b32 v[32:33], v32 offset1:1
	s_waitcnt lgkmcnt(0)
	v_dot4_i32_iu8 v34, v32, v144, v34 neg_lo:[1,1,0]
	s_delay_alu instid0(VALU_DEP_1) | instskip(NEXT) | instid1(VALU_DEP_1)
	v_dot4_i32_iu8 v34, v33, v145, v34 neg_lo:[1,1,0]
	v_dot4_i32_iu8 v34, v36, v146, v34 neg_lo:[1,1,0]
	s_delay_alu instid0(VALU_DEP_1) | instskip(NEXT) | instid1(VALU_DEP_1)
	v_dot4_i32_iu8 v34, v37, v147, v34 neg_lo:[1,1,0]
	v_cvt_f32_i32_e32 v34, v34
	s_delay_alu instid0(VALU_DEP_1)
	v_fmac_f32_e32 v96, v35, v34
	v_add_nc_u32_e32 v34, 0x2100, v139
	ds_load_b32 v142, v136
	ds_load_2addr_b32 v[34:35], v34 offset1:1
	s_waitcnt lgkmcnt(1)
	v_dual_mul_f32 v45, v151, v142 :: v_dual_add_nc_u32 v136, 4, v136
	s_waitcnt lgkmcnt(0)
	v_dot4_i32_iu8 v38, v34, v46, 0 neg_lo:[1,1,0]
	s_delay_alu instid0(VALU_DEP_1) | instskip(SKIP_4) | instid1(VALU_DEP_1)
	v_dot4_i32_iu8 v40, v35, v47, v38 neg_lo:[1,1,0]
	v_add_nc_u32_e32 v38, 0x2108, v139
	ds_load_2addr_b32 v[38:39], v38 offset1:1
	s_waitcnt lgkmcnt(0)
	v_dot4_i32_iu8 v40, v38, v48, v40 neg_lo:[1,1,0]
	v_dot4_i32_iu8 v42, v39, v49, v40 neg_lo:[1,1,0]
	v_add_nc_u32_e32 v40, 0x2110, v139
	ds_load_2addr_b32 v[40:41], v40 offset1:1
	s_waitcnt lgkmcnt(0)
	v_dot4_i32_iu8 v42, v40, v144, v42 neg_lo:[1,1,0]
	s_delay_alu instid0(VALU_DEP_1) | instskip(SKIP_4) | instid1(VALU_DEP_1)
	v_dot4_i32_iu8 v44, v41, v145, v42 neg_lo:[1,1,0]
	v_add_nc_u32_e32 v42, 0x2118, v139
	ds_load_2addr_b32 v[42:43], v42 offset1:1
	s_waitcnt lgkmcnt(0)
	v_dot4_i32_iu8 v44, v42, v146, v44 neg_lo:[1,1,0]
	v_dot4_i32_iu8 v44, v43, v147, v44 neg_lo:[1,1,0]
	s_delay_alu instid0(VALU_DEP_1) | instskip(NEXT) | instid1(VALU_DEP_1)
	v_cvt_f32_i32_e32 v44, v44
	v_fmac_f32_e32 v94, v45, v44
	v_add_nc_u32_e32 v44, 0x3180, v139
	ds_load_b32 v143, v137
	ds_load_2addr_b32 v[44:45], v44 offset1:1
	v_add_nc_u32_e32 v137, 4, v137
	s_waitcnt lgkmcnt(0)
	v_dot4_i32_iu8 v46, v44, v46, 0 neg_lo:[1,1,0]
	s_delay_alu instid0(VALU_DEP_1) | instskip(SKIP_4) | instid1(VALU_DEP_1)
	v_dot4_i32_iu8 v50, v45, v47, v46 neg_lo:[1,1,0]
	v_add_nc_u32_e32 v46, 0x3188, v139
	ds_load_2addr_b32 v[46:47], v46 offset1:1
	s_waitcnt lgkmcnt(0)
	v_dot4_i32_iu8 v48, v46, v48, v50 neg_lo:[1,1,0]
	v_dot4_i32_iu8 v50, v47, v49, v48 neg_lo:[1,1,0]
	v_add_nc_u32_e32 v48, 0x3190, v139
	ds_load_2addr_b32 v[48:49], v48 offset1:1
	s_waitcnt lgkmcnt(0)
	v_dot4_i32_iu8 v50, v48, v144, v50 neg_lo:[1,1,0]
	s_delay_alu instid0(VALU_DEP_1)
	v_dot4_i32_iu8 v144, v49, v145, v50 neg_lo:[1,1,0]
	v_add_nc_u32_e32 v50, 0x3198, v139
	v_mul_f32_e32 v145, v151, v143
	v_add_nc_u32_e32 v139, 32, v139
	ds_load_2addr_b32 v[50:51], v50 offset1:1
	s_waitcnt lgkmcnt(0)
	v_dot4_i32_iu8 v144, v50, v146, v144 neg_lo:[1,1,0]
	s_delay_alu instid0(VALU_DEP_1) | instskip(NEXT) | instid1(VALU_DEP_1)
	v_dot4_i32_iu8 v144, v51, v147, v144 neg_lo:[1,1,0]
	v_cvt_f32_i32_e32 v144, v144
	s_delay_alu instid0(VALU_DEP_1) | instskip(SKIP_4) | instid1(VALU_DEP_1)
	v_fmac_f32_e32 v93, v145, v144
	ds_load_b128 v[144:147], v138 offset:1024
	ds_load_b128 v[148:151], v138 offset:1040
	s_waitcnt lgkmcnt(1)
	v_dot4_i32_iu8 v153, v144, v20, 0 neg_lo:[1,1,0]
	v_dot4_i32_iu8 v153, v145, v21, v153 neg_lo:[1,1,0]
	s_delay_alu instid0(VALU_DEP_1) | instskip(NEXT) | instid1(VALU_DEP_1)
	v_dot4_i32_iu8 v153, v146, v22, v153 neg_lo:[1,1,0]
	v_dot4_i32_iu8 v153, v147, v23, v153 neg_lo:[1,1,0]
	s_waitcnt lgkmcnt(0)
	s_delay_alu instid0(VALU_DEP_1) | instskip(NEXT) | instid1(VALU_DEP_1)
	v_dot4_i32_iu8 v153, v148, v24, v153 neg_lo:[1,1,0]
	v_dot4_i32_iu8 v153, v149, v25, v153 neg_lo:[1,1,0]
	s_delay_alu instid0(VALU_DEP_1) | instskip(NEXT) | instid1(VALU_DEP_1)
	v_dot4_i32_iu8 v153, v150, v26, v153 neg_lo:[1,1,0]
	v_dot4_i32_iu8 v153, v151, v27, v153 neg_lo:[1,1,0]
	s_delay_alu instid0(VALU_DEP_1) | instskip(NEXT) | instid1(VALU_DEP_1)
	v_cvt_f32_i32_e32 v153, v153
	v_fmac_f32_e32 v91, v154, v153
	v_dot4_i32_iu8 v153, v144, v28, 0 neg_lo:[1,1,0]
	v_mul_f32_e32 v154, v141, v152
	s_delay_alu instid0(VALU_DEP_2) | instskip(NEXT) | instid1(VALU_DEP_1)
	v_dot4_i32_iu8 v153, v145, v29, v153 neg_lo:[1,1,0]
	v_dot4_i32_iu8 v153, v146, v30, v153 neg_lo:[1,1,0]
	s_delay_alu instid0(VALU_DEP_1) | instskip(NEXT) | instid1(VALU_DEP_1)
	v_dot4_i32_iu8 v153, v147, v31, v153 neg_lo:[1,1,0]
	v_dot4_i32_iu8 v153, v148, v32, v153 neg_lo:[1,1,0]
	s_delay_alu instid0(VALU_DEP_1) | instskip(NEXT) | instid1(VALU_DEP_1)
	;; [unrolled: 3-line block ×3, first 2 shown]
	v_dot4_i32_iu8 v153, v151, v37, v153 neg_lo:[1,1,0]
	v_cvt_f32_i32_e32 v153, v153
	s_delay_alu instid0(VALU_DEP_1) | instskip(SKIP_3) | instid1(VALU_DEP_3)
	v_fmac_f32_e32 v90, v154, v153
	v_dot4_i32_iu8 v153, v144, v34, 0 neg_lo:[1,1,0]
	v_dot4_i32_iu8 v144, v144, v44, 0 neg_lo:[1,1,0]
	v_mul_f32_e32 v154, v142, v152
	v_dot4_i32_iu8 v153, v145, v35, v153 neg_lo:[1,1,0]
	s_delay_alu instid0(VALU_DEP_3) | instskip(SKIP_1) | instid1(VALU_DEP_3)
	v_dot4_i32_iu8 v144, v145, v45, v144 neg_lo:[1,1,0]
	v_mul_f32_e32 v145, v143, v152
	v_dot4_i32_iu8 v153, v146, v38, v153 neg_lo:[1,1,0]
	s_delay_alu instid0(VALU_DEP_3) | instskip(NEXT) | instid1(VALU_DEP_2)
	v_dot4_i32_iu8 v144, v146, v46, v144 neg_lo:[1,1,0]
	v_dot4_i32_iu8 v153, v147, v39, v153 neg_lo:[1,1,0]
	s_delay_alu instid0(VALU_DEP_2) | instskip(NEXT) | instid1(VALU_DEP_2)
	v_dot4_i32_iu8 v144, v147, v47, v144 neg_lo:[1,1,0]
	v_dot4_i32_iu8 v153, v148, v40, v153 neg_lo:[1,1,0]
	s_delay_alu instid0(VALU_DEP_2) | instskip(NEXT) | instid1(VALU_DEP_2)
	;; [unrolled: 3-line block ×5, first 2 shown]
	v_dot4_i32_iu8 v144, v151, v51, v144 neg_lo:[1,1,0]
	v_cvt_f32_i32_e32 v153, v153
	s_delay_alu instid0(VALU_DEP_2) | instskip(NEXT) | instid1(VALU_DEP_1)
	v_cvt_f32_i32_e32 v144, v144
	v_dual_fmac_f32 v89, v154, v153 :: v_dual_fmac_f32 v84, v145, v144
	ds_load_2addr_b32 v[152:153], v133 offset0:64 offset1:96
	ds_load_b128 v[144:147], v138 offset:2048
	ds_load_b128 v[148:151], v138 offset:2064
	s_waitcnt lgkmcnt(2)
	v_mul_f32_e32 v155, v140, v152
	s_waitcnt lgkmcnt(1)
	v_dot4_i32_iu8 v154, v144, v20, 0 neg_lo:[1,1,0]
	s_delay_alu instid0(VALU_DEP_1) | instskip(NEXT) | instid1(VALU_DEP_1)
	v_dot4_i32_iu8 v154, v145, v21, v154 neg_lo:[1,1,0]
	v_dot4_i32_iu8 v154, v146, v22, v154 neg_lo:[1,1,0]
	s_delay_alu instid0(VALU_DEP_1) | instskip(SKIP_1) | instid1(VALU_DEP_1)
	v_dot4_i32_iu8 v154, v147, v23, v154 neg_lo:[1,1,0]
	s_waitcnt lgkmcnt(0)
	v_dot4_i32_iu8 v154, v148, v24, v154 neg_lo:[1,1,0]
	s_delay_alu instid0(VALU_DEP_1) | instskip(NEXT) | instid1(VALU_DEP_1)
	v_dot4_i32_iu8 v154, v149, v25, v154 neg_lo:[1,1,0]
	v_dot4_i32_iu8 v154, v150, v26, v154 neg_lo:[1,1,0]
	s_delay_alu instid0(VALU_DEP_1) | instskip(NEXT) | instid1(VALU_DEP_1)
	v_dot4_i32_iu8 v154, v151, v27, v154 neg_lo:[1,1,0]
	v_cvt_f32_i32_e32 v154, v154
	s_delay_alu instid0(VALU_DEP_1) | instskip(SKIP_2) | instid1(VALU_DEP_2)
	v_fmac_f32_e32 v80, v155, v154
	v_dot4_i32_iu8 v154, v144, v28, 0 neg_lo:[1,1,0]
	v_mul_f32_e32 v155, v141, v152
	v_dot4_i32_iu8 v154, v145, v29, v154 neg_lo:[1,1,0]
	s_delay_alu instid0(VALU_DEP_1) | instskip(NEXT) | instid1(VALU_DEP_1)
	v_dot4_i32_iu8 v154, v146, v30, v154 neg_lo:[1,1,0]
	v_dot4_i32_iu8 v154, v147, v31, v154 neg_lo:[1,1,0]
	s_delay_alu instid0(VALU_DEP_1) | instskip(NEXT) | instid1(VALU_DEP_1)
	v_dot4_i32_iu8 v154, v148, v32, v154 neg_lo:[1,1,0]
	;; [unrolled: 3-line block ×3, first 2 shown]
	v_dot4_i32_iu8 v154, v151, v37, v154 neg_lo:[1,1,0]
	s_delay_alu instid0(VALU_DEP_1) | instskip(NEXT) | instid1(VALU_DEP_1)
	v_cvt_f32_i32_e32 v154, v154
	v_fmac_f32_e32 v77, v155, v154
	v_dot4_i32_iu8 v154, v144, v34, 0 neg_lo:[1,1,0]
	v_dot4_i32_iu8 v144, v144, v44, 0 neg_lo:[1,1,0]
	v_mul_f32_e32 v155, v142, v152
	s_delay_alu instid0(VALU_DEP_3) | instskip(NEXT) | instid1(VALU_DEP_3)
	v_dot4_i32_iu8 v154, v145, v35, v154 neg_lo:[1,1,0]
	v_dot4_i32_iu8 v144, v145, v45, v144 neg_lo:[1,1,0]
	v_mul_f32_e32 v145, v143, v152
	s_delay_alu instid0(VALU_DEP_3) | instskip(NEXT) | instid1(VALU_DEP_3)
	v_dot4_i32_iu8 v154, v146, v38, v154 neg_lo:[1,1,0]
	v_dot4_i32_iu8 v144, v146, v46, v144 neg_lo:[1,1,0]
	s_delay_alu instid0(VALU_DEP_2) | instskip(NEXT) | instid1(VALU_DEP_2)
	v_dot4_i32_iu8 v154, v147, v39, v154 neg_lo:[1,1,0]
	v_dot4_i32_iu8 v144, v147, v47, v144 neg_lo:[1,1,0]
	s_delay_alu instid0(VALU_DEP_2) | instskip(NEXT) | instid1(VALU_DEP_2)
	;; [unrolled: 3-line block ×6, first 2 shown]
	v_cvt_f32_i32_e32 v154, v154
	v_cvt_f32_i32_e32 v144, v144
	s_delay_alu instid0(VALU_DEP_1)
	v_dual_fmac_f32 v76, v155, v154 :: v_dual_fmac_f32 v75, v145, v144
	ds_load_b128 v[144:147], v138 offset:3072
	ds_load_b128 v[148:151], v138 offset:3088
	v_mul_f32_e32 v154, v140, v153
	s_waitcnt lgkmcnt(1)
	v_dot4_i32_iu8 v152, v144, v20, 0 neg_lo:[1,1,0]
	s_delay_alu instid0(VALU_DEP_1) | instskip(NEXT) | instid1(VALU_DEP_1)
	v_dot4_i32_iu8 v152, v145, v21, v152 neg_lo:[1,1,0]
	v_dot4_i32_iu8 v152, v146, v22, v152 neg_lo:[1,1,0]
	s_delay_alu instid0(VALU_DEP_1) | instskip(SKIP_1) | instid1(VALU_DEP_1)
	v_dot4_i32_iu8 v152, v147, v23, v152 neg_lo:[1,1,0]
	s_waitcnt lgkmcnt(0)
	v_dot4_i32_iu8 v152, v148, v24, v152 neg_lo:[1,1,0]
	s_delay_alu instid0(VALU_DEP_1) | instskip(NEXT) | instid1(VALU_DEP_1)
	v_dot4_i32_iu8 v152, v149, v25, v152 neg_lo:[1,1,0]
	v_dot4_i32_iu8 v152, v150, v26, v152 neg_lo:[1,1,0]
	s_delay_alu instid0(VALU_DEP_1) | instskip(NEXT) | instid1(VALU_DEP_1)
	v_dot4_i32_iu8 v152, v151, v27, v152 neg_lo:[1,1,0]
	v_cvt_f32_i32_e32 v152, v152
	s_delay_alu instid0(VALU_DEP_1) | instskip(SKIP_2) | instid1(VALU_DEP_2)
	v_fmac_f32_e32 v73, v154, v152
	v_dot4_i32_iu8 v152, v144, v28, 0 neg_lo:[1,1,0]
	v_mul_f32_e32 v154, v141, v153
	v_dot4_i32_iu8 v152, v145, v29, v152 neg_lo:[1,1,0]
	s_delay_alu instid0(VALU_DEP_1) | instskip(NEXT) | instid1(VALU_DEP_1)
	v_dot4_i32_iu8 v152, v146, v30, v152 neg_lo:[1,1,0]
	v_dot4_i32_iu8 v152, v147, v31, v152 neg_lo:[1,1,0]
	s_delay_alu instid0(VALU_DEP_1) | instskip(NEXT) | instid1(VALU_DEP_1)
	v_dot4_i32_iu8 v152, v148, v32, v152 neg_lo:[1,1,0]
	;; [unrolled: 3-line block ×3, first 2 shown]
	v_dot4_i32_iu8 v152, v151, v37, v152 neg_lo:[1,1,0]
	s_delay_alu instid0(VALU_DEP_1) | instskip(NEXT) | instid1(VALU_DEP_1)
	v_cvt_f32_i32_e32 v152, v152
	v_fmac_f32_e32 v70, v154, v152
	v_dot4_i32_iu8 v152, v144, v34, 0 neg_lo:[1,1,0]
	v_dot4_i32_iu8 v144, v144, v44, 0 neg_lo:[1,1,0]
	v_mul_f32_e32 v154, v142, v153
	s_delay_alu instid0(VALU_DEP_3) | instskip(NEXT) | instid1(VALU_DEP_3)
	v_dot4_i32_iu8 v152, v145, v35, v152 neg_lo:[1,1,0]
	v_dot4_i32_iu8 v144, v145, v45, v144 neg_lo:[1,1,0]
	v_mul_f32_e32 v145, v143, v153
	s_delay_alu instid0(VALU_DEP_3) | instskip(NEXT) | instid1(VALU_DEP_3)
	v_dot4_i32_iu8 v152, v146, v38, v152 neg_lo:[1,1,0]
	v_dot4_i32_iu8 v144, v146, v46, v144 neg_lo:[1,1,0]
	s_delay_alu instid0(VALU_DEP_2) | instskip(NEXT) | instid1(VALU_DEP_2)
	v_dot4_i32_iu8 v152, v147, v39, v152 neg_lo:[1,1,0]
	v_dot4_i32_iu8 v144, v147, v47, v144 neg_lo:[1,1,0]
	s_delay_alu instid0(VALU_DEP_2) | instskip(NEXT) | instid1(VALU_DEP_2)
	;; [unrolled: 3-line block ×6, first 2 shown]
	v_cvt_f32_i32_e32 v152, v152
	v_cvt_f32_i32_e32 v144, v144
	s_delay_alu instid0(VALU_DEP_2) | instskip(NEXT) | instid1(VALU_DEP_2)
	v_fmac_f32_e32 v69, v154, v152
	v_fmac_f32_e32 v68, v145, v144
	ds_load_2addr_b32 v[152:153], v133 offset0:128 offset1:160
	ds_load_b128 v[144:147], v138 offset:4096
	ds_load_b128 v[148:151], v138 offset:4112
	s_waitcnt lgkmcnt(2)
	v_mul_f32_e32 v155, v140, v152
	s_waitcnt lgkmcnt(1)
	v_dot4_i32_iu8 v154, v144, v20, 0 neg_lo:[1,1,0]
	s_delay_alu instid0(VALU_DEP_1) | instskip(NEXT) | instid1(VALU_DEP_1)
	v_dot4_i32_iu8 v154, v145, v21, v154 neg_lo:[1,1,0]
	v_dot4_i32_iu8 v154, v146, v22, v154 neg_lo:[1,1,0]
	s_delay_alu instid0(VALU_DEP_1) | instskip(SKIP_1) | instid1(VALU_DEP_1)
	v_dot4_i32_iu8 v154, v147, v23, v154 neg_lo:[1,1,0]
	s_waitcnt lgkmcnt(0)
	v_dot4_i32_iu8 v154, v148, v24, v154 neg_lo:[1,1,0]
	s_delay_alu instid0(VALU_DEP_1) | instskip(NEXT) | instid1(VALU_DEP_1)
	v_dot4_i32_iu8 v154, v149, v25, v154 neg_lo:[1,1,0]
	v_dot4_i32_iu8 v154, v150, v26, v154 neg_lo:[1,1,0]
	s_delay_alu instid0(VALU_DEP_1) | instskip(NEXT) | instid1(VALU_DEP_1)
	v_dot4_i32_iu8 v154, v151, v27, v154 neg_lo:[1,1,0]
	v_cvt_f32_i32_e32 v154, v154
	s_delay_alu instid0(VALU_DEP_1) | instskip(SKIP_2) | instid1(VALU_DEP_2)
	v_fmac_f32_e32 v67, v155, v154
	v_dot4_i32_iu8 v154, v144, v28, 0 neg_lo:[1,1,0]
	v_mul_f32_e32 v155, v141, v152
	v_dot4_i32_iu8 v154, v145, v29, v154 neg_lo:[1,1,0]
	s_delay_alu instid0(VALU_DEP_1) | instskip(NEXT) | instid1(VALU_DEP_1)
	v_dot4_i32_iu8 v154, v146, v30, v154 neg_lo:[1,1,0]
	v_dot4_i32_iu8 v154, v147, v31, v154 neg_lo:[1,1,0]
	s_delay_alu instid0(VALU_DEP_1) | instskip(NEXT) | instid1(VALU_DEP_1)
	v_dot4_i32_iu8 v154, v148, v32, v154 neg_lo:[1,1,0]
	;; [unrolled: 3-line block ×3, first 2 shown]
	v_dot4_i32_iu8 v154, v151, v37, v154 neg_lo:[1,1,0]
	s_delay_alu instid0(VALU_DEP_1) | instskip(NEXT) | instid1(VALU_DEP_1)
	v_cvt_f32_i32_e32 v154, v154
	v_dual_fmac_f32 v66, v155, v154 :: v_dual_mul_f32 v155, v142, v152
	v_dot4_i32_iu8 v154, v144, v34, 0 neg_lo:[1,1,0]
	v_dot4_i32_iu8 v144, v144, v44, 0 neg_lo:[1,1,0]
	s_delay_alu instid0(VALU_DEP_2) | instskip(NEXT) | instid1(VALU_DEP_2)
	v_dot4_i32_iu8 v154, v145, v35, v154 neg_lo:[1,1,0]
	v_dot4_i32_iu8 v144, v145, v45, v144 neg_lo:[1,1,0]
	v_mul_f32_e32 v145, v143, v152
	s_delay_alu instid0(VALU_DEP_3) | instskip(NEXT) | instid1(VALU_DEP_3)
	v_dot4_i32_iu8 v154, v146, v38, v154 neg_lo:[1,1,0]
	v_dot4_i32_iu8 v144, v146, v46, v144 neg_lo:[1,1,0]
	s_delay_alu instid0(VALU_DEP_2) | instskip(NEXT) | instid1(VALU_DEP_2)
	v_dot4_i32_iu8 v154, v147, v39, v154 neg_lo:[1,1,0]
	v_dot4_i32_iu8 v144, v147, v47, v144 neg_lo:[1,1,0]
	s_delay_alu instid0(VALU_DEP_2) | instskip(NEXT) | instid1(VALU_DEP_2)
	;; [unrolled: 3-line block ×6, first 2 shown]
	v_cvt_f32_i32_e32 v154, v154
	v_cvt_f32_i32_e32 v144, v144
	s_delay_alu instid0(VALU_DEP_1)
	v_dual_fmac_f32 v65, v155, v154 :: v_dual_fmac_f32 v64, v145, v144
	ds_load_b128 v[144:147], v138 offset:5120
	ds_load_b128 v[148:151], v138 offset:5136
	v_mul_f32_e32 v154, v140, v153
	s_waitcnt lgkmcnt(1)
	v_dot4_i32_iu8 v152, v144, v20, 0 neg_lo:[1,1,0]
	s_delay_alu instid0(VALU_DEP_1) | instskip(NEXT) | instid1(VALU_DEP_1)
	v_dot4_i32_iu8 v152, v145, v21, v152 neg_lo:[1,1,0]
	v_dot4_i32_iu8 v152, v146, v22, v152 neg_lo:[1,1,0]
	s_delay_alu instid0(VALU_DEP_1) | instskip(SKIP_1) | instid1(VALU_DEP_1)
	v_dot4_i32_iu8 v152, v147, v23, v152 neg_lo:[1,1,0]
	s_waitcnt lgkmcnt(0)
	v_dot4_i32_iu8 v152, v148, v24, v152 neg_lo:[1,1,0]
	s_delay_alu instid0(VALU_DEP_1) | instskip(NEXT) | instid1(VALU_DEP_1)
	v_dot4_i32_iu8 v152, v149, v25, v152 neg_lo:[1,1,0]
	v_dot4_i32_iu8 v152, v150, v26, v152 neg_lo:[1,1,0]
	s_delay_alu instid0(VALU_DEP_1) | instskip(NEXT) | instid1(VALU_DEP_1)
	v_dot4_i32_iu8 v152, v151, v27, v152 neg_lo:[1,1,0]
	v_cvt_f32_i32_e32 v152, v152
	s_delay_alu instid0(VALU_DEP_1) | instskip(SKIP_1) | instid1(VALU_DEP_1)
	v_dual_fmac_f32 v63, v154, v152 :: v_dual_mul_f32 v154, v141, v153
	v_dot4_i32_iu8 v152, v144, v28, 0 neg_lo:[1,1,0]
	v_dot4_i32_iu8 v152, v145, v29, v152 neg_lo:[1,1,0]
	s_delay_alu instid0(VALU_DEP_1) | instskip(NEXT) | instid1(VALU_DEP_1)
	v_dot4_i32_iu8 v152, v146, v30, v152 neg_lo:[1,1,0]
	v_dot4_i32_iu8 v152, v147, v31, v152 neg_lo:[1,1,0]
	s_delay_alu instid0(VALU_DEP_1) | instskip(NEXT) | instid1(VALU_DEP_1)
	;; [unrolled: 3-line block ×4, first 2 shown]
	v_cvt_f32_i32_e32 v152, v152
	v_fmac_f32_e32 v62, v154, v152
	v_dot4_i32_iu8 v152, v144, v34, 0 neg_lo:[1,1,0]
	v_dot4_i32_iu8 v144, v144, v44, 0 neg_lo:[1,1,0]
	v_mul_f32_e32 v154, v142, v153
	s_delay_alu instid0(VALU_DEP_3) | instskip(NEXT) | instid1(VALU_DEP_3)
	v_dot4_i32_iu8 v152, v145, v35, v152 neg_lo:[1,1,0]
	v_dot4_i32_iu8 v144, v145, v45, v144 neg_lo:[1,1,0]
	v_mul_f32_e32 v145, v143, v153
	s_delay_alu instid0(VALU_DEP_3) | instskip(NEXT) | instid1(VALU_DEP_3)
	v_dot4_i32_iu8 v152, v146, v38, v152 neg_lo:[1,1,0]
	v_dot4_i32_iu8 v144, v146, v46, v144 neg_lo:[1,1,0]
	s_delay_alu instid0(VALU_DEP_2) | instskip(NEXT) | instid1(VALU_DEP_2)
	v_dot4_i32_iu8 v152, v147, v39, v152 neg_lo:[1,1,0]
	v_dot4_i32_iu8 v144, v147, v47, v144 neg_lo:[1,1,0]
	s_delay_alu instid0(VALU_DEP_2) | instskip(NEXT) | instid1(VALU_DEP_2)
	;; [unrolled: 3-line block ×6, first 2 shown]
	v_cvt_f32_i32_e32 v152, v152
	v_cvt_f32_i32_e32 v144, v144
	s_delay_alu instid0(VALU_DEP_2) | instskip(NEXT) | instid1(VALU_DEP_2)
	v_fmac_f32_e32 v61, v154, v152
	v_fmac_f32_e32 v60, v145, v144
	ds_load_2addr_b32 v[152:153], v133 offset0:192 offset1:224
	ds_load_b128 v[144:147], v138 offset:6144
	ds_load_b128 v[148:151], v138 offset:6160
	v_add_nc_u32_e32 v133, 4, v133
	s_waitcnt lgkmcnt(2)
	v_mul_f32_e32 v155, v140, v152
	s_waitcnt lgkmcnt(1)
	v_dot4_i32_iu8 v154, v144, v20, 0 neg_lo:[1,1,0]
	s_delay_alu instid0(VALU_DEP_1) | instskip(NEXT) | instid1(VALU_DEP_1)
	v_dot4_i32_iu8 v154, v145, v21, v154 neg_lo:[1,1,0]
	v_dot4_i32_iu8 v154, v146, v22, v154 neg_lo:[1,1,0]
	s_delay_alu instid0(VALU_DEP_1) | instskip(SKIP_1) | instid1(VALU_DEP_1)
	v_dot4_i32_iu8 v154, v147, v23, v154 neg_lo:[1,1,0]
	s_waitcnt lgkmcnt(0)
	v_dot4_i32_iu8 v154, v148, v24, v154 neg_lo:[1,1,0]
	s_delay_alu instid0(VALU_DEP_1) | instskip(NEXT) | instid1(VALU_DEP_1)
	v_dot4_i32_iu8 v154, v149, v25, v154 neg_lo:[1,1,0]
	v_dot4_i32_iu8 v154, v150, v26, v154 neg_lo:[1,1,0]
	s_delay_alu instid0(VALU_DEP_1) | instskip(NEXT) | instid1(VALU_DEP_1)
	v_dot4_i32_iu8 v154, v151, v27, v154 neg_lo:[1,1,0]
	v_cvt_f32_i32_e32 v154, v154
	s_delay_alu instid0(VALU_DEP_1) | instskip(SKIP_2) | instid1(VALU_DEP_2)
	v_fmac_f32_e32 v59, v155, v154
	v_dot4_i32_iu8 v154, v144, v28, 0 neg_lo:[1,1,0]
	v_mul_f32_e32 v155, v141, v152
	v_dot4_i32_iu8 v154, v145, v29, v154 neg_lo:[1,1,0]
	s_delay_alu instid0(VALU_DEP_1) | instskip(NEXT) | instid1(VALU_DEP_1)
	v_dot4_i32_iu8 v154, v146, v30, v154 neg_lo:[1,1,0]
	v_dot4_i32_iu8 v154, v147, v31, v154 neg_lo:[1,1,0]
	s_delay_alu instid0(VALU_DEP_1) | instskip(NEXT) | instid1(VALU_DEP_1)
	v_dot4_i32_iu8 v154, v148, v32, v154 neg_lo:[1,1,0]
	;; [unrolled: 3-line block ×3, first 2 shown]
	v_dot4_i32_iu8 v154, v151, v37, v154 neg_lo:[1,1,0]
	s_delay_alu instid0(VALU_DEP_1) | instskip(NEXT) | instid1(VALU_DEP_1)
	v_cvt_f32_i32_e32 v154, v154
	v_fmac_f32_e32 v58, v155, v154
	v_dot4_i32_iu8 v154, v144, v34, 0 neg_lo:[1,1,0]
	v_dot4_i32_iu8 v144, v144, v44, 0 neg_lo:[1,1,0]
	v_mul_f32_e32 v155, v142, v152
	s_delay_alu instid0(VALU_DEP_3) | instskip(NEXT) | instid1(VALU_DEP_3)
	v_dot4_i32_iu8 v154, v145, v35, v154 neg_lo:[1,1,0]
	v_dot4_i32_iu8 v144, v145, v45, v144 neg_lo:[1,1,0]
	v_mul_f32_e32 v145, v143, v152
	s_delay_alu instid0(VALU_DEP_3) | instskip(NEXT) | instid1(VALU_DEP_3)
	v_dot4_i32_iu8 v154, v146, v38, v154 neg_lo:[1,1,0]
	v_dot4_i32_iu8 v144, v146, v46, v144 neg_lo:[1,1,0]
	s_delay_alu instid0(VALU_DEP_2) | instskip(NEXT) | instid1(VALU_DEP_2)
	v_dot4_i32_iu8 v154, v147, v39, v154 neg_lo:[1,1,0]
	v_dot4_i32_iu8 v144, v147, v47, v144 neg_lo:[1,1,0]
	s_delay_alu instid0(VALU_DEP_2) | instskip(NEXT) | instid1(VALU_DEP_2)
	;; [unrolled: 3-line block ×6, first 2 shown]
	v_cvt_f32_i32_e32 v154, v154
	v_cvt_f32_i32_e32 v144, v144
	s_delay_alu instid0(VALU_DEP_1)
	v_fmac_f32_e32 v56, v145, v144
	ds_load_b128 v[144:147], v138 offset:7168
	ds_load_b128 v[148:151], v138 offset:7184
	v_add_nc_u32_e32 v138, 32, v138
	v_fmac_f32_e32 v57, v155, v154
	s_waitcnt lgkmcnt(1)
	v_dot4_i32_iu8 v20, v144, v20, 0 neg_lo:[1,1,0]
	s_delay_alu instid0(VALU_DEP_1) | instskip(SKIP_1) | instid1(VALU_DEP_2)
	v_dot4_i32_iu8 v20, v145, v21, v20 neg_lo:[1,1,0]
	v_mul_f32_e32 v21, v140, v153
	v_dot4_i32_iu8 v20, v146, v22, v20 neg_lo:[1,1,0]
	s_delay_alu instid0(VALU_DEP_1) | instskip(SKIP_1) | instid1(VALU_DEP_1)
	v_dot4_i32_iu8 v20, v147, v23, v20 neg_lo:[1,1,0]
	s_waitcnt lgkmcnt(0)
	v_dot4_i32_iu8 v20, v148, v24, v20 neg_lo:[1,1,0]
	s_delay_alu instid0(VALU_DEP_1) | instskip(NEXT) | instid1(VALU_DEP_1)
	v_dot4_i32_iu8 v20, v149, v25, v20 neg_lo:[1,1,0]
	v_dot4_i32_iu8 v20, v150, v26, v20 neg_lo:[1,1,0]
	s_delay_alu instid0(VALU_DEP_1) | instskip(NEXT) | instid1(VALU_DEP_1)
	v_dot4_i32_iu8 v20, v151, v27, v20 neg_lo:[1,1,0]
	v_cvt_f32_i32_e32 v20, v20
	s_delay_alu instid0(VALU_DEP_1) | instskip(SKIP_2) | instid1(VALU_DEP_2)
	v_fmac_f32_e32 v55, v21, v20
	v_dot4_i32_iu8 v20, v144, v28, 0 neg_lo:[1,1,0]
	v_mul_f32_e32 v21, v141, v153
	v_dot4_i32_iu8 v20, v145, v29, v20 neg_lo:[1,1,0]
	s_delay_alu instid0(VALU_DEP_1) | instskip(NEXT) | instid1(VALU_DEP_1)
	v_dot4_i32_iu8 v20, v146, v30, v20 neg_lo:[1,1,0]
	v_dot4_i32_iu8 v20, v147, v31, v20 neg_lo:[1,1,0]
	s_delay_alu instid0(VALU_DEP_1) | instskip(NEXT) | instid1(VALU_DEP_1)
	v_dot4_i32_iu8 v20, v148, v32, v20 neg_lo:[1,1,0]
	;; [unrolled: 3-line block ×3, first 2 shown]
	v_dot4_i32_iu8 v20, v151, v37, v20 neg_lo:[1,1,0]
	s_delay_alu instid0(VALU_DEP_1) | instskip(NEXT) | instid1(VALU_DEP_1)
	v_cvt_f32_i32_e32 v20, v20
	v_fmac_f32_e32 v54, v21, v20
	v_dot4_i32_iu8 v20, v144, v34, 0 neg_lo:[1,1,0]
	v_mul_f32_e32 v21, v142, v153
	s_delay_alu instid0(VALU_DEP_2) | instskip(NEXT) | instid1(VALU_DEP_1)
	v_dot4_i32_iu8 v20, v145, v35, v20 neg_lo:[1,1,0]
	v_dot4_i32_iu8 v20, v146, v38, v20 neg_lo:[1,1,0]
	s_delay_alu instid0(VALU_DEP_1) | instskip(NEXT) | instid1(VALU_DEP_1)
	v_dot4_i32_iu8 v20, v147, v39, v20 neg_lo:[1,1,0]
	v_dot4_i32_iu8 v20, v148, v40, v20 neg_lo:[1,1,0]
	s_delay_alu instid0(VALU_DEP_1) | instskip(NEXT) | instid1(VALU_DEP_1)
	;; [unrolled: 3-line block ×3, first 2 shown]
	v_dot4_i32_iu8 v20, v151, v43, v20 neg_lo:[1,1,0]
	v_cvt_f32_i32_e32 v20, v20
	s_delay_alu instid0(VALU_DEP_1) | instskip(SKIP_2) | instid1(VALU_DEP_2)
	v_fmac_f32_e32 v53, v21, v20
	v_dot4_i32_iu8 v20, v144, v44, 0 neg_lo:[1,1,0]
	v_mul_f32_e32 v21, v143, v153
	v_dot4_i32_iu8 v20, v145, v45, v20 neg_lo:[1,1,0]
	s_delay_alu instid0(VALU_DEP_1) | instskip(NEXT) | instid1(VALU_DEP_1)
	v_dot4_i32_iu8 v20, v146, v46, v20 neg_lo:[1,1,0]
	v_dot4_i32_iu8 v20, v147, v47, v20 neg_lo:[1,1,0]
	s_delay_alu instid0(VALU_DEP_1) | instskip(NEXT) | instid1(VALU_DEP_1)
	v_dot4_i32_iu8 v20, v148, v48, v20 neg_lo:[1,1,0]
	v_dot4_i32_iu8 v20, v149, v49, v20 neg_lo:[1,1,0]
	s_delay_alu instid0(VALU_DEP_1) | instskip(NEXT) | instid1(VALU_DEP_1)
	v_dot4_i32_iu8 v20, v150, v50, v20 neg_lo:[1,1,0]
	v_dot4_i32_iu8 v20, v151, v51, v20 neg_lo:[1,1,0]
	s_delay_alu instid0(VALU_DEP_1) | instskip(NEXT) | instid1(VALU_DEP_1)
	v_cvt_f32_i32_e32 v20, v20
	v_fmac_f32_e32 v52, v21, v20
	s_cbranch_scc1 .LBB166_6
; %bb.7:                                ;   in Loop: Header=BB166_5 Depth=1
	s_add_i32 s5, s5, 4
	s_delay_alu instid0(SALU_CYCLE_1)
	s_cmp_ge_i32 s5, s4
	s_barrier
	buffer_gl0_inv
	s_cbranch_scc0 .LBB166_5
; %bb.8:
	v_dual_mov_b32 v1, v71 :: v_dual_mov_b32 v0, v72
.LBB166_9:
	s_mov_b32 s0, exec_lo
	v_cmpx_gt_u32_e64 s6, v78
	s_cbranch_execz .LBB166_60
; %bb.10:
	s_delay_alu instid0(VALU_DEP_2) | instskip(SKIP_1) | instid1(VALU_DEP_2)
	v_add_nc_u32_e32 v0, s12, v0
	v_mul_lo_u32 v5, v78, s10
	v_cmp_gt_u32_e32 vcc_lo, s10, v0
	s_and_saveexec_b32 s1, vcc_lo
	s_cbranch_execz .LBB166_12
; %bb.11:
	v_bfe_u32 v3, v74, 16, 1
	s_delay_alu instid0(VALU_DEP_3) | instskip(SKIP_1) | instid1(VALU_DEP_3)
	v_add_nc_u32_e32 v2, v0, v5
	v_cmp_o_f32_e64 s0, v74, v74
	v_add3_u32 v4, v74, v3, 0x7fff
	v_mov_b32_e32 v3, 0
	s_delay_alu instid0(VALU_DEP_2) | instskip(NEXT) | instid1(VALU_DEP_2)
	v_lshrrev_b32_e32 v4, 16, v4
	v_lshlrev_b64 v[2:3], 1, v[2:3]
	s_delay_alu instid0(VALU_DEP_2) | instskip(SKIP_1) | instid1(VALU_DEP_2)
	v_cndmask_b32_e64 v4, 0x7fc0, v4, s0
	s_waitcnt lgkmcnt(0)
	v_add_co_u32 v2, s0, s8, v2
	s_delay_alu instid0(VALU_DEP_1)
	v_add_co_ci_u32_e64 v3, s0, s9, v3, s0
	global_store_b16 v[2:3], v4, off
.LBB166_12:
	s_or_b32 exec_lo, exec_lo, s1
	v_add_nc_u32_e32 v2, 32, v0
	s_delay_alu instid0(VALU_DEP_1) | instskip(NEXT) | instid1(VALU_DEP_1)
	v_cmp_gt_u32_e64 s0, s10, v2
	s_and_saveexec_b32 s2, s0
	s_cbranch_execz .LBB166_14
; %bb.13:
	v_bfe_u32 v4, v96, 16, 1
	v_add_nc_u32_e32 v3, v2, v5
	v_cmp_o_f32_e64 s1, v96, v96
	s_delay_alu instid0(VALU_DEP_3) | instskip(SKIP_1) | instid1(VALU_DEP_2)
	v_add3_u32 v6, v96, v4, 0x7fff
	v_mov_b32_e32 v4, 0
	v_lshrrev_b32_e32 v6, 16, v6
	s_delay_alu instid0(VALU_DEP_2) | instskip(NEXT) | instid1(VALU_DEP_2)
	v_lshlrev_b64 v[3:4], 1, v[3:4]
	v_cndmask_b32_e64 v6, 0x7fc0, v6, s1
	s_waitcnt lgkmcnt(0)
	s_delay_alu instid0(VALU_DEP_2) | instskip(NEXT) | instid1(VALU_DEP_1)
	v_add_co_u32 v3, s1, s8, v3
	v_add_co_ci_u32_e64 v4, s1, s9, v4, s1
	global_store_b16 v[3:4], v6, off
.LBB166_14:
	s_or_b32 exec_lo, exec_lo, s2
	v_add_nc_u32_e32 v3, 64, v0
	s_delay_alu instid0(VALU_DEP_1) | instskip(NEXT) | instid1(VALU_DEP_1)
	v_cmp_gt_u32_e64 s1, s10, v3
	s_and_saveexec_b32 s3, s1
	s_cbranch_execz .LBB166_16
; %bb.15:
	v_bfe_u32 v4, v94, 16, 1
	v_dual_mov_b32 v7, 0 :: v_dual_add_nc_u32 v6, v3, v5
	v_cmp_o_f32_e64 s2, v94, v94
	s_delay_alu instid0(VALU_DEP_3) | instskip(NEXT) | instid1(VALU_DEP_3)
	v_add3_u32 v4, v94, v4, 0x7fff
	v_lshlrev_b64 v[6:7], 1, v[6:7]
	s_delay_alu instid0(VALU_DEP_2) | instskip(NEXT) | instid1(VALU_DEP_1)
	v_lshrrev_b32_e32 v4, 16, v4
	v_cndmask_b32_e64 v4, 0x7fc0, v4, s2
	s_waitcnt lgkmcnt(0)
	s_delay_alu instid0(VALU_DEP_3) | instskip(NEXT) | instid1(VALU_DEP_1)
	v_add_co_u32 v6, s2, s8, v6
	v_add_co_ci_u32_e64 v7, s2, s9, v7, s2
	global_store_b16 v[6:7], v4, off
.LBB166_16:
	s_or_b32 exec_lo, exec_lo, s3
	v_add_nc_u32_e32 v4, 0x60, v0
	s_delay_alu instid0(VALU_DEP_1) | instskip(NEXT) | instid1(VALU_DEP_1)
	v_cmp_gt_u32_e64 s2, s10, v4
	s_and_saveexec_b32 s4, s2
	s_cbranch_execz .LBB166_18
; %bb.17:
	v_bfe_u32 v6, v93, 16, 1
	v_add_nc_u32_e32 v5, v4, v5
	v_cmp_o_f32_e64 s3, v93, v93
	s_delay_alu instid0(VALU_DEP_3) | instskip(SKIP_1) | instid1(VALU_DEP_2)
	v_add3_u32 v7, v93, v6, 0x7fff
	v_mov_b32_e32 v6, 0
	v_lshrrev_b32_e32 v7, 16, v7
	s_delay_alu instid0(VALU_DEP_2) | instskip(NEXT) | instid1(VALU_DEP_2)
	v_lshlrev_b64 v[5:6], 1, v[5:6]
	v_cndmask_b32_e64 v7, 0x7fc0, v7, s3
	s_waitcnt lgkmcnt(0)
	s_delay_alu instid0(VALU_DEP_2) | instskip(NEXT) | instid1(VALU_DEP_1)
	v_add_co_u32 v5, s3, s8, v5
	v_add_co_ci_u32_e64 v6, s3, s9, v6, s3
	global_store_b16 v[5:6], v7, off
.LBB166_18:
	s_or_b32 exec_lo, exec_lo, s4
	v_add3_u32 v5, v1, s11, 8
	s_delay_alu instid0(VALU_DEP_1) | instskip(NEXT) | instid1(VALU_DEP_1)
	v_cmp_gt_u32_e64 s3, s6, v5
	s_and_b32 exec_lo, exec_lo, s3
	s_cbranch_execz .LBB166_60
; %bb.19:
	v_mul_lo_u32 v5, v5, s10
	s_and_saveexec_b32 s4, vcc_lo
	s_cbranch_execnz .LBB166_61
; %bb.20:
	s_or_b32 exec_lo, exec_lo, s4
	s_and_saveexec_b32 s4, s0
	s_cbranch_execnz .LBB166_62
.LBB166_21:
	s_or_b32 exec_lo, exec_lo, s4
	s_and_saveexec_b32 s4, s1
	s_cbranch_execnz .LBB166_63
.LBB166_22:
	s_or_b32 exec_lo, exec_lo, s4
	s_and_saveexec_b32 s4, s2
	s_cbranch_execz .LBB166_24
.LBB166_23:
	v_bfe_u32 v6, v84, 16, 1
	v_add_nc_u32_e32 v5, v5, v4
	v_cmp_o_f32_e64 s3, v84, v84
	s_delay_alu instid0(VALU_DEP_3) | instskip(SKIP_1) | instid1(VALU_DEP_2)
	v_add3_u32 v7, v84, v6, 0x7fff
	v_mov_b32_e32 v6, 0
	v_lshrrev_b32_e32 v7, 16, v7
	s_delay_alu instid0(VALU_DEP_2) | instskip(NEXT) | instid1(VALU_DEP_2)
	v_lshlrev_b64 v[5:6], 1, v[5:6]
	v_cndmask_b32_e64 v7, 0x7fc0, v7, s3
	s_waitcnt lgkmcnt(0)
	s_delay_alu instid0(VALU_DEP_2) | instskip(NEXT) | instid1(VALU_DEP_1)
	v_add_co_u32 v5, s3, s8, v5
	v_add_co_ci_u32_e64 v6, s3, s9, v6, s3
	global_store_b16 v[5:6], v7, off
.LBB166_24:
	s_or_b32 exec_lo, exec_lo, s4
	v_add3_u32 v5, v1, s11, 16
	s_delay_alu instid0(VALU_DEP_1) | instskip(NEXT) | instid1(VALU_DEP_1)
	v_cmp_gt_u32_e64 s3, s6, v5
	s_and_b32 exec_lo, exec_lo, s3
	s_cbranch_execz .LBB166_60
; %bb.25:
	v_mul_lo_u32 v5, v5, s10
	s_and_saveexec_b32 s4, vcc_lo
	s_cbranch_execnz .LBB166_64
; %bb.26:
	s_or_b32 exec_lo, exec_lo, s4
	s_and_saveexec_b32 s4, s0
	s_cbranch_execnz .LBB166_65
.LBB166_27:
	s_or_b32 exec_lo, exec_lo, s4
	s_and_saveexec_b32 s4, s1
	s_cbranch_execnz .LBB166_66
.LBB166_28:
	s_or_b32 exec_lo, exec_lo, s4
	s_and_saveexec_b32 s4, s2
	s_cbranch_execz .LBB166_30
.LBB166_29:
	v_bfe_u32 v6, v75, 16, 1
	v_add_nc_u32_e32 v5, v5, v4
	v_cmp_o_f32_e64 s3, v75, v75
	s_delay_alu instid0(VALU_DEP_3) | instskip(SKIP_1) | instid1(VALU_DEP_2)
	v_add3_u32 v7, v75, v6, 0x7fff
	v_mov_b32_e32 v6, 0
	v_lshrrev_b32_e32 v7, 16, v7
	s_delay_alu instid0(VALU_DEP_2) | instskip(NEXT) | instid1(VALU_DEP_2)
	v_lshlrev_b64 v[5:6], 1, v[5:6]
	v_cndmask_b32_e64 v7, 0x7fc0, v7, s3
	s_waitcnt lgkmcnt(0)
	s_delay_alu instid0(VALU_DEP_2) | instskip(NEXT) | instid1(VALU_DEP_1)
	v_add_co_u32 v5, s3, s8, v5
	v_add_co_ci_u32_e64 v6, s3, s9, v6, s3
	global_store_b16 v[5:6], v7, off
.LBB166_30:
	s_or_b32 exec_lo, exec_lo, s4
	v_add3_u32 v5, v1, s11, 24
	s_delay_alu instid0(VALU_DEP_1) | instskip(NEXT) | instid1(VALU_DEP_1)
	v_cmp_gt_u32_e64 s3, s6, v5
	s_and_b32 exec_lo, exec_lo, s3
	s_cbranch_execz .LBB166_60
; %bb.31:
	v_mul_lo_u32 v5, v5, s10
	s_and_saveexec_b32 s4, vcc_lo
	s_cbranch_execnz .LBB166_67
; %bb.32:
	s_or_b32 exec_lo, exec_lo, s4
	s_and_saveexec_b32 s4, s0
	s_cbranch_execnz .LBB166_68
.LBB166_33:
	s_or_b32 exec_lo, exec_lo, s4
	s_and_saveexec_b32 s4, s1
	s_cbranch_execnz .LBB166_69
.LBB166_34:
	s_or_b32 exec_lo, exec_lo, s4
	s_and_saveexec_b32 s4, s2
	s_cbranch_execz .LBB166_36
.LBB166_35:
	v_bfe_u32 v6, v68, 16, 1
	v_add_nc_u32_e32 v5, v5, v4
	v_cmp_o_f32_e64 s3, v68, v68
	s_delay_alu instid0(VALU_DEP_3) | instskip(SKIP_1) | instid1(VALU_DEP_2)
	v_add3_u32 v7, v68, v6, 0x7fff
	v_mov_b32_e32 v6, 0
	v_lshrrev_b32_e32 v7, 16, v7
	s_delay_alu instid0(VALU_DEP_2) | instskip(NEXT) | instid1(VALU_DEP_2)
	v_lshlrev_b64 v[5:6], 1, v[5:6]
	v_cndmask_b32_e64 v7, 0x7fc0, v7, s3
	s_waitcnt lgkmcnt(0)
	s_delay_alu instid0(VALU_DEP_2) | instskip(NEXT) | instid1(VALU_DEP_1)
	v_add_co_u32 v5, s3, s8, v5
	v_add_co_ci_u32_e64 v6, s3, s9, v6, s3
	global_store_b16 v[5:6], v7, off
.LBB166_36:
	s_or_b32 exec_lo, exec_lo, s4
	v_add3_u32 v5, v1, s11, 32
	s_delay_alu instid0(VALU_DEP_1) | instskip(NEXT) | instid1(VALU_DEP_1)
	v_cmp_gt_u32_e64 s3, s6, v5
	s_and_b32 exec_lo, exec_lo, s3
	s_cbranch_execz .LBB166_60
; %bb.37:
	v_mul_lo_u32 v5, v5, s10
	s_and_saveexec_b32 s4, vcc_lo
	s_cbranch_execnz .LBB166_70
; %bb.38:
	s_or_b32 exec_lo, exec_lo, s4
	s_and_saveexec_b32 s4, s0
	s_cbranch_execnz .LBB166_71
.LBB166_39:
	s_or_b32 exec_lo, exec_lo, s4
	s_and_saveexec_b32 s4, s1
	s_cbranch_execnz .LBB166_72
.LBB166_40:
	s_or_b32 exec_lo, exec_lo, s4
	s_and_saveexec_b32 s4, s2
	s_cbranch_execz .LBB166_42
.LBB166_41:
	v_bfe_u32 v6, v64, 16, 1
	v_add_nc_u32_e32 v5, v5, v4
	v_cmp_o_f32_e64 s3, v64, v64
	s_delay_alu instid0(VALU_DEP_3) | instskip(SKIP_1) | instid1(VALU_DEP_2)
	v_add3_u32 v7, v64, v6, 0x7fff
	v_mov_b32_e32 v6, 0
	v_lshrrev_b32_e32 v7, 16, v7
	s_delay_alu instid0(VALU_DEP_2) | instskip(NEXT) | instid1(VALU_DEP_2)
	v_lshlrev_b64 v[5:6], 1, v[5:6]
	v_cndmask_b32_e64 v7, 0x7fc0, v7, s3
	s_waitcnt lgkmcnt(0)
	s_delay_alu instid0(VALU_DEP_2) | instskip(NEXT) | instid1(VALU_DEP_1)
	v_add_co_u32 v5, s3, s8, v5
	v_add_co_ci_u32_e64 v6, s3, s9, v6, s3
	global_store_b16 v[5:6], v7, off
.LBB166_42:
	s_or_b32 exec_lo, exec_lo, s4
	v_add3_u32 v5, v1, s11, 40
	s_delay_alu instid0(VALU_DEP_1) | instskip(NEXT) | instid1(VALU_DEP_1)
	v_cmp_gt_u32_e64 s3, s6, v5
	s_and_b32 exec_lo, exec_lo, s3
	s_cbranch_execz .LBB166_60
; %bb.43:
	v_mul_lo_u32 v5, v5, s10
	s_and_saveexec_b32 s4, vcc_lo
	s_cbranch_execnz .LBB166_73
; %bb.44:
	s_or_b32 exec_lo, exec_lo, s4
	s_and_saveexec_b32 s4, s0
	s_cbranch_execnz .LBB166_74
.LBB166_45:
	s_or_b32 exec_lo, exec_lo, s4
	s_and_saveexec_b32 s4, s1
	s_cbranch_execnz .LBB166_75
.LBB166_46:
	s_or_b32 exec_lo, exec_lo, s4
	s_and_saveexec_b32 s4, s2
	s_cbranch_execz .LBB166_48
.LBB166_47:
	v_bfe_u32 v6, v60, 16, 1
	v_add_nc_u32_e32 v5, v5, v4
	v_cmp_o_f32_e64 s3, v60, v60
	s_delay_alu instid0(VALU_DEP_3) | instskip(SKIP_1) | instid1(VALU_DEP_2)
	v_add3_u32 v7, v60, v6, 0x7fff
	v_mov_b32_e32 v6, 0
	v_lshrrev_b32_e32 v7, 16, v7
	s_delay_alu instid0(VALU_DEP_2) | instskip(NEXT) | instid1(VALU_DEP_2)
	v_lshlrev_b64 v[5:6], 1, v[5:6]
	v_cndmask_b32_e64 v7, 0x7fc0, v7, s3
	s_waitcnt lgkmcnt(0)
	s_delay_alu instid0(VALU_DEP_2) | instskip(NEXT) | instid1(VALU_DEP_1)
	v_add_co_u32 v5, s3, s8, v5
	v_add_co_ci_u32_e64 v6, s3, s9, v6, s3
	global_store_b16 v[5:6], v7, off
.LBB166_48:
	s_or_b32 exec_lo, exec_lo, s4
	v_add3_u32 v5, v1, s11, 48
	s_delay_alu instid0(VALU_DEP_1) | instskip(NEXT) | instid1(VALU_DEP_1)
	v_cmp_gt_u32_e64 s3, s6, v5
	s_and_b32 exec_lo, exec_lo, s3
	s_cbranch_execz .LBB166_60
; %bb.49:
	v_mul_lo_u32 v5, v5, s10
	s_and_saveexec_b32 s4, vcc_lo
	s_cbranch_execnz .LBB166_76
; %bb.50:
	s_or_b32 exec_lo, exec_lo, s4
	s_and_saveexec_b32 s4, s0
	s_cbranch_execnz .LBB166_77
.LBB166_51:
	s_or_b32 exec_lo, exec_lo, s4
	s_and_saveexec_b32 s4, s1
	s_cbranch_execnz .LBB166_78
.LBB166_52:
	s_or_b32 exec_lo, exec_lo, s4
	s_and_saveexec_b32 s4, s2
	s_cbranch_execz .LBB166_54
.LBB166_53:
	v_bfe_u32 v6, v56, 16, 1
	v_add_nc_u32_e32 v5, v5, v4
	v_cmp_o_f32_e64 s3, v56, v56
	s_delay_alu instid0(VALU_DEP_3) | instskip(SKIP_1) | instid1(VALU_DEP_2)
	v_add3_u32 v7, v56, v6, 0x7fff
	v_mov_b32_e32 v6, 0
	v_lshrrev_b32_e32 v7, 16, v7
	s_delay_alu instid0(VALU_DEP_2) | instskip(NEXT) | instid1(VALU_DEP_2)
	v_lshlrev_b64 v[5:6], 1, v[5:6]
	v_cndmask_b32_e64 v7, 0x7fc0, v7, s3
	s_waitcnt lgkmcnt(0)
	s_delay_alu instid0(VALU_DEP_2) | instskip(NEXT) | instid1(VALU_DEP_1)
	v_add_co_u32 v5, s3, s8, v5
	v_add_co_ci_u32_e64 v6, s3, s9, v6, s3
	global_store_b16 v[5:6], v7, off
.LBB166_54:
	s_or_b32 exec_lo, exec_lo, s4
	v_add3_u32 v1, v1, s11, 56
	s_delay_alu instid0(VALU_DEP_1) | instskip(NEXT) | instid1(VALU_DEP_1)
	v_cmp_gt_u32_e64 s3, s6, v1
	s_and_b32 exec_lo, exec_lo, s3
	s_cbranch_execz .LBB166_60
; %bb.55:
	v_mul_lo_u32 v1, v1, s10
	s_and_saveexec_b32 s3, vcc_lo
	s_cbranch_execnz .LBB166_79
; %bb.56:
	s_or_b32 exec_lo, exec_lo, s3
	s_and_saveexec_b32 s3, s0
	s_cbranch_execnz .LBB166_80
.LBB166_57:
	s_or_b32 exec_lo, exec_lo, s3
	s_and_saveexec_b32 s0, s1
	s_cbranch_execnz .LBB166_81
.LBB166_58:
	s_or_b32 exec_lo, exec_lo, s0
	s_delay_alu instid0(SALU_CYCLE_1)
	s_and_b32 exec_lo, exec_lo, s2
	s_cbranch_execz .LBB166_60
.LBB166_59:
	v_bfe_u32 v2, v52, 16, 1
	v_dual_mov_b32 v1, 0 :: v_dual_add_nc_u32 v0, v1, v4
	v_cmp_o_f32_e32 vcc_lo, v52, v52
	s_delay_alu instid0(VALU_DEP_3) | instskip(NEXT) | instid1(VALU_DEP_3)
	v_add3_u32 v2, v52, v2, 0x7fff
	v_lshlrev_b64 v[0:1], 1, v[0:1]
	s_delay_alu instid0(VALU_DEP_2) | instskip(NEXT) | instid1(VALU_DEP_1)
	v_lshrrev_b32_e32 v2, 16, v2
	v_cndmask_b32_e32 v2, 0x7fc0, v2, vcc_lo
	s_waitcnt lgkmcnt(0)
	s_delay_alu instid0(VALU_DEP_3) | instskip(NEXT) | instid1(VALU_DEP_4)
	v_add_co_u32 v0, vcc_lo, s8, v0
	v_add_co_ci_u32_e32 v1, vcc_lo, s9, v1, vcc_lo
	global_store_b16 v[0:1], v2, off
.LBB166_60:
	s_nop 0
	s_sendmsg sendmsg(MSG_DEALLOC_VGPRS)
	s_endpgm
.LBB166_61:
	v_bfe_u32 v7, v91, 16, 1
	s_delay_alu instid0(VALU_DEP_2) | instskip(SKIP_1) | instid1(VALU_DEP_3)
	v_add_nc_u32_e32 v6, v5, v0
	v_cmp_o_f32_e64 s3, v91, v91
	v_add3_u32 v8, v91, v7, 0x7fff
	v_mov_b32_e32 v7, 0
	s_delay_alu instid0(VALU_DEP_2) | instskip(NEXT) | instid1(VALU_DEP_2)
	v_lshrrev_b32_e32 v8, 16, v8
	v_lshlrev_b64 v[6:7], 1, v[6:7]
	s_delay_alu instid0(VALU_DEP_2) | instskip(SKIP_1) | instid1(VALU_DEP_2)
	v_cndmask_b32_e64 v8, 0x7fc0, v8, s3
	s_waitcnt lgkmcnt(0)
	v_add_co_u32 v6, s3, s8, v6
	s_delay_alu instid0(VALU_DEP_1)
	v_add_co_ci_u32_e64 v7, s3, s9, v7, s3
	global_store_b16 v[6:7], v8, off
	s_or_b32 exec_lo, exec_lo, s4
	s_and_saveexec_b32 s4, s0
	s_cbranch_execz .LBB166_21
.LBB166_62:
	v_bfe_u32 v7, v90, 16, 1
	s_delay_alu instid0(VALU_DEP_2) | instskip(SKIP_1) | instid1(VALU_DEP_3)
	v_add_nc_u32_e32 v6, v5, v2
	v_cmp_o_f32_e64 s3, v90, v90
	v_add3_u32 v8, v90, v7, 0x7fff
	v_mov_b32_e32 v7, 0
	s_delay_alu instid0(VALU_DEP_2) | instskip(NEXT) | instid1(VALU_DEP_2)
	v_lshrrev_b32_e32 v8, 16, v8
	v_lshlrev_b64 v[6:7], 1, v[6:7]
	s_delay_alu instid0(VALU_DEP_2) | instskip(SKIP_1) | instid1(VALU_DEP_2)
	v_cndmask_b32_e64 v8, 0x7fc0, v8, s3
	s_waitcnt lgkmcnt(0)
	v_add_co_u32 v6, s3, s8, v6
	s_delay_alu instid0(VALU_DEP_1)
	v_add_co_ci_u32_e64 v7, s3, s9, v7, s3
	global_store_b16 v[6:7], v8, off
	s_or_b32 exec_lo, exec_lo, s4
	s_and_saveexec_b32 s4, s1
	s_cbranch_execz .LBB166_22
.LBB166_63:
	v_bfe_u32 v7, v89, 16, 1
	v_add_nc_u32_e32 v6, v5, v3
	v_cmp_o_f32_e64 s3, v89, v89
	s_delay_alu instid0(VALU_DEP_3) | instskip(SKIP_1) | instid1(VALU_DEP_2)
	v_add3_u32 v8, v89, v7, 0x7fff
	v_mov_b32_e32 v7, 0
	v_lshrrev_b32_e32 v8, 16, v8
	s_delay_alu instid0(VALU_DEP_2) | instskip(NEXT) | instid1(VALU_DEP_2)
	v_lshlrev_b64 v[6:7], 1, v[6:7]
	v_cndmask_b32_e64 v8, 0x7fc0, v8, s3
	s_waitcnt lgkmcnt(0)
	s_delay_alu instid0(VALU_DEP_2) | instskip(NEXT) | instid1(VALU_DEP_1)
	v_add_co_u32 v6, s3, s8, v6
	v_add_co_ci_u32_e64 v7, s3, s9, v7, s3
	global_store_b16 v[6:7], v8, off
	s_or_b32 exec_lo, exec_lo, s4
	s_and_saveexec_b32 s4, s2
	s_cbranch_execnz .LBB166_23
	s_branch .LBB166_24
.LBB166_64:
	v_bfe_u32 v7, v80, 16, 1
	s_delay_alu instid0(VALU_DEP_2) | instskip(SKIP_1) | instid1(VALU_DEP_3)
	v_add_nc_u32_e32 v6, v5, v0
	v_cmp_o_f32_e64 s3, v80, v80
	v_add3_u32 v8, v80, v7, 0x7fff
	v_mov_b32_e32 v7, 0
	s_delay_alu instid0(VALU_DEP_2) | instskip(NEXT) | instid1(VALU_DEP_2)
	v_lshrrev_b32_e32 v8, 16, v8
	v_lshlrev_b64 v[6:7], 1, v[6:7]
	s_delay_alu instid0(VALU_DEP_2) | instskip(SKIP_1) | instid1(VALU_DEP_2)
	v_cndmask_b32_e64 v8, 0x7fc0, v8, s3
	s_waitcnt lgkmcnt(0)
	v_add_co_u32 v6, s3, s8, v6
	s_delay_alu instid0(VALU_DEP_1)
	v_add_co_ci_u32_e64 v7, s3, s9, v7, s3
	global_store_b16 v[6:7], v8, off
	s_or_b32 exec_lo, exec_lo, s4
	s_and_saveexec_b32 s4, s0
	s_cbranch_execz .LBB166_27
.LBB166_65:
	v_bfe_u32 v7, v77, 16, 1
	s_delay_alu instid0(VALU_DEP_2) | instskip(SKIP_1) | instid1(VALU_DEP_3)
	v_add_nc_u32_e32 v6, v5, v2
	v_cmp_o_f32_e64 s3, v77, v77
	v_add3_u32 v8, v77, v7, 0x7fff
	v_mov_b32_e32 v7, 0
	s_delay_alu instid0(VALU_DEP_2) | instskip(NEXT) | instid1(VALU_DEP_2)
	v_lshrrev_b32_e32 v8, 16, v8
	v_lshlrev_b64 v[6:7], 1, v[6:7]
	s_delay_alu instid0(VALU_DEP_2) | instskip(SKIP_1) | instid1(VALU_DEP_2)
	v_cndmask_b32_e64 v8, 0x7fc0, v8, s3
	s_waitcnt lgkmcnt(0)
	v_add_co_u32 v6, s3, s8, v6
	s_delay_alu instid0(VALU_DEP_1)
	v_add_co_ci_u32_e64 v7, s3, s9, v7, s3
	global_store_b16 v[6:7], v8, off
	s_or_b32 exec_lo, exec_lo, s4
	s_and_saveexec_b32 s4, s1
	s_cbranch_execz .LBB166_28
.LBB166_66:
	v_bfe_u32 v7, v76, 16, 1
	v_add_nc_u32_e32 v6, v5, v3
	v_cmp_o_f32_e64 s3, v76, v76
	s_delay_alu instid0(VALU_DEP_3) | instskip(SKIP_1) | instid1(VALU_DEP_2)
	v_add3_u32 v8, v76, v7, 0x7fff
	v_mov_b32_e32 v7, 0
	v_lshrrev_b32_e32 v8, 16, v8
	s_delay_alu instid0(VALU_DEP_2) | instskip(NEXT) | instid1(VALU_DEP_2)
	v_lshlrev_b64 v[6:7], 1, v[6:7]
	v_cndmask_b32_e64 v8, 0x7fc0, v8, s3
	s_waitcnt lgkmcnt(0)
	s_delay_alu instid0(VALU_DEP_2) | instskip(NEXT) | instid1(VALU_DEP_1)
	v_add_co_u32 v6, s3, s8, v6
	v_add_co_ci_u32_e64 v7, s3, s9, v7, s3
	global_store_b16 v[6:7], v8, off
	s_or_b32 exec_lo, exec_lo, s4
	s_and_saveexec_b32 s4, s2
	s_cbranch_execnz .LBB166_29
	s_branch .LBB166_30
.LBB166_67:
	v_bfe_u32 v7, v73, 16, 1
	s_delay_alu instid0(VALU_DEP_2) | instskip(SKIP_1) | instid1(VALU_DEP_3)
	v_add_nc_u32_e32 v6, v5, v0
	v_cmp_o_f32_e64 s3, v73, v73
	v_add3_u32 v8, v73, v7, 0x7fff
	v_mov_b32_e32 v7, 0
	s_delay_alu instid0(VALU_DEP_2) | instskip(NEXT) | instid1(VALU_DEP_2)
	v_lshrrev_b32_e32 v8, 16, v8
	v_lshlrev_b64 v[6:7], 1, v[6:7]
	s_delay_alu instid0(VALU_DEP_2) | instskip(SKIP_1) | instid1(VALU_DEP_2)
	v_cndmask_b32_e64 v8, 0x7fc0, v8, s3
	s_waitcnt lgkmcnt(0)
	v_add_co_u32 v6, s3, s8, v6
	s_delay_alu instid0(VALU_DEP_1)
	v_add_co_ci_u32_e64 v7, s3, s9, v7, s3
	global_store_b16 v[6:7], v8, off
	s_or_b32 exec_lo, exec_lo, s4
	s_and_saveexec_b32 s4, s0
	s_cbranch_execz .LBB166_33
.LBB166_68:
	v_bfe_u32 v7, v70, 16, 1
	s_delay_alu instid0(VALU_DEP_2) | instskip(SKIP_1) | instid1(VALU_DEP_3)
	v_add_nc_u32_e32 v6, v5, v2
	v_cmp_o_f32_e64 s3, v70, v70
	v_add3_u32 v8, v70, v7, 0x7fff
	v_mov_b32_e32 v7, 0
	s_delay_alu instid0(VALU_DEP_2) | instskip(NEXT) | instid1(VALU_DEP_2)
	v_lshrrev_b32_e32 v8, 16, v8
	v_lshlrev_b64 v[6:7], 1, v[6:7]
	s_delay_alu instid0(VALU_DEP_2) | instskip(SKIP_1) | instid1(VALU_DEP_2)
	v_cndmask_b32_e64 v8, 0x7fc0, v8, s3
	s_waitcnt lgkmcnt(0)
	v_add_co_u32 v6, s3, s8, v6
	s_delay_alu instid0(VALU_DEP_1)
	v_add_co_ci_u32_e64 v7, s3, s9, v7, s3
	global_store_b16 v[6:7], v8, off
	s_or_b32 exec_lo, exec_lo, s4
	s_and_saveexec_b32 s4, s1
	s_cbranch_execz .LBB166_34
.LBB166_69:
	v_bfe_u32 v7, v69, 16, 1
	v_add_nc_u32_e32 v6, v5, v3
	v_cmp_o_f32_e64 s3, v69, v69
	s_delay_alu instid0(VALU_DEP_3) | instskip(SKIP_1) | instid1(VALU_DEP_2)
	v_add3_u32 v8, v69, v7, 0x7fff
	v_mov_b32_e32 v7, 0
	v_lshrrev_b32_e32 v8, 16, v8
	s_delay_alu instid0(VALU_DEP_2) | instskip(NEXT) | instid1(VALU_DEP_2)
	v_lshlrev_b64 v[6:7], 1, v[6:7]
	v_cndmask_b32_e64 v8, 0x7fc0, v8, s3
	s_waitcnt lgkmcnt(0)
	s_delay_alu instid0(VALU_DEP_2) | instskip(NEXT) | instid1(VALU_DEP_1)
	v_add_co_u32 v6, s3, s8, v6
	v_add_co_ci_u32_e64 v7, s3, s9, v7, s3
	global_store_b16 v[6:7], v8, off
	s_or_b32 exec_lo, exec_lo, s4
	s_and_saveexec_b32 s4, s2
	s_cbranch_execnz .LBB166_35
	s_branch .LBB166_36
.LBB166_70:
	v_bfe_u32 v7, v67, 16, 1
	s_delay_alu instid0(VALU_DEP_2) | instskip(SKIP_1) | instid1(VALU_DEP_3)
	v_add_nc_u32_e32 v6, v5, v0
	v_cmp_o_f32_e64 s3, v67, v67
	v_add3_u32 v8, v67, v7, 0x7fff
	v_mov_b32_e32 v7, 0
	s_delay_alu instid0(VALU_DEP_2) | instskip(NEXT) | instid1(VALU_DEP_2)
	v_lshrrev_b32_e32 v8, 16, v8
	v_lshlrev_b64 v[6:7], 1, v[6:7]
	s_delay_alu instid0(VALU_DEP_2) | instskip(SKIP_1) | instid1(VALU_DEP_2)
	v_cndmask_b32_e64 v8, 0x7fc0, v8, s3
	s_waitcnt lgkmcnt(0)
	v_add_co_u32 v6, s3, s8, v6
	s_delay_alu instid0(VALU_DEP_1)
	v_add_co_ci_u32_e64 v7, s3, s9, v7, s3
	global_store_b16 v[6:7], v8, off
	s_or_b32 exec_lo, exec_lo, s4
	s_and_saveexec_b32 s4, s0
	s_cbranch_execz .LBB166_39
.LBB166_71:
	v_bfe_u32 v7, v66, 16, 1
	s_delay_alu instid0(VALU_DEP_2) | instskip(SKIP_1) | instid1(VALU_DEP_3)
	v_add_nc_u32_e32 v6, v5, v2
	v_cmp_o_f32_e64 s3, v66, v66
	v_add3_u32 v8, v66, v7, 0x7fff
	v_mov_b32_e32 v7, 0
	s_delay_alu instid0(VALU_DEP_2) | instskip(NEXT) | instid1(VALU_DEP_2)
	v_lshrrev_b32_e32 v8, 16, v8
	v_lshlrev_b64 v[6:7], 1, v[6:7]
	s_delay_alu instid0(VALU_DEP_2) | instskip(SKIP_1) | instid1(VALU_DEP_2)
	v_cndmask_b32_e64 v8, 0x7fc0, v8, s3
	s_waitcnt lgkmcnt(0)
	v_add_co_u32 v6, s3, s8, v6
	s_delay_alu instid0(VALU_DEP_1)
	v_add_co_ci_u32_e64 v7, s3, s9, v7, s3
	global_store_b16 v[6:7], v8, off
	s_or_b32 exec_lo, exec_lo, s4
	s_and_saveexec_b32 s4, s1
	s_cbranch_execz .LBB166_40
.LBB166_72:
	v_bfe_u32 v7, v65, 16, 1
	v_add_nc_u32_e32 v6, v5, v3
	v_cmp_o_f32_e64 s3, v65, v65
	s_delay_alu instid0(VALU_DEP_3) | instskip(SKIP_1) | instid1(VALU_DEP_2)
	v_add3_u32 v8, v65, v7, 0x7fff
	v_mov_b32_e32 v7, 0
	v_lshrrev_b32_e32 v8, 16, v8
	s_delay_alu instid0(VALU_DEP_2) | instskip(NEXT) | instid1(VALU_DEP_2)
	v_lshlrev_b64 v[6:7], 1, v[6:7]
	v_cndmask_b32_e64 v8, 0x7fc0, v8, s3
	s_waitcnt lgkmcnt(0)
	s_delay_alu instid0(VALU_DEP_2) | instskip(NEXT) | instid1(VALU_DEP_1)
	v_add_co_u32 v6, s3, s8, v6
	v_add_co_ci_u32_e64 v7, s3, s9, v7, s3
	global_store_b16 v[6:7], v8, off
	s_or_b32 exec_lo, exec_lo, s4
	s_and_saveexec_b32 s4, s2
	s_cbranch_execnz .LBB166_41
	s_branch .LBB166_42
.LBB166_73:
	v_bfe_u32 v7, v63, 16, 1
	s_delay_alu instid0(VALU_DEP_2) | instskip(SKIP_1) | instid1(VALU_DEP_3)
	v_add_nc_u32_e32 v6, v5, v0
	v_cmp_o_f32_e64 s3, v63, v63
	v_add3_u32 v8, v63, v7, 0x7fff
	v_mov_b32_e32 v7, 0
	s_delay_alu instid0(VALU_DEP_2) | instskip(NEXT) | instid1(VALU_DEP_2)
	v_lshrrev_b32_e32 v8, 16, v8
	v_lshlrev_b64 v[6:7], 1, v[6:7]
	s_delay_alu instid0(VALU_DEP_2) | instskip(SKIP_1) | instid1(VALU_DEP_2)
	v_cndmask_b32_e64 v8, 0x7fc0, v8, s3
	s_waitcnt lgkmcnt(0)
	v_add_co_u32 v6, s3, s8, v6
	s_delay_alu instid0(VALU_DEP_1)
	v_add_co_ci_u32_e64 v7, s3, s9, v7, s3
	global_store_b16 v[6:7], v8, off
	s_or_b32 exec_lo, exec_lo, s4
	s_and_saveexec_b32 s4, s0
	s_cbranch_execz .LBB166_45
.LBB166_74:
	v_bfe_u32 v7, v62, 16, 1
	s_delay_alu instid0(VALU_DEP_2) | instskip(SKIP_1) | instid1(VALU_DEP_3)
	v_add_nc_u32_e32 v6, v5, v2
	v_cmp_o_f32_e64 s3, v62, v62
	v_add3_u32 v8, v62, v7, 0x7fff
	v_mov_b32_e32 v7, 0
	s_delay_alu instid0(VALU_DEP_2) | instskip(NEXT) | instid1(VALU_DEP_2)
	v_lshrrev_b32_e32 v8, 16, v8
	v_lshlrev_b64 v[6:7], 1, v[6:7]
	s_delay_alu instid0(VALU_DEP_2) | instskip(SKIP_1) | instid1(VALU_DEP_2)
	v_cndmask_b32_e64 v8, 0x7fc0, v8, s3
	s_waitcnt lgkmcnt(0)
	v_add_co_u32 v6, s3, s8, v6
	s_delay_alu instid0(VALU_DEP_1)
	v_add_co_ci_u32_e64 v7, s3, s9, v7, s3
	global_store_b16 v[6:7], v8, off
	s_or_b32 exec_lo, exec_lo, s4
	s_and_saveexec_b32 s4, s1
	s_cbranch_execz .LBB166_46
.LBB166_75:
	v_bfe_u32 v7, v61, 16, 1
	v_add_nc_u32_e32 v6, v5, v3
	v_cmp_o_f32_e64 s3, v61, v61
	s_delay_alu instid0(VALU_DEP_3) | instskip(SKIP_1) | instid1(VALU_DEP_2)
	v_add3_u32 v8, v61, v7, 0x7fff
	v_mov_b32_e32 v7, 0
	v_lshrrev_b32_e32 v8, 16, v8
	s_delay_alu instid0(VALU_DEP_2) | instskip(NEXT) | instid1(VALU_DEP_2)
	v_lshlrev_b64 v[6:7], 1, v[6:7]
	v_cndmask_b32_e64 v8, 0x7fc0, v8, s3
	s_waitcnt lgkmcnt(0)
	s_delay_alu instid0(VALU_DEP_2) | instskip(NEXT) | instid1(VALU_DEP_1)
	v_add_co_u32 v6, s3, s8, v6
	v_add_co_ci_u32_e64 v7, s3, s9, v7, s3
	global_store_b16 v[6:7], v8, off
	s_or_b32 exec_lo, exec_lo, s4
	s_and_saveexec_b32 s4, s2
	s_cbranch_execnz .LBB166_47
	s_branch .LBB166_48
.LBB166_76:
	v_bfe_u32 v7, v59, 16, 1
	s_delay_alu instid0(VALU_DEP_2) | instskip(SKIP_1) | instid1(VALU_DEP_3)
	v_add_nc_u32_e32 v6, v5, v0
	v_cmp_o_f32_e64 s3, v59, v59
	v_add3_u32 v8, v59, v7, 0x7fff
	v_mov_b32_e32 v7, 0
	s_delay_alu instid0(VALU_DEP_2) | instskip(NEXT) | instid1(VALU_DEP_2)
	v_lshrrev_b32_e32 v8, 16, v8
	v_lshlrev_b64 v[6:7], 1, v[6:7]
	s_delay_alu instid0(VALU_DEP_2) | instskip(SKIP_1) | instid1(VALU_DEP_2)
	v_cndmask_b32_e64 v8, 0x7fc0, v8, s3
	s_waitcnt lgkmcnt(0)
	v_add_co_u32 v6, s3, s8, v6
	s_delay_alu instid0(VALU_DEP_1)
	v_add_co_ci_u32_e64 v7, s3, s9, v7, s3
	global_store_b16 v[6:7], v8, off
	s_or_b32 exec_lo, exec_lo, s4
	s_and_saveexec_b32 s4, s0
	s_cbranch_execz .LBB166_51
.LBB166_77:
	v_bfe_u32 v7, v58, 16, 1
	s_delay_alu instid0(VALU_DEP_2) | instskip(SKIP_1) | instid1(VALU_DEP_3)
	v_add_nc_u32_e32 v6, v5, v2
	v_cmp_o_f32_e64 s3, v58, v58
	v_add3_u32 v8, v58, v7, 0x7fff
	v_mov_b32_e32 v7, 0
	s_delay_alu instid0(VALU_DEP_2) | instskip(NEXT) | instid1(VALU_DEP_2)
	v_lshrrev_b32_e32 v8, 16, v8
	v_lshlrev_b64 v[6:7], 1, v[6:7]
	s_delay_alu instid0(VALU_DEP_2) | instskip(SKIP_1) | instid1(VALU_DEP_2)
	v_cndmask_b32_e64 v8, 0x7fc0, v8, s3
	s_waitcnt lgkmcnt(0)
	v_add_co_u32 v6, s3, s8, v6
	s_delay_alu instid0(VALU_DEP_1)
	v_add_co_ci_u32_e64 v7, s3, s9, v7, s3
	global_store_b16 v[6:7], v8, off
	s_or_b32 exec_lo, exec_lo, s4
	s_and_saveexec_b32 s4, s1
	s_cbranch_execz .LBB166_52
.LBB166_78:
	v_bfe_u32 v7, v57, 16, 1
	v_add_nc_u32_e32 v6, v5, v3
	v_cmp_o_f32_e64 s3, v57, v57
	s_delay_alu instid0(VALU_DEP_3) | instskip(SKIP_1) | instid1(VALU_DEP_2)
	v_add3_u32 v8, v57, v7, 0x7fff
	v_mov_b32_e32 v7, 0
	v_lshrrev_b32_e32 v8, 16, v8
	s_delay_alu instid0(VALU_DEP_2) | instskip(NEXT) | instid1(VALU_DEP_2)
	v_lshlrev_b64 v[6:7], 1, v[6:7]
	v_cndmask_b32_e64 v8, 0x7fc0, v8, s3
	s_waitcnt lgkmcnt(0)
	s_delay_alu instid0(VALU_DEP_2) | instskip(NEXT) | instid1(VALU_DEP_1)
	v_add_co_u32 v6, s3, s8, v6
	v_add_co_ci_u32_e64 v7, s3, s9, v7, s3
	global_store_b16 v[6:7], v8, off
	s_or_b32 exec_lo, exec_lo, s4
	s_and_saveexec_b32 s4, s2
	s_cbranch_execnz .LBB166_53
	s_branch .LBB166_54
.LBB166_79:
	v_bfe_u32 v6, v55, 16, 1
	s_delay_alu instid0(VALU_DEP_2) | instskip(SKIP_1) | instid1(VALU_DEP_3)
	v_add_nc_u32_e32 v5, v1, v0
	v_cmp_o_f32_e32 vcc_lo, v55, v55
	v_add3_u32 v0, v55, v6, 0x7fff
	v_mov_b32_e32 v6, 0
	s_delay_alu instid0(VALU_DEP_2) | instskip(NEXT) | instid1(VALU_DEP_2)
	v_lshrrev_b32_e32 v0, 16, v0
	v_lshlrev_b64 v[5:6], 1, v[5:6]
	s_delay_alu instid0(VALU_DEP_2) | instskip(SKIP_1) | instid1(VALU_DEP_2)
	v_cndmask_b32_e32 v0, 0x7fc0, v0, vcc_lo
	s_waitcnt lgkmcnt(0)
	v_add_co_u32 v5, vcc_lo, s8, v5
	s_delay_alu instid0(VALU_DEP_3)
	v_add_co_ci_u32_e32 v6, vcc_lo, s9, v6, vcc_lo
	global_store_b16 v[5:6], v0, off
	s_or_b32 exec_lo, exec_lo, s3
	s_and_saveexec_b32 s3, s0
	s_cbranch_execz .LBB166_57
.LBB166_80:
	v_bfe_u32 v0, v54, 16, 1
	s_delay_alu instid0(VALU_DEP_2) | instskip(SKIP_1) | instid1(VALU_DEP_3)
	v_dual_mov_b32 v6, 0 :: v_dual_add_nc_u32 v5, v1, v2
	v_cmp_o_f32_e32 vcc_lo, v54, v54
	v_add3_u32 v0, v54, v0, 0x7fff
	s_delay_alu instid0(VALU_DEP_3) | instskip(NEXT) | instid1(VALU_DEP_2)
	v_lshlrev_b64 v[5:6], 1, v[5:6]
	v_lshrrev_b32_e32 v0, 16, v0
	s_delay_alu instid0(VALU_DEP_1) | instskip(SKIP_1) | instid1(VALU_DEP_3)
	v_cndmask_b32_e32 v0, 0x7fc0, v0, vcc_lo
	s_waitcnt lgkmcnt(0)
	v_add_co_u32 v5, vcc_lo, s8, v5
	s_delay_alu instid0(VALU_DEP_4)
	v_add_co_ci_u32_e32 v6, vcc_lo, s9, v6, vcc_lo
	global_store_b16 v[5:6], v0, off
	s_or_b32 exec_lo, exec_lo, s3
	s_and_saveexec_b32 s0, s1
	s_cbranch_execz .LBB166_58
.LBB166_81:
	v_bfe_u32 v0, v53, 16, 1
	v_dual_mov_b32 v3, 0 :: v_dual_add_nc_u32 v2, v1, v3
	v_cmp_o_f32_e32 vcc_lo, v53, v53
	s_delay_alu instid0(VALU_DEP_3) | instskip(NEXT) | instid1(VALU_DEP_3)
	v_add3_u32 v0, v53, v0, 0x7fff
	v_lshlrev_b64 v[2:3], 1, v[2:3]
	s_delay_alu instid0(VALU_DEP_2) | instskip(NEXT) | instid1(VALU_DEP_1)
	v_lshrrev_b32_e32 v0, 16, v0
	v_cndmask_b32_e32 v0, 0x7fc0, v0, vcc_lo
	s_waitcnt lgkmcnt(0)
	s_delay_alu instid0(VALU_DEP_3) | instskip(NEXT) | instid1(VALU_DEP_4)
	v_add_co_u32 v2, vcc_lo, s8, v2
	v_add_co_ci_u32_e32 v3, vcc_lo, s9, v3, vcc_lo
	global_store_b16 v[2:3], v0, off
	s_or_b32 exec_lo, exec_lo, s0
	s_delay_alu instid0(SALU_CYCLE_1)
	s_and_b32 exec_lo, exec_lo, s2
	s_cbranch_execnz .LBB166_59
	s_branch .LBB166_60
	.section	.rodata,"a",@progbits
	.p2align	6, 0x0
	.amdhsa_kernel _ZL12mul_mat_q8_0IN3c108BFloat16ELb1EEvPKvS3_PT_iiiii
		.amdhsa_group_segment_fixed_size 28224
		.amdhsa_private_segment_fixed_size 0
		.amdhsa_kernarg_size 44
		.amdhsa_user_sgpr_count 14
		.amdhsa_user_sgpr_dispatch_ptr 0
		.amdhsa_user_sgpr_queue_ptr 0
		.amdhsa_user_sgpr_kernarg_segment_ptr 1
		.amdhsa_user_sgpr_dispatch_id 0
		.amdhsa_user_sgpr_private_segment_size 0
		.amdhsa_wavefront_size32 1
		.amdhsa_uses_dynamic_stack 0
		.amdhsa_enable_private_segment 0
		.amdhsa_system_sgpr_workgroup_id_x 1
		.amdhsa_system_sgpr_workgroup_id_y 1
		.amdhsa_system_sgpr_workgroup_id_z 0
		.amdhsa_system_sgpr_workgroup_info 0
		.amdhsa_system_vgpr_workitem_id 1
		.amdhsa_next_free_vgpr 156
		.amdhsa_next_free_sgpr 16
		.amdhsa_reserve_vcc 1
		.amdhsa_float_round_mode_32 0
		.amdhsa_float_round_mode_16_64 0
		.amdhsa_float_denorm_mode_32 3
		.amdhsa_float_denorm_mode_16_64 3
		.amdhsa_dx10_clamp 1
		.amdhsa_ieee_mode 1
		.amdhsa_fp16_overflow 0
		.amdhsa_workgroup_processor_mode 1
		.amdhsa_memory_ordered 1
		.amdhsa_forward_progress 0
		.amdhsa_shared_vgpr_count 0
		.amdhsa_exception_fp_ieee_invalid_op 0
		.amdhsa_exception_fp_denorm_src 0
		.amdhsa_exception_fp_ieee_div_zero 0
		.amdhsa_exception_fp_ieee_overflow 0
		.amdhsa_exception_fp_ieee_underflow 0
		.amdhsa_exception_fp_ieee_inexact 0
		.amdhsa_exception_int_div_zero 0
	.end_amdhsa_kernel
	.section	.text._ZL12mul_mat_q8_0IN3c108BFloat16ELb1EEvPKvS3_PT_iiiii,"axG",@progbits,_ZL12mul_mat_q8_0IN3c108BFloat16ELb1EEvPKvS3_PT_iiiii,comdat
.Lfunc_end166:
	.size	_ZL12mul_mat_q8_0IN3c108BFloat16ELb1EEvPKvS3_PT_iiiii, .Lfunc_end166-_ZL12mul_mat_q8_0IN3c108BFloat16ELb1EEvPKvS3_PT_iiiii
                                        ; -- End function
	.section	.AMDGPU.csdata,"",@progbits
; Kernel info:
; codeLenInByte = 10380
; NumSgprs: 18
; NumVgprs: 156
; ScratchSize: 0
; MemoryBound: 0
; FloatMode: 240
; IeeeMode: 1
; LDSByteSize: 28224 bytes/workgroup (compile time only)
; SGPRBlocks: 2
; VGPRBlocks: 19
; NumSGPRsForWavesPerEU: 18
; NumVGPRsForWavesPerEU: 156
; Occupancy: 8
; WaveLimiterHint : 0
; COMPUTE_PGM_RSRC2:SCRATCH_EN: 0
; COMPUTE_PGM_RSRC2:USER_SGPR: 14
; COMPUTE_PGM_RSRC2:TRAP_HANDLER: 0
; COMPUTE_PGM_RSRC2:TGID_X_EN: 1
; COMPUTE_PGM_RSRC2:TGID_Y_EN: 1
; COMPUTE_PGM_RSRC2:TGID_Z_EN: 0
; COMPUTE_PGM_RSRC2:TIDIG_COMP_CNT: 1
	.section	.text._ZL12mul_mat_q2_KIN3c108BFloat16ELb0EEvPKvS3_PT_iiiii,"axG",@progbits,_ZL12mul_mat_q2_KIN3c108BFloat16ELb0EEvPKvS3_PT_iiiii,comdat
	.globl	_ZL12mul_mat_q2_KIN3c108BFloat16ELb0EEvPKvS3_PT_iiiii ; -- Begin function _ZL12mul_mat_q2_KIN3c108BFloat16ELb0EEvPKvS3_PT_iiiii
	.p2align	8
	.type	_ZL12mul_mat_q2_KIN3c108BFloat16ELb0EEvPKvS3_PT_iiiii,@function
_ZL12mul_mat_q2_KIN3c108BFloat16ELb0EEvPKvS3_PT_iiiii: ; @_ZL12mul_mat_q2_KIN3c108BFloat16ELb0EEvPKvS3_PT_iiiii
; %bb.0:
	s_clause 0x1
	s_load_b32 s11, s[0:1], 0x18
	s_load_b128 s[4:7], s[0:1], 0x20
	v_bfe_u32 v1, v0, 10, 10
	s_waitcnt lgkmcnt(0)
	s_lshl_b32 s7, s15, 6
	scratch_store_b32 off, v1, off offset:384 ; 4-byte Folded Spill
	v_and_b32_e32 v1, 0x3ff, v0
	scratch_store_b32 off, v1, off offset:100 ; 4-byte Folded Spill
	s_cmpk_gt_i32 s11, 0xff
	s_cbranch_scc1 .LBB167_2
; %bb.1:
	v_bfe_u32 v1, v0, 10, 10
	v_and_b32_e32 v0, 0x3ff, v0
	s_mov_b32 s2, 0
	s_mov_b32 s3, 0
	s_delay_alu instid0(VALU_DEP_2)
	v_add_nc_u32_e32 v2, s7, v1
	s_branch .LBB167_3
.LBB167_2:
	s_mov_b32 s2, -1
                                        ; implicit-def: $sgpr3
                                        ; implicit-def: $vgpr1
                                        ; implicit-def: $vgpr0
                                        ; implicit-def: $vgpr2
.LBB167_3:
	s_load_b64 s[8:9], s[0:1], 0x10
	v_dual_mov_b32 v67, s3 :: v_dual_mov_b32 v166, s3
	v_dual_mov_b32 v105, s3 :: v_dual_mov_b32 v210, s3
	;; [unrolled: 1-line block ×14, first 2 shown]
	v_mov_b32_e32 v20, s3
	v_mov_b32_e32 v198, s3
	;; [unrolled: 1-line block ×4, first 2 shown]
	s_and_not1_b32 vcc_lo, exec_lo, s2
	s_lshl_b32 s10, s14, 7
	s_cbranch_vccnz .LBB167_15
; %bb.4:
	s_clause 0x1
	scratch_load_b32 v27, off, off offset:100
	scratch_load_b32 v25, off, off offset:384
	s_load_b128 s[0:3], s[0:1], 0x0
	s_ashr_i32 s15, s11, 31
	s_ashr_i32 s16, s5, 31
	s_lshr_b32 s15, s15, 24
	v_mov_b32_e32 v194, 0
	s_add_i32 s11, s11, s15
	s_lshr_b32 s15, s16, 27
	s_ashr_i32 s11, s11, 8
	s_add_i32 s5, s5, s15
	s_mul_i32 s15, s11, s10
	s_ashr_i32 s5, s5, 5
	s_mul_i32 s16, s15, 0x54
	s_mul_hi_i32 s15, s15, 0x54
	s_movk_i32 s12, 0x1080
	s_movk_i32 s13, 0x2100
	;; [unrolled: 1-line block ×3, first 2 shown]
	v_dual_mov_b32 v33, 0 :: v_dual_mov_b32 v218, 0
	v_mov_b32_e32 v160, 0
	v_mov_b32_e32 v166, 0
	s_waitcnt lgkmcnt(0)
	s_add_u32 s0, s0, s16
	s_addc_u32 s1, s1, s15
	s_lshl_b32 s15, s11, 3
	s_add_i32 s16, s4, -1
	v_mov_b32_e32 v198, 0
	v_dual_mov_b32 v82, 0 :: v_dual_mov_b32 v189, 0
	v_mov_b32_e32 v69, 0
	v_mov_b32_e32 v221, 0
	v_dual_mov_b32 v179, 0 :: v_dual_mov_b32 v238, 0
	v_mov_b32_e32 v177, 0
	v_mov_b32_e32 v43, 0
	;; [unrolled: 1-line block ×4, first 2 shown]
	v_dual_mov_b32 v67, 0 :: v_dual_mov_b32 v32, 0
	v_mov_b32_e32 v38, 0
	v_mov_b32_e32 v216, 0
	;; [unrolled: 1-line block ×6, first 2 shown]
	s_waitcnt vmcnt(1)
	v_lshlrev_b32_e32 v18, 2, v27
	s_waitcnt vmcnt(0)
	v_mad_i32_i24 v2, s11, v25, s15
	v_add_nc_u32_e32 v13, s7, v25
	v_and_b32_e32 v23, 1, v27
	v_mul_i32_i24_e32 v30, s11, v25
	v_and_b32_e32 v29, 60, v18
	v_add_nc_u32_e32 v5, s15, v2
	scratch_store_b32 off, v2, off offset:196 ; 4-byte Folded Spill
	v_cvt_f64_u32_e32 v[0:1], v13
	v_cvt_f64_i32_e32 v[2:3], s16
	s_clause 0x1
	scratch_store_b32 off, v13, off offset:388
	scratch_store_b32 off, v30, off offset:232
	v_add_nc_u32_e32 v11, s15, v5
	s_clause 0x1
	scratch_store_b32 off, v5, off offset:200
	scratch_store_b32 off, v23, off offset:192
	v_add_nc_u32_e32 v4, 8, v13
	v_add_nc_u32_e32 v6, 16, v13
	;; [unrolled: 1-line block ×3, first 2 shown]
	scratch_store_b32 off, v11, off offset:204 ; 4-byte Folded Spill
	v_add_nc_u32_e32 v8, 24, v13
	v_add_nc_u32_e32 v10, 32, v13
	;; [unrolled: 1-line block ×4, first 2 shown]
	scratch_store_b32 off, v15, off offset:208 ; 4-byte Folded Spill
	v_add_nc_u32_e32 v14, 48, v13
	v_add_nc_u32_e32 v16, 56, v13
	v_cvt_f64_u32_e32 v[4:5], v4
	v_add_nc_u32_e32 v24, s15, v22
	s_clause 0x1
	scratch_store_b32 off, v22, off offset:212
	scratch_store_b32 off, v29, off offset:220
	v_mad_u32_u24 v29, 0x84, v25, v18
	v_cvt_f64_u32_e32 v[6:7], v6
	scratch_store_b32 off, v24, off offset:216 ; 4-byte Folded Spill
	v_add_nc_u32_e32 v24, s15, v24
	v_cvt_f64_u32_e32 v[8:9], v8
	v_add_nc_u32_e32 v30, 0x420, v29
	s_clause 0x1
	scratch_store_b32 off, v30, off offset:236
	scratch_store_b32 off, v24, off offset:228
	v_add_nc_u32_e32 v30, 0x840, v29
	v_cvt_f64_u32_e32 v[10:11], v10
	v_cvt_f64_u32_e32 v[12:13], v12
	v_cvt_f64_u32_e32 v[14:15], v14
	v_cvt_f64_u32_e32 v[16:17], v16
	scratch_store_b32 off, v30, off offset:244 ; 4-byte Folded Spill
	v_add_nc_u32_e32 v30, 0xc60, v29
	v_add_nc_u32_e32 v24, s15, v24
	v_min_f64 v[0:1], v[0:1], v[2:3]
	v_lshlrev_b32_e32 v19, 4, v25
	v_lshrrev_b32_e32 v20, 1, v27
	scratch_store_b32 off, v30, off offset:248 ; 4-byte Folded Spill
	v_add_nc_u32_e32 v30, 0x1080, v29
	v_lshlrev_b32_e32 v23, 2, v23
	v_lshrrev_b32_e32 v21, 3, v27
	v_add_nc_u32_e32 v20, v20, v19
	v_and_b32_e32 v22, 7, v27
	scratch_store_b32 off, v30, off offset:252 ; 4-byte Folded Spill
	v_add_nc_u32_e32 v30, 0x14a0, v29
	s_clause 0x1
	scratch_store_b32 off, v30, off offset:256
	scratch_store_b32 off, v24, off offset:240
	v_add_nc_u32_e32 v30, 0x18c0, v29
	v_add_nc_u32_e32 v24, s15, v24
	v_min_f64 v[4:5], v[4:5], v[2:3]
	v_lshl_add_u32 v21, v25, 2, v21
	v_min_f64 v[6:7], v[6:7], v[2:3]
	scratch_store_b32 off, v30, off offset:264 ; 4-byte Folded Spill
	v_add_nc_u32_e32 v30, 0x1ce0, v29
	v_min_f64 v[8:9], v[8:9], v[2:3]
	v_cmp_lt_u32_e32 vcc_lo, 3, v22
	v_lshrrev_b32_e32 v28, 4, v27
	v_mul_u32_u24_e32 v70, 0x84, v27
	scratch_store_b32 off, v30, off offset:268 ; 4-byte Folded Spill
	v_add_nc_u32_e32 v30, 0x2100, v29
	v_lshlrev_b32_e32 v71, 5, v27
	v_mad_u32_u24 v135, 0x84, v27, s12
	v_min_f64 v[10:11], v[10:11], v[2:3]
	v_min_f64 v[12:13], v[12:13], v[2:3]
	scratch_store_b32 off, v30, off offset:272 ; 4-byte Folded Spill
	v_add_nc_u32_e32 v30, 0x2520, v29
	s_clause 0x1
	scratch_store_b32 off, v30, off offset:276
	scratch_store_b32 off, v24, off offset:260
	v_add_nc_u32_e32 v30, 0x2940, v29
	v_add_nc_u32_e32 v24, s15, v24
	v_min_f64 v[14:15], v[14:15], v[2:3]
	v_min_f64 v[2:3], v[16:17], v[2:3]
	v_add_nc_u32_e32 v16, 0x35a0, v29
	scratch_store_b32 off, v30, off offset:284 ; 4-byte Folded Spill
	v_add_nc_u32_e32 v30, 0x2d60, v29
	scratch_store_b32 off, v24, off offset:280 ; 4-byte Folded Spill
	;; [unrolled: 2-line block ×3, first 2 shown]
	v_cvt_i32_f64_e32 v1, v[0:1]
	scratch_store_b32 off, v30, off offset:288 ; 4-byte Folded Spill
	v_add_nc_u32_e32 v30, 0x3180, v29
	scratch_store_b32 off, v24, off offset:292 ; 4-byte Folded Spill
	v_add_nc_u32_e32 v0, 64, v21
	v_mad_u32_u24 v140, 0x84, v27, s13
	v_cvt_i32_f64_e32 v4, v[4:5]
	scratch_store_b32 off, v30, off offset:296 ; 4-byte Folded Spill
	v_add_nc_u32_e32 v30, s15, v24
	v_and_b32_e32 v24, 0x7f, v20
	v_lshrrev_b32_e32 v20, 2, v20
	v_cvt_i32_f64_e32 v5, v[6:7]
	v_cvt_i32_f64_e32 v7, v[8:9]
	scratch_store_b32 off, v30, off offset:300 ; 4-byte Folded Spill
	v_add_nc_u32_e32 v30, s15, v30
	v_lshl_or_b32 v16, v24, 3, v23
	v_add_nc_u32_e32 v23, 0x39c0, v29
	v_and_b32_e32 v17, 28, v20
	v_lshrrev_b32_e32 v8, 2, v27
	s_clause 0x2
	scratch_store_b32 off, v30, off offset:304
	scratch_store_b32 off, v23, off offset:316
	scratch_store_b32 off, v29, off offset:224
	v_add_nc_u32_e32 v23, 0x3de0, v29
	v_add_nc_u32_e32 v20, s15, v30
	v_add3_u32 v16, v16, v17, 0x7280
	v_lshlrev_b32_e32 v17, 2, v22
	v_cndmask_b32_e64 v22, 0, 1, vcc_lo
	scratch_store_b32 off, v23, off offset:320 ; 4-byte Folded Spill
	v_mul_i32_i24_e32 v23, s11, v24
	v_cvt_i32_f64_e32 v9, v[10:11]
	v_and_b32_e32 v10, 0xffc, v0
	v_add_nc_u32_e32 v6, 0x60, v21
	v_lshl_add_u32 v8, v25, 3, v8
	s_clause 0x2
	scratch_store_b32 off, v23, off offset:324
	scratch_store_b32 off, v16, off offset:328
	;; [unrolled: 1-line block ×3, first 2 shown]
	v_add_nc_u32_e32 v16, s15, v20
	s_lshl_b32 s15, s11, 5
	v_add_nc_u32_e32 v20, 32, v21
	v_mad_i32_i24 v24, s11, v21, s15
	s_clause 0x1
	scratch_store_b32 off, v22, off offset:336
	scratch_store_b32 off, v16, off offset:332
	v_and_b32_e32 v22, 12, v18
	v_cvt_i32_f64_e32 v2, v[2:3]
	scratch_store_b32 off, v24, off offset:348 ; 4-byte Folded Spill
	v_add_nc_u32_e32 v24, s15, v24
	v_add3_u32 v3, v10, v17, 0x6200
	scratch_store_b32 off, v22, off offset:340 ; 4-byte Folded Spill
	v_mul_i32_i24_e32 v22, s11, v21
	v_lshlrev_b32_e32 v10, 5, v0
	scratch_store_b32 off, v24, off offset:352 ; 4-byte Folded Spill
	v_add_nc_u32_e32 v0, s15, v24
	v_and_b32_e32 v16, 0x7fc, v21
	scratch_store_b32 off, v22, off offset:344 ; 4-byte Folded Spill
	v_and_b32_e32 v22, 0xffc, v20
	v_cvt_i32_f64_e32 v11, v[12:13]
	scratch_store_b32 off, v0, off offset:356 ; 4-byte Folded Spill
	v_and_b32_e32 v12, 0xffc, v6
	v_and_b32_e32 v8, 63, v8
	;; [unrolled: 1-line block ×3, first 2 shown]
	v_add3_u32 v16, v16, v17, 0x6200
	v_add3_u32 v22, v22, v17, 0x6200
	v_cvt_i32_f64_e32 v13, v[14:15]
	v_add3_u32 v12, v12, v17, 0x6200
	v_and_b32_e32 v15, 28, v18
	v_or_b32_e32 v17, s7, v8
	v_lshlrev_b32_e32 v18, 2, v0
	v_lshlrev_b32_e32 v23, 5, v21
	;; [unrolled: 1-line block ×3, first 2 shown]
	v_add_co_u32 v24, s15, s2, v15
	v_min_i32_e32 v15, s16, v17
	v_lshl_or_b32 v8, v8, 4, v18
	v_add_co_ci_u32_e64 v25, null, s3, 0, s15
	v_and_b32_e32 v14, 31, v27
	s_delay_alu instid0(VALU_DEP_4) | instskip(NEXT) | instid1(VALU_DEP_4)
	v_mad_u64_u32 v[17:18], null, v15, s5, v[0:1]
	v_add_nc_u32_e32 v0, 0x76a0, v8
	scratch_store_b64 off, v[24:25], off offset:104 ; 8-byte Folded Spill
	v_lshl_or_b32 v14, v14, 2, v21
	v_lshlrev_b32_e32 v20, 5, v20
	v_lshlrev_b32_e32 v6, 5, v6
	scratch_store_b32 off, v0, off offset:112 ; 4-byte Folded Spill
	v_mul_lo_u32 v0, s5, v1
	scratch_store_b64 off, v[17:18], off offset:360 ; 8-byte Folded Spill
	v_add_nc_u32_e32 v1, 64, v27
	v_mad_u32_u24 v150, 0x84, v27, s14
	v_dual_mov_b32 v15, 0 :: v_dual_and_b32 v76, 0xfc, v27
	v_mov_b32_e32 v17, 0
	s_delay_alu instid0(VALU_DEP_4)
	v_and_b32_e32 v73, 0x1fc, v1
	scratch_store_b32 off, v0, off offset:116 ; 4-byte Folded Spill
	v_add_nc_u32_e32 v0, 0x4200, v14
	v_add_nc_u32_e32 v80, 0x6208, v76
	;; [unrolled: 1-line block ×3, first 2 shown]
	scratch_store_b32 off, v0, off offset:120 ; 4-byte Folded Spill
	v_mul_lo_u32 v0, s5, v4
	v_lshlrev_b32_e32 v4, 3, v27
	scratch_store_b32 off, v0, off offset:124 ; 4-byte Folded Spill
	v_add_nc_u32_e32 v0, 0x4600, v14
	scratch_store_b32 off, v0, off offset:128 ; 4-byte Folded Spill
	v_mul_lo_u32 v0, s5, v5
	v_add_nc_u32_e32 v5, 0x60, v27
	scratch_store_b32 off, v0, off offset:132 ; 4-byte Folded Spill
	v_add_nc_u32_e32 v0, 0x4a00, v14
	scratch_store_b32 off, v0, off offset:136 ; 4-byte Folded Spill
	v_mul_lo_u32 v0, s5, v7
	scratch_store_b32 off, v0, off offset:140 ; 4-byte Folded Spill
	v_add_nc_u32_e32 v0, 0x4e00, v14
	scratch_store_b32 off, v0, off offset:144 ; 4-byte Folded Spill
	v_mul_lo_u32 v0, s5, v9
	v_lshlrev_b32_e32 v9, 3, v1
	scratch_store_b32 off, v0, off offset:148 ; 4-byte Folded Spill
	v_add_nc_u32_e32 v0, 0x5200, v14
	scratch_store_b32 off, v0, off offset:152 ; 4-byte Folded Spill
	v_mul_lo_u32 v0, s5, v11
	v_lshlrev_b32_e32 v11, 3, v5
	scratch_store_b32 off, v0, off offset:156 ; 4-byte Folded Spill
	v_add_nc_u32_e32 v0, 0x5600, v14
	scratch_store_b32 off, v0, off offset:160 ; 4-byte Folded Spill
	v_mul_lo_u32 v0, s5, v13
	scratch_store_b32 off, v0, off offset:164 ; 4-byte Folded Spill
	v_add_nc_u32_e32 v0, 0x5a00, v14
	scratch_store_b32 off, v0, off offset:168 ; 4-byte Folded Spill
	v_mul_lo_u32 v0, s5, v2
	v_lshlrev_b32_e32 v2, 2, v28
	s_mov_b32 s5, 0
	s_delay_alu instid0(VALU_DEP_1) | instskip(SKIP_2) | instid1(VALU_DEP_2)
	v_add3_u32 v72, v2, v4, 0x7280
	v_lshrrev_b32_e32 v2, 2, v1
	v_lshrrev_b32_e32 v4, 2, v5
	v_and_b32_e32 v2, 0x7c, v2
	s_delay_alu instid0(VALU_DEP_2) | instskip(NEXT) | instid1(VALU_DEP_2)
	v_and_b32_e32 v4, 0x7c, v4
	v_add3_u32 v141, v9, v2, 0x7280
	v_add_nc_u32_e32 v2, 0x76a0, v19
	scratch_store_b32 off, v0, off offset:172 ; 4-byte Folded Spill
	v_add_nc_u32_e32 v0, 0x5e00, v14
	v_add3_u32 v152, v11, v4, 0x7280
	v_mov_b32_e32 v19, 0
	v_mov_b32_e32 v11, 0
	scratch_store_b32 off, v0, off offset:176 ; 4-byte Folded Spill
	v_add_nc_u32_e32 v0, 32, v27
	s_delay_alu instid0(VALU_DEP_1)
	v_lshrrev_b32_e32 v7, 2, v0
	v_lshlrev_b32_e32 v8, 3, v0
	v_and_b32_e32 v74, 0x1fc, v0
	v_add_nc_u32_e32 v0, 0x4200, v21
	scratch_store_b32 off, v2, off offset:180 ; 4-byte Folded Spill
	v_and_b32_e32 v7, 0x7c, v7
	v_add_nc_u32_e32 v79, 0x6608, v74
	scratch_store_b32 off, v0, off offset:184 ; 4-byte Folded Spill
	v_add_nc_u32_e32 v0, v16, v23
	scratch_store_b32 off, v28, off offset:188 ; 4-byte Folded Spill
	v_add3_u32 v136, v8, v7, 0x7280
	v_dual_mov_b32 v16, 0 :: v_dual_and_b32 v7, 0x1fc, v5
	scratch_store_b32 off, v0, off offset:368 ; 4-byte Folded Spill
	v_add_nc_u32_e32 v0, v22, v20
	v_mov_b32_e32 v20, 0
	v_dual_mov_b32 v22, 0 :: v_dual_add_nc_u32 v77, 0x6e08, v7
	scratch_store_b32 off, v0, off offset:372 ; 4-byte Folded Spill
	v_add_nc_u32_e32 v0, v3, v10
	v_mov_b32_e32 v10, 0
	scratch_store_b32 off, v0, off offset:376 ; 4-byte Folded Spill
	v_add_nc_u32_e32 v0, v12, v6
	s_clause 0x11
	scratch_store_b32 off, v0, off offset:380
	scratch_store_b32 off, v70, off offset:12
	;; [unrolled: 1-line block ×18, first 2 shown]
	s_branch .LBB167_6
.LBB167_5:                              ;   in Loop: Header=BB167_6 Depth=1
	s_add_i32 s5, s5, 2
	s_delay_alu instid0(SALU_CYCLE_1)
	s_cmp_ge_i32 s5, s11
	s_cbranch_scc1 .LBB167_14
.LBB167_6:                              ; =>This Loop Header: Depth=1
                                        ;     Child Loop BB167_8 Depth 2
                                        ;       Child Loop BB167_10 Depth 3
                                        ;       Child Loop BB167_12 Depth 3
	s_clause 0x1
	scratch_load_b32 v2, off, off offset:188
	scratch_load_b32 v4, off, off offset:232
	s_mul_i32 s12, s5, 0x54
	s_mul_hi_u32 s13, s5, 0x54
	s_add_u32 s12, s0, s12
	s_addc_u32 s13, s1, s13
	s_mov_b32 s14, 0
	s_waitcnt vmcnt(1)
	v_mad_u64_u32 v[0:1], null, 0x54, v2, s[12:13]
	scratch_load_b32 v2, off, off offset:220 ; 4-byte Folded Reload
	s_waitcnt vmcnt(0)
	v_add_co_u32 v0, vcc_lo, v0, v2
	v_add_co_ci_u32_e32 v1, vcc_lo, 0, v1, vcc_lo
	s_delay_alu instid0(VALU_DEP_2) | instskip(NEXT) | instid1(VALU_DEP_2)
	v_add_co_u32 v0, vcc_lo, v0, 16
	v_add_co_ci_u32_e32 v1, vcc_lo, 0, v1, vcc_lo
	s_delay_alu instid0(VALU_DEP_1)
	v_mad_u64_u32 v[2:3], null, 0x54, v4, v[0:1]
	scratch_load_b32 v4, off, off offset:196 ; 4-byte Folded Reload
	s_waitcnt vmcnt(0)
	v_mad_u64_u32 v[23:24], null, 0x54, v4, v[0:1]
	scratch_load_b32 v4, off, off offset:200 ; 4-byte Folded Reload
	s_waitcnt vmcnt(0)
	;; [unrolled: 3-line block ×7, first 2 shown]
	v_mad_u64_u32 v[50:51], null, 0x54, v4, v[0:1]
	s_clause 0x7
	global_load_b32 v4, v[2:3], off
	global_load_b32 v29, v[23:24], off
	;; [unrolled: 1-line block ×8, first 2 shown]
	scratch_load_b32 v5, off, off offset:240 ; 4-byte Folded Reload
	s_waitcnt vmcnt(0)
	v_mad_u64_u32 v[2:3], null, 0x54, v5, v[0:1]
	scratch_load_b32 v5, off, off offset:260 ; 4-byte Folded Reload
	s_waitcnt vmcnt(0)
	v_mad_u64_u32 v[23:24], null, 0x54, v5, v[0:1]
	;; [unrolled: 3-line block ×9, first 2 shown]
	scratch_load_b32 v5, off, off offset:340 ; 4-byte Folded Reload
	s_lshl_b32 s12, s5, 3
	s_mov_b32 s13, 0
	s_waitcnt vmcnt(0)
	v_add_co_u32 v46, vcc_lo, v46, v5
	scratch_load_b32 v5, off, off offset:332 ; 4-byte Folded Reload
	v_add_co_ci_u32_e32 v47, vcc_lo, 0, v47, vcc_lo
	s_waitcnt vmcnt(0)
	v_mad_u64_u32 v[54:55], null, 0x54, v5, v[0:1]
	scratch_load_b32 v5, off, off offset:192 ; 4-byte Folded Reload
	s_waitcnt vmcnt(0)
	v_mad_u64_u32 v[0:1], null, 0x54, v5, v[52:53]
	scratch_load_b32 v5, off, off offset:344 ; 4-byte Folded Reload
	;; [unrolled: 3-line block ×5, first 2 shown]
	s_waitcnt vmcnt(0)
	v_mad_u64_u32 v[61:62], null, 0x54, v5, v[46:47]
	s_clause 0xc
	global_load_b32 v2, v[2:3], off
	global_load_b32 v3, v[23:24], off
	global_load_b32 v23, v[36:37], off
	global_load_b32 v24, v[40:41], off
	global_load_b32 v36, v[44:45], off
	global_load_b32 v37, v[48:49], off
	global_load_b32 v40, v[50:51], off
	global_load_b32 v41, v[54:55], off
	global_load_b32 v0, v[0:1], off offset:80
	global_load_b32 v1, v[52:53], off
	global_load_b32 v44, v[57:58], off
	global_load_b32 v45, v[59:60], off
	global_load_b32 v46, v[61:62], off
	scratch_load_b64 v[5:6], off, off offset:360 ; 8-byte Folded Reload
	s_waitcnt vmcnt(0)
	v_add_nc_u32_e32 v5, s12, v5
	scratch_store_b32 off, v5, off offset:96 ; 4-byte Folded Spill
	scratch_load_b32 v5, off, off offset:224 ; 4-byte Folded Reload
	s_waitcnt vmcnt(0)
	ds_store_b32 v5, v4
	scratch_load_b32 v4, off, off offset:236 ; 4-byte Folded Reload
	s_waitcnt vmcnt(0)
	ds_store_b32 v4, v29
	;; [unrolled: 3-line block ×21, first 2 shown]
	s_branch .LBB167_8
.LBB167_7:                              ;   in Loop: Header=BB167_8 Depth=2
                                        ; implicit-def: $sgpr14
                                        ; implicit-def: $sgpr13
	s_cbranch_execnz .LBB167_5
.LBB167_8:                              ;   Parent Loop BB167_6 Depth=1
                                        ; =>  This Loop Header: Depth=2
                                        ;       Child Loop BB167_10 Depth 3
                                        ;       Child Loop BB167_12 Depth 3
	s_lshr_b32 s15, s14, 1
	s_delay_alu instid0(SALU_CYCLE_1) | instskip(NEXT) | instid1(SALU_CYCLE_1)
	s_or_b32 s15, s15, s5
	s_cmp_lt_i32 s15, s11
	s_cbranch_scc0 .LBB167_7
; %bb.9:                                ;   in Loop: Header=BB167_8 Depth=2
	s_clause 0x1
	scratch_load_b32 v0, off, off offset:100
	scratch_load_b32 v7, off, off offset:172
	v_mov_b32_e32 v161, v160
	v_dual_mov_b32 v180, v20 :: v_dual_mov_b32 v195, v198
	v_dual_mov_b32 v184, v181 :: v_dual_mov_b32 v211, v210
	;; [unrolled: 1-line block ×7, first 2 shown]
	v_mov_b32_e32 v21, v238
	s_or_b32 s16, s14, 1
	s_lshl_b32 s17, s14, 3
	s_mov_b32 s18, 0
	s_lshl_b32 s15, s16, 3
	scratch_load_b64 v[5:6], off, off offset:104 ; 8-byte Folded Reload
	v_mov_b32_e32 v151, v11
	v_dual_mov_b32 v11, v10 :: v_dual_mov_b32 v10, v105
	v_dual_mov_b32 v178, v17 :: v_dual_mov_b32 v17, v16
	v_mov_b32_e32 v20, v19
	v_dual_mov_b32 v16, v15 :: v_dual_mov_b32 v9, v82
	v_mov_b32_e32 v167, v166
	v_mov_b32_e32 v15, v177
	;; [unrolled: 1-line block ×4, first 2 shown]
	s_waitcnt vmcnt(2)
	v_lshl_add_u32 v0, s14, 5, v0
	s_delay_alu instid0(VALU_DEP_1) | instskip(NEXT) | instid1(VALU_DEP_1)
	v_lshrrev_b32_e32 v0, 3, v0
	v_add_nc_u32_e32 v4, s12, v0
	scratch_load_b32 v0, off, off offset:96 ; 4-byte Folded Reload
	s_waitcnt vmcnt(0)
	v_lshl_add_u32 v29, s14, 2, v0
	scratch_load_b32 v0, off, off offset:116 ; 4-byte Folded Reload
	v_mad_u64_u32 v[44:45], null, v29, 36, s[2:3]
	s_waitcnt vmcnt(0)
	v_add_nc_u32_e32 v2, v4, v0
	scratch_load_b32 v0, off, off offset:124 ; 4-byte Folded Reload
	s_waitcnt vmcnt(0)
	v_add_nc_u32_e32 v23, v4, v0
	scratch_load_b32 v0, off, off offset:132 ; 4-byte Folded Reload
	;; [unrolled: 3-line block ×4, first 2 shown]
	v_mad_i64_i32 v[36:37], null, v40, 36, v[5:6]
	s_waitcnt vmcnt(0)
	v_add_nc_u32_e32 v42, v4, v0
	scratch_load_b32 v0, off, off offset:156 ; 4-byte Folded Reload
	v_mad_i64_i32 v[40:41], null, v42, 36, v[5:6]
	s_waitcnt vmcnt(0)
	v_add_nc_u32_e32 v48, v4, v0
	scratch_load_b32 v0, off, off offset:164 ; 4-byte Folded Reload
	v_mad_i64_i32 v[46:47], null, v48, 36, v[5:6]
	s_waitcnt vmcnt(0)
	v_add_nc_u32_e32 v50, v4, v0
	v_mad_i64_i32 v[0:1], null, v2, 36, v[5:6]
	v_mad_i64_i32 v[2:3], null, v23, 36, v[5:6]
	;; [unrolled: 1-line block ×3, first 2 shown]
	v_add_nc_u32_e32 v4, v4, v7
	v_mad_i64_i32 v[48:49], null, v50, 36, v[5:6]
	s_delay_alu instid0(VALU_DEP_2)
	v_mad_i64_i32 v[50:51], null, v4, 36, v[5:6]
	s_clause 0x8
	global_load_b32 v4, v[44:45], off
	global_load_b32 v2, v[2:3], off offset:4
	global_load_b32 v3, v[23:24], off offset:4
	;; [unrolled: 1-line block ×8, first 2 shown]
	s_clause 0x1
	scratch_load_b32 v124, off, off offset:184
	scratch_load_b32 v125, off, off offset:180
	s_waitcnt vmcnt(10)
	v_cvt_f32_f16_e32 v1, v4
	scratch_load_b32 v4, off, off offset:128 ; 4-byte Folded Reload
	s_waitcnt vmcnt(0)
	ds_store_b32 v4, v2
	scratch_load_b32 v2, off, off offset:136 ; 4-byte Folded Reload
	s_waitcnt vmcnt(0)
	ds_store_b32 v2, v3
	;; [unrolled: 3-line block ×9, first 2 shown]
	s_waitcnt lgkmcnt(0)
	s_waitcnt_vscnt null, 0x0
	s_barrier
	buffer_gl0_inv
.LBB167_10:                             ;   Parent Loop BB167_6 Depth=1
                                        ;     Parent Loop BB167_8 Depth=2
                                        ; =>    This Inner Loop Header: Depth=3
	s_clause 0x2
	scratch_store_b32 off, v69, off offset:8
	scratch_store_b32 off, v68, off offset:4
	scratch_store_b32 off, v67, off
	ds_load_2addr_b32 v[3:4], v125 offset1:32
	ds_load_b128 v[44:47], v124
	ds_load_b128 v[48:51], v124 offset:16
	scratch_load_b32 v5, off, off offset:76 ; 4-byte Folded Reload
	s_add_i32 s21, s13, s18
	s_and_b32 s19, s17, -16
	s_and_b32 s20, s21, 0x3ffffff8
	s_lshr_b32 s21, s21, 2
	s_lshl_b32 s20, s20, 2
	s_and_b32 s21, s21, 0x3ffffffc
	s_add_i32 s17, s17, 2
	v_add_nc_u32_e32 v31, s21, v72
	s_waitcnt lgkmcnt(1)
	v_ashrrev_i32_e32 v88, 24, v44
	v_ashrrev_i32_e32 v92, 24, v45
	v_bfe_i32 v87, v44, 16, 8
	v_bfe_i32 v91, v45, 16, 8
	v_ashrrev_i32_e32 v96, 24, v46
	v_ashrrev_i32_e32 v100, 24, v47
	v_add_nc_u32_e32 v23, v92, v88
	v_bfe_i32 v86, v44, 8, 8
	v_bfe_i32 v90, v45, 8, 8
	;; [unrolled: 1-line block ×4, first 2 shown]
	v_add3_u32 v127, v23, v96, v100
	v_add_nc_u32_e32 v23, v91, v87
	v_bfe_i32 v85, v44, 0, 8
	v_bfe_i32 v89, v45, 0, 8
	;; [unrolled: 1-line block ×4, first 2 shown]
	v_add3_u32 v128, v23, v95, v99
	v_add_nc_u32_e32 v23, v90, v86
	v_bfe_i32 v93, v46, 0, 8
	v_bfe_i32 v97, v47, 0, 8
	s_waitcnt lgkmcnt(0)
	v_bfe_i32 v0, v49, 0, 8
	v_bfe_i32 v109, v49, 8, 8
	v_add3_u32 v105, v23, v94, v98
	v_add_nc_u32_e32 v23, v89, v85
	v_bfe_i32 v110, v49, 16, 8
	v_ashrrev_i32_e32 v111, 24, v49
	v_bfe_i32 v116, v51, 0, 8
	v_bfe_i32 v117, v51, 8, 8
	v_add3_u32 v106, v23, v93, v97
	v_add_nc_u32_e32 v23, s20, v70
	v_bfe_i32 v118, v51, 16, 8
	v_ashrrev_i32_e32 v123, 24, v51
	v_bfe_i32 v101, v48, 0, 8
	v_bfe_i32 v102, v48, 8, 8
	ds_load_2addr_b32 v[36:37], v23 offset1:1
	v_bfe_i32 v103, v48, 16, 8
	v_ashrrev_i32_e32 v104, 24, v48
	v_bfe_i32 v112, v50, 0, 8
	v_bfe_i32 v113, v50, 8, 8
	;; [unrolled: 1-line block ×3, first 2 shown]
	v_ashrrev_i32_e32 v115, 24, v50
	v_add_nc_u32_e32 v1, v111, v104
	s_delay_alu instid0(VALU_DEP_1) | instskip(SKIP_1) | instid1(VALU_DEP_1)
	v_add3_u32 v2, v1, v115, v123
	v_add_nc_u32_e32 v1, v110, v103
	v_add3_u32 v24, v1, v114, v118
	v_add_nc_u32_e32 v1, v109, v102
	s_waitcnt lgkmcnt(0)
	v_ashrrev_i32_e32 v40, s18, v37
	v_ashrrev_i32_e32 v29, s18, v36
	s_delay_alu instid0(VALU_DEP_3) | instskip(NEXT) | instid1(VALU_DEP_3)
	v_add3_u32 v47, v1, v113, v117
	v_bfe_u32 v58, v40, 8, 2
	s_delay_alu instid0(VALU_DEP_3) | instskip(SKIP_3) | instid1(VALU_DEP_4)
	v_and_b32_e32 v8, 3, v29
	v_add_nc_u32_e32 v126, s18, v71
	v_bfe_u32 v59, v29, 16, 2
	v_bfe_u32 v63, v29, 24, 2
	v_dual_mov_b32 v220, v58 :: v_dual_mov_b32 v57, v8
	ds_load_2addr_b32 v[36:37], v23 offset0:2 offset1:3
	v_mul_i32_i24_e32 v53, v8, v85
	v_bfe_u32 v8, v29, 8, 2
	v_and_b32_e32 v60, 3, v40
	v_mul_i32_i24_e32 v68, v59, v87
	v_mul_i32_i24_e32 v29, v63, v88
	;; [unrolled: 1-line block ×3, first 2 shown]
	v_mov_b32_e32 v107, v8
	v_mul_i32_i24_e32 v67, v8, v86
	v_mad_i32_i24 v53, v60, v89, v53
	v_bfe_u32 v62, v40, 16, 2
	v_add_nc_u32_e32 v1, v0, v101
	s_delay_alu instid0(VALU_DEP_2) | instskip(NEXT) | instid1(VALU_DEP_2)
	v_mul_i32_i24_e32 v70, v62, v91
	v_add3_u32 v1, v1, v112, v116
	s_waitcnt lgkmcnt(0)
	v_ashrrev_i32_e32 v41, s18, v36
	v_ashrrev_i32_e32 v44, s18, v37
	ds_load_2addr_b32 v[36:37], v23 offset0:4 offset1:5
	v_and_b32_e32 v61, 3, v41
	v_and_b32_e32 v65, 3, v44
	v_bfe_u32 v64, v41, 8, 2
	v_bfe_u32 v51, v41, 16, 2
	;; [unrolled: 1-line block ×3, first 2 shown]
	v_mul_i32_i24_e32 v71, v61, v93
	v_mul_i32_i24_e32 v74, v65, v97
	;; [unrolled: 1-line block ×4, first 2 shown]
	v_bfe_u32 v48, v44, 8, 2
	v_add3_u32 v53, v53, v71, v67
	v_mul_i32_i24_e32 v41, v45, v96
	s_delay_alu instid0(VALU_DEP_3) | instskip(NEXT) | instid1(VALU_DEP_3)
	v_mul_i32_i24_e32 v76, v48, v98
	v_add3_u32 v29, v53, v68, v29
	s_waitcnt lgkmcnt(0)
	v_ashrrev_i32_e32 v46, s18, v36
	v_ashrrev_i32_e32 v49, s18, v37
	ds_load_2addr_b32 v[36:37], v23 offset0:6 offset1:7
	v_add3_u32 v29, v29, v74, v69
	v_and_b32_e32 v69, 3, v46
	v_bfe_u32 v68, v46, 8, 2
	v_and_b32_e32 v71, 3, v49
	v_bfe_u32 v74, v49, 16, 2
	s_delay_alu instid0(VALU_DEP_4) | instskip(NEXT) | instid1(VALU_DEP_4)
	v_mul_i32_i24_e32 v53, v69, v101
	v_mul_i32_i24_e32 v80, v68, v102
	s_delay_alu instid0(VALU_DEP_3) | instskip(NEXT) | instid1(VALU_DEP_3)
	v_mul_i32_i24_e32 v84, v74, v110
	v_mad_i32_i24 v53, v71, v0, v53
	s_waitcnt lgkmcnt(0)
	v_ashrrev_i32_e32 v50, s18, v36
	v_bfe_u32 v36, v44, 16, 2
	v_ashrrev_i32_e32 v52, s18, v37
	s_delay_alu instid0(VALU_DEP_3) | instskip(NEXT) | instid1(VALU_DEP_3)
	v_bfe_u32 v78, v50, 8, 2
	v_mul_i32_i24_e32 v77, v36, v99
	s_delay_alu instid0(VALU_DEP_3)
	v_and_b32_e32 v82, 3, v52
	v_bfe_u32 v79, v50, 16, 2
	v_bfe_u32 v119, v50, 24, 2
	v_mul_i32_i24_e32 v130, v78, v113
	v_bfe_u32 v120, v52, 8, 2
	v_mul_i32_i24_e32 v132, v82, v116
	v_mul_i32_i24_e32 v131, v79, v114
	v_bfe_u32 v121, v52, 16, 2
	v_bfe_u32 v122, v52, 24, 2
	v_mul_i32_i24_e32 v133, v120, v117
	s_delay_alu instid0(VALU_DEP_3) | instskip(NEXT) | instid1(VALU_DEP_3)
	v_mul_i32_i24_e32 v134, v121, v118
	v_mul_i32_i24_e32 v52, v122, v123
	s_waitcnt vmcnt(0)
	v_add3_u32 v23, v5, s19, v126
	ds_load_b32 v183, v31
	ds_load_u16 v23, v23 offset:25088
	scratch_load_b32 v5, off, off offset:72 ; 4-byte Folded Reload
	v_bfe_u32 v31, v44, 24, 2
	s_delay_alu instid0(VALU_DEP_1) | instskip(SKIP_4) | instid1(VALU_DEP_3)
	v_mul_i32_i24_e32 v44, v31, v100
	s_waitcnt lgkmcnt(0)
	v_bfe_u32 v192, v23, 4, 4
	v_lshrrev_b16 v37, 8, v23
	v_and_b32_e32 v67, 15, v23
	v_mul_lo_u32 v42, 0x1010101, v192
	s_delay_alu instid0(VALU_DEP_1) | instskip(SKIP_3) | instid1(VALU_DEP_1)
	v_bfe_i32 v54, v42, 8, 8
	v_bfe_i32 v55, v42, 16, 8
	v_lshrrev_b32_e32 v28, 24, v42
	v_bfe_u32 v42, v40, 24, 2
	v_mul_i32_i24_e32 v40, v42, v92
	s_delay_alu instid0(VALU_DEP_1) | instskip(SKIP_1) | instid1(VALU_DEP_2)
	v_add3_u32 v29, v29, v70, v40
	v_bfe_u32 v70, v46, 16, 2
	v_add3_u32 v29, v29, v72, v73
	v_bfe_u32 v73, v46, 24, 2
	s_delay_alu instid0(VALU_DEP_3) | instskip(SKIP_1) | instid1(VALU_DEP_4)
	v_mul_i32_i24_e32 v81, v70, v103
	v_bfe_u32 v72, v49, 8, 2
	v_add3_u32 v29, v29, v41, v76
	v_and_b32_e32 v76, 3, v50
	v_mul_i32_i24_e32 v46, v73, v104
	s_delay_alu instid0(VALU_DEP_4) | instskip(SKIP_4) | instid1(VALU_DEP_3)
	v_mul_i32_i24_e32 v83, v72, v109
	v_mul_i32_i24_e32 v50, v119, v115
	v_add3_u32 v29, v29, v77, v44
	v_mul_i32_i24_e32 v129, v76, v112
	v_bfe_u32 v77, v49, 24, 2
	v_mul_lo_u32 v23, v29, v67
	s_delay_alu instid0(VALU_DEP_3) | instskip(SKIP_1) | instid1(VALU_DEP_4)
	v_add3_u32 v53, v53, v129, v80
	v_and_b32_e32 v29, 0xffff, v37
	v_mul_i32_i24_e32 v49, v77, v111
	v_mul_i32_i24_e32 v80, v128, v55
	s_delay_alu instid0(VALU_DEP_4) | instskip(NEXT) | instid1(VALU_DEP_4)
	v_add3_u32 v46, v53, v81, v46
	v_lshrrev_b32_e32 v37, 4, v29
	v_mul_i32_i24_e32 v53, v127, v28
	v_mul_i32_i24_e32 v81, v105, v54
	v_and_b32_e32 v39, 15, v29
	v_add3_u32 v46, v46, v132, v83
	v_mul_lo_u32 v44, 0x1010101, v37
	v_mul_i32_i24_e32 v83, v192, v106
	s_delay_alu instid0(VALU_DEP_3) | instskip(NEXT) | instid1(VALU_DEP_2)
	v_add3_u32 v46, v46, v84, v49
	v_mad_i32_i24 v83, v37, v1, v83
	s_delay_alu instid0(VALU_DEP_4)
	v_bfe_i32 v40, v44, 8, 8
	v_bfe_i32 v41, v44, 16, 8
	v_lshrrev_b32_e32 v44, 24, v44
	v_add3_u32 v46, v46, v130, v131
	v_add3_u32 v53, v83, v53, v80
	v_add_nc_u32_e32 v83, s21, v136
	s_delay_alu instid0(VALU_DEP_4) | instskip(NEXT) | instid1(VALU_DEP_4)
	v_mul_i32_i24_e32 v49, v2, v44
	v_add3_u32 v46, v46, v50, v133
	v_mul_i32_i24_e32 v50, v24, v41
	s_delay_alu instid0(VALU_DEP_3) | instskip(NEXT) | instid1(VALU_DEP_3)
	v_add3_u32 v49, v53, v81, v49
	v_add3_u32 v46, v46, v134, v52
	v_mul_i32_i24_e32 v52, v47, v40
	s_delay_alu instid0(VALU_DEP_1) | instskip(NEXT) | instid1(VALU_DEP_3)
	v_add3_u32 v52, v49, v50, v52
	v_mad_u64_u32 v[49:50], null, v46, v39, v[23:24]
	v_lshrrev_b32_e32 v23, 16, v183
	s_delay_alu instid0(VALU_DEP_3) | instskip(NEXT) | instid1(VALU_DEP_2)
	v_cvt_f32_i32_e32 v29, v52
	v_cvt_f32_f16_e64 v218, v23
	s_delay_alu instid0(VALU_DEP_4) | instskip(NEXT) | instid1(VALU_DEP_2)
	v_cvt_f32_i32_e32 v23, v49
	v_mul_f32_e32 v29, v218, v29
	s_delay_alu instid0(VALU_DEP_1) | instskip(NEXT) | instid1(VALU_DEP_1)
	v_fma_mix_f32 v23, v183, v23, -v29 op_sel_hi:[1,0,0]
	v_fmac_f32_e32 v194, v3, v23
	v_add_nc_u32_e32 v23, s20, v135
	scratch_store_b32 off, v194, off offset:48 ; 4-byte Folded Spill
	ds_load_2addr_b32 v[49:50], v23 offset1:1
	s_waitcnt lgkmcnt(0)
	v_ashrrev_i32_e32 v29, s18, v49
	v_ashrrev_i32_e32 v46, s18, v50
	ds_load_2addr_b32 v[49:50], v23 offset0:2 offset1:3
	v_and_b32_e32 v224, 3, v29
	v_bfe_u32 v75, v29, 8, 2
	v_and_b32_e32 v228, 3, v46
	v_bfe_u32 v225, v29, 16, 2
	v_bfe_u32 v231, v29, 24, 2
	;; [unrolled: 1-line block ×3, first 2 shown]
	v_mul_i32_i24_e32 v129, v75, v86
	v_bfe_u32 v229, v46, 16, 2
	v_mul_i32_i24_e32 v130, v225, v87
	v_mul_i32_i24_e32 v29, v231, v88
	;; [unrolled: 1-line block ×3, first 2 shown]
	v_bfe_u32 v233, v46, 24, 2
	v_mul_i32_i24_e32 v132, v229, v91
	s_delay_alu instid0(VALU_DEP_2)
	v_mul_i32_i24_e32 v46, v233, v92
	s_waitcnt lgkmcnt(0)
	v_ashrrev_i32_e32 v52, s18, v49
	v_ashrrev_i32_e32 v53, s18, v50
	ds_load_2addr_b32 v[49:50], v23 offset0:4 offset1:5
	v_and_b32_e32 v230, 3, v52
	v_and_b32_e32 v234, 3, v53
	v_bfe_u32 v232, v52, 8, 2
	v_bfe_u32 v235, v52, 16, 2
	;; [unrolled: 1-line block ×3, first 2 shown]
	v_mul_i32_i24_e32 v133, v230, v93
	v_mul_i32_i24_e32 v136, v234, v97
	;; [unrolled: 1-line block ×4, first 2 shown]
	v_bfe_u32 v236, v53, 8, 2
	v_mul_i32_i24_e32 v52, v237, v96
	v_bfe_u32 v238, v53, 16, 2
	v_bfe_u32 v226, v53, 24, 2
	s_delay_alu instid0(VALU_DEP_4) | instskip(NEXT) | instid1(VALU_DEP_3)
	v_mul_i32_i24_e32 v137, v236, v98
	v_mul_i32_i24_e32 v138, v238, v99
	s_waitcnt lgkmcnt(0)
	v_ashrrev_i32_e32 v80, s18, v49
	v_ashrrev_i32_e32 v81, s18, v50
	ds_load_2addr_b32 v[49:50], v23 offset0:6 offset1:7
	v_mul_i32_i24_e32 v53, v226, v100
	v_and_b32_e32 v241, 3, v80
	v_bfe_u32 v240, v80, 8, 2
	v_and_b32_e32 v243, 3, v81
	v_bfe_u32 v242, v80, 16, 2
	v_bfe_u32 v245, v80, 24, 2
	;; [unrolled: 1-line block ×5, first 2 shown]
	s_delay_alu instid0(VALU_DEP_4) | instskip(NEXT) | instid1(VALU_DEP_2)
	v_mul_i32_i24_e32 v80, v245, v104
	v_mul_i32_i24_e32 v81, v248, v111
	s_waitcnt lgkmcnt(0)
	v_ashrrev_i32_e32 v49, s18, v49
	v_ashrrev_i32_e32 v50, s18, v50
	s_delay_alu instid0(VALU_DEP_2) | instskip(NEXT) | instid1(VALU_DEP_2)
	v_and_b32_e32 v247, 3, v49
	v_and_b32_e32 v251, 3, v50
	v_bfe_u32 v249, v49, 8, 2
	v_bfe_u32 v250, v49, 16, 2
	;; [unrolled: 1-line block ×6, first 2 shown]
	s_delay_alu instid0(VALU_DEP_4) | instskip(NEXT) | instid1(VALU_DEP_2)
	v_mul_i32_i24_e32 v49, v252, v115
	v_mul_i32_i24_e32 v50, v255, v123
	s_waitcnt vmcnt(0)
	v_add3_u32 v23, v5, s19, v126
	ds_load_b32 v139, v83
	ds_load_u16 v23, v23 offset:26112
	scratch_load_b32 v5, off, off offset:68 ; 4-byte Folded Reload
	s_waitcnt lgkmcnt(0)
	v_bfe_u32 v155, v23, 4, 4
	v_lshrrev_b16 v83, 8, v23
	v_and_b32_e32 v239, 15, v23
	s_delay_alu instid0(VALU_DEP_3) | instskip(NEXT) | instid1(VALU_DEP_1)
	v_mul_lo_u32 v84, 0x1010101, v155
	v_bfe_i32 v35, v84, 8, 8
	v_bfe_i32 v216, v84, 16, 8
	v_lshrrev_b32_e32 v179, 24, v84
	v_mul_i32_i24_e32 v84, v224, v85
	s_delay_alu instid0(VALU_DEP_1) | instskip(NEXT) | instid1(VALU_DEP_1)
	v_mad_i32_i24 v84, v228, v89, v84
	v_add3_u32 v84, v84, v133, v129
	v_mul_i32_i24_e32 v129, v247, v112
	v_mul_i32_i24_e32 v133, v253, v117
	s_delay_alu instid0(VALU_DEP_3) | instskip(SKIP_2) | instid1(VALU_DEP_3)
	v_add3_u32 v29, v84, v130, v29
	v_mul_i32_i24_e32 v84, v246, v110
	v_mul_i32_i24_e32 v130, v249, v113
	v_add3_u32 v29, v29, v136, v131
	v_mul_i32_i24_e32 v131, v250, v114
	s_delay_alu instid0(VALU_DEP_2) | instskip(SKIP_1) | instid1(VALU_DEP_2)
	v_add3_u32 v29, v29, v132, v46
	v_mul_i32_i24_e32 v132, v251, v116
	v_add3_u32 v29, v29, v134, v135
	v_mul_i32_i24_e32 v134, v254, v118
	s_delay_alu instid0(VALU_DEP_2) | instskip(SKIP_1) | instid1(VALU_DEP_2)
	v_add3_u32 v29, v29, v52, v137
	v_mul_i32_i24_e32 v52, v240, v102
	v_add3_u32 v29, v29, v138, v53
	v_mul_i32_i24_e32 v53, v242, v103
	s_delay_alu instid0(VALU_DEP_2) | instskip(SKIP_2) | instid1(VALU_DEP_2)
	v_mul_lo_u32 v23, v29, v239
	v_and_b32_e32 v29, 0xffff, v83
	v_mul_i32_i24_e32 v83, v244, v109
	v_lshrrev_b32_e32 v219, 4, v29
	v_and_b32_e32 v22, 15, v29
	s_delay_alu instid0(VALU_DEP_2) | instskip(NEXT) | instid1(VALU_DEP_1)
	v_mul_lo_u32 v46, 0x1010101, v219
	v_bfe_i32 v56, v46, 8, 8
	v_bfe_i32 v221, v46, 16, 8
	v_lshrrev_b32_e32 v223, 24, v46
	v_mul_i32_i24_e32 v46, v241, v101
	s_delay_alu instid0(VALU_DEP_1) | instskip(NEXT) | instid1(VALU_DEP_1)
	v_mad_i32_i24 v46, v243, v0, v46
	v_add3_u32 v46, v46, v129, v52
	v_mul_i32_i24_e32 v52, v47, v56
	s_delay_alu instid0(VALU_DEP_2) | instskip(SKIP_2) | instid1(VALU_DEP_3)
	v_add3_u32 v46, v46, v53, v80
	v_mul_i32_i24_e32 v53, v127, v179
	v_mul_i32_i24_e32 v80, v128, v216
	v_add3_u32 v46, v46, v132, v83
	v_mul_i32_i24_e32 v83, v155, v106
	s_delay_alu instid0(VALU_DEP_2) | instskip(NEXT) | instid1(VALU_DEP_2)
	v_add3_u32 v46, v46, v84, v81
	v_mad_i32_i24 v83, v219, v1, v83
	v_mul_i32_i24_e32 v81, v105, v35
	s_delay_alu instid0(VALU_DEP_3) | instskip(NEXT) | instid1(VALU_DEP_3)
	v_add3_u32 v46, v46, v130, v131
	v_add3_u32 v53, v83, v53, v80
	s_delay_alu instid0(VALU_DEP_2) | instskip(SKIP_1) | instid1(VALU_DEP_2)
	v_add3_u32 v46, v46, v49, v133
	v_mul_i32_i24_e32 v49, v2, v223
	v_add3_u32 v46, v46, v134, v50
	v_mul_i32_i24_e32 v50, v24, v221
	s_delay_alu instid0(VALU_DEP_3) | instskip(NEXT) | instid1(VALU_DEP_1)
	v_add3_u32 v49, v53, v81, v49
	v_add3_u32 v52, v49, v50, v52
	s_delay_alu instid0(VALU_DEP_4) | instskip(SKIP_1) | instid1(VALU_DEP_3)
	v_mad_u64_u32 v[49:50], null, v46, v22, v[23:24]
	v_lshrrev_b32_e32 v23, 16, v139
	v_cvt_f32_i32_e32 v29, v52
	s_delay_alu instid0(VALU_DEP_2) | instskip(NEXT) | instid1(VALU_DEP_4)
	v_cvt_f32_f16_e64 v181, v23
	v_cvt_f32_i32_e32 v23, v49
	s_delay_alu instid0(VALU_DEP_2) | instskip(NEXT) | instid1(VALU_DEP_1)
	v_mul_f32_e32 v29, v181, v29
	v_fma_mix_f32 v23, v139, v23, -v29 op_sel_hi:[1,0,0]
	v_add_nc_u32_e32 v29, s21, v141
	s_delay_alu instid0(VALU_DEP_2)
	v_fmac_f32_e32 v21, v3, v23
	v_add_nc_u32_e32 v23, s20, v140
	scratch_store_b32 off, v21, off offset:52 ; 4-byte Folded Spill
	ds_load_2addr_b32 v[49:50], v23 offset1:1
	s_waitcnt lgkmcnt(0)
	v_ashrrev_i32_e32 v46, s18, v49
	v_ashrrev_i32_e32 v53, s18, v50
	ds_load_2addr_b32 v[49:50], v23 offset0:2 offset1:3
	v_and_b32_e32 v189, 3, v46
	v_bfe_u32 v188, v46, 8, 2
	v_and_b32_e32 v26, 3, v53
	v_bfe_u32 v193, v46, 16, 2
	v_bfe_u32 v197, v46, 24, 2
	v_mul_i32_i24_e32 v136, v189, v85
	v_mul_i32_i24_e32 v137, v188, v86
	v_bfe_u32 v191, v53, 8, 2
	v_mul_i32_i24_e32 v138, v193, v87
	v_mul_i32_i24_e32 v140, v197, v88
	v_mad_i32_i24 v136, v26, v89, v136
	v_bfe_u32 v194, v53, 16, 2
	v_mul_i32_i24_e32 v141, v191, v90
	s_delay_alu instid0(VALU_DEP_2)
	v_mul_i32_i24_e32 v142, v194, v91
	s_waitcnt lgkmcnt(0)
	v_ashrrev_i32_e32 v80, s18, v49
	v_ashrrev_i32_e32 v81, s18, v50
	ds_load_2addr_b32 v[49:50], v23 offset0:4 offset1:5
	v_and_b32_e32 v196, 3, v80
	v_and_b32_e32 v199, 3, v81
	v_bfe_u32 v198, v80, 8, 2
	v_bfe_u32 v200, v80, 16, 2
	;; [unrolled: 1-line block ×3, first 2 shown]
	v_mul_i32_i24_e32 v144, v196, v93
	v_mul_i32_i24_e32 v147, v199, v97
	;; [unrolled: 1-line block ×4, first 2 shown]
	v_bfe_u32 v201, v81, 8, 2
	v_add3_u32 v136, v136, v144, v137
	v_mul_i32_i24_e32 v80, v202, v96
	v_bfe_u32 v203, v81, 16, 2
	v_bfe_u32 v204, v81, 24, 2
	v_mul_i32_i24_e32 v148, v201, v98
	v_add3_u32 v136, v136, v138, v140
	s_waitcnt lgkmcnt(0)
	v_ashrrev_i32_e32 v83, s18, v49
	v_ashrrev_i32_e32 v84, s18, v50
	ds_load_2addr_b32 v[49:50], v23 offset0:6 offset1:7
	v_add3_u32 v136, v136, v147, v141
	v_mul_i32_i24_e32 v149, v203, v99
	v_mul_i32_i24_e32 v81, v204, v100
	v_and_b32_e32 v30, 3, v83
	v_bfe_u32 v210, v83, 8, 2
	v_and_b32_e32 v18, 3, v84
	v_bfe_u32 v213, v83, 16, 2
	v_bfe_u32 v212, v84, 8, 2
	s_delay_alu instid0(VALU_DEP_1) | instskip(SKIP_3) | instid1(VALU_DEP_2)
	v_mul_i32_i24_e32 v137, v212, v109
	s_waitcnt lgkmcnt(0)
	v_ashrrev_i32_e32 v129, s18, v49
	v_ashrrev_i32_e32 v130, s18, v50
	v_and_b32_e32 v147, 3, v129
	s_delay_alu instid0(VALU_DEP_2)
	v_and_b32_e32 v133, 3, v130
	v_bfe_u32 v50, v129, 24, 2
	v_bfe_u32 v52, v130, 8, 2
	;; [unrolled: 1-line block ×3, first 2 shown]
	v_mul_i32_i24_e32 v140, v147, v112
	v_bfe_u32 v46, v130, 24, 2
	s_delay_alu instid0(VALU_DEP_4) | instskip(NEXT) | instid1(VALU_DEP_2)
	v_mul_i32_i24_e32 v144, v52, v117
	v_mul_i32_i24_e32 v130, v46, v123
	s_waitcnt vmcnt(0)
	v_add3_u32 v23, v5, s19, v126
	ds_load_b32 v131, v29
	ds_load_u16 v134, v23 offset:27136
	scratch_load_b32 v5, off, off offset:64 ; 4-byte Folded Reload
	v_bfe_u32 v29, v84, 24, 2
	s_waitcnt lgkmcnt(0)
	v_bfe_u32 v132, v134, 4, 4
	v_lshrrev_b16 v135, 8, v134
	v_and_b32_e32 v209, 15, v134
	s_delay_alu instid0(VALU_DEP_3) | instskip(NEXT) | instid1(VALU_DEP_1)
	v_mul_lo_u32 v23, 0x1010101, v132
	v_bfe_i32 v21, v23, 8, 8
	v_bfe_i32 v27, v23, 16, 8
	v_lshrrev_b32_e32 v154, 24, v23
	v_bfe_u32 v23, v53, 24, 2
	v_bfe_u32 v53, v129, 16, 2
	s_delay_alu instid0(VALU_DEP_2) | instskip(NEXT) | instid1(VALU_DEP_1)
	v_mul_i32_i24_e32 v143, v23, v92
	v_add3_u32 v136, v136, v142, v143
	v_mul_i32_i24_e32 v143, v133, v116
	s_delay_alu instid0(VALU_DEP_4) | instskip(NEXT) | instid1(VALU_DEP_3)
	v_mul_i32_i24_e32 v142, v53, v114
	v_add3_u32 v136, v136, v145, v146
	v_bfe_u32 v146, v129, 8, 2
	v_mul_i32_i24_e32 v129, v50, v115
	v_mul_i32_i24_e32 v145, v49, v118
	s_delay_alu instid0(VALU_DEP_4) | instskip(SKIP_3) | instid1(VALU_DEP_4)
	v_add3_u32 v80, v136, v80, v148
	v_bfe_u32 v148, v83, 24, 2
	v_mul_i32_i24_e32 v136, v213, v103
	v_mul_i32_i24_e32 v141, v146, v113
	v_add3_u32 v80, v80, v149, v81
	v_and_b32_e32 v81, 0xffff, v135
	v_mul_i32_i24_e32 v135, v210, v102
	v_mul_i32_i24_e32 v83, v148, v104
	v_bfe_u32 v149, v84, 16, 2
	v_mul_i32_i24_e32 v84, v29, v111
	v_lshrrev_b32_e32 v182, 4, v81
	v_mul_lo_u32 v80, v80, v209
	s_delay_alu instid0(VALU_DEP_4) | instskip(NEXT) | instid1(VALU_DEP_3)
	v_mul_i32_i24_e32 v138, v149, v110
	v_mul_lo_u32 v134, 0x1010101, v182
	s_delay_alu instid0(VALU_DEP_1) | instskip(SKIP_3) | instid1(VALU_DEP_1)
	v_bfe_i32 v206, v134, 8, 8
	v_bfe_i32 v207, v134, 16, 8
	v_lshrrev_b32_e32 v13, 24, v134
	v_mul_i32_i24_e32 v134, v30, v101
	v_mad_i32_i24 v134, v18, v0, v134
	s_delay_alu instid0(VALU_DEP_1) | instskip(SKIP_1) | instid1(VALU_DEP_2)
	v_add3_u32 v134, v134, v140, v135
	v_mul_i32_i24_e32 v135, v128, v27
	v_add3_u32 v83, v134, v136, v83
	v_mul_i32_i24_e32 v134, v127, v154
	v_mul_i32_i24_e32 v136, v105, v21
	s_delay_alu instid0(VALU_DEP_3) | instskip(SKIP_1) | instid1(VALU_DEP_2)
	v_add3_u32 v83, v83, v143, v137
	v_mul_i32_i24_e32 v137, v132, v106
	v_add3_u32 v83, v83, v138, v84
	s_delay_alu instid0(VALU_DEP_2) | instskip(SKIP_1) | instid1(VALU_DEP_3)
	v_mad_i32_i24 v137, v182, v1, v137
	v_mul_i32_i24_e32 v84, v24, v207
	v_add3_u32 v83, v83, v141, v142
	s_delay_alu instid0(VALU_DEP_3) | instskip(NEXT) | instid1(VALU_DEP_2)
	v_add3_u32 v134, v137, v134, v135
	v_add3_u32 v83, v83, v129, v144
	s_delay_alu instid0(VALU_DEP_1) | instskip(SKIP_2) | instid1(VALU_DEP_2)
	v_add3_u32 v129, v83, v145, v130
	v_mul_i32_i24_e32 v83, v2, v13
	v_mul_i32_i24_e32 v130, v47, v206
	v_add3_u32 v83, v134, v136, v83
	v_and_b32_e32 v136, 15, v81
	s_delay_alu instid0(VALU_DEP_2) | instskip(NEXT) | instid1(VALU_DEP_2)
	v_add3_u32 v130, v83, v84, v130
	v_mad_u64_u32 v[83:84], null, v129, v136, v[80:81]
	v_lshrrev_b32_e32 v80, 16, v131
	s_delay_alu instid0(VALU_DEP_3) | instskip(NEXT) | instid1(VALU_DEP_2)
	v_cvt_f32_i32_e32 v81, v130
	v_cvt_f32_f16_e64 v157, v80
	s_delay_alu instid0(VALU_DEP_4) | instskip(SKIP_1) | instid1(VALU_DEP_3)
	v_cvt_f32_i32_e32 v80, v83
	v_add_nc_u32_e32 v83, s20, v150
	v_mul_f32_e32 v81, v157, v81
	s_delay_alu instid0(VALU_DEP_1) | instskip(NEXT) | instid1(VALU_DEP_1)
	v_fma_mix_f32 v80, v131, v80, -v81 op_sel_hi:[1,0,0]
	v_fmac_f32_e32 v25, v3, v80
	ds_load_2addr_b32 v[80:81], v83 offset1:1
	scratch_store_b32 off, v25, off offset:60 ; 4-byte Folded Spill
	s_waitcnt lgkmcnt(0)
	v_ashrrev_i32_e32 v84, s18, v80
	v_ashrrev_i32_e32 v138, s18, v81
	ds_load_2addr_b32 v[80:81], v83 offset0:2 offset1:3
	v_and_b32_e32 v208, 3, v84
	v_bfe_u32 v158, v84, 8, 2
	v_bfe_u32 v166, v84, 24, 2
	v_and_b32_e32 v163, 3, v138
	v_bfe_u32 v164, v138, 8, 2
	v_mul_i32_i24_e32 v85, v208, v85
	v_bfe_u32 v168, v138, 16, 2
	v_bfe_u32 v150, v138, 24, 2
	v_mul_i32_i24_e32 v86, v158, v86
	v_bfe_u32 v162, v84, 16, 2
	v_mul_i32_i24_e32 v84, v166, v88
	v_mul_i32_i24_e32 v88, v164, v90
	;; [unrolled: 1-line block ×4, first 2 shown]
	v_mad_i32_i24 v85, v163, v89, v85
	v_mul_i32_i24_e32 v87, v162, v87
	s_waitcnt lgkmcnt(0)
	v_ashrrev_i32_e32 v140, s18, v80
	v_ashrrev_i32_e32 v141, s18, v81
	ds_load_2addr_b32 v[80:81], v83 offset0:4 offset1:5
	v_and_b32_e32 v170, 3, v140
	v_bfe_u32 v173, v140, 16, 2
	v_bfe_u32 v175, v140, 24, 2
	v_and_b32_e32 v171, 3, v141
	v_bfe_u32 v174, v141, 8, 2
	v_mul_i32_i24_e32 v92, v170, v93
	v_bfe_u32 v176, v141, 16, 2
	v_bfe_u32 v177, v141, 24, 2
	s_delay_alu instid0(VALU_DEP_3) | instskip(NEXT) | instid1(VALU_DEP_1)
	v_add3_u32 v85, v85, v92, v86
	v_add3_u32 v84, v85, v87, v84
	s_waitcnt lgkmcnt(0)
	v_ashrrev_i32_e32 v165, s18, v80
	v_ashrrev_i32_e32 v169, s18, v81
	ds_load_2addr_b32 v[80:81], v83 offset0:6 offset1:7
	v_and_b32_e32 v25, 3, v165
	v_bfe_u32 v186, v165, 8, 2
	v_bfe_u32 v205, v165, 16, 2
	;; [unrolled: 1-line block ×3, first 2 shown]
	v_and_b32_e32 v165, 3, v169
	v_bfe_u32 v187, v169, 8, 2
	v_bfe_u32 v144, v169, 16, 2
	v_mul_i32_i24_e32 v86, v186, v102
	v_mul_i32_i24_e32 v87, v205, v103
	s_delay_alu instid0(VALU_DEP_4) | instskip(SKIP_4) | instid1(VALU_DEP_2)
	v_mul_i32_i24_e32 v89, v187, v109
	s_waitcnt lgkmcnt(0)
	v_ashrrev_i32_e32 v83, s18, v80
	v_ashrrev_i32_e32 v81, s18, v81
	s_add_i32 s18, s18, 2
	v_bfe_u32 v142, v83, 8, 2
	v_bfe_u32 v141, v83, 16, 2
	;; [unrolled: 1-line block ×5, first 2 shown]
	s_waitcnt vmcnt(0)
	v_add3_u32 v80, v5, s19, v126
	v_add_nc_u32_e32 v126, s21, v152
	v_bfe_u32 v152, v140, 8, 2
	ds_load_b32 v126, v126
	ds_load_u16 v80, v80 offset:28160
	v_mul_i32_i24_e32 v93, v152, v94
	v_mul_i32_i24_e32 v94, v173, v95
	;; [unrolled: 1-line block ×7, first 2 shown]
	v_and_b32_e32 v140, 3, v81
	v_add3_u32 v84, v84, v96, v88
	v_mul_i32_i24_e32 v88, v145, v104
	v_mul_i32_i24_e32 v96, v135, v117
	s_add_i32 s19, s13, s18
	s_delay_alu instid0(VALU_DEP_3) | instskip(SKIP_2) | instid1(VALU_DEP_2)
	v_add3_u32 v84, v84, v90, v91
	v_mul_i32_i24_e32 v90, v144, v110
	s_cmp_lt_u32 s19, s15
	v_add3_u32 v84, v84, v93, v94
	s_waitcnt lgkmcnt(0)
	v_lshrrev_b16 v143, 8, v80
	v_and_b32_e32 v214, 15, v80
	v_bfe_u32 v130, v80, 4, 4
	v_mul_i32_i24_e32 v93, v142, v113
	v_add3_u32 v84, v84, v95, v97
	v_mul_i32_i24_e32 v95, v140, v116
	v_mul_i32_i24_e32 v94, v141, v114
	v_mul_lo_u32 v129, 0x1010101, v130
	v_mul_i32_i24_e32 v97, v134, v118
	v_add3_u32 v84, v84, v98, v99
	s_delay_alu instid0(VALU_DEP_1)
	v_mul_lo_u32 v80, v84, v214
	v_and_b32_e32 v84, 0xffff, v143
	v_bfe_u32 v143, v169, 24, 2
	v_and_b32_e32 v169, 3, v83
	v_bfe_i32 v156, v129, 8, 8
	v_bfe_i32 v159, v129, 16, 8
	v_lshrrev_b32_e32 v138, 4, v84
	v_mul_i32_i24_e32 v91, v143, v111
	v_mul_i32_i24_e32 v92, v169, v112
	v_lshrrev_b32_e32 v153, 24, v129
	v_mul_i32_i24_e32 v83, v137, v115
	v_mul_lo_u32 v85, 0x1010101, v138
	v_bfe_u32 v129, v81, 24, 2
	s_delay_alu instid0(VALU_DEP_1) | instskip(NEXT) | instid1(VALU_DEP_3)
	v_mul_i32_i24_e32 v81, v129, v123
	v_bfe_i32 v160, v85, 8, 8
	v_bfe_i32 v12, v85, 16, 8
	v_lshrrev_b32_e32 v172, 24, v85
	v_mul_i32_i24_e32 v85, v25, v101
	s_delay_alu instid0(VALU_DEP_3) | instskip(NEXT) | instid1(VALU_DEP_2)
	v_mov_b32_e32 v14, v12
	v_mad_i32_i24 v0, v165, v0, v85
	v_mul_i32_i24_e32 v85, v105, v156
	s_delay_alu instid0(VALU_DEP_2) | instskip(SKIP_1) | instid1(VALU_DEP_2)
	v_add3_u32 v0, v0, v92, v86
	v_mul_i32_i24_e32 v86, v130, v106
	v_add3_u32 v0, v0, v87, v88
	s_delay_alu instid0(VALU_DEP_2) | instskip(NEXT) | instid1(VALU_DEP_2)
	v_mad_i32_i24 v1, v138, v1, v86
	v_add3_u32 v0, v0, v95, v89
	s_delay_alu instid0(VALU_DEP_1) | instskip(NEXT) | instid1(VALU_DEP_1)
	v_add3_u32 v0, v0, v90, v91
	v_add3_u32 v0, v0, v93, v94
	s_delay_alu instid0(VALU_DEP_1) | instskip(SKIP_2) | instid1(VALU_DEP_3)
	v_add3_u32 v0, v0, v83, v96
	v_mul_i32_i24_e32 v83, v128, v159
	v_mov_b32_e32 v128, v107
	v_add3_u32 v81, v0, v97, v81
	v_mul_i32_i24_e32 v0, v2, v172
	v_mul_i32_i24_e32 v2, v24, v12
	v_mul_i32_i24_e32 v24, v47, v160
	v_mul_i32_i24_e32 v47, v127, v153
	v_and_b32_e32 v12, 15, v84
	s_delay_alu instid0(VALU_DEP_2) | instskip(NEXT) | instid1(VALU_DEP_1)
	v_add3_u32 v1, v1, v47, v83
	v_add3_u32 v0, v1, v85, v0
	s_delay_alu instid0(VALU_DEP_1) | instskip(NEXT) | instid1(VALU_DEP_4)
	v_add3_u32 v2, v0, v2, v24
	v_mad_u64_u32 v[0:1], null, v81, v12, v[80:81]
	v_lshrrev_b32_e32 v1, 16, v126
	s_delay_alu instid0(VALU_DEP_1) | instskip(NEXT) | instid1(VALU_DEP_4)
	v_cvt_f32_f16_e32 v8, v1
	v_cvt_f32_i32_e32 v1, v2
	s_delay_alu instid0(VALU_DEP_4) | instskip(NEXT) | instid1(VALU_DEP_2)
	v_cvt_f32_i32_e32 v0, v0
	v_mul_f32_e32 v1, v8, v1
	s_delay_alu instid0(VALU_DEP_1) | instskip(NEXT) | instid1(VALU_DEP_1)
	v_fma_mix_f32 v0, v126, v0, -v1 op_sel_hi:[1,0,0]
	v_fmac_f32_e32 v66, v3, v0
	ds_load_b128 v[0:3], v124 offset:1024
	scratch_store_b32 off, v66, off offset:56 ; 4-byte Folded Spill
	v_dual_mov_b32 v66, v57 :: v_dual_mov_b32 v57, v128
	s_waitcnt lgkmcnt(0)
	v_bfe_i32 v24, v0, 0, 8
	v_bfe_i32 v47, v0, 8, 8
	v_bfe_i32 v80, v0, 16, 8
	v_ashrrev_i32_e32 v81, 24, v0
	v_bfe_i32 v83, v1, 0, 8
	v_bfe_i32 v84, v1, 8, 8
	v_bfe_i32 v85, v1, 16, 8
	v_ashrrev_i32_e32 v86, 24, v1
	;; [unrolled: 4-line block ×4, first 2 shown]
	ds_load_b128 v[0:3], v124 offset:1040
	v_mul_i32_i24_e32 v107, v85, v62
	v_mul_i32_i24_e32 v108, v86, v42
	s_waitcnt lgkmcnt(0)
	v_ashrrev_i32_e32 v98, 24, v0
	v_ashrrev_i32_e32 v102, 24, v1
	v_bfe_i32 v95, v0, 0, 8
	v_bfe_i32 v96, v0, 8, 8
	;; [unrolled: 1-line block ×4, first 2 shown]
	v_ashrrev_i32_e32 v106, 24, v2
	v_bfe_i32 v109, v3, 0, 8
	v_bfe_i32 v110, v3, 8, 8
	;; [unrolled: 1-line block ×3, first 2 shown]
	v_ashrrev_i32_e32 v3, 24, v3
	v_add_nc_u32_e32 v0, v102, v98
	v_bfe_i32 v100, v1, 8, 8
	v_bfe_i32 v105, v2, 16, 8
	v_bfe_i32 v99, v1, 0, 8
	v_bfe_i32 v104, v2, 8, 8
	v_add3_u32 v112, v0, v106, v3
	v_add_nc_u32_e32 v0, v101, v97
	v_bfe_i32 v103, v2, 0, 8
	v_mul_i32_i24_e32 v1, v80, v59
	v_mul_i32_i24_e32 v2, v81, v63
	;; [unrolled: 1-line block ×3, first 2 shown]
	v_add3_u32 v113, v0, v105, v111
	v_add_nc_u32_e32 v0, v100, v96
	s_delay_alu instid0(VALU_DEP_1) | instskip(SKIP_1) | instid1(VALU_DEP_1)
	v_add3_u32 v114, v0, v104, v110
	v_add_nc_u32_e32 v0, v99, v95
	v_add3_u32 v115, v0, v103, v109
	v_add_nc_u32_e32 v0, v86, v81
	s_delay_alu instid0(VALU_DEP_1) | instskip(SKIP_1) | instid1(VALU_DEP_1)
	v_add3_u32 v116, v0, v90, v94
	v_add_nc_u32_e32 v0, v85, v80
	v_add3_u32 v117, v0, v89, v93
	v_add_nc_u32_e32 v0, v84, v47
	s_delay_alu instid0(VALU_DEP_2) | instskip(NEXT) | instid1(VALU_DEP_2)
	v_mul_i32_i24_e32 v6, v117, v55
	v_add3_u32 v118, v0, v88, v92
	v_add_nc_u32_e32 v0, v83, v24
	s_delay_alu instid0(VALU_DEP_2) | instskip(NEXT) | instid1(VALU_DEP_2)
	v_mul_i32_i24_e32 v7, v118, v54
	v_add3_u32 v123, v0, v87, v91
	v_mul_i32_i24_e32 v0, v24, v66
	s_delay_alu instid0(VALU_DEP_2) | instskip(NEXT) | instid1(VALU_DEP_2)
	v_mul_i32_i24_e32 v127, v123, v192
	v_mad_i32_i24 v0, v47, v128, v0
	s_delay_alu instid0(VALU_DEP_2) | instskip(NEXT) | instid1(VALU_DEP_2)
	v_mad_i32_i24 v127, v116, v28, v127
	v_add3_u32 v0, v0, v1, v2
	v_mul_i32_i24_e32 v1, v83, v60
	v_mul_i32_i24_e32 v2, v84, v58
	s_delay_alu instid0(VALU_DEP_4) | instskip(SKIP_2) | instid1(VALU_DEP_4)
	v_add3_u32 v6, v127, v6, v7
	v_mul_i32_i24_e32 v7, v102, v248
	v_mul_i32_i24_e32 v127, v123, v155
	v_add3_u32 v0, v0, v1, v2
	v_mul_i32_i24_e32 v1, v87, v61
	v_mul_i32_i24_e32 v2, v88, v64
	s_delay_alu instid0(VALU_DEP_4) | instskip(NEXT) | instid1(VALU_DEP_4)
	v_mad_i32_i24 v127, v116, v179, v127
	v_add3_u32 v0, v0, v107, v108
	v_mul_i32_i24_e32 v107, v89, v51
	v_mul_i32_i24_e32 v108, v90, v45
	s_delay_alu instid0(VALU_DEP_3) | instskip(SKIP_2) | instid1(VALU_DEP_3)
	v_add3_u32 v0, v0, v1, v2
	v_mul_i32_i24_e32 v1, v91, v65
	v_mul_i32_i24_e32 v2, v92, v48
	v_add3_u32 v0, v0, v107, v108
	v_mul_i32_i24_e32 v107, v93, v36
	v_mul_i32_i24_e32 v108, v94, v31
	s_delay_alu instid0(VALU_DEP_3) | instskip(SKIP_2) | instid1(VALU_DEP_3)
	v_add3_u32 v0, v0, v1, v2
	v_mul_i32_i24_e32 v1, v95, v69
	v_mul_i32_i24_e32 v2, v97, v70
	v_add3_u32 v0, v0, v107, v108
	v_mul_i32_i24_e32 v107, v98, v73
	s_delay_alu instid0(VALU_DEP_4) | instskip(SKIP_1) | instid1(VALU_DEP_4)
	v_mad_i32_i24 v1, v96, v68, v1
	v_mul_i32_i24_e32 v108, v101, v74
	v_mul_lo_u32 v0, v0, v67
	s_delay_alu instid0(VALU_DEP_3) | instskip(SKIP_2) | instid1(VALU_DEP_1)
	v_add3_u32 v1, v1, v2, v107
	v_mul_i32_i24_e32 v2, v99, v71
	v_mul_i32_i24_e32 v107, v100, v72
	v_add3_u32 v1, v1, v2, v107
	v_mul_i32_i24_e32 v2, v103, v76
	v_mul_i32_i24_e32 v107, v105, v79
	s_delay_alu instid0(VALU_DEP_3) | instskip(SKIP_2) | instid1(VALU_DEP_2)
	v_add3_u32 v1, v1, v108, v5
	v_mul_i32_i24_e32 v5, v104, v78
	v_mul_i32_i24_e32 v108, v106, v119
	v_add3_u32 v1, v1, v2, v5
	v_mul_i32_i24_e32 v2, v109, v82
	v_mul_i32_i24_e32 v5, v110, v120
	s_delay_alu instid0(VALU_DEP_3) | instskip(SKIP_2) | instid1(VALU_DEP_3)
	v_add3_u32 v1, v1, v107, v108
	v_mul_i32_i24_e32 v107, v111, v121
	v_mul_i32_i24_e32 v108, v3, v122
	v_add3_u32 v1, v1, v2, v5
	v_mul_i32_i24_e32 v2, v113, v41
	s_delay_alu instid0(VALU_DEP_2) | instskip(SKIP_3) | instid1(VALU_DEP_2)
	v_add3_u32 v5, v1, v107, v108
	v_mul_i32_i24_e32 v1, v112, v44
	v_mul_i32_i24_e32 v108, v115, v37
	;; [unrolled: 1-line block ×3, first 2 shown]
	v_add3_u32 v1, v6, v108, v1
	v_mul_i32_i24_e32 v108, v118, v35
	s_delay_alu instid0(VALU_DEP_2) | instskip(SKIP_4) | instid1(VALU_DEP_4)
	v_add3_u32 v6, v1, v2, v107
	v_mad_u64_u32 v[1:2], null, v5, v39, v[0:1]
	v_mul_i32_i24_e32 v2, v81, v231
	v_mul_i32_i24_e32 v5, v85, v229
	;; [unrolled: 1-line block ×3, first 2 shown]
	v_cvt_f32_i32_e32 v0, v1
	v_cvt_f32_i32_e32 v1, v6
	v_mul_i32_i24_e32 v6, v86, v233
	s_delay_alu instid0(VALU_DEP_4) | instskip(SKIP_3) | instid1(VALU_DEP_3)
	v_add3_u32 v107, v127, v107, v108
	v_mul_i32_i24_e32 v127, v123, v132
	v_mul_i32_i24_e32 v108, v118, v21
	v_mul_f32_e32 v1, v218, v1
	v_mad_i32_i24 v127, v116, v154, v127
	s_delay_alu instid0(VALU_DEP_2) | instskip(SKIP_1) | instid1(VALU_DEP_2)
	v_fma_mix_f32 v0, v183, v0, -v1 op_sel_hi:[1,0,0]
	v_mul_i32_i24_e32 v1, v80, v225
	v_fmac_f32_e32 v43, v4, v0
	v_mul_i32_i24_e32 v0, v24, v224
	s_delay_alu instid0(VALU_DEP_1) | instskip(NEXT) | instid1(VALU_DEP_1)
	v_mad_i32_i24 v0, v47, v75, v0
	v_add3_u32 v0, v0, v1, v2
	v_mul_i32_i24_e32 v1, v83, v228
	v_mul_i32_i24_e32 v2, v84, v227
	s_delay_alu instid0(VALU_DEP_1) | instskip(SKIP_2) | instid1(VALU_DEP_3)
	v_add3_u32 v0, v0, v1, v2
	v_mul_i32_i24_e32 v1, v87, v230
	v_mul_i32_i24_e32 v2, v88, v232
	v_add3_u32 v0, v0, v5, v6
	v_mul_i32_i24_e32 v5, v89, v235
	v_mul_i32_i24_e32 v6, v90, v237
	s_delay_alu instid0(VALU_DEP_3) | instskip(SKIP_2) | instid1(VALU_DEP_3)
	v_add3_u32 v0, v0, v1, v2
	v_mul_i32_i24_e32 v1, v91, v234
	v_mul_i32_i24_e32 v2, v92, v236
	v_add3_u32 v0, v0, v5, v6
	v_mul_i32_i24_e32 v5, v93, v238
	v_mul_i32_i24_e32 v6, v94, v226
	s_delay_alu instid0(VALU_DEP_3) | instskip(SKIP_2) | instid1(VALU_DEP_3)
	v_add3_u32 v0, v0, v1, v2
	v_mul_i32_i24_e32 v1, v95, v241
	v_mul_i32_i24_e32 v2, v97, v242
	v_add3_u32 v0, v0, v5, v6
	v_mul_i32_i24_e32 v5, v98, v245
	s_delay_alu instid0(VALU_DEP_4) | instskip(SKIP_1) | instid1(VALU_DEP_4)
	v_mad_i32_i24 v1, v96, v240, v1
	v_mul_i32_i24_e32 v6, v101, v246
	v_mul_lo_u32 v0, v0, v239
	s_delay_alu instid0(VALU_DEP_3) | instskip(SKIP_2) | instid1(VALU_DEP_1)
	v_add3_u32 v1, v1, v2, v5
	v_mul_i32_i24_e32 v2, v99, v243
	v_mul_i32_i24_e32 v5, v100, v244
	v_add3_u32 v1, v1, v2, v5
	v_mul_i32_i24_e32 v2, v103, v247
	v_mul_i32_i24_e32 v5, v104, v249
	s_delay_alu instid0(VALU_DEP_3) | instskip(SKIP_2) | instid1(VALU_DEP_3)
	v_add3_u32 v1, v1, v6, v7
	v_mul_i32_i24_e32 v6, v105, v250
	v_mul_i32_i24_e32 v7, v106, v252
	v_add3_u32 v1, v1, v2, v5
	v_mul_i32_i24_e32 v2, v109, v251
	v_mul_i32_i24_e32 v5, v110, v253
	s_delay_alu instid0(VALU_DEP_3) | instskip(SKIP_2) | instid1(VALU_DEP_3)
	v_add3_u32 v1, v1, v6, v7
	v_mul_i32_i24_e32 v6, v111, v254
	v_mul_i32_i24_e32 v7, v3, v255
	v_add3_u32 v1, v1, v2, v5
	v_mul_i32_i24_e32 v2, v113, v221
	s_delay_alu instid0(VALU_DEP_2) | instskip(SKIP_3) | instid1(VALU_DEP_2)
	v_add3_u32 v5, v1, v6, v7
	v_mul_i32_i24_e32 v1, v112, v223
	v_mul_i32_i24_e32 v7, v115, v219
	;; [unrolled: 1-line block ×3, first 2 shown]
	v_add3_u32 v1, v107, v7, v1
	v_mul_i32_i24_e32 v7, v102, v29
	v_mul_i32_i24_e32 v107, v117, v27
	s_delay_alu instid0(VALU_DEP_3) | instskip(SKIP_4) | instid1(VALU_DEP_4)
	v_add3_u32 v6, v1, v2, v6
	v_mad_u64_u32 v[1:2], null, v5, v22, v[0:1]
	v_mul_i32_i24_e32 v2, v81, v197
	v_mul_i32_i24_e32 v5, v85, v194
	v_add3_u32 v107, v127, v107, v108
	v_cvt_f32_i32_e32 v0, v1
	v_cvt_f32_i32_e32 v1, v6
	v_mul_i32_i24_e32 v6, v86, v23
	s_delay_alu instid0(VALU_DEP_2) | instskip(NEXT) | instid1(VALU_DEP_1)
	v_mul_f32_e32 v1, v181, v1
	v_fma_mix_f32 v0, v139, v0, -v1 op_sel_hi:[1,0,0]
	v_mul_i32_i24_e32 v1, v80, v193
	s_delay_alu instid0(VALU_DEP_2) | instskip(SKIP_1) | instid1(VALU_DEP_1)
	v_fmac_f32_e32 v217, v4, v0
	v_mul_i32_i24_e32 v0, v24, v189
	v_mad_i32_i24 v0, v47, v188, v0
	s_delay_alu instid0(VALU_DEP_1) | instskip(SKIP_2) | instid1(VALU_DEP_1)
	v_add3_u32 v0, v0, v1, v2
	v_mul_i32_i24_e32 v1, v83, v26
	v_mul_i32_i24_e32 v2, v84, v191
	v_add3_u32 v0, v0, v1, v2
	v_mul_i32_i24_e32 v1, v87, v196
	v_mul_i32_i24_e32 v2, v88, v198
	s_delay_alu instid0(VALU_DEP_3) | instskip(SKIP_2) | instid1(VALU_DEP_3)
	v_add3_u32 v0, v0, v5, v6
	v_mul_i32_i24_e32 v5, v89, v200
	v_mul_i32_i24_e32 v6, v90, v202
	v_add3_u32 v0, v0, v1, v2
	v_mul_i32_i24_e32 v1, v91, v199
	v_mul_i32_i24_e32 v2, v92, v201
	s_delay_alu instid0(VALU_DEP_3) | instskip(SKIP_2) | instid1(VALU_DEP_3)
	v_add3_u32 v0, v0, v5, v6
	v_mul_i32_i24_e32 v5, v93, v203
	v_mul_i32_i24_e32 v6, v94, v204
	v_add3_u32 v0, v0, v1, v2
	v_mul_i32_i24_e32 v1, v95, v30
	v_mul_i32_i24_e32 v2, v97, v213
	s_delay_alu instid0(VALU_DEP_3) | instskip(SKIP_1) | instid1(VALU_DEP_4)
	v_add3_u32 v0, v0, v5, v6
	v_mul_i32_i24_e32 v5, v98, v148
	v_mad_i32_i24 v1, v96, v210, v1
	v_mul_i32_i24_e32 v6, v101, v149
	s_delay_alu instid0(VALU_DEP_4) | instskip(NEXT) | instid1(VALU_DEP_3)
	v_mul_lo_u32 v0, v0, v209
	v_add3_u32 v1, v1, v2, v5
	v_mul_i32_i24_e32 v2, v99, v18
	v_mul_i32_i24_e32 v5, v100, v212
	s_delay_alu instid0(VALU_DEP_1) | instskip(SKIP_2) | instid1(VALU_DEP_3)
	v_add3_u32 v1, v1, v2, v5
	v_mul_i32_i24_e32 v2, v103, v147
	v_mul_i32_i24_e32 v5, v104, v146
	v_add3_u32 v1, v1, v6, v7
	v_mul_i32_i24_e32 v6, v105, v53
	v_mul_i32_i24_e32 v7, v106, v50
	s_delay_alu instid0(VALU_DEP_3) | instskip(SKIP_2) | instid1(VALU_DEP_3)
	v_add3_u32 v1, v1, v2, v5
	v_mul_i32_i24_e32 v2, v109, v133
	v_mul_i32_i24_e32 v5, v110, v52
	v_add3_u32 v1, v1, v6, v7
	v_mul_i32_i24_e32 v6, v111, v49
	v_mul_i32_i24_e32 v7, v3, v46
	;; [unrolled: 1-line block ×3, first 2 shown]
	s_delay_alu instid0(VALU_DEP_4) | instskip(SKIP_1) | instid1(VALU_DEP_2)
	v_add3_u32 v1, v1, v2, v5
	v_mul_i32_i24_e32 v2, v113, v207
	v_add3_u32 v5, v1, v6, v7
	v_mul_i32_i24_e32 v1, v112, v13
	v_mul_i32_i24_e32 v7, v115, v182
	;; [unrolled: 1-line block ×3, first 2 shown]
	s_delay_alu instid0(VALU_DEP_2) | instskip(SKIP_1) | instid1(VALU_DEP_2)
	v_add3_u32 v1, v107, v7, v1
	v_mul_i32_i24_e32 v7, v102, v143
	v_add3_u32 v6, v1, v2, v6
	v_mad_u64_u32 v[1:2], null, v5, v136, v[0:1]
	v_mul_i32_i24_e32 v2, v81, v166
	v_mul_i32_i24_e32 v5, v85, v168
	s_delay_alu instid0(VALU_DEP_3) | instskip(SKIP_2) | instid1(VALU_DEP_2)
	v_cvt_f32_i32_e32 v0, v1
	v_cvt_f32_i32_e32 v1, v6
	v_mul_i32_i24_e32 v6, v86, v150
	v_mul_f32_e32 v1, v157, v1
	s_delay_alu instid0(VALU_DEP_1) | instskip(SKIP_1) | instid1(VALU_DEP_2)
	v_fma_mix_f32 v0, v131, v0, -v1 op_sel_hi:[1,0,0]
	v_mul_i32_i24_e32 v1, v80, v162
	v_fmac_f32_e32 v38, v4, v0
	v_mul_i32_i24_e32 v0, v24, v208
	v_mul_i32_i24_e32 v24, v118, v156
	s_delay_alu instid0(VALU_DEP_2) | instskip(SKIP_1) | instid1(VALU_DEP_2)
	v_mad_i32_i24 v0, v47, v158, v0
	v_mul_i32_i24_e32 v47, v123, v130
	v_add3_u32 v0, v0, v1, v2
	v_mul_i32_i24_e32 v1, v83, v163
	v_mul_i32_i24_e32 v2, v84, v164
	s_delay_alu instid0(VALU_DEP_4) | instskip(NEXT) | instid1(VALU_DEP_2)
	v_mad_i32_i24 v47, v116, v153, v47
	v_add3_u32 v0, v0, v1, v2
	v_mul_i32_i24_e32 v1, v87, v170
	v_mul_i32_i24_e32 v2, v88, v152
	s_delay_alu instid0(VALU_DEP_3) | instskip(SKIP_2) | instid1(VALU_DEP_3)
	v_add3_u32 v0, v0, v5, v6
	v_mul_i32_i24_e32 v5, v89, v173
	v_mul_i32_i24_e32 v6, v90, v175
	v_add3_u32 v0, v0, v1, v2
	v_mul_i32_i24_e32 v1, v91, v171
	v_mul_i32_i24_e32 v2, v92, v174
	s_delay_alu instid0(VALU_DEP_3) | instskip(SKIP_2) | instid1(VALU_DEP_3)
	v_add3_u32 v0, v0, v5, v6
	v_mul_i32_i24_e32 v5, v93, v176
	v_mul_i32_i24_e32 v6, v94, v177
	v_add3_u32 v0, v0, v1, v2
	v_mul_i32_i24_e32 v1, v95, v25
	v_mul_i32_i24_e32 v2, v97, v205
	s_delay_alu instid0(VALU_DEP_3) | instskip(SKIP_1) | instid1(VALU_DEP_4)
	v_add3_u32 v0, v0, v5, v6
	v_mul_i32_i24_e32 v5, v98, v145
	v_mad_i32_i24 v1, v96, v186, v1
	v_mul_i32_i24_e32 v6, v101, v144
	s_delay_alu instid0(VALU_DEP_4) | instskip(NEXT) | instid1(VALU_DEP_3)
	v_mul_lo_u32 v0, v0, v214
	v_add3_u32 v1, v1, v2, v5
	v_mul_i32_i24_e32 v2, v99, v165
	v_mul_i32_i24_e32 v5, v100, v187
	s_delay_alu instid0(VALU_DEP_1) | instskip(SKIP_2) | instid1(VALU_DEP_3)
	v_add3_u32 v1, v1, v2, v5
	v_mul_i32_i24_e32 v2, v103, v169
	v_mul_i32_i24_e32 v5, v104, v142
	v_add3_u32 v1, v1, v6, v7
	v_mul_i32_i24_e32 v6, v105, v141
	v_mul_i32_i24_e32 v7, v106, v137
	s_delay_alu instid0(VALU_DEP_3) | instskip(SKIP_2) | instid1(VALU_DEP_3)
	v_add3_u32 v1, v1, v2, v5
	v_mul_i32_i24_e32 v2, v109, v140
	v_mul_i32_i24_e32 v5, v110, v135
	v_add3_u32 v1, v1, v6, v7
	v_mul_i32_i24_e32 v6, v111, v134
	v_mul_i32_i24_e32 v7, v117, v159
	s_delay_alu instid0(VALU_DEP_3) | instskip(SKIP_1) | instid1(VALU_DEP_3)
	v_add3_u32 v1, v1, v2, v5
	v_mul_i32_i24_e32 v2, v113, v14
	v_add3_u32 v7, v47, v7, v24
	v_mul_i32_i24_e32 v5, v114, v160
	s_delay_alu instid0(VALU_DEP_4) | instskip(SKIP_2) | instid1(VALU_DEP_1)
	v_add3_u32 v3, v1, v6, v3
	v_mul_i32_i24_e32 v1, v112, v172
	v_mul_i32_i24_e32 v6, v115, v138
	v_add3_u32 v1, v7, v6, v1
	s_delay_alu instid0(VALU_DEP_1) | instskip(SKIP_1) | instid1(VALU_DEP_1)
	v_add3_u32 v5, v1, v2, v5
	v_mad_u64_u32 v[1:2], null, v3, v12, v[0:1]
	v_cvt_f32_i32_e32 v0, v1
	s_delay_alu instid0(VALU_DEP_3) | instskip(NEXT) | instid1(VALU_DEP_1)
	v_cvt_f32_i32_e32 v1, v5
	v_mul_f32_e32 v1, v8, v1
	s_delay_alu instid0(VALU_DEP_1) | instskip(NEXT) | instid1(VALU_DEP_1)
	v_fma_mix_f32 v0, v126, v0, -v1 op_sel_hi:[1,0,0]
	v_fmac_f32_e32 v215, v4, v0
	ds_load_2addr_b32 v[3:4], v125 offset0:64 offset1:96
	ds_load_b128 v[83:86], v124 offset:2048
	s_waitcnt lgkmcnt(0)
	v_bfe_i32 v5, v83, 0, 8
	v_bfe_i32 v6, v83, 8, 8
	v_bfe_i32 v7, v83, 16, 8
	v_ashrrev_i32_e32 v24, 24, v83
	v_bfe_i32 v47, v84, 0, 8
	v_bfe_i32 v80, v84, 8, 8
	v_bfe_i32 v81, v84, 16, 8
	v_ashrrev_i32_e32 v87, 24, v84
	;; [unrolled: 4-line block ×4, first 2 shown]
	ds_load_b128 v[83:86], v124 offset:2064
	v_mul_i32_i24_e32 v1, v7, v59
	v_mul_i32_i24_e32 v2, v24, v63
	;; [unrolled: 1-line block ×4, first 2 shown]
	s_waitcnt lgkmcnt(0)
	v_bfe_i32 v96, v83, 0, 8
	v_bfe_i32 v97, v83, 8, 8
	v_bfe_i32 v98, v83, 16, 8
	v_ashrrev_i32_e32 v83, 24, v83
	v_bfe_i32 v99, v84, 0, 8
	v_bfe_i32 v100, v84, 8, 8
	v_bfe_i32 v101, v84, 16, 8
	v_ashrrev_i32_e32 v84, 24, v84
	;; [unrolled: 4-line block ×4, first 2 shown]
	v_add_nc_u32_e32 v0, v84, v83
	v_mul_i32_i24_e32 v118, v84, v77
	s_delay_alu instid0(VALU_DEP_2) | instskip(SKIP_1) | instid1(VALU_DEP_1)
	v_add3_u32 v108, v0, v85, v86
	v_add_nc_u32_e32 v0, v101, v98
	v_add3_u32 v109, v0, v104, v107
	v_add_nc_u32_e32 v0, v100, v97
	s_delay_alu instid0(VALU_DEP_1) | instskip(SKIP_1) | instid1(VALU_DEP_1)
	v_add3_u32 v110, v0, v103, v106
	v_add_nc_u32_e32 v0, v99, v96
	v_add3_u32 v111, v0, v102, v105
	v_add_nc_u32_e32 v0, v87, v24
	s_delay_alu instid0(VALU_DEP_1) | instskip(SKIP_1) | instid1(VALU_DEP_1)
	v_add3_u32 v112, v0, v91, v95
	v_add_nc_u32_e32 v0, v81, v7
	v_add3_u32 v113, v0, v90, v94
	v_add_nc_u32_e32 v0, v80, v6
	s_delay_alu instid0(VALU_DEP_2) | instskip(NEXT) | instid1(VALU_DEP_2)
	v_mul_i32_i24_e32 v123, v113, v55
	v_add3_u32 v114, v0, v89, v93
	v_add_nc_u32_e32 v0, v47, v5
	s_delay_alu instid0(VALU_DEP_2) | instskip(NEXT) | instid1(VALU_DEP_2)
	v_mul_i32_i24_e32 v127, v114, v54
	v_add3_u32 v115, v0, v88, v92
	v_mul_i32_i24_e32 v0, v5, v66
	s_delay_alu instid0(VALU_DEP_1) | instskip(NEXT) | instid1(VALU_DEP_3)
	v_mad_i32_i24 v0, v6, v128, v0
	v_mul_i32_i24_e32 v128, v115, v192
	s_delay_alu instid0(VALU_DEP_2) | instskip(SKIP_2) | instid1(VALU_DEP_4)
	v_add3_u32 v0, v0, v1, v2
	v_mul_i32_i24_e32 v1, v47, v60
	v_mul_i32_i24_e32 v2, v80, v58
	v_mad_i32_i24 v128, v112, v28, v128
	v_mov_b32_e32 v58, v66
	s_delay_alu instid0(VALU_DEP_3)
	v_add3_u32 v0, v0, v1, v2
	v_mul_i32_i24_e32 v1, v88, v61
	v_mul_i32_i24_e32 v2, v89, v64
	v_add3_u32 v123, v128, v123, v127
	v_mul_i32_i24_e32 v128, v115, v155
	v_add3_u32 v0, v0, v116, v117
	v_mul_i32_i24_e32 v116, v90, v51
	v_mul_i32_i24_e32 v117, v91, v45
	;; [unrolled: 1-line block ×3, first 2 shown]
	v_mad_i32_i24 v128, v112, v179, v128
	v_add3_u32 v0, v0, v1, v2
	v_mul_i32_i24_e32 v1, v92, v65
	v_mul_i32_i24_e32 v2, v93, v48
	s_delay_alu instid0(VALU_DEP_3) | instskip(SKIP_2) | instid1(VALU_DEP_3)
	v_add3_u32 v0, v0, v116, v117
	v_mul_i32_i24_e32 v116, v94, v36
	v_mul_i32_i24_e32 v117, v95, v31
	v_add3_u32 v0, v0, v1, v2
	v_mul_i32_i24_e32 v1, v96, v69
	v_mul_i32_i24_e32 v2, v98, v70
	s_delay_alu instid0(VALU_DEP_3) | instskip(SKIP_1) | instid1(VALU_DEP_4)
	v_add3_u32 v0, v0, v116, v117
	v_mul_i32_i24_e32 v116, v83, v73
	v_mad_i32_i24 v1, v97, v68, v1
	v_mul_i32_i24_e32 v117, v101, v74
	s_delay_alu instid0(VALU_DEP_4) | instskip(NEXT) | instid1(VALU_DEP_3)
	v_mul_lo_u32 v0, v0, v67
	v_add3_u32 v1, v1, v2, v116
	v_mul_i32_i24_e32 v2, v99, v71
	v_mul_i32_i24_e32 v116, v100, v72
	s_delay_alu instid0(VALU_DEP_1) | instskip(SKIP_2) | instid1(VALU_DEP_3)
	v_add3_u32 v1, v1, v2, v116
	v_mul_i32_i24_e32 v2, v102, v76
	v_mul_i32_i24_e32 v116, v103, v78
	v_add3_u32 v1, v1, v117, v118
	v_mul_i32_i24_e32 v117, v104, v79
	v_mul_i32_i24_e32 v118, v85, v119
	s_delay_alu instid0(VALU_DEP_3) | instskip(SKIP_2) | instid1(VALU_DEP_3)
	v_add3_u32 v1, v1, v2, v116
	v_mul_i32_i24_e32 v2, v105, v82
	v_mul_i32_i24_e32 v116, v106, v120
	v_add3_u32 v1, v1, v117, v118
	v_mul_i32_i24_e32 v117, v107, v121
	v_mul_i32_i24_e32 v118, v86, v122
	s_delay_alu instid0(VALU_DEP_3) | instskip(SKIP_1) | instid1(VALU_DEP_2)
	v_add3_u32 v1, v1, v2, v116
	v_mul_i32_i24_e32 v2, v109, v41
	v_add3_u32 v116, v1, v117, v118
	v_mul_i32_i24_e32 v1, v108, v44
	v_mul_i32_i24_e32 v118, v111, v37
	;; [unrolled: 1-line block ×3, first 2 shown]
	s_delay_alu instid0(VALU_DEP_2) | instskip(SKIP_2) | instid1(VALU_DEP_3)
	v_add3_u32 v1, v123, v118, v1
	v_mul_i32_i24_e32 v118, v84, v248
	v_mul_i32_i24_e32 v123, v113, v216
	v_add3_u32 v117, v1, v2, v117
	v_mad_u64_u32 v[1:2], null, v116, v39, v[0:1]
	v_mul_i32_i24_e32 v2, v24, v231
	v_mul_i32_i24_e32 v116, v81, v229
	v_add3_u32 v123, v128, v123, v127
	v_mul_i32_i24_e32 v128, v115, v132
	v_mul_i32_i24_e32 v127, v114, v21
	v_cvt_f32_i32_e32 v0, v1
	v_cvt_f32_i32_e32 v1, v117
	v_mul_i32_i24_e32 v117, v87, v233
	v_mad_i32_i24 v128, v112, v154, v128
	s_delay_alu instid0(VALU_DEP_3) | instskip(NEXT) | instid1(VALU_DEP_1)
	v_mul_f32_e32 v1, v218, v1
	v_fma_mix_f32 v0, v183, v0, -v1 op_sel_hi:[1,0,0]
	v_mul_i32_i24_e32 v1, v7, v225
	s_delay_alu instid0(VALU_DEP_2) | instskip(SKIP_1) | instid1(VALU_DEP_1)
	v_fmac_f32_e32 v34, v3, v0
	v_mul_i32_i24_e32 v0, v5, v224
	v_mad_i32_i24 v0, v6, v75, v0
	s_delay_alu instid0(VALU_DEP_1) | instskip(SKIP_2) | instid1(VALU_DEP_1)
	v_add3_u32 v0, v0, v1, v2
	v_mul_i32_i24_e32 v1, v47, v228
	v_mul_i32_i24_e32 v2, v80, v227
	v_add3_u32 v0, v0, v1, v2
	v_mul_i32_i24_e32 v1, v88, v230
	v_mul_i32_i24_e32 v2, v89, v232
	s_delay_alu instid0(VALU_DEP_3) | instskip(SKIP_2) | instid1(VALU_DEP_3)
	v_add3_u32 v0, v0, v116, v117
	v_mul_i32_i24_e32 v116, v90, v235
	v_mul_i32_i24_e32 v117, v91, v237
	v_add3_u32 v0, v0, v1, v2
	v_mul_i32_i24_e32 v1, v92, v234
	v_mul_i32_i24_e32 v2, v93, v236
	s_delay_alu instid0(VALU_DEP_3) | instskip(SKIP_2) | instid1(VALU_DEP_3)
	v_add3_u32 v0, v0, v116, v117
	v_mul_i32_i24_e32 v116, v94, v238
	v_mul_i32_i24_e32 v117, v95, v226
	v_add3_u32 v0, v0, v1, v2
	v_mul_i32_i24_e32 v1, v96, v241
	v_mul_i32_i24_e32 v2, v98, v242
	s_delay_alu instid0(VALU_DEP_3) | instskip(SKIP_1) | instid1(VALU_DEP_4)
	v_add3_u32 v0, v0, v116, v117
	v_mul_i32_i24_e32 v116, v83, v245
	v_mad_i32_i24 v1, v97, v240, v1
	v_mul_i32_i24_e32 v117, v101, v246
	s_delay_alu instid0(VALU_DEP_4) | instskip(NEXT) | instid1(VALU_DEP_3)
	v_mul_lo_u32 v0, v0, v239
	v_add3_u32 v1, v1, v2, v116
	v_mul_i32_i24_e32 v2, v99, v243
	v_mul_i32_i24_e32 v116, v100, v244
	s_delay_alu instid0(VALU_DEP_1) | instskip(SKIP_2) | instid1(VALU_DEP_3)
	v_add3_u32 v1, v1, v2, v116
	v_mul_i32_i24_e32 v2, v102, v247
	v_mul_i32_i24_e32 v116, v103, v249
	v_add3_u32 v1, v1, v117, v118
	v_mul_i32_i24_e32 v117, v104, v250
	v_mul_i32_i24_e32 v118, v85, v252
	s_delay_alu instid0(VALU_DEP_3) | instskip(SKIP_2) | instid1(VALU_DEP_3)
	v_add3_u32 v1, v1, v2, v116
	v_mul_i32_i24_e32 v2, v105, v251
	v_mul_i32_i24_e32 v116, v106, v253
	v_add3_u32 v1, v1, v117, v118
	v_mul_i32_i24_e32 v117, v107, v254
	v_mul_i32_i24_e32 v118, v86, v255
	s_delay_alu instid0(VALU_DEP_3) | instskip(SKIP_1) | instid1(VALU_DEP_2)
	v_add3_u32 v1, v1, v2, v116
	v_mul_i32_i24_e32 v2, v109, v221
	v_add3_u32 v116, v1, v117, v118
	v_mul_i32_i24_e32 v1, v108, v223
	v_mul_i32_i24_e32 v118, v111, v219
	;; [unrolled: 1-line block ×3, first 2 shown]
	s_delay_alu instid0(VALU_DEP_2) | instskip(SKIP_2) | instid1(VALU_DEP_3)
	v_add3_u32 v1, v123, v118, v1
	v_mul_i32_i24_e32 v118, v84, v29
	v_mul_i32_i24_e32 v123, v113, v27
	v_add3_u32 v117, v1, v2, v117
	v_mad_u64_u32 v[1:2], null, v116, v22, v[0:1]
	v_mul_i32_i24_e32 v2, v24, v197
	v_mul_i32_i24_e32 v116, v81, v194
	v_add3_u32 v123, v128, v123, v127
	s_delay_alu instid0(VALU_DEP_4) | instskip(SKIP_2) | instid1(VALU_DEP_2)
	v_cvt_f32_i32_e32 v0, v1
	v_cvt_f32_i32_e32 v1, v117
	v_mul_i32_i24_e32 v117, v87, v23
	v_mul_f32_e32 v1, v181, v1
	s_delay_alu instid0(VALU_DEP_1) | instskip(SKIP_1) | instid1(VALU_DEP_2)
	v_fma_mix_f32 v0, v139, v0, -v1 op_sel_hi:[1,0,0]
	v_mul_i32_i24_e32 v1, v7, v193
	v_fmac_f32_e32 v33, v3, v0
	v_mul_i32_i24_e32 v0, v5, v189
	s_delay_alu instid0(VALU_DEP_1) | instskip(NEXT) | instid1(VALU_DEP_1)
	v_mad_i32_i24 v0, v6, v188, v0
	v_add3_u32 v0, v0, v1, v2
	v_mul_i32_i24_e32 v1, v47, v26
	v_mul_i32_i24_e32 v2, v80, v191
	s_delay_alu instid0(VALU_DEP_1) | instskip(SKIP_2) | instid1(VALU_DEP_3)
	v_add3_u32 v0, v0, v1, v2
	v_mul_i32_i24_e32 v1, v88, v196
	v_mul_i32_i24_e32 v2, v89, v198
	v_add3_u32 v0, v0, v116, v117
	v_mul_i32_i24_e32 v116, v90, v200
	v_mul_i32_i24_e32 v117, v91, v202
	s_delay_alu instid0(VALU_DEP_3) | instskip(SKIP_2) | instid1(VALU_DEP_3)
	v_add3_u32 v0, v0, v1, v2
	v_mul_i32_i24_e32 v1, v92, v199
	v_mul_i32_i24_e32 v2, v93, v201
	v_add3_u32 v0, v0, v116, v117
	v_mul_i32_i24_e32 v116, v94, v203
	v_mul_i32_i24_e32 v117, v95, v204
	s_delay_alu instid0(VALU_DEP_3) | instskip(SKIP_2) | instid1(VALU_DEP_3)
	v_add3_u32 v0, v0, v1, v2
	v_mul_i32_i24_e32 v1, v96, v30
	v_mul_i32_i24_e32 v2, v98, v213
	v_add3_u32 v0, v0, v116, v117
	v_mul_i32_i24_e32 v116, v83, v148
	s_delay_alu instid0(VALU_DEP_4) | instskip(SKIP_1) | instid1(VALU_DEP_4)
	v_mad_i32_i24 v1, v97, v210, v1
	v_mul_i32_i24_e32 v117, v101, v149
	v_mul_lo_u32 v0, v0, v209
	s_delay_alu instid0(VALU_DEP_3) | instskip(SKIP_2) | instid1(VALU_DEP_1)
	v_add3_u32 v1, v1, v2, v116
	v_mul_i32_i24_e32 v2, v99, v18
	v_mul_i32_i24_e32 v116, v100, v212
	v_add3_u32 v1, v1, v2, v116
	v_mul_i32_i24_e32 v2, v102, v147
	v_mul_i32_i24_e32 v116, v103, v146
	s_delay_alu instid0(VALU_DEP_3) | instskip(SKIP_2) | instid1(VALU_DEP_3)
	v_add3_u32 v1, v1, v117, v118
	v_mul_i32_i24_e32 v117, v104, v53
	v_mul_i32_i24_e32 v118, v85, v50
	v_add3_u32 v1, v1, v2, v116
	v_mul_i32_i24_e32 v2, v105, v133
	v_mul_i32_i24_e32 v116, v106, v52
	s_delay_alu instid0(VALU_DEP_3) | instskip(SKIP_2) | instid1(VALU_DEP_3)
	v_add3_u32 v1, v1, v117, v118
	v_mul_i32_i24_e32 v117, v107, v49
	v_mul_i32_i24_e32 v118, v86, v46
	v_add3_u32 v1, v1, v2, v116
	v_mul_i32_i24_e32 v2, v109, v207
	s_delay_alu instid0(VALU_DEP_2) | instskip(SKIP_3) | instid1(VALU_DEP_2)
	v_add3_u32 v116, v1, v117, v118
	v_mul_i32_i24_e32 v1, v108, v13
	v_mul_i32_i24_e32 v118, v111, v182
	;; [unrolled: 1-line block ×3, first 2 shown]
	v_add3_u32 v1, v123, v118, v1
	s_delay_alu instid0(VALU_DEP_1) | instskip(SKIP_3) | instid1(VALU_DEP_3)
	v_add3_u32 v117, v1, v2, v117
	v_mad_u64_u32 v[1:2], null, v116, v136, v[0:1]
	v_mul_i32_i24_e32 v2, v24, v166
	v_mul_i32_i24_e32 v24, v113, v159
	v_cvt_f32_i32_e32 v0, v1
	v_cvt_f32_i32_e32 v1, v117
	s_delay_alu instid0(VALU_DEP_1) | instskip(NEXT) | instid1(VALU_DEP_1)
	v_mul_f32_e32 v1, v157, v1
	v_fma_mix_f32 v0, v131, v0, -v1 op_sel_hi:[1,0,0]
	v_mul_i32_i24_e32 v1, v7, v162
	v_mul_i32_i24_e32 v7, v84, v143
	s_delay_alu instid0(VALU_DEP_3) | instskip(SKIP_2) | instid1(VALU_DEP_2)
	v_fmac_f32_e32 v32, v3, v0
	v_mul_i32_i24_e32 v0, v5, v208
	v_mul_i32_i24_e32 v5, v81, v168
	v_mad_i32_i24 v0, v6, v158, v0
	v_mul_i32_i24_e32 v6, v87, v150
	s_delay_alu instid0(VALU_DEP_2) | instskip(SKIP_4) | instid1(VALU_DEP_3)
	v_add3_u32 v0, v0, v1, v2
	v_mul_i32_i24_e32 v1, v47, v163
	v_mul_i32_i24_e32 v2, v80, v164
	;; [unrolled: 1-line block ×4, first 2 shown]
	v_add3_u32 v0, v0, v1, v2
	v_mul_i32_i24_e32 v1, v88, v170
	v_mul_i32_i24_e32 v2, v89, v152
	v_mad_i32_i24 v80, v112, v153, v80
	s_delay_alu instid0(VALU_DEP_4) | instskip(SKIP_2) | instid1(VALU_DEP_4)
	v_add3_u32 v0, v0, v5, v6
	v_mul_i32_i24_e32 v5, v90, v173
	v_mul_i32_i24_e32 v6, v91, v175
	v_add3_u32 v24, v80, v24, v47
	s_delay_alu instid0(VALU_DEP_4) | instskip(SKIP_2) | instid1(VALU_DEP_3)
	v_add3_u32 v0, v0, v1, v2
	v_mul_i32_i24_e32 v1, v92, v171
	v_mul_i32_i24_e32 v2, v93, v174
	v_add3_u32 v0, v0, v5, v6
	v_mul_i32_i24_e32 v5, v94, v176
	v_mul_i32_i24_e32 v6, v95, v177
	s_delay_alu instid0(VALU_DEP_3) | instskip(SKIP_2) | instid1(VALU_DEP_3)
	v_add3_u32 v0, v0, v1, v2
	v_mul_i32_i24_e32 v1, v96, v25
	v_mul_i32_i24_e32 v2, v98, v205
	v_add3_u32 v0, v0, v5, v6
	v_mul_i32_i24_e32 v5, v83, v145
	s_delay_alu instid0(VALU_DEP_4) | instskip(SKIP_1) | instid1(VALU_DEP_4)
	v_mad_i32_i24 v1, v97, v186, v1
	v_mul_i32_i24_e32 v6, v101, v144
	v_mul_lo_u32 v0, v0, v214
	s_delay_alu instid0(VALU_DEP_3) | instskip(SKIP_2) | instid1(VALU_DEP_1)
	v_add3_u32 v1, v1, v2, v5
	v_mul_i32_i24_e32 v2, v99, v165
	v_mul_i32_i24_e32 v5, v100, v187
	v_add3_u32 v1, v1, v2, v5
	v_mul_i32_i24_e32 v2, v102, v169
	v_mul_i32_i24_e32 v5, v103, v142
	s_delay_alu instid0(VALU_DEP_3) | instskip(SKIP_2) | instid1(VALU_DEP_3)
	v_add3_u32 v1, v1, v6, v7
	v_mul_i32_i24_e32 v6, v104, v141
	v_mul_i32_i24_e32 v7, v85, v137
	v_add3_u32 v1, v1, v2, v5
	v_mul_i32_i24_e32 v2, v105, v140
	v_mul_i32_i24_e32 v5, v106, v135
	s_delay_alu instid0(VALU_DEP_3) | instskip(SKIP_2) | instid1(VALU_DEP_3)
	v_add3_u32 v1, v1, v6, v7
	v_mul_i32_i24_e32 v6, v107, v134
	v_mul_i32_i24_e32 v7, v86, v129
	v_add3_u32 v1, v1, v2, v5
	v_mul_i32_i24_e32 v2, v109, v14
	s_delay_alu instid0(VALU_DEP_2) | instskip(SKIP_3) | instid1(VALU_DEP_2)
	v_add3_u32 v5, v1, v6, v7
	v_mul_i32_i24_e32 v1, v108, v172
	v_mul_i32_i24_e32 v7, v111, v138
	;; [unrolled: 1-line block ×3, first 2 shown]
	v_add3_u32 v1, v24, v7, v1
	s_delay_alu instid0(VALU_DEP_1) | instskip(SKIP_1) | instid1(VALU_DEP_1)
	v_add3_u32 v6, v1, v2, v6
	v_mad_u64_u32 v[1:2], null, v5, v12, v[0:1]
	v_cvt_f32_i32_e32 v0, v1
	s_delay_alu instid0(VALU_DEP_3) | instskip(NEXT) | instid1(VALU_DEP_1)
	v_cvt_f32_i32_e32 v1, v6
	v_mul_f32_e32 v1, v8, v1
	s_delay_alu instid0(VALU_DEP_1) | instskip(NEXT) | instid1(VALU_DEP_1)
	v_fma_mix_f32 v0, v126, v0, -v1 op_sel_hi:[1,0,0]
	v_fmac_f32_e32 v211, v3, v0
	ds_load_b128 v[0:3], v124 offset:3072
	s_waitcnt lgkmcnt(0)
	v_bfe_i32 v5, v0, 0, 8
	v_bfe_i32 v6, v0, 8, 8
	v_bfe_i32 v7, v0, 16, 8
	v_ashrrev_i32_e32 v24, 24, v0
	v_bfe_i32 v47, v1, 0, 8
	v_bfe_i32 v80, v1, 8, 8
	v_bfe_i32 v81, v1, 16, 8
	v_ashrrev_i32_e32 v83, 24, v1
	v_bfe_i32 v84, v2, 0, 8
	v_bfe_i32 v85, v2, 8, 8
	v_bfe_i32 v86, v2, 16, 8
	v_ashrrev_i32_e32 v87, 24, v2
	v_bfe_i32 v88, v3, 0, 8
	v_bfe_i32 v89, v3, 8, 8
	v_bfe_i32 v90, v3, 16, 8
	v_ashrrev_i32_e32 v91, 24, v3
	ds_load_b128 v[0:3], v124 offset:3088
	v_mul_i32_i24_e32 v115, v81, v62
	v_mul_i32_i24_e32 v116, v83, v42
	s_waitcnt lgkmcnt(0)
	v_ashrrev_i32_e32 v95, 24, v0
	v_ashrrev_i32_e32 v99, 24, v1
	v_bfe_i32 v92, v0, 0, 8
	v_bfe_i32 v93, v0, 8, 8
	;; [unrolled: 1-line block ×4, first 2 shown]
	v_ashrrev_i32_e32 v103, 24, v2
	v_bfe_i32 v104, v3, 0, 8
	v_bfe_i32 v105, v3, 8, 8
	;; [unrolled: 1-line block ×3, first 2 shown]
	v_ashrrev_i32_e32 v3, 24, v3
	v_add_nc_u32_e32 v0, v99, v95
	v_bfe_i32 v97, v1, 8, 8
	v_bfe_i32 v102, v2, 16, 8
	;; [unrolled: 1-line block ×4, first 2 shown]
	v_add3_u32 v107, v0, v103, v3
	v_add_nc_u32_e32 v0, v98, v94
	v_bfe_i32 v100, v2, 0, 8
	v_mul_i32_i24_e32 v1, v7, v59
	v_mul_i32_i24_e32 v2, v24, v63
	;; [unrolled: 1-line block ×3, first 2 shown]
	v_add3_u32 v108, v0, v102, v106
	v_add_nc_u32_e32 v0, v97, v93
	s_delay_alu instid0(VALU_DEP_1) | instskip(SKIP_1) | instid1(VALU_DEP_1)
	v_add3_u32 v109, v0, v101, v105
	v_add_nc_u32_e32 v0, v96, v92
	v_add3_u32 v110, v0, v100, v104
	v_add_nc_u32_e32 v0, v83, v24
	s_delay_alu instid0(VALU_DEP_1) | instskip(SKIP_1) | instid1(VALU_DEP_1)
	v_add3_u32 v111, v0, v87, v91
	v_add_nc_u32_e32 v0, v81, v7
	v_add3_u32 v112, v0, v86, v90
	v_add_nc_u32_e32 v0, v80, v6
	s_delay_alu instid0(VALU_DEP_2) | instskip(NEXT) | instid1(VALU_DEP_2)
	v_mul_i32_i24_e32 v118, v112, v55
	v_add3_u32 v113, v0, v85, v89
	v_add_nc_u32_e32 v0, v47, v5
	s_delay_alu instid0(VALU_DEP_2) | instskip(NEXT) | instid1(VALU_DEP_2)
	v_mul_i32_i24_e32 v123, v113, v54
	v_add3_u32 v114, v0, v84, v88
	v_mul_i32_i24_e32 v0, v5, v66
	s_delay_alu instid0(VALU_DEP_2) | instskip(NEXT) | instid1(VALU_DEP_2)
	v_mul_i32_i24_e32 v127, v114, v192
	v_mad_i32_i24 v0, v6, v57, v0
	s_delay_alu instid0(VALU_DEP_2) | instskip(NEXT) | instid1(VALU_DEP_2)
	v_mad_i32_i24 v127, v111, v28, v127
	v_add3_u32 v0, v0, v1, v2
	v_mul_i32_i24_e32 v1, v47, v60
	v_mul_i32_i24_e32 v2, v80, v220
	s_delay_alu instid0(VALU_DEP_4) | instskip(SKIP_2) | instid1(VALU_DEP_4)
	v_add3_u32 v118, v127, v118, v123
	v_mul_i32_i24_e32 v127, v114, v155
	v_mul_i32_i24_e32 v123, v113, v35
	v_add3_u32 v0, v0, v1, v2
	v_mul_i32_i24_e32 v1, v84, v61
	v_mul_i32_i24_e32 v2, v85, v64
	v_mad_i32_i24 v127, v111, v179, v127
	s_delay_alu instid0(VALU_DEP_4) | instskip(SKIP_2) | instid1(VALU_DEP_3)
	v_add3_u32 v0, v0, v115, v116
	v_mul_i32_i24_e32 v115, v86, v51
	v_mul_i32_i24_e32 v116, v87, v45
	v_add3_u32 v0, v0, v1, v2
	v_mul_i32_i24_e32 v1, v88, v65
	v_mul_i32_i24_e32 v2, v89, v48
	s_delay_alu instid0(VALU_DEP_3) | instskip(SKIP_2) | instid1(VALU_DEP_3)
	v_add3_u32 v0, v0, v115, v116
	v_mul_i32_i24_e32 v115, v90, v36
	v_mul_i32_i24_e32 v116, v91, v31
	v_add3_u32 v0, v0, v1, v2
	v_mul_i32_i24_e32 v1, v92, v69
	v_mul_i32_i24_e32 v2, v94, v70
	s_delay_alu instid0(VALU_DEP_3) | instskip(SKIP_1) | instid1(VALU_DEP_4)
	v_add3_u32 v0, v0, v115, v116
	v_mul_i32_i24_e32 v115, v95, v73
	v_mad_i32_i24 v1, v93, v68, v1
	v_mul_i32_i24_e32 v116, v98, v74
	s_delay_alu instid0(VALU_DEP_4) | instskip(NEXT) | instid1(VALU_DEP_3)
	v_mul_lo_u32 v0, v0, v67
	v_add3_u32 v1, v1, v2, v115
	v_mul_i32_i24_e32 v2, v96, v71
	v_mul_i32_i24_e32 v115, v97, v72
	s_delay_alu instid0(VALU_DEP_1) | instskip(SKIP_2) | instid1(VALU_DEP_3)
	v_add3_u32 v1, v1, v2, v115
	v_mul_i32_i24_e32 v2, v100, v76
	v_mul_i32_i24_e32 v115, v101, v78
	v_add3_u32 v1, v1, v116, v117
	v_mul_i32_i24_e32 v116, v102, v79
	v_mul_i32_i24_e32 v117, v103, v119
	s_delay_alu instid0(VALU_DEP_3) | instskip(SKIP_2) | instid1(VALU_DEP_3)
	v_add3_u32 v1, v1, v2, v115
	v_mul_i32_i24_e32 v2, v104, v82
	v_mul_i32_i24_e32 v115, v105, v120
	v_add3_u32 v1, v1, v116, v117
	v_mul_i32_i24_e32 v116, v106, v121
	v_mul_i32_i24_e32 v117, v3, v122
	s_delay_alu instid0(VALU_DEP_3) | instskip(SKIP_1) | instid1(VALU_DEP_2)
	v_add3_u32 v1, v1, v2, v115
	v_mul_i32_i24_e32 v2, v108, v41
	v_add3_u32 v115, v1, v116, v117
	v_mul_i32_i24_e32 v1, v107, v44
	v_mul_i32_i24_e32 v117, v110, v37
	;; [unrolled: 1-line block ×3, first 2 shown]
	s_delay_alu instid0(VALU_DEP_2) | instskip(SKIP_2) | instid1(VALU_DEP_3)
	v_add3_u32 v1, v118, v117, v1
	v_mul_i32_i24_e32 v117, v99, v248
	v_mul_i32_i24_e32 v118, v112, v216
	v_add3_u32 v116, v1, v2, v116
	v_mad_u64_u32 v[1:2], null, v115, v39, v[0:1]
	v_mul_i32_i24_e32 v2, v24, v231
	v_mul_i32_i24_e32 v115, v81, v229
	v_add3_u32 v118, v127, v118, v123
	v_mul_i32_i24_e32 v127, v114, v132
	v_mul_i32_i24_e32 v123, v113, v21
	v_cvt_f32_i32_e32 v0, v1
	v_cvt_f32_i32_e32 v1, v116
	v_mul_i32_i24_e32 v116, v83, v233
	v_mad_i32_i24 v127, v111, v154, v127
	s_delay_alu instid0(VALU_DEP_3) | instskip(NEXT) | instid1(VALU_DEP_1)
	v_mul_f32_e32 v1, v218, v1
	v_fma_mix_f32 v0, v183, v0, -v1 op_sel_hi:[1,0,0]
	v_mul_i32_i24_e32 v1, v7, v225
	s_delay_alu instid0(VALU_DEP_2) | instskip(SKIP_1) | instid1(VALU_DEP_1)
	v_fmac_f32_e32 v195, v4, v0
	v_mul_i32_i24_e32 v0, v5, v224
	v_mad_i32_i24 v0, v6, v75, v0
	s_delay_alu instid0(VALU_DEP_1) | instskip(SKIP_2) | instid1(VALU_DEP_1)
	v_add3_u32 v0, v0, v1, v2
	v_mul_i32_i24_e32 v1, v47, v228
	v_mul_i32_i24_e32 v2, v80, v227
	v_add3_u32 v0, v0, v1, v2
	v_mul_i32_i24_e32 v1, v84, v230
	v_mul_i32_i24_e32 v2, v85, v232
	s_delay_alu instid0(VALU_DEP_3) | instskip(SKIP_2) | instid1(VALU_DEP_3)
	v_add3_u32 v0, v0, v115, v116
	v_mul_i32_i24_e32 v115, v86, v235
	v_mul_i32_i24_e32 v116, v87, v237
	v_add3_u32 v0, v0, v1, v2
	v_mul_i32_i24_e32 v1, v88, v234
	v_mul_i32_i24_e32 v2, v89, v236
	s_delay_alu instid0(VALU_DEP_3) | instskip(SKIP_2) | instid1(VALU_DEP_3)
	v_add3_u32 v0, v0, v115, v116
	v_mul_i32_i24_e32 v115, v90, v238
	v_mul_i32_i24_e32 v116, v91, v226
	v_add3_u32 v0, v0, v1, v2
	v_mul_i32_i24_e32 v1, v92, v241
	v_mul_i32_i24_e32 v2, v94, v242
	s_delay_alu instid0(VALU_DEP_3) | instskip(SKIP_1) | instid1(VALU_DEP_4)
	v_add3_u32 v0, v0, v115, v116
	v_mul_i32_i24_e32 v115, v95, v245
	v_mad_i32_i24 v1, v93, v240, v1
	v_mul_i32_i24_e32 v116, v98, v246
	s_delay_alu instid0(VALU_DEP_4) | instskip(NEXT) | instid1(VALU_DEP_3)
	v_mul_lo_u32 v0, v0, v239
	v_add3_u32 v1, v1, v2, v115
	v_mul_i32_i24_e32 v2, v96, v243
	v_mul_i32_i24_e32 v115, v97, v244
	s_delay_alu instid0(VALU_DEP_1) | instskip(SKIP_2) | instid1(VALU_DEP_3)
	v_add3_u32 v1, v1, v2, v115
	v_mul_i32_i24_e32 v2, v100, v247
	v_mul_i32_i24_e32 v115, v101, v249
	v_add3_u32 v1, v1, v116, v117
	v_mul_i32_i24_e32 v116, v102, v250
	v_mul_i32_i24_e32 v117, v103, v252
	s_delay_alu instid0(VALU_DEP_3) | instskip(SKIP_2) | instid1(VALU_DEP_3)
	v_add3_u32 v1, v1, v2, v115
	v_mul_i32_i24_e32 v2, v104, v251
	v_mul_i32_i24_e32 v115, v105, v253
	v_add3_u32 v1, v1, v116, v117
	v_mul_i32_i24_e32 v116, v106, v254
	v_mul_i32_i24_e32 v117, v3, v255
	s_delay_alu instid0(VALU_DEP_3) | instskip(SKIP_1) | instid1(VALU_DEP_2)
	v_add3_u32 v1, v1, v2, v115
	v_mul_i32_i24_e32 v2, v108, v221
	v_add3_u32 v115, v1, v116, v117
	v_mul_i32_i24_e32 v1, v107, v223
	v_mul_i32_i24_e32 v117, v110, v219
	v_mul_i32_i24_e32 v116, v109, v56
	s_delay_alu instid0(VALU_DEP_2) | instskip(SKIP_2) | instid1(VALU_DEP_3)
	v_add3_u32 v1, v118, v117, v1
	v_mul_i32_i24_e32 v117, v99, v29
	v_mul_i32_i24_e32 v118, v112, v27
	v_add3_u32 v116, v1, v2, v116
	v_mad_u64_u32 v[1:2], null, v115, v22, v[0:1]
	v_mul_i32_i24_e32 v2, v24, v197
	v_mul_i32_i24_e32 v115, v81, v194
	v_add3_u32 v118, v127, v118, v123
	s_delay_alu instid0(VALU_DEP_4) | instskip(SKIP_2) | instid1(VALU_DEP_2)
	v_cvt_f32_i32_e32 v0, v1
	v_cvt_f32_i32_e32 v1, v116
	v_mul_i32_i24_e32 v116, v83, v23
	v_mul_f32_e32 v1, v181, v1
	s_delay_alu instid0(VALU_DEP_1) | instskip(SKIP_1) | instid1(VALU_DEP_2)
	v_fma_mix_f32 v0, v139, v0, -v1 op_sel_hi:[1,0,0]
	v_mul_i32_i24_e32 v1, v7, v193
	v_fmac_f32_e32 v190, v4, v0
	v_mul_i32_i24_e32 v0, v5, v189
	s_delay_alu instid0(VALU_DEP_1) | instskip(NEXT) | instid1(VALU_DEP_1)
	v_mad_i32_i24 v0, v6, v188, v0
	v_add3_u32 v0, v0, v1, v2
	v_mul_i32_i24_e32 v1, v47, v26
	v_mul_i32_i24_e32 v2, v80, v191
	s_delay_alu instid0(VALU_DEP_1) | instskip(SKIP_2) | instid1(VALU_DEP_3)
	v_add3_u32 v0, v0, v1, v2
	v_mul_i32_i24_e32 v1, v84, v196
	v_mul_i32_i24_e32 v2, v85, v198
	v_add3_u32 v0, v0, v115, v116
	v_mul_i32_i24_e32 v115, v86, v200
	v_mul_i32_i24_e32 v116, v87, v202
	s_delay_alu instid0(VALU_DEP_3) | instskip(SKIP_2) | instid1(VALU_DEP_3)
	v_add3_u32 v0, v0, v1, v2
	v_mul_i32_i24_e32 v1, v88, v199
	v_mul_i32_i24_e32 v2, v89, v201
	v_add3_u32 v0, v0, v115, v116
	v_mul_i32_i24_e32 v115, v90, v203
	v_mul_i32_i24_e32 v116, v91, v204
	s_delay_alu instid0(VALU_DEP_3) | instskip(SKIP_2) | instid1(VALU_DEP_3)
	v_add3_u32 v0, v0, v1, v2
	v_mul_i32_i24_e32 v1, v92, v30
	v_mul_i32_i24_e32 v2, v94, v213
	v_add3_u32 v0, v0, v115, v116
	v_mul_i32_i24_e32 v115, v95, v148
	s_delay_alu instid0(VALU_DEP_4) | instskip(SKIP_1) | instid1(VALU_DEP_4)
	v_mad_i32_i24 v1, v93, v210, v1
	v_mul_i32_i24_e32 v116, v98, v149
	v_mul_lo_u32 v0, v0, v209
	s_delay_alu instid0(VALU_DEP_3) | instskip(SKIP_2) | instid1(VALU_DEP_1)
	v_add3_u32 v1, v1, v2, v115
	v_mul_i32_i24_e32 v2, v96, v18
	v_mul_i32_i24_e32 v115, v97, v212
	v_add3_u32 v1, v1, v2, v115
	v_mul_i32_i24_e32 v2, v100, v147
	v_mul_i32_i24_e32 v115, v101, v146
	s_delay_alu instid0(VALU_DEP_3) | instskip(SKIP_2) | instid1(VALU_DEP_3)
	v_add3_u32 v1, v1, v116, v117
	v_mul_i32_i24_e32 v116, v102, v53
	v_mul_i32_i24_e32 v117, v103, v50
	v_add3_u32 v1, v1, v2, v115
	v_mul_i32_i24_e32 v2, v104, v133
	v_mul_i32_i24_e32 v115, v105, v52
	s_delay_alu instid0(VALU_DEP_3) | instskip(SKIP_3) | instid1(VALU_DEP_4)
	v_add3_u32 v1, v1, v116, v117
	v_mul_i32_i24_e32 v116, v106, v49
	v_mul_i32_i24_e32 v117, v3, v46
	;; [unrolled: 1-line block ×3, first 2 shown]
	v_add3_u32 v1, v1, v2, v115
	v_mul_i32_i24_e32 v2, v108, v207
	s_delay_alu instid0(VALU_DEP_2) | instskip(SKIP_3) | instid1(VALU_DEP_2)
	v_add3_u32 v115, v1, v116, v117
	v_mul_i32_i24_e32 v1, v107, v13
	v_mul_i32_i24_e32 v117, v110, v182
	;; [unrolled: 1-line block ×3, first 2 shown]
	v_add3_u32 v1, v118, v117, v1
	s_delay_alu instid0(VALU_DEP_1) | instskip(SKIP_3) | instid1(VALU_DEP_3)
	v_add3_u32 v116, v1, v2, v116
	v_mad_u64_u32 v[1:2], null, v115, v136, v[0:1]
	v_mul_i32_i24_e32 v2, v24, v166
	v_mul_i32_i24_e32 v24, v113, v156
	v_cvt_f32_i32_e32 v0, v1
	v_cvt_f32_i32_e32 v1, v116
	s_delay_alu instid0(VALU_DEP_1) | instskip(NEXT) | instid1(VALU_DEP_1)
	v_mul_f32_e32 v1, v157, v1
	v_fma_mix_f32 v0, v131, v0, -v1 op_sel_hi:[1,0,0]
	v_mul_i32_i24_e32 v1, v7, v162
	v_mul_i32_i24_e32 v7, v99, v143
	s_delay_alu instid0(VALU_DEP_3) | instskip(SKIP_2) | instid1(VALU_DEP_2)
	v_fmac_f32_e32 v185, v4, v0
	v_mul_i32_i24_e32 v0, v5, v208
	v_mul_i32_i24_e32 v5, v81, v168
	v_mad_i32_i24 v0, v6, v158, v0
	v_mul_i32_i24_e32 v6, v83, v150
	s_delay_alu instid0(VALU_DEP_2) | instskip(SKIP_3) | instid1(VALU_DEP_2)
	v_add3_u32 v0, v0, v1, v2
	v_mul_i32_i24_e32 v1, v47, v163
	v_mul_i32_i24_e32 v2, v80, v164
	;; [unrolled: 1-line block ×3, first 2 shown]
	v_add3_u32 v0, v0, v1, v2
	v_mul_i32_i24_e32 v1, v84, v170
	v_mul_i32_i24_e32 v2, v85, v152
	s_delay_alu instid0(VALU_DEP_4) | instskip(NEXT) | instid1(VALU_DEP_4)
	v_mad_i32_i24 v47, v111, v153, v47
	v_add3_u32 v0, v0, v5, v6
	v_mul_i32_i24_e32 v5, v86, v173
	v_mul_i32_i24_e32 v6, v87, v175
	s_delay_alu instid0(VALU_DEP_3) | instskip(SKIP_2) | instid1(VALU_DEP_3)
	v_add3_u32 v0, v0, v1, v2
	v_mul_i32_i24_e32 v1, v88, v171
	v_mul_i32_i24_e32 v2, v89, v174
	v_add3_u32 v0, v0, v5, v6
	v_mul_i32_i24_e32 v5, v90, v176
	v_mul_i32_i24_e32 v6, v91, v177
	s_delay_alu instid0(VALU_DEP_3) | instskip(SKIP_2) | instid1(VALU_DEP_3)
	v_add3_u32 v0, v0, v1, v2
	v_mul_i32_i24_e32 v1, v92, v25
	v_mul_i32_i24_e32 v2, v94, v205
	v_add3_u32 v0, v0, v5, v6
	v_mul_i32_i24_e32 v5, v95, v145
	s_delay_alu instid0(VALU_DEP_4) | instskip(SKIP_1) | instid1(VALU_DEP_4)
	v_mad_i32_i24 v1, v93, v186, v1
	v_mul_i32_i24_e32 v6, v98, v144
	v_mul_lo_u32 v0, v0, v214
	s_delay_alu instid0(VALU_DEP_3) | instskip(SKIP_2) | instid1(VALU_DEP_1)
	v_add3_u32 v1, v1, v2, v5
	v_mul_i32_i24_e32 v2, v96, v165
	v_mul_i32_i24_e32 v5, v97, v187
	v_add3_u32 v1, v1, v2, v5
	v_mul_i32_i24_e32 v2, v100, v169
	v_mul_i32_i24_e32 v5, v101, v142
	s_delay_alu instid0(VALU_DEP_3) | instskip(SKIP_2) | instid1(VALU_DEP_3)
	v_add3_u32 v1, v1, v6, v7
	v_mul_i32_i24_e32 v6, v102, v141
	v_mul_i32_i24_e32 v7, v103, v137
	v_add3_u32 v1, v1, v2, v5
	v_mul_i32_i24_e32 v2, v104, v140
	v_mul_i32_i24_e32 v5, v105, v135
	s_delay_alu instid0(VALU_DEP_3) | instskip(SKIP_2) | instid1(VALU_DEP_3)
	v_add3_u32 v1, v1, v6, v7
	v_mul_i32_i24_e32 v6, v106, v134
	v_mul_i32_i24_e32 v7, v112, v159
	v_add3_u32 v1, v1, v2, v5
	v_mul_i32_i24_e32 v2, v108, v14
	s_delay_alu instid0(VALU_DEP_3) | instskip(SKIP_1) | instid1(VALU_DEP_4)
	v_add3_u32 v7, v47, v7, v24
	v_mul_i32_i24_e32 v5, v109, v160
	v_add3_u32 v3, v1, v6, v3
	v_mul_i32_i24_e32 v1, v107, v172
	v_mul_i32_i24_e32 v6, v110, v138
	s_delay_alu instid0(VALU_DEP_1) | instskip(NEXT) | instid1(VALU_DEP_1)
	v_add3_u32 v1, v7, v6, v1
	v_add3_u32 v5, v1, v2, v5
	v_mad_u64_u32 v[1:2], null, v3, v12, v[0:1]
	s_delay_alu instid0(VALU_DEP_1) | instskip(NEXT) | instid1(VALU_DEP_3)
	v_cvt_f32_i32_e32 v0, v1
	v_cvt_f32_i32_e32 v1, v5
	s_delay_alu instid0(VALU_DEP_1) | instskip(NEXT) | instid1(VALU_DEP_1)
	v_mul_f32_e32 v1, v8, v1
	v_fma_mix_f32 v0, v126, v0, -v1 op_sel_hi:[1,0,0]
	s_delay_alu instid0(VALU_DEP_1)
	v_fmac_f32_e32 v184, v4, v0
	ds_load_2addr_b32 v[3:4], v125 offset0:128 offset1:160
	ds_load_b128 v[83:86], v124 offset:4096
	s_waitcnt lgkmcnt(0)
	v_bfe_i32 v5, v83, 0, 8
	v_bfe_i32 v6, v83, 8, 8
	v_bfe_i32 v7, v83, 16, 8
	v_ashrrev_i32_e32 v24, 24, v83
	v_bfe_i32 v47, v84, 0, 8
	v_bfe_i32 v80, v84, 8, 8
	v_bfe_i32 v81, v84, 16, 8
	v_ashrrev_i32_e32 v87, 24, v84
	;; [unrolled: 4-line block ×4, first 2 shown]
	ds_load_b128 v[83:86], v124 offset:4112
	v_mul_i32_i24_e32 v1, v7, v59
	v_mul_i32_i24_e32 v2, v24, v63
	;; [unrolled: 1-line block ×4, first 2 shown]
	s_waitcnt lgkmcnt(0)
	v_bfe_i32 v96, v83, 0, 8
	v_bfe_i32 v97, v83, 8, 8
	v_bfe_i32 v98, v83, 16, 8
	v_ashrrev_i32_e32 v83, 24, v83
	v_bfe_i32 v99, v84, 0, 8
	v_bfe_i32 v100, v84, 8, 8
	v_bfe_i32 v101, v84, 16, 8
	v_ashrrev_i32_e32 v84, 24, v84
	;; [unrolled: 4-line block ×4, first 2 shown]
	v_add_nc_u32_e32 v0, v84, v83
	v_mul_i32_i24_e32 v118, v84, v77
	s_delay_alu instid0(VALU_DEP_2) | instskip(SKIP_1) | instid1(VALU_DEP_1)
	v_add3_u32 v108, v0, v85, v86
	v_add_nc_u32_e32 v0, v101, v98
	v_add3_u32 v109, v0, v104, v107
	v_add_nc_u32_e32 v0, v100, v97
	s_delay_alu instid0(VALU_DEP_1) | instskip(SKIP_1) | instid1(VALU_DEP_1)
	v_add3_u32 v110, v0, v103, v106
	v_add_nc_u32_e32 v0, v99, v96
	v_add3_u32 v111, v0, v102, v105
	v_add_nc_u32_e32 v0, v87, v24
	s_delay_alu instid0(VALU_DEP_1) | instskip(SKIP_1) | instid1(VALU_DEP_1)
	v_add3_u32 v112, v0, v91, v95
	v_add_nc_u32_e32 v0, v81, v7
	v_add3_u32 v113, v0, v90, v94
	v_add_nc_u32_e32 v0, v80, v6
	s_delay_alu instid0(VALU_DEP_2) | instskip(NEXT) | instid1(VALU_DEP_2)
	v_mul_i32_i24_e32 v123, v113, v55
	v_add3_u32 v114, v0, v89, v93
	v_add_nc_u32_e32 v0, v47, v5
	s_delay_alu instid0(VALU_DEP_2) | instskip(NEXT) | instid1(VALU_DEP_2)
	v_mul_i32_i24_e32 v127, v114, v54
	v_add3_u32 v115, v0, v88, v92
	v_mul_i32_i24_e32 v0, v5, v66
	v_mov_b32_e32 v66, v220
	s_delay_alu instid0(VALU_DEP_3) | instskip(NEXT) | instid1(VALU_DEP_3)
	v_mul_i32_i24_e32 v128, v115, v192
	v_mad_i32_i24 v0, v6, v57, v0
	s_delay_alu instid0(VALU_DEP_2) | instskip(NEXT) | instid1(VALU_DEP_2)
	v_mad_i32_i24 v128, v112, v28, v128
	v_add3_u32 v0, v0, v1, v2
	v_mul_i32_i24_e32 v1, v47, v60
	v_mul_i32_i24_e32 v2, v80, v220
	s_delay_alu instid0(VALU_DEP_4) | instskip(SKIP_2) | instid1(VALU_DEP_4)
	v_add3_u32 v123, v128, v123, v127
	v_mul_i32_i24_e32 v128, v115, v155
	v_mul_i32_i24_e32 v127, v114, v35
	v_add3_u32 v0, v0, v1, v2
	v_mul_i32_i24_e32 v1, v88, v61
	v_mul_i32_i24_e32 v2, v89, v64
	v_mad_i32_i24 v128, v112, v179, v128
	s_delay_alu instid0(VALU_DEP_4) | instskip(SKIP_2) | instid1(VALU_DEP_3)
	v_add3_u32 v0, v0, v116, v117
	v_mul_i32_i24_e32 v116, v90, v51
	v_mul_i32_i24_e32 v117, v91, v45
	v_add3_u32 v0, v0, v1, v2
	v_mul_i32_i24_e32 v1, v92, v65
	v_mul_i32_i24_e32 v2, v93, v48
	s_delay_alu instid0(VALU_DEP_3) | instskip(SKIP_2) | instid1(VALU_DEP_3)
	v_add3_u32 v0, v0, v116, v117
	v_mul_i32_i24_e32 v116, v94, v36
	v_mul_i32_i24_e32 v117, v95, v31
	v_add3_u32 v0, v0, v1, v2
	v_mul_i32_i24_e32 v1, v96, v69
	v_mul_i32_i24_e32 v2, v98, v70
	s_delay_alu instid0(VALU_DEP_3) | instskip(SKIP_1) | instid1(VALU_DEP_4)
	v_add3_u32 v0, v0, v116, v117
	v_mul_i32_i24_e32 v116, v83, v73
	v_mad_i32_i24 v1, v97, v68, v1
	v_mul_i32_i24_e32 v117, v101, v74
	s_delay_alu instid0(VALU_DEP_4) | instskip(NEXT) | instid1(VALU_DEP_3)
	v_mul_lo_u32 v0, v0, v67
	v_add3_u32 v1, v1, v2, v116
	v_mul_i32_i24_e32 v2, v99, v71
	v_mul_i32_i24_e32 v116, v100, v72
	s_delay_alu instid0(VALU_DEP_1) | instskip(SKIP_2) | instid1(VALU_DEP_3)
	v_add3_u32 v1, v1, v2, v116
	v_mul_i32_i24_e32 v2, v102, v76
	v_mul_i32_i24_e32 v116, v103, v78
	v_add3_u32 v1, v1, v117, v118
	v_mul_i32_i24_e32 v117, v104, v79
	v_mul_i32_i24_e32 v118, v85, v119
	s_delay_alu instid0(VALU_DEP_3) | instskip(SKIP_2) | instid1(VALU_DEP_3)
	v_add3_u32 v1, v1, v2, v116
	v_mul_i32_i24_e32 v2, v105, v82
	v_mul_i32_i24_e32 v116, v106, v120
	v_add3_u32 v1, v1, v117, v118
	v_mul_i32_i24_e32 v117, v107, v121
	v_mul_i32_i24_e32 v118, v86, v122
	s_delay_alu instid0(VALU_DEP_3) | instskip(SKIP_1) | instid1(VALU_DEP_2)
	v_add3_u32 v1, v1, v2, v116
	v_mul_i32_i24_e32 v2, v109, v41
	v_add3_u32 v116, v1, v117, v118
	v_mul_i32_i24_e32 v1, v108, v44
	v_mul_i32_i24_e32 v118, v111, v37
	;; [unrolled: 1-line block ×3, first 2 shown]
	s_delay_alu instid0(VALU_DEP_2) | instskip(SKIP_2) | instid1(VALU_DEP_3)
	v_add3_u32 v1, v123, v118, v1
	v_mul_i32_i24_e32 v118, v84, v248
	v_mul_i32_i24_e32 v123, v113, v216
	v_add3_u32 v117, v1, v2, v117
	v_mad_u64_u32 v[1:2], null, v116, v39, v[0:1]
	v_mul_i32_i24_e32 v2, v24, v231
	v_mul_i32_i24_e32 v116, v81, v229
	v_add3_u32 v123, v128, v123, v127
	v_mul_i32_i24_e32 v128, v115, v132
	v_mul_i32_i24_e32 v127, v114, v21
	v_cvt_f32_i32_e32 v0, v1
	v_cvt_f32_i32_e32 v1, v117
	v_mul_i32_i24_e32 v117, v87, v233
	v_mad_i32_i24 v128, v112, v154, v128
	s_delay_alu instid0(VALU_DEP_3) | instskip(NEXT) | instid1(VALU_DEP_1)
	v_mul_f32_e32 v1, v218, v1
	v_fma_mix_f32 v0, v183, v0, -v1 op_sel_hi:[1,0,0]
	v_mul_i32_i24_e32 v1, v7, v225
	s_delay_alu instid0(VALU_DEP_2) | instskip(SKIP_1) | instid1(VALU_DEP_1)
	v_fmac_f32_e32 v180, v3, v0
	v_mul_i32_i24_e32 v0, v5, v224
	v_mad_i32_i24 v0, v6, v75, v0
	s_delay_alu instid0(VALU_DEP_1) | instskip(SKIP_2) | instid1(VALU_DEP_1)
	v_add3_u32 v0, v0, v1, v2
	v_mul_i32_i24_e32 v1, v47, v228
	v_mul_i32_i24_e32 v2, v80, v227
	v_add3_u32 v0, v0, v1, v2
	v_mul_i32_i24_e32 v1, v88, v230
	v_mul_i32_i24_e32 v2, v89, v232
	s_delay_alu instid0(VALU_DEP_3) | instskip(SKIP_2) | instid1(VALU_DEP_3)
	v_add3_u32 v0, v0, v116, v117
	v_mul_i32_i24_e32 v116, v90, v235
	v_mul_i32_i24_e32 v117, v91, v237
	v_add3_u32 v0, v0, v1, v2
	v_mul_i32_i24_e32 v1, v92, v234
	v_mul_i32_i24_e32 v2, v93, v236
	s_delay_alu instid0(VALU_DEP_3) | instskip(SKIP_2) | instid1(VALU_DEP_3)
	v_add3_u32 v0, v0, v116, v117
	v_mul_i32_i24_e32 v116, v94, v238
	v_mul_i32_i24_e32 v117, v95, v226
	v_add3_u32 v0, v0, v1, v2
	v_mul_i32_i24_e32 v1, v96, v241
	v_mul_i32_i24_e32 v2, v98, v242
	s_delay_alu instid0(VALU_DEP_3) | instskip(SKIP_1) | instid1(VALU_DEP_4)
	v_add3_u32 v0, v0, v116, v117
	v_mul_i32_i24_e32 v116, v83, v245
	v_mad_i32_i24 v1, v97, v240, v1
	v_mul_i32_i24_e32 v117, v101, v246
	s_delay_alu instid0(VALU_DEP_4) | instskip(NEXT) | instid1(VALU_DEP_3)
	v_mul_lo_u32 v0, v0, v239
	v_add3_u32 v1, v1, v2, v116
	v_mul_i32_i24_e32 v2, v99, v243
	v_mul_i32_i24_e32 v116, v100, v244
	s_delay_alu instid0(VALU_DEP_1) | instskip(SKIP_2) | instid1(VALU_DEP_3)
	v_add3_u32 v1, v1, v2, v116
	v_mul_i32_i24_e32 v2, v102, v247
	v_mul_i32_i24_e32 v116, v103, v249
	v_add3_u32 v1, v1, v117, v118
	v_mul_i32_i24_e32 v117, v104, v250
	v_mul_i32_i24_e32 v118, v85, v252
	s_delay_alu instid0(VALU_DEP_3) | instskip(SKIP_2) | instid1(VALU_DEP_3)
	v_add3_u32 v1, v1, v2, v116
	v_mul_i32_i24_e32 v2, v105, v251
	v_mul_i32_i24_e32 v116, v106, v253
	v_add3_u32 v1, v1, v117, v118
	v_mul_i32_i24_e32 v117, v107, v254
	v_mul_i32_i24_e32 v118, v86, v255
	s_delay_alu instid0(VALU_DEP_3) | instskip(SKIP_1) | instid1(VALU_DEP_2)
	v_add3_u32 v1, v1, v2, v116
	v_mul_i32_i24_e32 v2, v109, v221
	v_add3_u32 v116, v1, v117, v118
	v_mul_i32_i24_e32 v1, v108, v223
	v_mul_i32_i24_e32 v118, v111, v219
	;; [unrolled: 1-line block ×3, first 2 shown]
	s_delay_alu instid0(VALU_DEP_2) | instskip(SKIP_2) | instid1(VALU_DEP_3)
	v_add3_u32 v1, v123, v118, v1
	v_mul_i32_i24_e32 v118, v84, v29
	v_mul_i32_i24_e32 v123, v113, v27
	v_add3_u32 v117, v1, v2, v117
	v_mad_u64_u32 v[1:2], null, v116, v22, v[0:1]
	v_mul_i32_i24_e32 v2, v24, v197
	v_mul_i32_i24_e32 v116, v81, v194
	v_add3_u32 v123, v128, v123, v127
	v_dual_mov_b32 v128, v25 :: v_dual_mov_b32 v25, v186
	v_cvt_f32_i32_e32 v0, v1
	v_cvt_f32_i32_e32 v1, v117
	v_mul_i32_i24_e32 v117, v87, v23
	s_delay_alu instid0(VALU_DEP_2) | instskip(NEXT) | instid1(VALU_DEP_1)
	v_dual_mov_b32 v186, v128 :: v_dual_mul_f32 v1, v181, v1
	v_fma_mix_f32 v0, v139, v0, -v1 op_sel_hi:[1,0,0]
	v_mul_i32_i24_e32 v1, v7, v193
	s_delay_alu instid0(VALU_DEP_2) | instskip(SKIP_1) | instid1(VALU_DEP_1)
	v_fmac_f32_e32 v20, v3, v0
	v_mul_i32_i24_e32 v0, v5, v189
	v_mad_i32_i24 v0, v6, v188, v0
	s_delay_alu instid0(VALU_DEP_1) | instskip(SKIP_2) | instid1(VALU_DEP_1)
	v_add3_u32 v0, v0, v1, v2
	v_mul_i32_i24_e32 v1, v47, v26
	v_mul_i32_i24_e32 v2, v80, v191
	v_add3_u32 v0, v0, v1, v2
	v_mul_i32_i24_e32 v1, v88, v196
	v_mul_i32_i24_e32 v2, v89, v198
	s_delay_alu instid0(VALU_DEP_3) | instskip(SKIP_2) | instid1(VALU_DEP_3)
	v_add3_u32 v0, v0, v116, v117
	v_mul_i32_i24_e32 v116, v90, v200
	v_mul_i32_i24_e32 v117, v91, v202
	v_add3_u32 v0, v0, v1, v2
	v_mul_i32_i24_e32 v1, v92, v199
	v_mul_i32_i24_e32 v2, v93, v201
	s_delay_alu instid0(VALU_DEP_3) | instskip(SKIP_2) | instid1(VALU_DEP_3)
	v_add3_u32 v0, v0, v116, v117
	v_mul_i32_i24_e32 v116, v94, v203
	v_mul_i32_i24_e32 v117, v95, v204
	v_add3_u32 v0, v0, v1, v2
	v_mul_i32_i24_e32 v1, v96, v30
	v_mul_i32_i24_e32 v2, v98, v213
	s_delay_alu instid0(VALU_DEP_3) | instskip(SKIP_1) | instid1(VALU_DEP_4)
	v_add3_u32 v0, v0, v116, v117
	v_mul_i32_i24_e32 v116, v83, v148
	v_mad_i32_i24 v1, v97, v210, v1
	v_mul_i32_i24_e32 v117, v101, v149
	s_delay_alu instid0(VALU_DEP_4) | instskip(NEXT) | instid1(VALU_DEP_3)
	v_mul_lo_u32 v0, v0, v209
	v_add3_u32 v1, v1, v2, v116
	v_mul_i32_i24_e32 v2, v99, v18
	v_mul_i32_i24_e32 v116, v100, v212
	s_delay_alu instid0(VALU_DEP_1) | instskip(SKIP_2) | instid1(VALU_DEP_3)
	v_add3_u32 v1, v1, v2, v116
	v_mul_i32_i24_e32 v2, v102, v147
	v_mul_i32_i24_e32 v116, v103, v146
	v_add3_u32 v1, v1, v117, v118
	v_mul_i32_i24_e32 v117, v104, v53
	v_mul_i32_i24_e32 v118, v85, v50
	s_delay_alu instid0(VALU_DEP_3) | instskip(SKIP_2) | instid1(VALU_DEP_3)
	v_add3_u32 v1, v1, v2, v116
	v_mul_i32_i24_e32 v2, v105, v133
	v_mul_i32_i24_e32 v116, v106, v52
	v_add3_u32 v1, v1, v117, v118
	v_mul_i32_i24_e32 v117, v107, v49
	v_mul_i32_i24_e32 v118, v86, v46
	s_delay_alu instid0(VALU_DEP_3) | instskip(SKIP_1) | instid1(VALU_DEP_2)
	v_add3_u32 v1, v1, v2, v116
	v_mul_i32_i24_e32 v2, v109, v207
	v_add3_u32 v116, v1, v117, v118
	v_mul_i32_i24_e32 v1, v108, v13
	v_mul_i32_i24_e32 v118, v111, v182
	;; [unrolled: 1-line block ×3, first 2 shown]
	s_delay_alu instid0(VALU_DEP_2) | instskip(NEXT) | instid1(VALU_DEP_1)
	v_add3_u32 v1, v123, v118, v1
	v_add3_u32 v117, v1, v2, v117
	v_mad_u64_u32 v[1:2], null, v116, v136, v[0:1]
	v_mul_i32_i24_e32 v2, v24, v166
	v_mul_i32_i24_e32 v24, v113, v159
	s_delay_alu instid0(VALU_DEP_3) | instskip(SKIP_1) | instid1(VALU_DEP_1)
	v_cvt_f32_i32_e32 v0, v1
	v_cvt_f32_i32_e32 v1, v117
	v_mul_f32_e32 v1, v157, v1
	s_delay_alu instid0(VALU_DEP_1) | instskip(SKIP_2) | instid1(VALU_DEP_3)
	v_fma_mix_f32 v0, v131, v0, -v1 op_sel_hi:[1,0,0]
	v_mul_i32_i24_e32 v1, v7, v162
	v_mul_i32_i24_e32 v7, v84, v143
	v_fmac_f32_e32 v19, v3, v0
	v_mul_i32_i24_e32 v0, v5, v208
	v_mul_i32_i24_e32 v5, v81, v168
	s_delay_alu instid0(VALU_DEP_2) | instskip(SKIP_1) | instid1(VALU_DEP_2)
	v_mad_i32_i24 v0, v6, v158, v0
	v_mul_i32_i24_e32 v6, v87, v150
	v_add3_u32 v0, v0, v1, v2
	v_mul_i32_i24_e32 v1, v47, v163
	v_mul_i32_i24_e32 v2, v80, v164
	;; [unrolled: 1-line block ×4, first 2 shown]
	s_delay_alu instid0(VALU_DEP_3) | instskip(SKIP_3) | instid1(VALU_DEP_4)
	v_add3_u32 v0, v0, v1, v2
	v_mul_i32_i24_e32 v1, v88, v170
	v_mul_i32_i24_e32 v2, v89, v152
	v_mad_i32_i24 v80, v112, v153, v80
	v_add3_u32 v0, v0, v5, v6
	v_mul_i32_i24_e32 v5, v90, v173
	v_mul_i32_i24_e32 v6, v91, v175
	s_delay_alu instid0(VALU_DEP_4) | instskip(NEXT) | instid1(VALU_DEP_4)
	v_add3_u32 v24, v80, v24, v47
	v_add3_u32 v0, v0, v1, v2
	v_mul_i32_i24_e32 v1, v92, v171
	v_mul_i32_i24_e32 v2, v93, v174
	s_delay_alu instid0(VALU_DEP_3) | instskip(SKIP_2) | instid1(VALU_DEP_3)
	v_add3_u32 v0, v0, v5, v6
	v_mul_i32_i24_e32 v5, v94, v176
	v_mul_i32_i24_e32 v6, v95, v177
	v_add3_u32 v0, v0, v1, v2
	v_mul_i32_i24_e32 v1, v96, v128
	v_mul_i32_i24_e32 v2, v98, v205
	s_delay_alu instid0(VALU_DEP_3) | instskip(SKIP_1) | instid1(VALU_DEP_4)
	v_add3_u32 v0, v0, v5, v6
	v_mul_i32_i24_e32 v5, v83, v145
	v_mad_i32_i24 v1, v97, v25, v1
	v_mul_i32_i24_e32 v6, v101, v144
	s_delay_alu instid0(VALU_DEP_4) | instskip(NEXT) | instid1(VALU_DEP_3)
	v_mul_lo_u32 v0, v0, v214
	v_add3_u32 v1, v1, v2, v5
	v_mul_i32_i24_e32 v2, v99, v165
	v_mul_i32_i24_e32 v5, v100, v187
	s_delay_alu instid0(VALU_DEP_1) | instskip(SKIP_2) | instid1(VALU_DEP_3)
	v_add3_u32 v1, v1, v2, v5
	v_mul_i32_i24_e32 v2, v102, v169
	v_mul_i32_i24_e32 v5, v103, v142
	v_add3_u32 v1, v1, v6, v7
	v_mul_i32_i24_e32 v6, v104, v141
	v_mul_i32_i24_e32 v7, v85, v137
	s_delay_alu instid0(VALU_DEP_3) | instskip(SKIP_2) | instid1(VALU_DEP_3)
	v_add3_u32 v1, v1, v2, v5
	v_mul_i32_i24_e32 v2, v105, v140
	v_mul_i32_i24_e32 v5, v106, v135
	v_add3_u32 v1, v1, v6, v7
	v_mul_i32_i24_e32 v6, v107, v134
	v_mul_i32_i24_e32 v7, v86, v129
	s_delay_alu instid0(VALU_DEP_3) | instskip(SKIP_1) | instid1(VALU_DEP_2)
	v_add3_u32 v1, v1, v2, v5
	v_mul_i32_i24_e32 v2, v109, v14
	v_add3_u32 v5, v1, v6, v7
	v_mul_i32_i24_e32 v1, v108, v172
	v_mul_i32_i24_e32 v7, v111, v138
	;; [unrolled: 1-line block ×3, first 2 shown]
	s_delay_alu instid0(VALU_DEP_2) | instskip(NEXT) | instid1(VALU_DEP_1)
	v_add3_u32 v1, v24, v7, v1
	v_add3_u32 v6, v1, v2, v6
	v_mad_u64_u32 v[1:2], null, v5, v12, v[0:1]
	s_delay_alu instid0(VALU_DEP_1) | instskip(NEXT) | instid1(VALU_DEP_3)
	v_cvt_f32_i32_e32 v0, v1
	v_cvt_f32_i32_e32 v1, v6
	s_delay_alu instid0(VALU_DEP_1) | instskip(NEXT) | instid1(VALU_DEP_1)
	v_mul_f32_e32 v1, v8, v1
	v_fma_mix_f32 v0, v126, v0, -v1 op_sel_hi:[1,0,0]
	s_delay_alu instid0(VALU_DEP_1)
	v_fmac_f32_e32 v178, v3, v0
	ds_load_b128 v[0:3], v124 offset:5120
	s_waitcnt lgkmcnt(0)
	v_bfe_i32 v5, v0, 0, 8
	v_bfe_i32 v6, v0, 8, 8
	v_bfe_i32 v7, v0, 16, 8
	v_ashrrev_i32_e32 v24, 24, v0
	v_bfe_i32 v47, v1, 0, 8
	v_bfe_i32 v80, v1, 8, 8
	v_bfe_i32 v81, v1, 16, 8
	v_ashrrev_i32_e32 v83, 24, v1
	;; [unrolled: 4-line block ×4, first 2 shown]
	ds_load_b128 v[0:3], v124 offset:5136
	v_mul_i32_i24_e32 v115, v81, v62
	v_mul_i32_i24_e32 v116, v83, v42
	s_waitcnt lgkmcnt(0)
	v_ashrrev_i32_e32 v95, 24, v0
	v_ashrrev_i32_e32 v99, 24, v1
	v_bfe_i32 v92, v0, 0, 8
	v_bfe_i32 v93, v0, 8, 8
	;; [unrolled: 1-line block ×4, first 2 shown]
	v_ashrrev_i32_e32 v103, 24, v2
	v_bfe_i32 v104, v3, 0, 8
	v_bfe_i32 v105, v3, 8, 8
	;; [unrolled: 1-line block ×3, first 2 shown]
	v_ashrrev_i32_e32 v3, 24, v3
	v_add_nc_u32_e32 v0, v99, v95
	v_bfe_i32 v97, v1, 8, 8
	v_bfe_i32 v102, v2, 16, 8
	;; [unrolled: 1-line block ×4, first 2 shown]
	v_add3_u32 v107, v0, v103, v3
	v_add_nc_u32_e32 v0, v98, v94
	v_bfe_i32 v100, v2, 0, 8
	v_mul_i32_i24_e32 v1, v7, v59
	v_mul_i32_i24_e32 v2, v24, v63
	;; [unrolled: 1-line block ×3, first 2 shown]
	v_add3_u32 v108, v0, v102, v106
	v_add_nc_u32_e32 v0, v97, v93
	s_delay_alu instid0(VALU_DEP_1) | instskip(SKIP_1) | instid1(VALU_DEP_1)
	v_add3_u32 v109, v0, v101, v105
	v_add_nc_u32_e32 v0, v96, v92
	v_add3_u32 v110, v0, v100, v104
	v_add_nc_u32_e32 v0, v83, v24
	s_delay_alu instid0(VALU_DEP_1) | instskip(SKIP_1) | instid1(VALU_DEP_1)
	v_add3_u32 v111, v0, v87, v91
	v_add_nc_u32_e32 v0, v81, v7
	v_add3_u32 v112, v0, v86, v90
	v_add_nc_u32_e32 v0, v80, v6
	s_delay_alu instid0(VALU_DEP_2) | instskip(NEXT) | instid1(VALU_DEP_2)
	v_mul_i32_i24_e32 v118, v112, v55
	v_add3_u32 v113, v0, v85, v89
	v_add_nc_u32_e32 v0, v47, v5
	s_delay_alu instid0(VALU_DEP_2) | instskip(NEXT) | instid1(VALU_DEP_2)
	v_mul_i32_i24_e32 v123, v113, v54
	v_add3_u32 v114, v0, v84, v88
	v_mul_i32_i24_e32 v0, v5, v58
	s_delay_alu instid0(VALU_DEP_2) | instskip(NEXT) | instid1(VALU_DEP_2)
	v_mul_i32_i24_e32 v127, v114, v192
	v_mad_i32_i24 v0, v6, v57, v0
	s_delay_alu instid0(VALU_DEP_2) | instskip(NEXT) | instid1(VALU_DEP_2)
	v_mad_i32_i24 v127, v111, v28, v127
	v_add3_u32 v0, v0, v1, v2
	v_mul_i32_i24_e32 v1, v47, v60
	v_mul_i32_i24_e32 v2, v80, v66
	s_delay_alu instid0(VALU_DEP_4) | instskip(SKIP_2) | instid1(VALU_DEP_4)
	v_add3_u32 v118, v127, v118, v123
	v_mul_i32_i24_e32 v127, v114, v155
	v_mul_i32_i24_e32 v123, v113, v35
	v_add3_u32 v0, v0, v1, v2
	v_mul_i32_i24_e32 v1, v84, v61
	v_mul_i32_i24_e32 v2, v85, v64
	v_mad_i32_i24 v127, v111, v179, v127
	s_delay_alu instid0(VALU_DEP_4) | instskip(SKIP_2) | instid1(VALU_DEP_3)
	v_add3_u32 v0, v0, v115, v116
	v_mul_i32_i24_e32 v115, v86, v51
	v_mul_i32_i24_e32 v116, v87, v45
	v_add3_u32 v0, v0, v1, v2
	v_mul_i32_i24_e32 v1, v88, v65
	v_mul_i32_i24_e32 v2, v89, v48
	s_delay_alu instid0(VALU_DEP_3) | instskip(SKIP_2) | instid1(VALU_DEP_3)
	v_add3_u32 v0, v0, v115, v116
	v_mul_i32_i24_e32 v115, v90, v36
	v_mul_i32_i24_e32 v116, v91, v31
	v_add3_u32 v0, v0, v1, v2
	v_mul_i32_i24_e32 v1, v92, v69
	v_mul_i32_i24_e32 v2, v94, v70
	s_delay_alu instid0(VALU_DEP_3) | instskip(SKIP_1) | instid1(VALU_DEP_4)
	v_add3_u32 v0, v0, v115, v116
	v_mul_i32_i24_e32 v115, v95, v73
	v_mad_i32_i24 v1, v93, v68, v1
	v_mul_i32_i24_e32 v116, v98, v74
	s_delay_alu instid0(VALU_DEP_4) | instskip(NEXT) | instid1(VALU_DEP_3)
	v_mul_lo_u32 v0, v0, v67
	v_add3_u32 v1, v1, v2, v115
	v_mul_i32_i24_e32 v2, v96, v71
	v_mul_i32_i24_e32 v115, v97, v72
	s_delay_alu instid0(VALU_DEP_1) | instskip(SKIP_2) | instid1(VALU_DEP_3)
	v_add3_u32 v1, v1, v2, v115
	v_mul_i32_i24_e32 v2, v100, v76
	v_mul_i32_i24_e32 v115, v101, v78
	v_add3_u32 v1, v1, v116, v117
	v_mul_i32_i24_e32 v116, v102, v79
	v_mul_i32_i24_e32 v117, v103, v119
	s_delay_alu instid0(VALU_DEP_3) | instskip(SKIP_2) | instid1(VALU_DEP_3)
	v_add3_u32 v1, v1, v2, v115
	v_mul_i32_i24_e32 v2, v104, v82
	v_mul_i32_i24_e32 v115, v105, v120
	v_add3_u32 v1, v1, v116, v117
	v_mul_i32_i24_e32 v116, v106, v121
	v_mul_i32_i24_e32 v117, v3, v122
	s_delay_alu instid0(VALU_DEP_3) | instskip(SKIP_1) | instid1(VALU_DEP_2)
	v_add3_u32 v1, v1, v2, v115
	v_mul_i32_i24_e32 v2, v108, v41
	v_add3_u32 v115, v1, v116, v117
	v_mul_i32_i24_e32 v1, v107, v44
	v_mul_i32_i24_e32 v117, v110, v37
	;; [unrolled: 1-line block ×3, first 2 shown]
	s_delay_alu instid0(VALU_DEP_2) | instskip(SKIP_2) | instid1(VALU_DEP_3)
	v_add3_u32 v1, v118, v117, v1
	v_mul_i32_i24_e32 v117, v99, v248
	v_mul_i32_i24_e32 v118, v112, v216
	v_add3_u32 v116, v1, v2, v116
	v_mad_u64_u32 v[1:2], null, v115, v39, v[0:1]
	v_mul_i32_i24_e32 v2, v24, v231
	v_mul_i32_i24_e32 v115, v81, v229
	v_add3_u32 v118, v127, v118, v123
	v_mul_i32_i24_e32 v127, v114, v132
	v_mul_i32_i24_e32 v123, v113, v21
	v_cvt_f32_i32_e32 v0, v1
	v_cvt_f32_i32_e32 v1, v116
	v_mul_i32_i24_e32 v116, v83, v233
	v_mad_i32_i24 v127, v111, v154, v127
	s_delay_alu instid0(VALU_DEP_3) | instskip(NEXT) | instid1(VALU_DEP_1)
	v_mul_f32_e32 v1, v218, v1
	v_fma_mix_f32 v0, v183, v0, -v1 op_sel_hi:[1,0,0]
	v_mul_i32_i24_e32 v1, v7, v225
	s_delay_alu instid0(VALU_DEP_2) | instskip(SKIP_1) | instid1(VALU_DEP_1)
	v_fmac_f32_e32 v17, v4, v0
	v_mul_i32_i24_e32 v0, v5, v224
	v_mad_i32_i24 v0, v6, v75, v0
	s_delay_alu instid0(VALU_DEP_1) | instskip(SKIP_2) | instid1(VALU_DEP_1)
	v_add3_u32 v0, v0, v1, v2
	v_mul_i32_i24_e32 v1, v47, v228
	v_mul_i32_i24_e32 v2, v80, v227
	v_add3_u32 v0, v0, v1, v2
	v_mul_i32_i24_e32 v1, v84, v230
	v_mul_i32_i24_e32 v2, v85, v232
	s_delay_alu instid0(VALU_DEP_3) | instskip(SKIP_2) | instid1(VALU_DEP_3)
	v_add3_u32 v0, v0, v115, v116
	v_mul_i32_i24_e32 v115, v86, v235
	v_mul_i32_i24_e32 v116, v87, v237
	v_add3_u32 v0, v0, v1, v2
	v_mul_i32_i24_e32 v1, v88, v234
	v_mul_i32_i24_e32 v2, v89, v236
	s_delay_alu instid0(VALU_DEP_3) | instskip(SKIP_2) | instid1(VALU_DEP_3)
	v_add3_u32 v0, v0, v115, v116
	v_mul_i32_i24_e32 v115, v90, v238
	v_mul_i32_i24_e32 v116, v91, v226
	v_add3_u32 v0, v0, v1, v2
	v_mul_i32_i24_e32 v1, v92, v241
	v_mul_i32_i24_e32 v2, v94, v242
	s_delay_alu instid0(VALU_DEP_3) | instskip(SKIP_1) | instid1(VALU_DEP_4)
	v_add3_u32 v0, v0, v115, v116
	v_mul_i32_i24_e32 v115, v95, v245
	v_mad_i32_i24 v1, v93, v240, v1
	v_mul_i32_i24_e32 v116, v98, v246
	s_delay_alu instid0(VALU_DEP_4) | instskip(NEXT) | instid1(VALU_DEP_3)
	v_mul_lo_u32 v0, v0, v239
	v_add3_u32 v1, v1, v2, v115
	v_mul_i32_i24_e32 v2, v96, v243
	v_mul_i32_i24_e32 v115, v97, v244
	s_delay_alu instid0(VALU_DEP_1) | instskip(SKIP_2) | instid1(VALU_DEP_3)
	v_add3_u32 v1, v1, v2, v115
	v_mul_i32_i24_e32 v2, v100, v247
	v_mul_i32_i24_e32 v115, v101, v249
	v_add3_u32 v1, v1, v116, v117
	v_mul_i32_i24_e32 v116, v102, v250
	v_mul_i32_i24_e32 v117, v103, v252
	s_delay_alu instid0(VALU_DEP_3) | instskip(SKIP_2) | instid1(VALU_DEP_3)
	v_add3_u32 v1, v1, v2, v115
	v_mul_i32_i24_e32 v2, v104, v251
	v_mul_i32_i24_e32 v115, v105, v253
	v_add3_u32 v1, v1, v116, v117
	v_mul_i32_i24_e32 v116, v106, v254
	v_mul_i32_i24_e32 v117, v3, v255
	s_delay_alu instid0(VALU_DEP_3) | instskip(SKIP_1) | instid1(VALU_DEP_2)
	v_add3_u32 v1, v1, v2, v115
	v_mul_i32_i24_e32 v2, v108, v221
	v_add3_u32 v115, v1, v116, v117
	v_mul_i32_i24_e32 v1, v107, v223
	v_mul_i32_i24_e32 v117, v110, v219
	;; [unrolled: 1-line block ×3, first 2 shown]
	s_delay_alu instid0(VALU_DEP_2) | instskip(SKIP_2) | instid1(VALU_DEP_3)
	v_add3_u32 v1, v118, v117, v1
	v_mul_i32_i24_e32 v117, v99, v29
	v_mul_i32_i24_e32 v118, v112, v27
	v_add3_u32 v116, v1, v2, v116
	v_mad_u64_u32 v[1:2], null, v115, v22, v[0:1]
	v_mul_i32_i24_e32 v2, v24, v197
	v_mul_i32_i24_e32 v115, v81, v194
	v_add3_u32 v118, v127, v118, v123
	s_delay_alu instid0(VALU_DEP_4) | instskip(SKIP_2) | instid1(VALU_DEP_2)
	v_cvt_f32_i32_e32 v0, v1
	v_cvt_f32_i32_e32 v1, v116
	v_mul_i32_i24_e32 v116, v83, v23
	v_mul_f32_e32 v1, v181, v1
	s_delay_alu instid0(VALU_DEP_1) | instskip(SKIP_1) | instid1(VALU_DEP_2)
	v_fma_mix_f32 v0, v139, v0, -v1 op_sel_hi:[1,0,0]
	v_mul_i32_i24_e32 v1, v7, v193
	v_fmac_f32_e32 v16, v4, v0
	v_mul_i32_i24_e32 v0, v5, v189
	s_delay_alu instid0(VALU_DEP_1) | instskip(NEXT) | instid1(VALU_DEP_1)
	v_mad_i32_i24 v0, v6, v188, v0
	v_add3_u32 v0, v0, v1, v2
	v_mul_i32_i24_e32 v1, v47, v26
	v_mul_i32_i24_e32 v2, v80, v191
	s_delay_alu instid0(VALU_DEP_1) | instskip(SKIP_2) | instid1(VALU_DEP_3)
	v_add3_u32 v0, v0, v1, v2
	v_mul_i32_i24_e32 v1, v84, v196
	v_mul_i32_i24_e32 v2, v85, v198
	v_add3_u32 v0, v0, v115, v116
	v_mul_i32_i24_e32 v115, v86, v200
	v_mul_i32_i24_e32 v116, v87, v202
	s_delay_alu instid0(VALU_DEP_3) | instskip(SKIP_2) | instid1(VALU_DEP_3)
	v_add3_u32 v0, v0, v1, v2
	v_mul_i32_i24_e32 v1, v88, v199
	v_mul_i32_i24_e32 v2, v89, v201
	v_add3_u32 v0, v0, v115, v116
	v_mul_i32_i24_e32 v115, v90, v203
	v_mul_i32_i24_e32 v116, v91, v204
	s_delay_alu instid0(VALU_DEP_3) | instskip(SKIP_2) | instid1(VALU_DEP_3)
	v_add3_u32 v0, v0, v1, v2
	v_mul_i32_i24_e32 v1, v92, v30
	v_mul_i32_i24_e32 v2, v94, v213
	v_add3_u32 v0, v0, v115, v116
	v_mul_i32_i24_e32 v115, v95, v148
	s_delay_alu instid0(VALU_DEP_4) | instskip(SKIP_1) | instid1(VALU_DEP_4)
	v_mad_i32_i24 v1, v93, v210, v1
	v_mul_i32_i24_e32 v116, v98, v149
	v_mul_lo_u32 v0, v0, v209
	s_delay_alu instid0(VALU_DEP_3) | instskip(SKIP_2) | instid1(VALU_DEP_1)
	v_add3_u32 v1, v1, v2, v115
	v_mul_i32_i24_e32 v2, v96, v18
	v_mul_i32_i24_e32 v115, v97, v212
	v_add3_u32 v1, v1, v2, v115
	v_mul_i32_i24_e32 v2, v100, v147
	v_mul_i32_i24_e32 v115, v101, v146
	s_delay_alu instid0(VALU_DEP_3) | instskip(SKIP_2) | instid1(VALU_DEP_3)
	v_add3_u32 v1, v1, v116, v117
	v_mul_i32_i24_e32 v116, v102, v53
	v_mul_i32_i24_e32 v117, v103, v50
	v_add3_u32 v1, v1, v2, v115
	v_mul_i32_i24_e32 v2, v104, v133
	v_mul_i32_i24_e32 v115, v105, v52
	s_delay_alu instid0(VALU_DEP_3) | instskip(SKIP_3) | instid1(VALU_DEP_4)
	v_add3_u32 v1, v1, v116, v117
	v_mul_i32_i24_e32 v116, v106, v49
	v_mul_i32_i24_e32 v117, v3, v46
	;; [unrolled: 1-line block ×3, first 2 shown]
	v_add3_u32 v1, v1, v2, v115
	v_mul_i32_i24_e32 v2, v108, v207
	s_delay_alu instid0(VALU_DEP_2) | instskip(SKIP_3) | instid1(VALU_DEP_2)
	v_add3_u32 v115, v1, v116, v117
	v_mul_i32_i24_e32 v1, v107, v13
	v_mul_i32_i24_e32 v117, v110, v182
	;; [unrolled: 1-line block ×3, first 2 shown]
	v_add3_u32 v1, v118, v117, v1
	s_delay_alu instid0(VALU_DEP_1) | instskip(SKIP_3) | instid1(VALU_DEP_3)
	v_add3_u32 v116, v1, v2, v116
	v_mad_u64_u32 v[1:2], null, v115, v136, v[0:1]
	v_mul_i32_i24_e32 v2, v24, v166
	v_mul_i32_i24_e32 v24, v113, v156
	v_cvt_f32_i32_e32 v0, v1
	v_cvt_f32_i32_e32 v1, v116
	s_delay_alu instid0(VALU_DEP_1) | instskip(NEXT) | instid1(VALU_DEP_1)
	v_mul_f32_e32 v1, v157, v1
	v_fma_mix_f32 v0, v131, v0, -v1 op_sel_hi:[1,0,0]
	v_mul_i32_i24_e32 v1, v7, v162
	v_mul_i32_i24_e32 v7, v99, v143
	s_delay_alu instid0(VALU_DEP_3) | instskip(SKIP_2) | instid1(VALU_DEP_2)
	v_fmac_f32_e32 v15, v4, v0
	v_mul_i32_i24_e32 v0, v5, v208
	v_mul_i32_i24_e32 v5, v81, v168
	v_mad_i32_i24 v0, v6, v158, v0
	v_mul_i32_i24_e32 v6, v83, v150
	s_delay_alu instid0(VALU_DEP_2) | instskip(SKIP_3) | instid1(VALU_DEP_2)
	v_add3_u32 v0, v0, v1, v2
	v_mul_i32_i24_e32 v1, v47, v163
	v_mul_i32_i24_e32 v2, v80, v164
	;; [unrolled: 1-line block ×3, first 2 shown]
	v_add3_u32 v0, v0, v1, v2
	v_mul_i32_i24_e32 v1, v84, v170
	v_mul_i32_i24_e32 v2, v85, v152
	s_delay_alu instid0(VALU_DEP_4) | instskip(NEXT) | instid1(VALU_DEP_4)
	v_mad_i32_i24 v47, v111, v153, v47
	v_add3_u32 v0, v0, v5, v6
	v_mul_i32_i24_e32 v5, v86, v173
	v_mul_i32_i24_e32 v6, v87, v175
	s_delay_alu instid0(VALU_DEP_3) | instskip(SKIP_2) | instid1(VALU_DEP_3)
	v_add3_u32 v0, v0, v1, v2
	v_mul_i32_i24_e32 v1, v88, v171
	v_mul_i32_i24_e32 v2, v89, v174
	v_add3_u32 v0, v0, v5, v6
	v_mul_i32_i24_e32 v5, v90, v176
	v_mul_i32_i24_e32 v6, v91, v177
	s_delay_alu instid0(VALU_DEP_3) | instskip(SKIP_2) | instid1(VALU_DEP_3)
	v_add3_u32 v0, v0, v1, v2
	v_mul_i32_i24_e32 v1, v92, v128
	v_mul_i32_i24_e32 v2, v94, v205
	v_add3_u32 v0, v0, v5, v6
	v_mul_i32_i24_e32 v5, v95, v145
	s_delay_alu instid0(VALU_DEP_4) | instskip(SKIP_1) | instid1(VALU_DEP_4)
	v_mad_i32_i24 v1, v93, v25, v1
	v_mul_i32_i24_e32 v6, v98, v144
	v_mul_lo_u32 v0, v0, v214
	s_delay_alu instid0(VALU_DEP_3) | instskip(SKIP_2) | instid1(VALU_DEP_1)
	v_add3_u32 v1, v1, v2, v5
	v_mul_i32_i24_e32 v2, v96, v165
	v_mul_i32_i24_e32 v5, v97, v187
	v_add3_u32 v1, v1, v2, v5
	v_mul_i32_i24_e32 v2, v100, v169
	v_mul_i32_i24_e32 v5, v101, v142
	s_delay_alu instid0(VALU_DEP_3) | instskip(SKIP_2) | instid1(VALU_DEP_3)
	v_add3_u32 v1, v1, v6, v7
	v_mul_i32_i24_e32 v6, v102, v141
	v_mul_i32_i24_e32 v7, v103, v137
	v_add3_u32 v1, v1, v2, v5
	v_mul_i32_i24_e32 v2, v104, v140
	v_mul_i32_i24_e32 v5, v105, v135
	s_delay_alu instid0(VALU_DEP_3) | instskip(SKIP_2) | instid1(VALU_DEP_3)
	v_add3_u32 v1, v1, v6, v7
	v_mul_i32_i24_e32 v6, v106, v134
	v_mul_i32_i24_e32 v7, v112, v159
	v_add3_u32 v1, v1, v2, v5
	v_mul_i32_i24_e32 v2, v108, v14
	s_delay_alu instid0(VALU_DEP_3) | instskip(SKIP_1) | instid1(VALU_DEP_4)
	v_add3_u32 v7, v47, v7, v24
	v_mul_i32_i24_e32 v5, v109, v160
	v_add3_u32 v3, v1, v6, v3
	v_mul_i32_i24_e32 v1, v107, v172
	v_mul_i32_i24_e32 v6, v110, v138
	s_delay_alu instid0(VALU_DEP_1) | instskip(NEXT) | instid1(VALU_DEP_1)
	v_add3_u32 v1, v7, v6, v1
	v_add3_u32 v5, v1, v2, v5
	v_mad_u64_u32 v[1:2], null, v3, v12, v[0:1]
	s_delay_alu instid0(VALU_DEP_1) | instskip(NEXT) | instid1(VALU_DEP_3)
	v_cvt_f32_i32_e32 v0, v1
	v_cvt_f32_i32_e32 v1, v5
	s_delay_alu instid0(VALU_DEP_1) | instskip(NEXT) | instid1(VALU_DEP_1)
	v_mul_f32_e32 v1, v8, v1
	v_fma_mix_f32 v0, v126, v0, -v1 op_sel_hi:[1,0,0]
	s_delay_alu instid0(VALU_DEP_1)
	v_fmac_f32_e32 v167, v4, v0
	ds_load_2addr_b32 v[3:4], v125 offset0:192 offset1:224
	ds_load_b128 v[83:86], v124 offset:6144
	v_add_nc_u32_e32 v125, 4, v125
	s_waitcnt lgkmcnt(0)
	v_bfe_i32 v5, v83, 0, 8
	v_bfe_i32 v6, v83, 8, 8
	v_bfe_i32 v7, v83, 16, 8
	v_ashrrev_i32_e32 v24, 24, v83
	v_bfe_i32 v47, v84, 0, 8
	v_bfe_i32 v80, v84, 8, 8
	v_bfe_i32 v81, v84, 16, 8
	v_ashrrev_i32_e32 v87, 24, v84
	;; [unrolled: 4-line block ×4, first 2 shown]
	ds_load_b128 v[83:86], v124 offset:6160
	v_mul_i32_i24_e32 v1, v7, v59
	v_mul_i32_i24_e32 v2, v24, v63
	;; [unrolled: 1-line block ×4, first 2 shown]
	s_waitcnt lgkmcnt(0)
	v_bfe_i32 v96, v83, 0, 8
	v_bfe_i32 v97, v83, 8, 8
	v_bfe_i32 v98, v83, 16, 8
	v_ashrrev_i32_e32 v83, 24, v83
	v_bfe_i32 v99, v84, 0, 8
	v_bfe_i32 v100, v84, 8, 8
	v_bfe_i32 v101, v84, 16, 8
	v_ashrrev_i32_e32 v84, 24, v84
	v_bfe_i32 v102, v85, 0, 8
	v_bfe_i32 v103, v85, 8, 8
	v_bfe_i32 v104, v85, 16, 8
	v_ashrrev_i32_e32 v85, 24, v85
	v_bfe_i32 v105, v86, 0, 8
	v_bfe_i32 v106, v86, 8, 8
	v_bfe_i32 v107, v86, 16, 8
	v_ashrrev_i32_e32 v86, 24, v86
	v_add_nc_u32_e32 v0, v84, v83
	v_mul_i32_i24_e32 v118, v84, v77
	s_delay_alu instid0(VALU_DEP_2) | instskip(SKIP_1) | instid1(VALU_DEP_1)
	v_add3_u32 v108, v0, v85, v86
	v_add_nc_u32_e32 v0, v101, v98
	v_add3_u32 v109, v0, v104, v107
	v_add_nc_u32_e32 v0, v100, v97
	s_delay_alu instid0(VALU_DEP_1) | instskip(SKIP_1) | instid1(VALU_DEP_1)
	v_add3_u32 v110, v0, v103, v106
	v_add_nc_u32_e32 v0, v99, v96
	v_add3_u32 v111, v0, v102, v105
	v_add_nc_u32_e32 v0, v87, v24
	s_delay_alu instid0(VALU_DEP_1) | instskip(SKIP_1) | instid1(VALU_DEP_1)
	v_add3_u32 v112, v0, v91, v95
	v_add_nc_u32_e32 v0, v81, v7
	v_add3_u32 v113, v0, v90, v94
	v_add_nc_u32_e32 v0, v80, v6
	s_delay_alu instid0(VALU_DEP_2) | instskip(NEXT) | instid1(VALU_DEP_2)
	v_mul_i32_i24_e32 v123, v113, v55
	v_add3_u32 v114, v0, v89, v93
	v_add_nc_u32_e32 v0, v47, v5
	s_delay_alu instid0(VALU_DEP_2) | instskip(NEXT) | instid1(VALU_DEP_2)
	v_mul_i32_i24_e32 v127, v114, v54
	v_add3_u32 v115, v0, v88, v92
	v_mul_i32_i24_e32 v0, v5, v58
	s_delay_alu instid0(VALU_DEP_2) | instskip(NEXT) | instid1(VALU_DEP_2)
	v_mul_i32_i24_e32 v128, v115, v192
	v_mad_i32_i24 v0, v6, v57, v0
	s_delay_alu instid0(VALU_DEP_2) | instskip(NEXT) | instid1(VALU_DEP_2)
	v_mad_i32_i24 v128, v112, v28, v128
	v_add3_u32 v0, v0, v1, v2
	v_mul_i32_i24_e32 v1, v47, v60
	v_mul_i32_i24_e32 v2, v80, v66
	s_delay_alu instid0(VALU_DEP_4) | instskip(SKIP_2) | instid1(VALU_DEP_4)
	v_add3_u32 v123, v128, v123, v127
	v_mul_i32_i24_e32 v128, v115, v155
	v_mul_i32_i24_e32 v127, v114, v35
	v_add3_u32 v0, v0, v1, v2
	v_mul_i32_i24_e32 v1, v88, v61
	v_mul_i32_i24_e32 v2, v89, v64
	v_mad_i32_i24 v128, v112, v179, v128
	s_delay_alu instid0(VALU_DEP_4) | instskip(SKIP_2) | instid1(VALU_DEP_3)
	v_add3_u32 v0, v0, v116, v117
	v_mul_i32_i24_e32 v116, v90, v51
	v_mul_i32_i24_e32 v117, v91, v45
	v_add3_u32 v0, v0, v1, v2
	v_mul_i32_i24_e32 v1, v92, v65
	v_mul_i32_i24_e32 v2, v93, v48
	s_delay_alu instid0(VALU_DEP_3) | instskip(SKIP_2) | instid1(VALU_DEP_3)
	v_add3_u32 v0, v0, v116, v117
	v_mul_i32_i24_e32 v116, v94, v36
	v_mul_i32_i24_e32 v117, v95, v31
	v_add3_u32 v0, v0, v1, v2
	v_mul_i32_i24_e32 v1, v96, v69
	v_mul_i32_i24_e32 v2, v98, v70
	s_delay_alu instid0(VALU_DEP_3) | instskip(SKIP_1) | instid1(VALU_DEP_4)
	v_add3_u32 v0, v0, v116, v117
	v_mul_i32_i24_e32 v116, v83, v73
	v_mad_i32_i24 v1, v97, v68, v1
	v_mul_i32_i24_e32 v117, v101, v74
	s_delay_alu instid0(VALU_DEP_4) | instskip(NEXT) | instid1(VALU_DEP_3)
	v_mul_lo_u32 v0, v0, v67
	v_add3_u32 v1, v1, v2, v116
	v_mul_i32_i24_e32 v2, v99, v71
	v_mul_i32_i24_e32 v116, v100, v72
	s_delay_alu instid0(VALU_DEP_1) | instskip(SKIP_2) | instid1(VALU_DEP_3)
	v_add3_u32 v1, v1, v2, v116
	v_mul_i32_i24_e32 v2, v102, v76
	v_mul_i32_i24_e32 v116, v103, v78
	v_add3_u32 v1, v1, v117, v118
	v_mul_i32_i24_e32 v117, v104, v79
	v_mul_i32_i24_e32 v118, v85, v119
	s_delay_alu instid0(VALU_DEP_3) | instskip(SKIP_2) | instid1(VALU_DEP_3)
	v_add3_u32 v1, v1, v2, v116
	v_mul_i32_i24_e32 v2, v105, v82
	v_mul_i32_i24_e32 v116, v106, v120
	v_add3_u32 v1, v1, v117, v118
	v_mul_i32_i24_e32 v117, v107, v121
	v_mul_i32_i24_e32 v118, v86, v122
	s_delay_alu instid0(VALU_DEP_3) | instskip(SKIP_1) | instid1(VALU_DEP_2)
	v_add3_u32 v1, v1, v2, v116
	v_mul_i32_i24_e32 v2, v109, v41
	v_add3_u32 v116, v1, v117, v118
	v_mul_i32_i24_e32 v1, v108, v44
	v_mul_i32_i24_e32 v118, v111, v37
	;; [unrolled: 1-line block ×3, first 2 shown]
	s_delay_alu instid0(VALU_DEP_2) | instskip(SKIP_2) | instid1(VALU_DEP_3)
	v_add3_u32 v1, v123, v118, v1
	v_mul_i32_i24_e32 v118, v84, v248
	v_mul_i32_i24_e32 v123, v113, v216
	v_add3_u32 v117, v1, v2, v117
	v_mad_u64_u32 v[1:2], null, v116, v39, v[0:1]
	v_mul_i32_i24_e32 v2, v24, v231
	v_mul_i32_i24_e32 v116, v81, v229
	v_add3_u32 v123, v128, v123, v127
	v_mul_i32_i24_e32 v128, v115, v132
	v_mul_i32_i24_e32 v127, v114, v21
	v_cvt_f32_i32_e32 v0, v1
	v_cvt_f32_i32_e32 v1, v117
	v_mul_i32_i24_e32 v117, v87, v233
	v_mad_i32_i24 v128, v112, v154, v128
	s_delay_alu instid0(VALU_DEP_3) | instskip(NEXT) | instid1(VALU_DEP_1)
	v_mul_f32_e32 v1, v218, v1
	v_fma_mix_f32 v0, v183, v0, -v1 op_sel_hi:[1,0,0]
	v_mul_i32_i24_e32 v1, v7, v225
	s_delay_alu instid0(VALU_DEP_2) | instskip(SKIP_1) | instid1(VALU_DEP_1)
	v_fmac_f32_e32 v161, v3, v0
	v_mul_i32_i24_e32 v0, v5, v224
	v_mad_i32_i24 v0, v6, v75, v0
	s_delay_alu instid0(VALU_DEP_1) | instskip(SKIP_2) | instid1(VALU_DEP_1)
	v_add3_u32 v0, v0, v1, v2
	v_mul_i32_i24_e32 v1, v47, v228
	v_mul_i32_i24_e32 v2, v80, v227
	v_add3_u32 v0, v0, v1, v2
	v_mul_i32_i24_e32 v1, v88, v230
	v_mul_i32_i24_e32 v2, v89, v232
	s_delay_alu instid0(VALU_DEP_3) | instskip(SKIP_2) | instid1(VALU_DEP_3)
	v_add3_u32 v0, v0, v116, v117
	v_mul_i32_i24_e32 v116, v90, v235
	v_mul_i32_i24_e32 v117, v91, v237
	v_add3_u32 v0, v0, v1, v2
	v_mul_i32_i24_e32 v1, v92, v234
	v_mul_i32_i24_e32 v2, v93, v236
	s_delay_alu instid0(VALU_DEP_3) | instskip(SKIP_2) | instid1(VALU_DEP_3)
	v_add3_u32 v0, v0, v116, v117
	v_mul_i32_i24_e32 v116, v94, v238
	v_mul_i32_i24_e32 v117, v95, v226
	v_add3_u32 v0, v0, v1, v2
	v_mul_i32_i24_e32 v1, v96, v241
	v_mul_i32_i24_e32 v2, v98, v242
	s_delay_alu instid0(VALU_DEP_3) | instskip(SKIP_1) | instid1(VALU_DEP_4)
	v_add3_u32 v0, v0, v116, v117
	v_mul_i32_i24_e32 v116, v83, v245
	v_mad_i32_i24 v1, v97, v240, v1
	v_mul_i32_i24_e32 v117, v101, v246
	s_delay_alu instid0(VALU_DEP_4) | instskip(NEXT) | instid1(VALU_DEP_3)
	v_mul_lo_u32 v0, v0, v239
	v_add3_u32 v1, v1, v2, v116
	v_mul_i32_i24_e32 v2, v99, v243
	v_mul_i32_i24_e32 v116, v100, v244
	s_delay_alu instid0(VALU_DEP_1) | instskip(SKIP_2) | instid1(VALU_DEP_3)
	v_add3_u32 v1, v1, v2, v116
	v_mul_i32_i24_e32 v2, v102, v247
	v_mul_i32_i24_e32 v116, v103, v249
	v_add3_u32 v1, v1, v117, v118
	v_mul_i32_i24_e32 v117, v104, v250
	v_mul_i32_i24_e32 v118, v85, v252
	s_delay_alu instid0(VALU_DEP_3) | instskip(SKIP_2) | instid1(VALU_DEP_3)
	v_add3_u32 v1, v1, v2, v116
	v_mul_i32_i24_e32 v2, v105, v251
	v_mul_i32_i24_e32 v116, v106, v253
	v_add3_u32 v1, v1, v117, v118
	v_mul_i32_i24_e32 v117, v107, v254
	v_mul_i32_i24_e32 v118, v86, v255
	s_delay_alu instid0(VALU_DEP_3) | instskip(SKIP_1) | instid1(VALU_DEP_2)
	v_add3_u32 v1, v1, v2, v116
	v_mul_i32_i24_e32 v2, v109, v221
	v_add3_u32 v116, v1, v117, v118
	v_mul_i32_i24_e32 v1, v108, v223
	v_mul_i32_i24_e32 v118, v111, v219
	;; [unrolled: 1-line block ×3, first 2 shown]
	s_delay_alu instid0(VALU_DEP_2) | instskip(SKIP_2) | instid1(VALU_DEP_3)
	v_add3_u32 v1, v123, v118, v1
	v_mul_i32_i24_e32 v118, v84, v29
	v_mul_i32_i24_e32 v123, v113, v27
	v_add3_u32 v117, v1, v2, v117
	v_mad_u64_u32 v[1:2], null, v116, v22, v[0:1]
	v_mul_i32_i24_e32 v2, v24, v197
	v_mul_i32_i24_e32 v116, v81, v194
	v_add3_u32 v123, v128, v123, v127
	s_delay_alu instid0(VALU_DEP_4) | instskip(SKIP_2) | instid1(VALU_DEP_2)
	v_cvt_f32_i32_e32 v0, v1
	v_cvt_f32_i32_e32 v1, v117
	v_mul_i32_i24_e32 v117, v87, v23
	v_mul_f32_e32 v1, v181, v1
	s_delay_alu instid0(VALU_DEP_1) | instskip(SKIP_1) | instid1(VALU_DEP_2)
	v_fma_mix_f32 v0, v139, v0, -v1 op_sel_hi:[1,0,0]
	v_mul_i32_i24_e32 v1, v7, v193
	v_fmac_f32_e32 v151, v3, v0
	v_mul_i32_i24_e32 v0, v5, v189
	s_delay_alu instid0(VALU_DEP_1) | instskip(NEXT) | instid1(VALU_DEP_1)
	v_mad_i32_i24 v0, v6, v188, v0
	v_add3_u32 v0, v0, v1, v2
	v_mul_i32_i24_e32 v1, v47, v26
	v_mul_i32_i24_e32 v2, v80, v191
	s_delay_alu instid0(VALU_DEP_1) | instskip(SKIP_2) | instid1(VALU_DEP_3)
	v_add3_u32 v0, v0, v1, v2
	v_mul_i32_i24_e32 v1, v88, v196
	v_mul_i32_i24_e32 v2, v89, v198
	v_add3_u32 v0, v0, v116, v117
	v_mul_i32_i24_e32 v116, v90, v200
	v_mul_i32_i24_e32 v117, v91, v202
	s_delay_alu instid0(VALU_DEP_3) | instskip(SKIP_2) | instid1(VALU_DEP_3)
	v_add3_u32 v0, v0, v1, v2
	v_mul_i32_i24_e32 v1, v92, v199
	v_mul_i32_i24_e32 v2, v93, v201
	v_add3_u32 v0, v0, v116, v117
	v_mul_i32_i24_e32 v116, v94, v203
	v_mul_i32_i24_e32 v117, v95, v204
	s_delay_alu instid0(VALU_DEP_3) | instskip(SKIP_2) | instid1(VALU_DEP_3)
	v_add3_u32 v0, v0, v1, v2
	v_mul_i32_i24_e32 v1, v96, v30
	v_mul_i32_i24_e32 v2, v98, v213
	v_add3_u32 v0, v0, v116, v117
	v_mul_i32_i24_e32 v116, v83, v148
	s_delay_alu instid0(VALU_DEP_4) | instskip(SKIP_1) | instid1(VALU_DEP_4)
	v_mad_i32_i24 v1, v97, v210, v1
	v_mul_i32_i24_e32 v117, v101, v149
	v_mul_lo_u32 v0, v0, v209
	s_delay_alu instid0(VALU_DEP_3) | instskip(SKIP_2) | instid1(VALU_DEP_1)
	v_add3_u32 v1, v1, v2, v116
	v_mul_i32_i24_e32 v2, v99, v18
	v_mul_i32_i24_e32 v116, v100, v212
	v_add3_u32 v1, v1, v2, v116
	v_mul_i32_i24_e32 v2, v102, v147
	v_mul_i32_i24_e32 v116, v103, v146
	s_delay_alu instid0(VALU_DEP_3) | instskip(SKIP_2) | instid1(VALU_DEP_3)
	v_add3_u32 v1, v1, v117, v118
	v_mul_i32_i24_e32 v117, v104, v53
	v_mul_i32_i24_e32 v118, v85, v50
	v_add3_u32 v1, v1, v2, v116
	v_mul_i32_i24_e32 v2, v105, v133
	v_mul_i32_i24_e32 v116, v106, v52
	s_delay_alu instid0(VALU_DEP_3) | instskip(SKIP_2) | instid1(VALU_DEP_3)
	v_add3_u32 v1, v1, v117, v118
	v_mul_i32_i24_e32 v117, v107, v49
	v_mul_i32_i24_e32 v118, v86, v46
	v_add3_u32 v1, v1, v2, v116
	v_mul_i32_i24_e32 v2, v109, v207
	s_delay_alu instid0(VALU_DEP_2) | instskip(SKIP_3) | instid1(VALU_DEP_2)
	v_add3_u32 v116, v1, v117, v118
	v_mul_i32_i24_e32 v1, v108, v13
	v_mul_i32_i24_e32 v118, v111, v182
	;; [unrolled: 1-line block ×3, first 2 shown]
	v_add3_u32 v1, v123, v118, v1
	s_delay_alu instid0(VALU_DEP_1) | instskip(SKIP_3) | instid1(VALU_DEP_3)
	v_add3_u32 v117, v1, v2, v117
	v_mad_u64_u32 v[1:2], null, v116, v136, v[0:1]
	v_mul_i32_i24_e32 v2, v24, v166
	v_mul_i32_i24_e32 v24, v113, v159
	v_cvt_f32_i32_e32 v0, v1
	v_cvt_f32_i32_e32 v1, v117
	s_delay_alu instid0(VALU_DEP_1) | instskip(NEXT) | instid1(VALU_DEP_1)
	v_mul_f32_e32 v1, v157, v1
	v_fma_mix_f32 v0, v131, v0, -v1 op_sel_hi:[1,0,0]
	v_mul_i32_i24_e32 v1, v7, v162
	v_mul_i32_i24_e32 v7, v84, v143
	s_delay_alu instid0(VALU_DEP_3) | instskip(SKIP_2) | instid1(VALU_DEP_2)
	v_fmac_f32_e32 v11, v3, v0
	v_mul_i32_i24_e32 v0, v5, v208
	v_mul_i32_i24_e32 v5, v81, v168
	v_mad_i32_i24 v0, v6, v158, v0
	v_mul_i32_i24_e32 v6, v87, v150
	s_delay_alu instid0(VALU_DEP_2) | instskip(SKIP_4) | instid1(VALU_DEP_3)
	v_add3_u32 v0, v0, v1, v2
	v_mul_i32_i24_e32 v1, v47, v163
	v_mul_i32_i24_e32 v2, v80, v164
	;; [unrolled: 1-line block ×4, first 2 shown]
	v_add3_u32 v0, v0, v1, v2
	v_mul_i32_i24_e32 v1, v88, v170
	v_mul_i32_i24_e32 v2, v89, v152
	v_mad_i32_i24 v80, v112, v153, v80
	s_delay_alu instid0(VALU_DEP_4) | instskip(SKIP_2) | instid1(VALU_DEP_4)
	v_add3_u32 v0, v0, v5, v6
	v_mul_i32_i24_e32 v5, v90, v173
	v_mul_i32_i24_e32 v6, v91, v175
	v_add3_u32 v24, v80, v24, v47
	s_delay_alu instid0(VALU_DEP_4) | instskip(SKIP_2) | instid1(VALU_DEP_3)
	v_add3_u32 v0, v0, v1, v2
	v_mul_i32_i24_e32 v1, v92, v171
	v_mul_i32_i24_e32 v2, v93, v174
	v_add3_u32 v0, v0, v5, v6
	v_mul_i32_i24_e32 v5, v94, v176
	v_mul_i32_i24_e32 v6, v95, v177
	s_delay_alu instid0(VALU_DEP_3) | instskip(SKIP_2) | instid1(VALU_DEP_3)
	v_add3_u32 v0, v0, v1, v2
	v_mul_i32_i24_e32 v1, v96, v186
	v_mul_i32_i24_e32 v2, v98, v205
	v_add3_u32 v0, v0, v5, v6
	v_mul_i32_i24_e32 v5, v83, v145
	s_delay_alu instid0(VALU_DEP_4) | instskip(SKIP_1) | instid1(VALU_DEP_4)
	v_mad_i32_i24 v1, v97, v25, v1
	v_mul_i32_i24_e32 v6, v101, v144
	v_mul_lo_u32 v0, v0, v214
	s_delay_alu instid0(VALU_DEP_3)
	v_add3_u32 v1, v1, v2, v5
	v_mul_i32_i24_e32 v2, v99, v165
	v_mul_i32_i24_e32 v5, v100, v187
	ds_load_b128 v[98:101], v124 offset:7184
	v_add3_u32 v1, v1, v2, v5
	v_mul_i32_i24_e32 v2, v102, v169
	v_mul_i32_i24_e32 v5, v103, v142
	s_delay_alu instid0(VALU_DEP_3) | instskip(SKIP_2) | instid1(VALU_DEP_3)
	v_add3_u32 v1, v1, v6, v7
	v_mul_i32_i24_e32 v6, v104, v141
	v_mul_i32_i24_e32 v7, v85, v137
	v_add3_u32 v1, v1, v2, v5
	v_mul_i32_i24_e32 v2, v105, v140
	v_mul_i32_i24_e32 v5, v106, v135
	s_delay_alu instid0(VALU_DEP_3)
	v_add3_u32 v1, v1, v6, v7
	v_mul_i32_i24_e32 v6, v107, v134
	v_mul_i32_i24_e32 v7, v86, v129
	s_waitcnt lgkmcnt(0)
	v_ashrrev_i32_e32 v116, 24, v98
	v_bfe_i32 v113, v98, 16, 8
	v_add3_u32 v1, v1, v2, v5
	v_mul_i32_i24_e32 v2, v109, v14
	v_ashrrev_i32_e32 v114, 24, v100
	v_ashrrev_i32_e32 v117, 24, v101
	v_bfe_i32 v112, v98, 0, 8
	v_add3_u32 v5, v1, v6, v7
	v_mul_i32_i24_e32 v1, v108, v172
	v_mul_i32_i24_e32 v7, v111, v138
	;; [unrolled: 1-line block ×3, first 2 shown]
	v_ashrrev_i32_e32 v111, 24, v99
	v_bfe_i32 v110, v99, 16, 8
	v_bfe_i32 v123, v98, 8, 8
	v_add3_u32 v1, v24, v7, v1
	v_bfe_i32 v109, v100, 16, 8
	v_bfe_i32 v98, v101, 16, 8
	;; [unrolled: 1-line block ×4, first 2 shown]
	v_add3_u32 v6, v1, v2, v6
	v_mad_u64_u32 v[1:2], null, v5, v12, v[0:1]
	v_bfe_i32 v96, v101, 0, 8
	v_mul_i32_i24_e32 v29, v111, v29
	s_delay_alu instid0(VALU_DEP_3) | instskip(SKIP_1) | instid1(VALU_DEP_1)
	v_cvt_f32_i32_e32 v0, v1
	v_cvt_f32_i32_e32 v1, v6
	v_mul_f32_e32 v1, v8, v1
	s_delay_alu instid0(VALU_DEP_1) | instskip(NEXT) | instid1(VALU_DEP_1)
	v_fma_mix_f32 v0, v126, v0, -v1 op_sel_hi:[1,0,0]
	v_fmac_f32_e32 v10, v3, v0
	ds_load_b128 v[0:3], v124 offset:7168
	v_add_nc_u32_e32 v124, 32, v124
	s_waitcnt lgkmcnt(0)
	v_bfe_i32 v84, v2, 0, 8
	v_bfe_i32 v85, v2, 8, 8
	;; [unrolled: 1-line block ×3, first 2 shown]
	v_ashrrev_i32_e32 v87, 24, v2
	v_bfe_i32 v2, v3, 0, 8
	v_bfe_i32 v47, v3, 8, 8
	;; [unrolled: 1-line block ×3, first 2 shown]
	v_ashrrev_i32_e32 v83, 24, v3
	v_add_nc_u32_e32 v3, v111, v116
	v_bfe_i32 v89, v1, 0, 8
	v_bfe_i32 v90, v1, 8, 8
	;; [unrolled: 1-line block ×3, first 2 shown]
	v_ashrrev_i32_e32 v92, 24, v1
	v_bfe_i32 v1, v99, 8, 8
	v_add3_u32 v115, v3, v114, v117
	v_add_nc_u32_e32 v3, v110, v113
	v_bfe_i32 v93, v0, 0, 8
	v_bfe_i32 v88, v0, 8, 8
	;; [unrolled: 1-line block ×3, first 2 shown]
	v_ashrrev_i32_e32 v95, 24, v0
	v_bfe_i32 v0, v99, 0, 8
	v_bfe_i32 v99, v100, 8, 8
	v_add3_u32 v118, v3, v109, v98
	v_add_nc_u32_e32 v3, v1, v123
	v_mul_i32_i24_e32 v5, v94, v59
	v_mul_i32_i24_e32 v6, v95, v63
	;; [unrolled: 1-line block ×4, first 2 shown]
	v_add3_u32 v100, v3, v99, v97
	v_add_nc_u32_e32 v3, v0, v112
	v_mul_i32_i24_e32 v44, v115, v44
	v_mul_i32_i24_e32 v41, v118, v41
	;; [unrolled: 1-line block ×4, first 2 shown]
	v_add3_u32 v101, v3, v24, v96
	v_add_nc_u32_e32 v3, v92, v95
	s_delay_alu instid0(VALU_DEP_2) | instskip(NEXT) | instid1(VALU_DEP_2)
	v_mul_i32_i24_e32 v37, v101, v37
	v_add3_u32 v80, v3, v87, v83
	v_add_nc_u32_e32 v3, v91, v94
	s_delay_alu instid0(VALU_DEP_1) | instskip(SKIP_1) | instid1(VALU_DEP_1)
	v_add3_u32 v102, v3, v86, v81
	v_add_nc_u32_e32 v3, v90, v88
	v_add3_u32 v103, v3, v85, v47
	v_add_nc_u32_e32 v3, v89, v93
	s_delay_alu instid0(VALU_DEP_1) | instskip(SKIP_1) | instid1(VALU_DEP_1)
	v_add3_u32 v104, v3, v84, v2
	v_mul_i32_i24_e32 v3, v93, v58
	v_mad_i32_i24 v3, v88, v57, v3
	s_delay_alu instid0(VALU_DEP_1)
	v_add3_u32 v3, v3, v5, v6
	v_mul_i32_i24_e32 v5, v89, v60
	v_mul_i32_i24_e32 v6, v90, v66
	scratch_load_b32 v66, off, off offset:56 ; 4-byte Folded Reload
	v_add3_u32 v3, v3, v5, v6
	v_mul_i32_i24_e32 v5, v84, v61
	v_mul_i32_i24_e32 v6, v85, v64
	s_delay_alu instid0(VALU_DEP_3) | instskip(SKIP_3) | instid1(VALU_DEP_4)
	v_add3_u32 v3, v3, v7, v42
	v_mul_i32_i24_e32 v7, v86, v51
	v_mul_i32_i24_e32 v42, v87, v45
	;; [unrolled: 1-line block ×3, first 2 shown]
	v_add3_u32 v3, v3, v5, v6
	v_mul_i32_i24_e32 v5, v2, v65
	v_mul_i32_i24_e32 v6, v47, v48
	s_delay_alu instid0(VALU_DEP_3)
	v_add3_u32 v3, v3, v7, v42
	v_mul_i32_i24_e32 v7, v81, v36
	v_mul_i32_i24_e32 v42, v83, v31
	v_mul_i32_i24_e32 v36, v102, v55
	v_mul_i32_i24_e32 v31, v103, v54
	v_add3_u32 v3, v3, v5, v6
	v_mul_i32_i24_e32 v5, v112, v69
	v_mul_i32_i24_e32 v6, v113, v70
	s_clause 0x1
	scratch_load_b32 v69, off, off offset:8
	scratch_load_b32 v70, off, off offset:12
	v_add3_u32 v3, v3, v7, v42
	v_mul_i32_i24_e32 v7, v116, v73
	v_mad_i32_i24 v5, v123, v68, v5
	v_mul_i32_i24_e32 v42, v110, v74
	s_delay_alu instid0(VALU_DEP_4)
	v_mul_lo_u32 v3, v3, v67
	scratch_load_b32 v67, off, off          ; 4-byte Folded Reload
	v_add3_u32 v5, v5, v6, v7
	v_mul_i32_i24_e32 v6, v0, v71
	v_mul_i32_i24_e32 v7, v1, v72
	s_clause 0x1
	scratch_load_b32 v71, off, off offset:16
	scratch_load_b32 v72, off, off offset:20
	v_add3_u32 v5, v5, v6, v7
	v_mul_i32_i24_e32 v6, v24, v76
	v_mul_i32_i24_e32 v7, v99, v78
	s_delay_alu instid0(VALU_DEP_3) | instskip(SKIP_2) | instid1(VALU_DEP_3)
	v_add3_u32 v5, v5, v42, v45
	v_mul_i32_i24_e32 v42, v109, v79
	v_mul_i32_i24_e32 v45, v114, v119
	v_add3_u32 v5, v5, v6, v7
	v_mul_i32_i24_e32 v6, v96, v82
	v_mul_i32_i24_e32 v7, v97, v120
	s_delay_alu instid0(VALU_DEP_3) | instskip(SKIP_2) | instid1(VALU_DEP_3)
	v_add3_u32 v5, v5, v42, v45
	v_mul_i32_i24_e32 v42, v98, v121
	v_mul_i32_i24_e32 v45, v117, v122
	v_add3_u32 v5, v5, v6, v7
	v_mul_i32_i24_e32 v6, v95, v231
	v_mul_i32_i24_e32 v7, v91, v229
	s_delay_alu instid0(VALU_DEP_3) | instskip(SKIP_1) | instid1(VALU_DEP_1)
	v_add3_u32 v42, v5, v42, v45
	v_mul_i32_i24_e32 v5, v104, v192
	v_mad_i32_i24 v5, v80, v28, v5
	s_delay_alu instid0(VALU_DEP_1) | instskip(SKIP_1) | instid1(VALU_DEP_2)
	v_add3_u32 v5, v5, v36, v31
	v_mul_i32_i24_e32 v31, v92, v233
	v_add3_u32 v5, v5, v37, v44
	v_mad_u64_u32 v[36:37], null, v42, v39, v[3:4]
	v_mul_i32_i24_e32 v37, v102, v216
	s_delay_alu instid0(VALU_DEP_3) | instskip(SKIP_3) | instid1(VALU_DEP_4)
	v_add3_u32 v5, v5, v41, v40
	v_mul_i32_i24_e32 v41, v104, v155
	v_mul_i32_i24_e32 v40, v103, v35
	v_cvt_f32_i32_e32 v3, v36
	v_cvt_f32_i32_e32 v5, v5
	v_mul_i32_i24_e32 v36, v111, v248
	v_mad_i32_i24 v41, v80, v179, v41
	s_delay_alu instid0(VALU_DEP_3) | instskip(NEXT) | instid1(VALU_DEP_2)
	v_mul_f32_e32 v5, v218, v5
	v_add3_u32 v37, v41, v37, v40
	s_delay_alu instid0(VALU_DEP_2) | instskip(SKIP_1) | instid1(VALU_DEP_2)
	v_fma_mix_f32 v3, v183, v3, -v5 op_sel_hi:[1,0,0]
	v_mul_i32_i24_e32 v5, v94, v225
	v_fmac_f32_e32 v9, v4, v3
	v_mul_i32_i24_e32 v3, v93, v224
	s_delay_alu instid0(VALU_DEP_1) | instskip(NEXT) | instid1(VALU_DEP_1)
	v_mad_i32_i24 v3, v88, v75, v3
	v_add3_u32 v3, v3, v5, v6
	v_mul_i32_i24_e32 v5, v89, v228
	v_mul_i32_i24_e32 v6, v90, v227
	s_delay_alu instid0(VALU_DEP_1) | instskip(SKIP_2) | instid1(VALU_DEP_3)
	v_add3_u32 v3, v3, v5, v6
	v_mul_i32_i24_e32 v5, v84, v230
	v_mul_i32_i24_e32 v6, v85, v232
	v_add3_u32 v3, v3, v7, v31
	v_mul_i32_i24_e32 v7, v86, v235
	v_mul_i32_i24_e32 v31, v87, v237
	s_delay_alu instid0(VALU_DEP_3) | instskip(SKIP_2) | instid1(VALU_DEP_3)
	v_add3_u32 v3, v3, v5, v6
	v_mul_i32_i24_e32 v5, v2, v234
	v_mul_i32_i24_e32 v6, v47, v236
	v_add3_u32 v3, v3, v7, v31
	v_mul_i32_i24_e32 v7, v81, v238
	v_mul_i32_i24_e32 v31, v83, v226
	s_delay_alu instid0(VALU_DEP_3) | instskip(SKIP_2) | instid1(VALU_DEP_3)
	v_add3_u32 v3, v3, v5, v6
	v_mul_i32_i24_e32 v5, v112, v241
	v_mul_i32_i24_e32 v6, v113, v242
	v_add3_u32 v3, v3, v7, v31
	v_mul_i32_i24_e32 v7, v116, v245
	s_delay_alu instid0(VALU_DEP_4) | instskip(SKIP_1) | instid1(VALU_DEP_4)
	v_mad_i32_i24 v5, v123, v240, v5
	v_mul_i32_i24_e32 v31, v110, v246
	v_mul_lo_u32 v3, v3, v239
	s_delay_alu instid0(VALU_DEP_3) | instskip(SKIP_2) | instid1(VALU_DEP_1)
	v_add3_u32 v5, v5, v6, v7
	v_mul_i32_i24_e32 v6, v0, v243
	v_mul_i32_i24_e32 v7, v1, v244
	v_add3_u32 v5, v5, v6, v7
	v_mul_i32_i24_e32 v6, v24, v247
	v_mul_i32_i24_e32 v7, v99, v249
	s_delay_alu instid0(VALU_DEP_3) | instskip(SKIP_2) | instid1(VALU_DEP_3)
	v_add3_u32 v5, v5, v31, v36
	v_mul_i32_i24_e32 v31, v109, v250
	v_mul_i32_i24_e32 v36, v114, v252
	v_add3_u32 v5, v5, v6, v7
	v_mul_i32_i24_e32 v6, v96, v251
	v_mul_i32_i24_e32 v7, v97, v253
	s_delay_alu instid0(VALU_DEP_3) | instskip(SKIP_2) | instid1(VALU_DEP_3)
	v_add3_u32 v5, v5, v31, v36
	v_mul_i32_i24_e32 v31, v98, v254
	v_mul_i32_i24_e32 v36, v117, v255
	v_add3_u32 v5, v5, v6, v7
	v_mul_i32_i24_e32 v6, v115, v223
	v_mul_i32_i24_e32 v7, v118, v221
	s_delay_alu instid0(VALU_DEP_3) | instskip(SKIP_2) | instid1(VALU_DEP_2)
	v_add3_u32 v5, v5, v31, v36
	v_mul_i32_i24_e32 v36, v101, v219
	v_mul_i32_i24_e32 v31, v100, v56
	v_add3_u32 v6, v37, v36, v6
	s_delay_alu instid0(VALU_DEP_4) | instskip(SKIP_1) | instid1(VALU_DEP_3)
	v_mad_u64_u32 v[36:37], null, v5, v22, v[3:4]
	v_mul_i32_i24_e32 v37, v104, v132
	v_add3_u32 v6, v6, v7, v31
	v_mul_i32_i24_e32 v7, v91, v194
	s_clause 0x1
	scratch_load_b32 v194, off, off offset:48
	scratch_load_b32 v68, off, off offset:4
	v_cvt_f32_i32_e32 v3, v36
	v_cvt_f32_i32_e32 v5, v6
	v_mul_i32_i24_e32 v6, v95, v197
	v_mul_i32_i24_e32 v31, v102, v27
	;; [unrolled: 1-line block ×3, first 2 shown]
	v_mad_i32_i24 v37, v80, v154, v37
	v_mul_f32_e32 v5, v181, v5
	scratch_load_b32 v21, off, off offset:52 ; 4-byte Folded Reload
	v_add3_u32 v31, v37, v31, v36
	v_fma_mix_f32 v3, v139, v3, -v5 op_sel_hi:[1,0,0]
	v_mul_i32_i24_e32 v5, v94, v193
	s_waitcnt vmcnt(7)
	s_delay_alu instid0(VALU_DEP_2) | instskip(SKIP_1) | instid1(VALU_DEP_1)
	v_fmac_f32_e32 v69, v4, v3
	v_mul_i32_i24_e32 v3, v93, v189
	v_mad_i32_i24 v3, v88, v188, v3
	s_delay_alu instid0(VALU_DEP_1) | instskip(SKIP_2) | instid1(VALU_DEP_1)
	v_add3_u32 v3, v3, v5, v6
	v_mul_i32_i24_e32 v5, v89, v26
	v_mul_i32_i24_e32 v6, v90, v191
	v_add3_u32 v3, v3, v5, v6
	v_mul_i32_i24_e32 v5, v84, v196
	v_mul_i32_i24_e32 v6, v85, v198
	s_delay_alu instid0(VALU_DEP_3) | instskip(SKIP_2) | instid1(VALU_DEP_3)
	v_add3_u32 v3, v3, v7, v23
	v_mul_i32_i24_e32 v7, v86, v200
	v_mul_i32_i24_e32 v23, v87, v202
	v_add3_u32 v3, v3, v5, v6
	v_mul_i32_i24_e32 v5, v2, v199
	v_mul_i32_i24_e32 v6, v47, v201
	v_mul_i32_i24_e32 v2, v2, v171
	s_delay_alu instid0(VALU_DEP_4) | instskip(SKIP_2) | instid1(VALU_DEP_3)
	v_add3_u32 v3, v3, v7, v23
	v_mul_i32_i24_e32 v7, v81, v203
	v_mul_i32_i24_e32 v23, v83, v204
	v_add3_u32 v3, v3, v5, v6
	v_mul_i32_i24_e32 v5, v112, v30
	v_mul_i32_i24_e32 v6, v113, v213
	s_delay_alu instid0(VALU_DEP_3) | instskip(SKIP_1) | instid1(VALU_DEP_4)
	v_add3_u32 v3, v3, v7, v23
	v_mul_i32_i24_e32 v7, v116, v148
	v_mad_i32_i24 v5, v123, v210, v5
	v_mul_i32_i24_e32 v23, v110, v149
	s_delay_alu instid0(VALU_DEP_4) | instskip(NEXT) | instid1(VALU_DEP_3)
	v_mul_lo_u32 v3, v3, v209
	v_add3_u32 v5, v5, v6, v7
	v_mul_i32_i24_e32 v6, v0, v18
	v_mul_i32_i24_e32 v7, v1, v212
	;; [unrolled: 1-line block ×4, first 2 shown]
	s_delay_alu instid0(VALU_DEP_3) | instskip(SKIP_2) | instid1(VALU_DEP_3)
	v_add3_u32 v5, v5, v6, v7
	v_mul_i32_i24_e32 v6, v24, v147
	v_mul_i32_i24_e32 v7, v99, v146
	v_add3_u32 v5, v5, v23, v29
	v_mul_i32_i24_e32 v23, v109, v53
	v_mul_i32_i24_e32 v29, v114, v50
	s_delay_alu instid0(VALU_DEP_3) | instskip(SKIP_2) | instid1(VALU_DEP_3)
	v_add3_u32 v5, v5, v6, v7
	v_mul_i32_i24_e32 v6, v96, v133
	v_mul_i32_i24_e32 v7, v97, v52
	v_add3_u32 v5, v5, v23, v29
	v_mul_i32_i24_e32 v23, v98, v49
	v_mul_i32_i24_e32 v29, v117, v46
	;; [unrolled: 7-line block ×3, first 2 shown]
	s_delay_alu instid0(VALU_DEP_3) | instskip(NEXT) | instid1(VALU_DEP_3)
	v_mad_u64_u32 v[36:37], null, v5, v136, v[3:4]
	v_add3_u32 v6, v31, v29, v6
	scratch_load_b32 v136, off, off offset:28 ; 4-byte Folded Reload
	v_mul_i32_i24_e32 v29, v102, v159
	v_mul_i32_i24_e32 v31, v103, v156
	v_add3_u32 v6, v6, v7, v23
	v_cvt_f32_i32_e32 v3, v36
	v_mul_i32_i24_e32 v7, v91, v168
	v_mul_i32_i24_e32 v23, v92, v150
	scratch_load_b32 v150, off, off offset:40 ; 4-byte Folded Reload
	v_cvt_f32_i32_e32 v5, v6
	v_mul_i32_i24_e32 v6, v95, v166
	s_delay_alu instid0(VALU_DEP_2) | instskip(NEXT) | instid1(VALU_DEP_1)
	v_mul_f32_e32 v5, v157, v5
	v_fma_mix_f32 v3, v131, v3, -v5 op_sel_hi:[1,0,0]
	v_mul_i32_i24_e32 v5, v94, v162
	s_waitcnt vmcnt(3)
	s_delay_alu instid0(VALU_DEP_2) | instskip(SKIP_1) | instid1(VALU_DEP_1)
	v_fmac_f32_e32 v68, v4, v3
	v_mul_i32_i24_e32 v3, v93, v208
	v_mad_i32_i24 v3, v88, v158, v3
	s_delay_alu instid0(VALU_DEP_1) | instskip(SKIP_2) | instid1(VALU_DEP_1)
	v_add3_u32 v3, v3, v5, v6
	v_mul_i32_i24_e32 v5, v89, v163
	v_mul_i32_i24_e32 v6, v90, v164
	v_add3_u32 v3, v3, v5, v6
	v_mul_i32_i24_e32 v5, v84, v170
	v_mul_i32_i24_e32 v6, v85, v152
	s_delay_alu instid0(VALU_DEP_3) | instskip(SKIP_2) | instid1(VALU_DEP_3)
	v_add3_u32 v3, v3, v7, v23
	v_mul_i32_i24_e32 v7, v86, v173
	v_mul_i32_i24_e32 v23, v87, v175
	v_add3_u32 v3, v3, v5, v6
	v_mul_i32_i24_e32 v5, v47, v174
	v_mul_i32_i24_e32 v6, v81, v176
	s_delay_alu instid0(VALU_DEP_3) | instskip(SKIP_2) | instid1(VALU_DEP_3)
	v_add3_u32 v3, v3, v7, v23
	v_mul_i32_i24_e32 v7, v83, v177
	v_mul_i32_i24_e32 v23, v115, v172
	v_add3_u32 v2, v3, v2, v5
	v_mul_i32_i24_e32 v5, v113, v205
	s_delay_alu instid0(VALU_DEP_2) | instskip(SKIP_1) | instid1(VALU_DEP_2)
	v_add3_u32 v2, v2, v6, v7
	v_mul_i32_i24_e32 v6, v116, v145
	v_mul_lo_u32 v3, v2, v214
	v_mul_i32_i24_e32 v2, v112, v186
	s_delay_alu instid0(VALU_DEP_1)
	v_mad_i32_i24 v2, v123, v25, v2
	s_clause 0x1
	scratch_load_b32 v25, off, off offset:60
	scratch_load_b32 v152, off, off offset:44
	v_add3_u32 v2, v2, v5, v6
	v_mul_i32_i24_e32 v5, v110, v144
	v_mul_i32_i24_e32 v6, v111, v143
	s_delay_alu instid0(VALU_DEP_3) | instskip(SKIP_3) | instid1(VALU_DEP_4)
	v_add3_u32 v0, v2, v0, v1
	v_mul_i32_i24_e32 v1, v24, v169
	v_mul_i32_i24_e32 v2, v99, v142
	v_mul_i32_i24_e32 v24, v101, v138
	v_add3_u32 v0, v0, v5, v6
	v_mul_i32_i24_e32 v5, v109, v141
	scratch_load_b32 v141, off, off offset:36 ; 4-byte Folded Reload
	v_mul_i32_i24_e32 v6, v114, v137
	v_add3_u32 v0, v0, v1, v2
	v_mul_i32_i24_e32 v1, v96, v140
	scratch_load_b32 v140, off, off offset:32 ; 4-byte Folded Reload
	v_mul_i32_i24_e32 v2, v97, v135
	scratch_load_b32 v135, off, off offset:24 ; 4-byte Folded Reload
	v_add3_u32 v0, v0, v5, v6
	v_mul_i32_i24_e32 v5, v98, v134
	v_mul_i32_i24_e32 v6, v117, v129
	s_delay_alu instid0(VALU_DEP_3) | instskip(SKIP_2) | instid1(VALU_DEP_3)
	v_add3_u32 v0, v0, v1, v2
	v_mul_i32_i24_e32 v1, v118, v14
	v_mul_i32_i24_e32 v2, v100, v160
	v_add3_u32 v0, v0, v5, v6
	v_mul_i32_i24_e32 v5, v104, v130
	s_delay_alu instid0(VALU_DEP_1) | instskip(NEXT) | instid1(VALU_DEP_1)
	v_mad_i32_i24 v5, v80, v153, v5
	v_add3_u32 v29, v5, v29, v31
	s_delay_alu instid0(VALU_DEP_1) | instskip(SKIP_1) | instid1(VALU_DEP_2)
	v_add3_u32 v5, v29, v24, v23
	v_mad_u64_u32 v[23:24], null, v0, v12, v[3:4]
	v_add3_u32 v1, v5, v1, v2
	s_delay_alu instid0(VALU_DEP_2) | instskip(NEXT) | instid1(VALU_DEP_2)
	v_cvt_f32_i32_e32 v0, v23
	v_cvt_f32_i32_e32 v1, v1
	s_delay_alu instid0(VALU_DEP_1) | instskip(NEXT) | instid1(VALU_DEP_1)
	v_mul_f32_e32 v1, v8, v1
	v_fma_mix_f32 v0, v126, v0, -v1 op_sel_hi:[1,0,0]
	s_delay_alu instid0(VALU_DEP_1)
	v_fmac_f32_e32 v67, v4, v0
	s_cbranch_scc1 .LBB167_10
; %bb.11:                               ;   in Loop: Header=BB167_8 Depth=2
	scratch_load_b32 v0, off, off offset:100 ; 4-byte Folded Reload
	s_waitcnt vmcnt(0)
	s_waitcnt_vscnt null, 0x0
	s_barrier
	buffer_gl0_inv
	v_dual_mov_b32 v181, v184 :: v_dual_mov_b32 v198, v195
	v_mov_b32_e32 v210, v211
	v_mov_b32_e32 v214, v32
	v_dual_mov_b32 v32, v33 :: v_dual_mov_b32 v33, v34
	v_dual_mov_b32 v34, v215 :: v_dual_mov_b32 v221, v25
	v_mov_b32_e32 v216, v38
	v_mov_b32_e32 v38, v217
	v_dual_mov_b32 v218, v43 :: v_dual_mov_b32 v43, v66
	v_mov_b32_e32 v238, v21
	s_add_i32 s14, s14, 2
	scratch_load_b64 v[52:53], off, off offset:104 ; 8-byte Folded Reload
	v_mov_b32_e32 v105, v10
	s_lshl_b32 s17, s14, 3
	v_mov_b32_e32 v177, v15
	v_dual_mov_b32 v15, v16 :: v_dual_mov_b32 v16, v17
	v_mov_b32_e32 v82, v9
	v_mov_b32_e32 v10, v11
	;; [unrolled: 1-line block ×4, first 2 shown]
	v_dual_mov_b32 v160, v161 :: v_dual_mov_b32 v17, v178
	v_mov_b32_e32 v179, v19
	v_dual_mov_b32 v19, v20 :: v_dual_mov_b32 v22, v185
	v_dual_mov_b32 v20, v180 :: v_dual_mov_b32 v189, v190
	v_lshl_add_u32 v0, s16, 5, v0
	s_delay_alu instid0(VALU_DEP_1) | instskip(NEXT) | instid1(VALU_DEP_1)
	v_lshrrev_b32_e32 v0, 3, v0
	v_add_nc_u32_e32 v4, s12, v0
	scratch_load_b32 v0, off, off offset:96 ; 4-byte Folded Reload
	s_waitcnt vmcnt(0)
	v_lshl_add_u32 v5, s16, 2, v0
	scratch_load_b32 v0, off, off offset:116 ; 4-byte Folded Reload
	s_mov_b32 s16, 0
	v_mad_u64_u32 v[44:45], null, v5, 36, s[2:3]
	scratch_load_b32 v5, off, off offset:172 ; 4-byte Folded Reload
	s_waitcnt vmcnt(1)
	v_add_nc_u32_e32 v2, v4, v0
	scratch_load_b32 v0, off, off offset:124 ; 4-byte Folded Reload
	s_waitcnt vmcnt(0)
	v_add_nc_u32_e32 v6, v4, v0
	;; [unrolled: 3-line block ×3, first 2 shown]
	scratch_load_b32 v0, off, off offset:140 ; 4-byte Folded Reload
	v_mad_i64_i32 v[23:24], null, v7, 36, v[52:53]
	scratch_load_b32 v7, off, off offset:164 ; 4-byte Folded Reload
	s_waitcnt vmcnt(1)
	v_add_nc_u32_e32 v29, v4, v0
	scratch_load_b32 v0, off, off offset:148 ; 4-byte Folded Reload
	v_mad_i64_i32 v[36:37], null, v29, 36, v[52:53]
	s_waitcnt vmcnt(1)
	v_add_nc_u32_e32 v7, v4, v7
	s_delay_alu instid0(VALU_DEP_1)
	v_mad_i64_i32 v[48:49], null, v7, 36, v[52:53]
	s_waitcnt vmcnt(0)
	v_add_nc_u32_e32 v31, v4, v0
	v_mad_i64_i32 v[0:1], null, v2, 36, v[52:53]
	v_mad_i64_i32 v[2:3], null, v6, 36, v[52:53]
	scratch_load_b32 v6, off, off offset:156 ; 4-byte Folded Reload
	v_mad_i64_i32 v[40:41], null, v31, 36, v[52:53]
	s_waitcnt vmcnt(0)
	v_add_nc_u32_e32 v6, v4, v6
	v_add_nc_u32_e32 v4, v4, v5
	s_delay_alu instid0(VALU_DEP_2) | instskip(NEXT) | instid1(VALU_DEP_2)
	v_mad_i64_i32 v[46:47], null, v6, 36, v[52:53]
	v_mad_i64_i32 v[50:51], null, v4, 36, v[52:53]
	s_clause 0x8
	global_load_b32 v4, v[44:45], off
	global_load_b32 v2, v[2:3], off offset:4
	global_load_b32 v3, v[23:24], off offset:4
	;; [unrolled: 1-line block ×8, first 2 shown]
	s_clause 0x1
	scratch_load_b32 v124, off, off offset:184
	scratch_load_b32 v125, off, off offset:180
	s_waitcnt vmcnt(10)
	v_cvt_f32_f16_e32 v1, v4
	scratch_load_b32 v4, off, off offset:128 ; 4-byte Folded Reload
	s_waitcnt vmcnt(0)
	ds_store_b32 v4, v2
	scratch_load_b32 v2, off, off offset:136 ; 4-byte Folded Reload
	s_waitcnt vmcnt(0)
	ds_store_b32 v2, v3
	;; [unrolled: 3-line block ×9, first 2 shown]
	s_waitcnt lgkmcnt(0)
	s_barrier
	buffer_gl0_inv
.LBB167_12:                             ;   Parent Loop BB167_6 Depth=1
                                        ;     Parent Loop BB167_8 Depth=2
                                        ; =>    This Inner Loop Header: Depth=3
	s_clause 0x4
	scratch_store_b32 off, v105, off offset:52
	scratch_store_b32 off, v82, off offset:48
	;; [unrolled: 1-line block ×4, first 2 shown]
	scratch_store_b32 off, v67, off
	ds_load_2addr_b32 v[3:4], v125 offset1:32
	ds_load_b128 v[44:47], v124
	ds_load_b128 v[48:51], v124 offset:16
	s_add_i32 s18, s13, s16
	v_add_nc_u32_e32 v116, s16, v71
	s_add_i32 s20, s18, 8
	s_and_b32 s18, s15, -16
	s_and_b32 s19, s20, 0x3ffffff8
	s_lshr_b32 s20, s20, 2
	s_lshl_b32 s19, s19, 2
	s_and_b32 s20, s20, 0x3ffffffc
	s_add_i32 s15, s15, 2
	s_waitcnt lgkmcnt(1)
	v_ashrrev_i32_e32 v85, 24, v44
	v_ashrrev_i32_e32 v89, 24, v45
	v_bfe_i32 v7, v44, 16, 8
	v_bfe_i32 v88, v45, 16, 8
	v_ashrrev_i32_e32 v93, 24, v46
	v_ashrrev_i32_e32 v97, 24, v47
	v_add_nc_u32_e32 v23, v89, v85
	v_bfe_i32 v6, v44, 8, 8
	v_bfe_i32 v87, v45, 8, 8
	;; [unrolled: 1-line block ×4, first 2 shown]
	v_add3_u32 v80, v23, v93, v97
	v_add_nc_u32_e32 v23, v88, v7
	v_bfe_i32 v5, v44, 0, 8
	v_bfe_i32 v86, v45, 0, 8
	;; [unrolled: 1-line block ×4, first 2 shown]
	v_add3_u32 v113, v23, v92, v96
	v_add_nc_u32_e32 v23, v87, v6
	v_bfe_i32 v90, v46, 0, 8
	v_bfe_i32 v94, v47, 0, 8
	s_waitcnt lgkmcnt(0)
	v_bfe_i32 v0, v49, 0, 8
	v_bfe_i32 v102, v49, 8, 8
	v_add3_u32 v114, v23, v91, v95
	v_add_nc_u32_e32 v23, v86, v5
	v_bfe_i32 v103, v49, 16, 8
	v_ashrrev_i32_e32 v104, 24, v49
	v_bfe_i32 v98, v48, 0, 8
	v_bfe_i32 v99, v48, 8, 8
	v_add3_u32 v115, v23, v90, v94
	v_add_nc_u32_e32 v23, s19, v70
	v_bfe_i32 v100, v48, 16, 8
	v_ashrrev_i32_e32 v101, 24, v48
	v_bfe_i32 v105, v50, 0, 8
	v_bfe_i32 v106, v50, 8, 8
	ds_load_2addr_b32 v[36:37], v23 offset1:1
	v_bfe_i32 v107, v50, 16, 8
	v_ashrrev_i32_e32 v108, 24, v50
	v_bfe_i32 v109, v51, 0, 8
	v_bfe_i32 v110, v51, 8, 8
	;; [unrolled: 1-line block ×3, first 2 shown]
	v_ashrrev_i32_e32 v112, 24, v51
	v_add_nc_u32_e32 v1, v104, v101
	s_delay_alu instid0(VALU_DEP_1) | instskip(SKIP_1) | instid1(VALU_DEP_1)
	v_add3_u32 v2, v1, v108, v112
	v_add_nc_u32_e32 v1, v103, v100
	v_add3_u32 v24, v1, v107, v111
	v_add_nc_u32_e32 v1, v102, v99
	s_waitcnt lgkmcnt(0)
	v_ashrrev_i32_e32 v29, s16, v36
	v_ashrrev_i32_e32 v31, s16, v37
	ds_load_2addr_b32 v[36:37], v23 offset0:2 offset1:3
	v_add3_u32 v47, v1, v106, v110
	v_and_b32_e32 v64, 3, v29
	v_bfe_u32 v61, v29, 8, 2
	v_and_b32_e32 v69, 3, v31
	v_bfe_u32 v66, v29, 16, 2
	v_bfe_u32 v71, v31, 8, 2
	;; [unrolled: 1-line block ×3, first 2 shown]
	v_mul_i32_i24_e32 v44, v61, v6
	v_bfe_u32 v76, v31, 24, 2
	v_mul_i32_i24_e32 v48, v66, v7
	v_mul_i32_i24_e32 v50, v71, v87
	v_mul_i32_i24_e32 v51, v73, v88
	v_add_nc_u32_e32 v1, v0, v98
	v_mul_i32_i24_e32 v31, v76, v89
	s_delay_alu instid0(VALU_DEP_2)
	v_add3_u32 v1, v1, v105, v109
	s_waitcnt lgkmcnt(0)
	v_ashrrev_i32_e32 v40, s16, v36
	v_ashrrev_i32_e32 v41, s16, v37
	ds_load_2addr_b32 v[36:37], v23 offset0:4 offset1:5
	v_and_b32_e32 v74, 3, v40
	v_and_b32_e32 v79, 3, v41
	v_bfe_u32 v77, v40, 8, 2
	v_bfe_u32 v78, v40, 16, 2
	;; [unrolled: 1-line block ×3, first 2 shown]
	v_mul_i32_i24_e32 v52, v74, v90
	v_mul_i32_i24_e32 v58, v79, v94
	;; [unrolled: 1-line block ×4, first 2 shown]
	v_bfe_u32 v119, v41, 8, 2
	v_mul_i32_i24_e32 v40, v82, v93
	v_bfe_u32 v120, v41, 16, 2
	v_bfe_u32 v121, v41, 24, 2
	s_delay_alu instid0(VALU_DEP_4) | instskip(NEXT) | instid1(VALU_DEP_3)
	v_mul_i32_i24_e32 v59, v119, v95
	v_mul_i32_i24_e32 v60, v120, v96
	s_waitcnt lgkmcnt(0)
	v_ashrrev_i32_e32 v42, s16, v36
	v_ashrrev_i32_e32 v45, s16, v37
	ds_load_2addr_b32 v[36:37], v23 offset0:6 offset1:7
	scratch_load_b32 v23, off, off offset:92 ; 4-byte Folded Reload
	v_mul_i32_i24_e32 v41, v121, v97
	s_waitcnt lgkmcnt(0)
	v_ashrrev_i32_e32 v46, s16, v36
	v_add_nc_u32_e32 v36, s20, v72
	v_ashrrev_i32_e32 v49, s16, v37
	v_bfe_u32 v72, v29, 24, 2
	s_delay_alu instid0(VALU_DEP_4) | instskip(NEXT) | instid1(VALU_DEP_3)
	v_bfe_u32 v65, v46, 24, 2
	v_and_b32_e32 v62, 3, v49
	s_delay_alu instid0(VALU_DEP_3) | instskip(SKIP_4) | instid1(VALU_DEP_4)
	v_mul_i32_i24_e32 v29, v72, v85
	v_bfe_u32 v67, v49, 8, 2
	v_bfe_u32 v68, v49, 16, 2
	;; [unrolled: 1-line block ×3, first 2 shown]
	v_mul_i32_i24_e32 v127, v62, v109
	v_mul_i32_i24_e32 v128, v67, v110
	s_delay_alu instid0(VALU_DEP_4) | instskip(NEXT) | instid1(VALU_DEP_4)
	v_mul_i32_i24_e32 v129, v68, v111
	v_mul_i32_i24_e32 v49, v70, v112
	s_waitcnt vmcnt(0)
	v_add3_u32 v23, v23, s18, v116
	ds_load_b32 v182, v36
	ds_load_u16 v23, v23
	s_waitcnt lgkmcnt(0)
	v_bfe_u32 v195, v23, 4, 4
	v_lshrrev_b16 v36, 8, v23
	v_and_b32_e32 v122, 15, v23
	s_delay_alu instid0(VALU_DEP_3) | instskip(NEXT) | instid1(VALU_DEP_1)
	v_mul_lo_u32 v37, 0x1010101, v195
	v_bfe_i32 v54, v37, 8, 8
	v_bfe_i32 v55, v37, 16, 8
	v_lshrrev_b32_e32 v201, 24, v37
	v_mul_i32_i24_e32 v37, v64, v5
	s_delay_alu instid0(VALU_DEP_1) | instskip(NEXT) | instid1(VALU_DEP_1)
	v_mad_i32_i24 v37, v69, v86, v37
	v_add3_u32 v37, v37, v52, v44
	v_bfe_u32 v44, v45, 16, 2
	s_delay_alu instid0(VALU_DEP_2) | instskip(SKIP_2) | instid1(VALU_DEP_4)
	v_add3_u32 v29, v37, v48, v29
	v_bfe_u32 v48, v45, 24, 2
	v_bfe_u32 v37, v42, 16, 2
	v_mul_i32_i24_e32 v84, v44, v103
	s_delay_alu instid0(VALU_DEP_4) | instskip(NEXT) | instid1(VALU_DEP_4)
	v_add3_u32 v29, v29, v58, v50
	v_mul_i32_i24_e32 v117, v48, v104
	s_delay_alu instid0(VALU_DEP_2) | instskip(SKIP_1) | instid1(VALU_DEP_2)
	v_add3_u32 v29, v29, v51, v31
	v_bfe_u32 v51, v46, 8, 2
	v_add3_u32 v29, v29, v53, v57
	v_mul_i32_i24_e32 v53, v37, v100
	v_bfe_u32 v57, v46, 16, 2
	s_delay_alu instid0(VALU_DEP_4) | instskip(NEXT) | instid1(VALU_DEP_4)
	v_mul_i32_i24_e32 v123, v51, v106
	v_add3_u32 v29, v29, v40, v59
	v_and_b32_e32 v40, 3, v45
	s_delay_alu instid0(VALU_DEP_4) | instskip(NEXT) | instid1(VALU_DEP_3)
	v_mul_i32_i24_e32 v126, v57, v107
	v_add3_u32 v29, v29, v60, v41
	v_bfe_u32 v41, v45, 8, 2
	v_and_b32_e32 v45, 3, v46
	v_mul_i32_i24_e32 v46, v65, v108
	s_delay_alu instid0(VALU_DEP_4) | instskip(SKIP_4) | instid1(VALU_DEP_4)
	v_mul_lo_u32 v23, v29, v122
	v_and_b32_e32 v29, 0xffff, v36
	v_and_b32_e32 v36, 3, v42
	v_mul_i32_i24_e32 v118, v45, v105
	v_mul_i32_i24_e32 v83, v41, v102
	v_lshrrev_b32_e32 v58, 4, v29
	s_delay_alu instid0(VALU_DEP_4) | instskip(SKIP_1) | instid1(VALU_DEP_3)
	v_mul_i32_i24_e32 v50, v36, v98
	v_and_b32_e32 v223, 15, v29
	v_mul_lo_u32 v31, 0x1010101, v58
	s_delay_alu instid0(VALU_DEP_3) | instskip(NEXT) | instid1(VALU_DEP_2)
	v_mad_i32_i24 v50, v40, v0, v50
	v_bfe_i32 v59, v31, 8, 8
	v_bfe_i32 v60, v31, 16, 8
	v_lshrrev_b32_e32 v63, 24, v31
	v_bfe_u32 v31, v42, 8, 2
	v_bfe_u32 v42, v42, 24, 2
	s_delay_alu instid0(VALU_DEP_2) | instskip(NEXT) | instid1(VALU_DEP_2)
	v_mul_i32_i24_e32 v52, v31, v99
	v_mul_i32_i24_e32 v81, v42, v101
	s_delay_alu instid0(VALU_DEP_2) | instskip(SKIP_1) | instid1(VALU_DEP_2)
	v_add3_u32 v50, v50, v118, v52
	v_mul_i32_i24_e32 v52, v47, v59
	v_add3_u32 v50, v50, v53, v81
	v_mul_i32_i24_e32 v53, v80, v201
	v_mul_i32_i24_e32 v81, v113, v55
	s_delay_alu instid0(VALU_DEP_3) | instskip(SKIP_1) | instid1(VALU_DEP_2)
	v_add3_u32 v50, v50, v127, v83
	v_mul_i32_i24_e32 v83, v114, v54
	v_add3_u32 v50, v50, v84, v117
	v_mul_i32_i24_e32 v84, v195, v115
	s_delay_alu instid0(VALU_DEP_2) | instskip(NEXT) | instid1(VALU_DEP_2)
	v_add3_u32 v50, v50, v123, v126
	v_mad_i32_i24 v84, v58, v1, v84
	s_delay_alu instid0(VALU_DEP_2) | instskip(NEXT) | instid1(VALU_DEP_2)
	v_add3_u32 v46, v50, v46, v128
	v_add3_u32 v53, v84, v53, v81
	v_mul_i32_i24_e32 v50, v24, v60
	s_delay_alu instid0(VALU_DEP_3) | instskip(SKIP_1) | instid1(VALU_DEP_1)
	v_add3_u32 v46, v46, v129, v49
	v_mul_i32_i24_e32 v49, v2, v63
	v_add3_u32 v49, v53, v83, v49
	s_delay_alu instid0(VALU_DEP_1) | instskip(NEXT) | instid1(VALU_DEP_4)
	v_add3_u32 v52, v49, v50, v52
	v_mad_u64_u32 v[49:50], null, v46, v223, v[23:24]
	v_lshrrev_b32_e32 v23, 16, v182
	s_delay_alu instid0(VALU_DEP_3) | instskip(NEXT) | instid1(VALU_DEP_2)
	v_cvt_f32_i32_e32 v29, v52
	v_cvt_f32_f16_e64 v224, v23
	s_delay_alu instid0(VALU_DEP_4) | instskip(NEXT) | instid1(VALU_DEP_2)
	v_cvt_f32_i32_e32 v23, v49
	v_mul_f32_e32 v29, v224, v29
	s_delay_alu instid0(VALU_DEP_1) | instskip(NEXT) | instid1(VALU_DEP_1)
	v_fma_mix_f32 v23, v182, v23, -v29 op_sel_hi:[1,0,0]
	v_fmac_f32_e32 v194, v3, v23
	v_add_nc_u32_e32 v23, s19, v135
	ds_load_2addr_b32 v[49:50], v23 offset1:1
	s_waitcnt lgkmcnt(0)
	v_ashrrev_i32_e32 v29, s16, v49
	v_ashrrev_i32_e32 v46, s16, v50
	ds_load_2addr_b32 v[49:50], v23 offset0:2 offset1:3
	v_and_b32_e32 v230, 3, v29
	v_bfe_u32 v228, v29, 8, 2
	v_and_b32_e32 v232, 3, v46
	v_bfe_u32 v231, v29, 16, 2
	v_bfe_u32 v234, v29, 24, 2
	;; [unrolled: 1-line block ×3, first 2 shown]
	v_mul_i32_i24_e32 v118, v228, v6
	v_bfe_u32 v235, v46, 16, 2
	v_mul_i32_i24_e32 v123, v231, v7
	v_mul_i32_i24_e32 v29, v234, v85
	;; [unrolled: 1-line block ×3, first 2 shown]
	v_bfe_u32 v237, v46, 24, 2
	v_mul_i32_i24_e32 v127, v235, v88
	s_delay_alu instid0(VALU_DEP_2)
	v_mul_i32_i24_e32 v46, v237, v89
	s_waitcnt lgkmcnt(0)
	v_ashrrev_i32_e32 v52, s16, v49
	v_ashrrev_i32_e32 v53, s16, v50
	ds_load_2addr_b32 v[49:50], v23 offset0:4 offset1:5
	v_and_b32_e32 v236, 3, v52
	v_and_b32_e32 v241, 3, v53
	v_bfe_u32 v239, v52, 8, 2
	v_bfe_u32 v240, v52, 16, 2
	;; [unrolled: 1-line block ×3, first 2 shown]
	v_mul_i32_i24_e32 v128, v236, v90
	v_mul_i32_i24_e32 v131, v241, v94
	;; [unrolled: 1-line block ×4, first 2 shown]
	v_bfe_u32 v243, v53, 8, 2
	v_mul_i32_i24_e32 v52, v242, v93
	v_bfe_u32 v244, v53, 16, 2
	v_bfe_u32 v245, v53, 24, 2
	s_delay_alu instid0(VALU_DEP_4) | instskip(NEXT) | instid1(VALU_DEP_3)
	v_mul_i32_i24_e32 v132, v243, v95
	v_mul_i32_i24_e32 v133, v244, v96
	s_waitcnt lgkmcnt(0)
	v_ashrrev_i32_e32 v83, s16, v49
	v_ashrrev_i32_e32 v84, s16, v50
	ds_load_2addr_b32 v[49:50], v23 offset0:6 offset1:7
	scratch_load_b32 v23, off, off offset:88 ; 4-byte Folded Reload
	v_mul_i32_i24_e32 v53, v245, v97
	v_and_b32_e32 v248, 3, v83
	v_bfe_u32 v247, v83, 8, 2
	v_and_b32_e32 v250, 3, v84
	v_bfe_u32 v249, v83, 16, 2
	v_bfe_u32 v252, v83, 24, 2
	;; [unrolled: 1-line block ×5, first 2 shown]
	s_delay_alu instid0(VALU_DEP_4) | instskip(NEXT) | instid1(VALU_DEP_2)
	v_mul_i32_i24_e32 v83, v252, v101
	v_mul_i32_i24_e32 v84, v255, v104
	s_waitcnt lgkmcnt(0)
	v_ashrrev_i32_e32 v117, s16, v50
	v_add_nc_u32_e32 v50, s20, v136
	v_ashrrev_i32_e32 v49, s16, v49
	s_delay_alu instid0(VALU_DEP_1)
	v_and_b32_e32 v254, 3, v49
	s_waitcnt vmcnt(0)
	v_add3_u32 v23, v23, s18, v116
	ds_load_b32 v138, v50
	ds_load_u16 v23, v23
	s_waitcnt lgkmcnt(0)
	v_bfe_u32 v151, v23, 4, 4
	v_lshrrev_b16 v50, 8, v23
	v_and_b32_e32 v246, 15, v23
	s_delay_alu instid0(VALU_DEP_3) | instskip(NEXT) | instid1(VALU_DEP_1)
	v_mul_lo_u32 v81, 0x1010101, v151
	v_bfe_i32 v222, v81, 8, 8
	v_bfe_i32 v75, v81, 16, 8
	v_lshrrev_b32_e32 v157, 24, v81
	v_mul_i32_i24_e32 v81, v230, v5
	s_delay_alu instid0(VALU_DEP_1) | instskip(NEXT) | instid1(VALU_DEP_1)
	v_mad_i32_i24 v81, v232, v86, v81
	v_add3_u32 v81, v81, v128, v118
	v_and_b32_e32 v118, 0xffff, v50
	v_mul_i32_i24_e32 v128, v251, v102
	v_bfe_u32 v50, v117, 8, 2
	s_delay_alu instid0(VALU_DEP_4) | instskip(SKIP_2) | instid1(VALU_DEP_4)
	v_add3_u32 v29, v81, v123, v29
	v_mul_i32_i24_e32 v123, v248, v98
	v_lshrrev_b32_e32 v226, 4, v118
	v_mul_i32_i24_e32 v135, v50, v110
	v_and_b32_e32 v180, 15, v118
	v_add3_u32 v29, v29, v131, v126
	v_mul_i32_i24_e32 v126, v247, v99
	v_mad_i32_i24 v123, v250, v0, v123
	v_mul_lo_u32 v23, 0x1010101, v226
	s_delay_alu instid0(VALU_DEP_4) | instskip(SKIP_2) | instid1(VALU_DEP_3)
	v_add3_u32 v29, v29, v127, v46
	v_mul_i32_i24_e32 v127, v249, v100
	v_and_b32_e32 v46, 3, v117
	v_add3_u32 v29, v29, v129, v130
	v_mul_i32_i24_e32 v130, v254, v105
	s_delay_alu instid0(VALU_DEP_3)
	v_mul_i32_i24_e32 v134, v46, v109
	v_bfe_i32 v225, v23, 8, 8
	v_bfe_i32 v227, v23, 16, 8
	v_add3_u32 v29, v29, v52, v132
	v_add3_u32 v123, v123, v130, v126
	v_lshrrev_b32_e32 v229, 24, v23
	v_mul_i32_i24_e32 v129, v253, v103
	v_bfe_u32 v23, v49, 8, 2
	v_add3_u32 v29, v29, v133, v53
	v_add3_u32 v83, v123, v127, v83
	v_bfe_u32 v52, v117, 16, 2
	v_bfe_u32 v53, v117, 24, 2
	v_mul_i32_i24_e32 v131, v23, v106
	v_mul_lo_u32 v81, v29, v246
	v_bfe_u32 v29, v49, 16, 2
	v_add3_u32 v83, v83, v134, v128
	v_bfe_u32 v49, v49, 24, 2
	v_mul_i32_i24_e32 v136, v52, v111
	v_mul_i32_i24_e32 v117, v53, v112
	v_mul_i32_i24_e32 v132, v29, v107
	v_add3_u32 v83, v83, v129, v84
	v_mul_i32_i24_e32 v133, v49, v108
	v_mul_i32_i24_e32 v129, v151, v115
	;; [unrolled: 1-line block ×4, first 2 shown]
	v_add3_u32 v83, v83, v131, v132
	v_mul_i32_i24_e32 v128, v114, v222
	v_mad_i32_i24 v129, v226, v1, v129
	v_mul_i32_i24_e32 v84, v24, v227
	v_mul_i32_i24_e32 v123, v47, v225
	v_add3_u32 v83, v83, v133, v135
	s_delay_alu instid0(VALU_DEP_4) | instskip(SKIP_1) | instid1(VALU_DEP_3)
	v_add3_u32 v126, v129, v126, v127
	v_add_nc_u32_e32 v129, s20, v141
	v_add3_u32 v117, v83, v136, v117
	v_mul_i32_i24_e32 v83, v2, v229
	s_delay_alu instid0(VALU_DEP_1) | instskip(NEXT) | instid1(VALU_DEP_1)
	v_add3_u32 v83, v126, v128, v83
	v_add3_u32 v123, v83, v84, v123
	s_delay_alu instid0(VALU_DEP_4) | instskip(SKIP_1) | instid1(VALU_DEP_1)
	v_mad_u64_u32 v[83:84], null, v117, v180, v[81:82]
	v_lshrrev_b32_e32 v81, 16, v138
	v_cvt_f32_f16_e32 v21, v81
	s_delay_alu instid0(VALU_DEP_3) | instskip(SKIP_1) | instid1(VALU_DEP_1)
	v_cvt_f32_i32_e32 v81, v83
	v_cvt_f32_i32_e32 v83, v123
	v_mul_f32_e32 v83, v21, v83
	s_delay_alu instid0(VALU_DEP_1) | instskip(NEXT) | instid1(VALU_DEP_1)
	v_fma_mix_f32 v81, v138, v81, -v83 op_sel_hi:[1,0,0]
	v_dual_fmac_f32 v238, v3, v81 :: v_dual_add_nc_u32 v81, s19, v140
	ds_load_2addr_b32 v[83:84], v81 offset1:1
	s_waitcnt lgkmcnt(0)
	v_ashrrev_i32_e32 v117, s16, v83
	v_ashrrev_i32_e32 v118, s16, v84
	ds_load_2addr_b32 v[83:84], v81 offset0:2 offset1:3
	v_and_b32_e32 v187, 3, v117
	v_bfe_u32 v25, v117, 8, 2
	v_and_b32_e32 v190, 3, v118
	v_bfe_u32 v188, v117, 16, 2
	v_bfe_u32 v192, v117, 24, 2
	;; [unrolled: 1-line block ×3, first 2 shown]
	v_mul_i32_i24_e32 v134, v25, v6
	v_bfe_u32 v191, v118, 16, 2
	v_mul_i32_i24_e32 v135, v188, v7
	v_mul_i32_i24_e32 v117, v192, v85
	;; [unrolled: 1-line block ×3, first 2 shown]
	v_bfe_u32 v27, v118, 24, 2
	v_mul_i32_i24_e32 v137, v191, v88
	s_delay_alu instid0(VALU_DEP_2)
	v_mul_i32_i24_e32 v118, v27, v89
	s_waitcnt lgkmcnt(0)
	v_ashrrev_i32_e32 v123, s16, v83
	v_ashrrev_i32_e32 v126, s16, v84
	ds_load_2addr_b32 v[83:84], v81 offset0:4 offset1:5
	v_and_b32_e32 v193, 3, v123
	v_and_b32_e32 v28, 3, v126
	v_bfe_u32 v196, v123, 8, 2
	v_bfe_u32 v197, v123, 16, 2
	;; [unrolled: 1-line block ×3, first 2 shown]
	v_mul_i32_i24_e32 v139, v193, v90
	v_mul_i32_i24_e32 v142, v28, v94
	;; [unrolled: 1-line block ×4, first 2 shown]
	v_bfe_u32 v200, v126, 8, 2
	v_mul_i32_i24_e32 v123, v199, v93
	v_bfe_u32 v202, v126, 16, 2
	v_bfe_u32 v203, v126, 24, 2
	s_delay_alu instid0(VALU_DEP_4) | instskip(NEXT) | instid1(VALU_DEP_3)
	v_mul_i32_i24_e32 v143, v200, v95
	v_mul_i32_i24_e32 v144, v202, v96
	s_waitcnt lgkmcnt(0)
	v_ashrrev_i32_e32 v127, s16, v83
	v_ashrrev_i32_e32 v128, s16, v84
	ds_load_2addr_b32 v[83:84], v81 offset0:6 offset1:7
	scratch_load_b32 v81, off, off offset:84 ; 4-byte Folded Reload
	v_mul_i32_i24_e32 v126, v203, v97
	v_and_b32_e32 v206, 3, v127
	v_bfe_u32 v205, v127, 8, 2
	v_and_b32_e32 v208, 3, v128
	v_bfe_u32 v207, v127, 16, 2
	v_bfe_u32 v211, v127, 24, 2
	;; [unrolled: 1-line block ×5, first 2 shown]
	s_delay_alu instid0(VALU_DEP_4) | instskip(NEXT) | instid1(VALU_DEP_2)
	v_mul_i32_i24_e32 v127, v211, v101
	v_mul_i32_i24_e32 v128, v213, v104
	s_waitcnt lgkmcnt(0)
	v_ashrrev_i32_e32 v83, s16, v83
	v_ashrrev_i32_e32 v84, s16, v84
	s_delay_alu instid0(VALU_DEP_2) | instskip(NEXT) | instid1(VALU_DEP_2)
	v_and_b32_e32 v212, 3, v83
	v_and_b32_e32 v217, 3, v84
	v_bfe_u32 v215, v83, 8, 2
	v_bfe_u32 v35, v83, 16, 2
	;; [unrolled: 1-line block ×6, first 2 shown]
	s_delay_alu instid0(VALU_DEP_4) | instskip(NEXT) | instid1(VALU_DEP_2)
	v_mul_i32_i24_e32 v83, v39, v108
	v_mul_i32_i24_e32 v84, v56, v112
	s_waitcnt vmcnt(0)
	v_add3_u32 v81, v81, s18, v116
	ds_load_b32 v131, v129
	ds_load_u16 v81, v81
	s_waitcnt lgkmcnt(0)
	v_bfe_u32 v132, v81, 4, 4
	v_lshrrev_b16 v129, 8, v81
	v_and_b32_e32 v204, 15, v81
	s_delay_alu instid0(VALU_DEP_3) | instskip(NEXT) | instid1(VALU_DEP_1)
	v_mul_lo_u32 v130, 0x1010101, v132
	v_bfe_i32 v178, v130, 8, 8
	v_bfe_i32 v18, v130, 16, 8
	v_lshrrev_b32_e32 v133, 24, v130
	v_mul_i32_i24_e32 v130, v187, v5
	s_delay_alu instid0(VALU_DEP_1) | instskip(NEXT) | instid1(VALU_DEP_1)
	v_mad_i32_i24 v130, v190, v86, v130
	v_add3_u32 v130, v130, v139, v134
	v_mul_i32_i24_e32 v134, v212, v105
	v_mul_i32_i24_e32 v139, v219, v110
	s_delay_alu instid0(VALU_DEP_3) | instskip(SKIP_2) | instid1(VALU_DEP_3)
	v_add3_u32 v117, v130, v135, v117
	v_mul_i32_i24_e32 v130, v30, v103
	v_mul_i32_i24_e32 v135, v215, v106
	v_add3_u32 v117, v117, v142, v136
	v_mul_i32_i24_e32 v136, v35, v107
	s_delay_alu instid0(VALU_DEP_2) | instskip(SKIP_1) | instid1(VALU_DEP_2)
	v_add3_u32 v117, v117, v137, v118
	v_mul_i32_i24_e32 v137, v217, v109
	v_add3_u32 v117, v117, v140, v141
	v_mul_i32_i24_e32 v140, v220, v111
	s_delay_alu instid0(VALU_DEP_2) | instskip(SKIP_1) | instid1(VALU_DEP_2)
	v_add3_u32 v117, v117, v123, v143
	v_mul_i32_i24_e32 v123, v205, v99
	v_add3_u32 v117, v117, v144, v126
	v_mul_i32_i24_e32 v126, v207, v100
	s_delay_alu instid0(VALU_DEP_2) | instskip(SKIP_2) | instid1(VALU_DEP_2)
	v_mul_lo_u32 v81, v117, v204
	v_and_b32_e32 v117, 0xffff, v129
	v_mul_i32_i24_e32 v129, v209, v102
	v_lshrrev_b32_e32 v183, 4, v117
	s_delay_alu instid0(VALU_DEP_1) | instskip(NEXT) | instid1(VALU_DEP_1)
	v_mul_lo_u32 v118, 0x1010101, v183
	v_bfe_i32 v184, v118, 8, 8
	v_bfe_i32 v185, v118, 16, 8
	v_lshrrev_b32_e32 v186, 24, v118
	v_mul_i32_i24_e32 v118, v206, v98
	s_delay_alu instid0(VALU_DEP_1) | instskip(NEXT) | instid1(VALU_DEP_1)
	v_mad_i32_i24 v118, v208, v0, v118
	v_add3_u32 v118, v118, v134, v123
	v_mul_i32_i24_e32 v123, v47, v184
	s_delay_alu instid0(VALU_DEP_2) | instskip(SKIP_2) | instid1(VALU_DEP_3)
	v_add3_u32 v118, v118, v126, v127
	v_mul_i32_i24_e32 v126, v80, v133
	v_mul_i32_i24_e32 v127, v113, v18
	v_add3_u32 v118, v118, v137, v129
	v_mul_i32_i24_e32 v129, v132, v115
	s_delay_alu instid0(VALU_DEP_2) | instskip(NEXT) | instid1(VALU_DEP_2)
	v_add3_u32 v118, v118, v130, v128
	v_mad_i32_i24 v129, v183, v1, v129
	v_mul_i32_i24_e32 v128, v114, v178
	s_delay_alu instid0(VALU_DEP_3) | instskip(NEXT) | instid1(VALU_DEP_3)
	v_add3_u32 v118, v118, v135, v136
	v_add3_u32 v126, v129, v126, v127
	v_and_b32_e32 v136, 15, v117
	s_delay_alu instid0(VALU_DEP_3) | instskip(NEXT) | instid1(VALU_DEP_1)
	v_add3_u32 v83, v118, v83, v139
	v_add3_u32 v118, v83, v140, v84
	v_mul_i32_i24_e32 v83, v2, v186
	v_mul_i32_i24_e32 v84, v24, v185
	s_delay_alu instid0(VALU_DEP_2) | instskip(NEXT) | instid1(VALU_DEP_1)
	v_add3_u32 v83, v126, v128, v83
	v_add3_u32 v123, v83, v84, v123
	v_mad_u64_u32 v[83:84], null, v118, v136, v[81:82]
	v_lshrrev_b32_e32 v81, 16, v131
	s_delay_alu instid0(VALU_DEP_1) | instskip(NEXT) | instid1(VALU_DEP_3)
	v_cvt_f32_f16_e64 v137, v81
	v_cvt_f32_i32_e32 v81, v83
	v_cvt_f32_i32_e32 v83, v123
	s_delay_alu instid0(VALU_DEP_1) | instskip(NEXT) | instid1(VALU_DEP_1)
	v_mul_f32_e32 v83, v137, v83
	v_fma_mix_f32 v81, v131, v81, -v83 op_sel_hi:[1,0,0]
	s_delay_alu instid0(VALU_DEP_1)
	v_fmac_f32_e32 v221, v3, v81
	v_add_nc_u32_e32 v81, s19, v150
	ds_load_2addr_b32 v[83:84], v81 offset1:1
	s_waitcnt lgkmcnt(0)
	v_ashrrev_i32_e32 v117, s16, v83
	v_ashrrev_i32_e32 v118, s16, v84
	ds_load_2addr_b32 v[83:84], v81 offset0:2 offset1:3
	v_and_b32_e32 v144, 3, v117
	v_bfe_u32 v142, v117, 8, 2
	v_and_b32_e32 v146, 3, v118
	v_bfe_u32 v145, v117, 16, 2
	v_bfe_u32 v148, v117, 24, 2
	v_mul_i32_i24_e32 v5, v144, v5
	v_mul_i32_i24_e32 v6, v142, v6
	v_bfe_u32 v147, v118, 8, 2
	v_mul_i32_i24_e32 v7, v145, v7
	v_mul_i32_i24_e32 v85, v148, v85
	v_mad_i32_i24 v5, v146, v86, v5
	v_bfe_u32 v149, v118, 16, 2
	v_mul_i32_i24_e32 v87, v147, v87
	s_delay_alu instid0(VALU_DEP_2)
	v_mul_i32_i24_e32 v88, v149, v88
	s_waitcnt lgkmcnt(0)
	v_ashrrev_i32_e32 v123, s16, v83
	v_ashrrev_i32_e32 v127, s16, v84
	ds_load_2addr_b32 v[83:84], v81 offset0:4 offset1:5
	v_and_b32_e32 v150, 3, v123
	v_and_b32_e32 v155, 3, v127
	v_bfe_u32 v12, v123, 8, 2
	v_bfe_u32 v153, v123, 16, 2
	;; [unrolled: 1-line block ×3, first 2 shown]
	v_mul_i32_i24_e32 v90, v150, v90
	v_mul_i32_i24_e32 v94, v155, v94
	;; [unrolled: 1-line block ×4, first 2 shown]
	v_bfe_u32 v156, v127, 8, 2
	v_add3_u32 v5, v5, v90, v6
	v_mul_i32_i24_e32 v93, v154, v93
	v_bfe_u32 v158, v127, 16, 2
	v_bfe_u32 v159, v127, 24, 2
	v_mul_i32_i24_e32 v95, v156, v95
	v_add3_u32 v5, v5, v7, v85
	s_waitcnt lgkmcnt(0)
	v_ashrrev_i32_e32 v128, s16, v83
	v_ashrrev_i32_e32 v169, s16, v84
	ds_load_2addr_b32 v[83:84], v81 offset0:6 offset1:7
	scratch_load_b32 v81, off, off offset:80 ; 4-byte Folded Reload
	v_add3_u32 v5, v5, v94, v87
	v_mul_i32_i24_e32 v96, v158, v96
	v_mul_i32_i24_e32 v97, v159, v97
	v_and_b32_e32 v162, 3, v128
	v_bfe_u32 v13, v128, 8, 2
	v_and_b32_e32 v165, 3, v169
	v_bfe_u32 v164, v169, 8, 2
	v_bfe_u32 v14, v169, 16, 2
	;; [unrolled: 1-line block ×3, first 2 shown]
	v_mul_i32_i24_e32 v7, v13, v99
	v_bfe_u32 v163, v128, 16, 2
	v_bfe_u32 v167, v128, 24, 2
	v_mul_i32_i24_e32 v87, v164, v102
	s_delay_alu instid0(VALU_DEP_3) | instskip(NEXT) | instid1(VALU_DEP_3)
	v_mul_i32_i24_e32 v85, v163, v100
	v_mul_i32_i24_e32 v86, v167, v101
	s_waitcnt lgkmcnt(0)
	v_ashrrev_i32_e32 v83, s16, v83
	v_ashrrev_i32_e32 v84, s16, v84
	s_add_i32 s16, s16, 2
	s_delay_alu instid0(VALU_DEP_2) | instskip(NEXT) | instid1(VALU_DEP_2)
	v_and_b32_e32 v169, 3, v83
	v_and_b32_e32 v172, 3, v84
	v_bfe_u32 v170, v83, 8, 2
	v_bfe_u32 v171, v83, 16, 2
	;; [unrolled: 1-line block ×3, first 2 shown]
	v_mul_i32_i24_e32 v90, v169, v105
	v_bfe_u32 v174, v84, 8, 2
	v_bfe_u32 v175, v84, 16, 2
	;; [unrolled: 1-line block ×3, first 2 shown]
	v_mul_i32_i24_e32 v83, v173, v108
	s_delay_alu instid0(VALU_DEP_4) | instskip(NEXT) | instid1(VALU_DEP_3)
	v_mul_i32_i24_e32 v94, v174, v110
	v_mul_i32_i24_e32 v84, v176, v112
	s_waitcnt vmcnt(0)
	v_add3_u32 v81, v81, s18, v116
	v_add_nc_u32_e32 v116, s20, v152
	v_bfe_u32 v152, v118, 24, 2
	ds_load_b32 v126, v116
	ds_load_u16 v81, v81
	v_mul_i32_i24_e32 v89, v152, v89
	s_add_i32 s18, s13, s16
	s_delay_alu instid0(SALU_CYCLE_1) | instskip(NEXT) | instid1(VALU_DEP_1)
	s_add_i32 s18, s18, 8
	v_add3_u32 v5, v5, v88, v89
	v_mul_i32_i24_e32 v88, v14, v103
	v_mul_i32_i24_e32 v89, v168, v104
	s_cmp_lt_u32 s18, s17
	s_delay_alu instid0(VALU_DEP_3) | instskip(SKIP_2) | instid1(VALU_DEP_3)
	v_add3_u32 v5, v5, v91, v92
	v_mul_i32_i24_e32 v91, v170, v106
	v_mul_i32_i24_e32 v92, v171, v107
	v_add3_u32 v5, v5, v93, v95
	v_mul_i32_i24_e32 v93, v172, v109
	v_mul_i32_i24_e32 v95, v175, v111
	s_waitcnt lgkmcnt(0)
	v_lshrrev_b16 v116, 8, v81
	v_add3_u32 v5, v5, v96, v97
	v_and_b32_e32 v161, 15, v81
	v_bfe_u32 v130, v81, 4, 4
	s_delay_alu instid0(VALU_DEP_2) | instskip(SKIP_1) | instid1(VALU_DEP_3)
	v_mul_lo_u32 v81, v5, v161
	v_and_b32_e32 v5, 0xffff, v116
	v_mul_lo_u32 v129, 0x1010101, v130
	s_delay_alu instid0(VALU_DEP_2) | instskip(SKIP_1) | instid1(VALU_DEP_3)
	v_lshrrev_b32_e32 v139, 4, v5
	v_and_b32_e32 v9, 15, v5
	v_bfe_i32 v134, v129, 8, 8
	s_delay_alu instid0(VALU_DEP_3) | instskip(SKIP_2) | instid1(VALU_DEP_3)
	v_mul_lo_u32 v6, 0x1010101, v139
	v_bfe_i32 v135, v129, 16, 8
	v_lshrrev_b32_e32 v129, 24, v129
	v_bfe_i32 v140, v6, 8, 8
	v_bfe_i32 v141, v6, 16, 8
	v_lshrrev_b32_e32 v143, 24, v6
	v_mul_i32_i24_e32 v6, v162, v98
	s_delay_alu instid0(VALU_DEP_1) | instskip(NEXT) | instid1(VALU_DEP_1)
	v_mad_i32_i24 v0, v165, v0, v6
	v_add3_u32 v0, v0, v90, v7
	v_mul_i32_i24_e32 v7, v47, v140
	v_mul_i32_i24_e32 v47, v113, v135
	s_delay_alu instid0(VALU_DEP_3) | instskip(NEXT) | instid1(VALU_DEP_1)
	v_add3_u32 v0, v0, v85, v86
	v_add3_u32 v0, v0, v93, v87
	s_delay_alu instid0(VALU_DEP_1) | instskip(NEXT) | instid1(VALU_DEP_1)
	v_add3_u32 v0, v0, v88, v89
	v_add3_u32 v0, v0, v91, v92
	s_delay_alu instid0(VALU_DEP_1) | instskip(SKIP_1) | instid1(VALU_DEP_2)
	v_add3_u32 v0, v0, v83, v94
	v_mul_i32_i24_e32 v83, v130, v115
	v_add3_u32 v6, v0, v95, v84
	v_mul_i32_i24_e32 v0, v2, v143
	v_mul_i32_i24_e32 v2, v24, v141
	;; [unrolled: 1-line block ×3, first 2 shown]
	v_mad_i32_i24 v1, v139, v1, v83
	v_mul_i32_i24_e32 v80, v114, v134
	s_delay_alu instid0(VALU_DEP_2) | instskip(NEXT) | instid1(VALU_DEP_1)
	v_add3_u32 v1, v1, v24, v47
	v_add3_u32 v0, v1, v80, v0
	s_delay_alu instid0(VALU_DEP_1) | instskip(SKIP_2) | instid1(VALU_DEP_1)
	v_add3_u32 v2, v0, v2, v7
	v_mad_u64_u32 v[0:1], null, v6, v9, v[81:82]
	v_lshrrev_b32_e32 v1, 16, v126
	v_cvt_f32_f16_e32 v8, v1
	s_delay_alu instid0(VALU_DEP_4) | instskip(NEXT) | instid1(VALU_DEP_4)
	v_cvt_f32_i32_e32 v1, v2
	v_cvt_f32_i32_e32 v0, v0
	s_delay_alu instid0(VALU_DEP_2) | instskip(NEXT) | instid1(VALU_DEP_1)
	v_mul_f32_e32 v1, v8, v1
	v_fma_mix_f32 v0, v126, v0, -v1 op_sel_hi:[1,0,0]
	s_delay_alu instid0(VALU_DEP_1)
	v_fmac_f32_e32 v43, v3, v0
	ds_load_b128 v[0:3], v124 offset:1024
	s_waitcnt lgkmcnt(0)
	v_bfe_i32 v5, v0, 0, 8
	v_bfe_i32 v6, v0, 8, 8
	v_bfe_i32 v7, v0, 16, 8
	v_ashrrev_i32_e32 v24, 24, v0
	v_bfe_i32 v47, v1, 0, 8
	v_bfe_i32 v80, v1, 8, 8
	v_bfe_i32 v81, v1, 16, 8
	v_ashrrev_i32_e32 v83, 24, v1
	;; [unrolled: 4-line block ×4, first 2 shown]
	ds_load_b128 v[0:3], v124 offset:1040
	v_mul_i32_i24_e32 v115, v81, v73
	v_mul_i32_i24_e32 v116, v83, v76
	s_waitcnt lgkmcnt(0)
	v_ashrrev_i32_e32 v95, 24, v0
	v_ashrrev_i32_e32 v99, 24, v1
	v_bfe_i32 v92, v0, 0, 8
	v_bfe_i32 v93, v0, 8, 8
	;; [unrolled: 1-line block ×4, first 2 shown]
	v_ashrrev_i32_e32 v103, 24, v2
	v_bfe_i32 v104, v3, 0, 8
	v_bfe_i32 v105, v3, 8, 8
	;; [unrolled: 1-line block ×3, first 2 shown]
	v_ashrrev_i32_e32 v3, 24, v3
	v_add_nc_u32_e32 v0, v99, v95
	v_bfe_i32 v97, v1, 8, 8
	v_bfe_i32 v102, v2, 16, 8
	;; [unrolled: 1-line block ×4, first 2 shown]
	v_add3_u32 v107, v0, v103, v3
	v_add_nc_u32_e32 v0, v98, v94
	v_bfe_i32 v100, v2, 0, 8
	v_mul_i32_i24_e32 v1, v7, v66
	v_mul_i32_i24_e32 v2, v24, v72
	;; [unrolled: 1-line block ×3, first 2 shown]
	v_add3_u32 v108, v0, v102, v106
	v_add_nc_u32_e32 v0, v97, v93
	s_delay_alu instid0(VALU_DEP_1) | instskip(SKIP_1) | instid1(VALU_DEP_1)
	v_add3_u32 v109, v0, v101, v105
	v_add_nc_u32_e32 v0, v96, v92
	v_add3_u32 v110, v0, v100, v104
	v_add_nc_u32_e32 v0, v83, v24
	s_delay_alu instid0(VALU_DEP_1) | instskip(SKIP_1) | instid1(VALU_DEP_1)
	v_add3_u32 v111, v0, v87, v91
	v_add_nc_u32_e32 v0, v81, v7
	v_add3_u32 v112, v0, v86, v90
	v_add_nc_u32_e32 v0, v80, v6
	s_delay_alu instid0(VALU_DEP_2) | instskip(NEXT) | instid1(VALU_DEP_2)
	v_mul_i32_i24_e32 v118, v112, v55
	v_add3_u32 v113, v0, v85, v89
	v_add_nc_u32_e32 v0, v47, v5
	s_delay_alu instid0(VALU_DEP_2) | instskip(NEXT) | instid1(VALU_DEP_2)
	v_mul_i32_i24_e32 v123, v113, v54
	v_add3_u32 v114, v0, v84, v88
	v_mul_i32_i24_e32 v0, v5, v64
	s_delay_alu instid0(VALU_DEP_2) | instskip(NEXT) | instid1(VALU_DEP_2)
	v_mul_i32_i24_e32 v127, v114, v195
	v_mad_i32_i24 v0, v6, v61, v0
	s_delay_alu instid0(VALU_DEP_2) | instskip(NEXT) | instid1(VALU_DEP_2)
	v_mad_i32_i24 v127, v111, v201, v127
	v_add3_u32 v0, v0, v1, v2
	v_mul_i32_i24_e32 v1, v47, v69
	v_mul_i32_i24_e32 v2, v80, v71
	s_delay_alu instid0(VALU_DEP_4) | instskip(SKIP_2) | instid1(VALU_DEP_4)
	v_add3_u32 v118, v127, v118, v123
	v_mul_i32_i24_e32 v127, v114, v151
	v_mul_i32_i24_e32 v123, v113, v222
	v_add3_u32 v0, v0, v1, v2
	v_mul_i32_i24_e32 v1, v84, v74
	v_mul_i32_i24_e32 v2, v85, v77
	v_mad_i32_i24 v127, v111, v157, v127
	s_delay_alu instid0(VALU_DEP_4) | instskip(SKIP_2) | instid1(VALU_DEP_3)
	v_add3_u32 v0, v0, v115, v116
	v_mul_i32_i24_e32 v115, v86, v78
	v_mul_i32_i24_e32 v116, v87, v82
	v_add3_u32 v0, v0, v1, v2
	v_mul_i32_i24_e32 v1, v88, v79
	v_mul_i32_i24_e32 v2, v89, v119
	s_delay_alu instid0(VALU_DEP_3) | instskip(SKIP_2) | instid1(VALU_DEP_3)
	v_add3_u32 v0, v0, v115, v116
	v_mul_i32_i24_e32 v115, v90, v120
	v_mul_i32_i24_e32 v116, v91, v121
	v_add3_u32 v0, v0, v1, v2
	v_mul_i32_i24_e32 v1, v92, v36
	v_mul_i32_i24_e32 v2, v94, v37
	s_delay_alu instid0(VALU_DEP_3) | instskip(SKIP_1) | instid1(VALU_DEP_4)
	v_add3_u32 v0, v0, v115, v116
	v_mul_i32_i24_e32 v115, v95, v42
	v_mad_i32_i24 v1, v93, v31, v1
	v_mul_i32_i24_e32 v116, v98, v44
	s_delay_alu instid0(VALU_DEP_4) | instskip(NEXT) | instid1(VALU_DEP_3)
	v_mul_lo_u32 v0, v0, v122
	v_add3_u32 v1, v1, v2, v115
	v_mul_i32_i24_e32 v2, v96, v40
	v_mul_i32_i24_e32 v115, v97, v41
	s_delay_alu instid0(VALU_DEP_1) | instskip(SKIP_2) | instid1(VALU_DEP_3)
	v_add3_u32 v1, v1, v2, v115
	v_mul_i32_i24_e32 v2, v100, v45
	v_mul_i32_i24_e32 v115, v101, v51
	v_add3_u32 v1, v1, v116, v117
	v_mul_i32_i24_e32 v116, v102, v57
	v_mul_i32_i24_e32 v117, v103, v65
	s_delay_alu instid0(VALU_DEP_3) | instskip(SKIP_2) | instid1(VALU_DEP_3)
	v_add3_u32 v1, v1, v2, v115
	v_mul_i32_i24_e32 v2, v104, v62
	v_mul_i32_i24_e32 v115, v105, v67
	v_add3_u32 v1, v1, v116, v117
	v_mul_i32_i24_e32 v116, v106, v68
	v_mul_i32_i24_e32 v117, v3, v70
	s_delay_alu instid0(VALU_DEP_3) | instskip(SKIP_1) | instid1(VALU_DEP_2)
	v_add3_u32 v1, v1, v2, v115
	v_mul_i32_i24_e32 v2, v108, v60
	v_add3_u32 v115, v1, v116, v117
	v_mul_i32_i24_e32 v1, v107, v63
	v_mul_i32_i24_e32 v117, v110, v58
	;; [unrolled: 1-line block ×3, first 2 shown]
	s_delay_alu instid0(VALU_DEP_2) | instskip(SKIP_2) | instid1(VALU_DEP_3)
	v_add3_u32 v1, v118, v117, v1
	v_mul_i32_i24_e32 v117, v99, v255
	v_mul_i32_i24_e32 v118, v112, v75
	v_add3_u32 v116, v1, v2, v116
	v_mad_u64_u32 v[1:2], null, v115, v223, v[0:1]
	v_mul_i32_i24_e32 v2, v24, v234
	v_mul_i32_i24_e32 v115, v81, v235
	v_add3_u32 v118, v127, v118, v123
	v_mul_i32_i24_e32 v127, v114, v132
	v_mul_i32_i24_e32 v123, v113, v178
	v_cvt_f32_i32_e32 v0, v1
	v_cvt_f32_i32_e32 v1, v116
	v_mul_i32_i24_e32 v116, v83, v237
	v_mad_i32_i24 v127, v111, v133, v127
	s_delay_alu instid0(VALU_DEP_3) | instskip(NEXT) | instid1(VALU_DEP_1)
	v_mul_f32_e32 v1, v224, v1
	v_fma_mix_f32 v0, v182, v0, -v1 op_sel_hi:[1,0,0]
	v_mul_i32_i24_e32 v1, v7, v231
	s_delay_alu instid0(VALU_DEP_2) | instskip(SKIP_1) | instid1(VALU_DEP_1)
	v_fmac_f32_e32 v218, v4, v0
	v_mul_i32_i24_e32 v0, v5, v230
	v_mad_i32_i24 v0, v6, v228, v0
	s_delay_alu instid0(VALU_DEP_1) | instskip(SKIP_2) | instid1(VALU_DEP_1)
	v_add3_u32 v0, v0, v1, v2
	v_mul_i32_i24_e32 v1, v47, v232
	v_mul_i32_i24_e32 v2, v80, v233
	v_add3_u32 v0, v0, v1, v2
	v_mul_i32_i24_e32 v1, v84, v236
	v_mul_i32_i24_e32 v2, v85, v239
	s_delay_alu instid0(VALU_DEP_3) | instskip(SKIP_2) | instid1(VALU_DEP_3)
	v_add3_u32 v0, v0, v115, v116
	v_mul_i32_i24_e32 v115, v86, v240
	v_mul_i32_i24_e32 v116, v87, v242
	v_add3_u32 v0, v0, v1, v2
	v_mul_i32_i24_e32 v1, v88, v241
	v_mul_i32_i24_e32 v2, v89, v243
	s_delay_alu instid0(VALU_DEP_3) | instskip(SKIP_2) | instid1(VALU_DEP_3)
	v_add3_u32 v0, v0, v115, v116
	v_mul_i32_i24_e32 v115, v90, v244
	v_mul_i32_i24_e32 v116, v91, v245
	v_add3_u32 v0, v0, v1, v2
	v_mul_i32_i24_e32 v1, v92, v248
	v_mul_i32_i24_e32 v2, v94, v249
	s_delay_alu instid0(VALU_DEP_3) | instskip(SKIP_1) | instid1(VALU_DEP_4)
	v_add3_u32 v0, v0, v115, v116
	v_mul_i32_i24_e32 v115, v95, v252
	v_mad_i32_i24 v1, v93, v247, v1
	v_mul_i32_i24_e32 v116, v98, v253
	s_delay_alu instid0(VALU_DEP_4) | instskip(NEXT) | instid1(VALU_DEP_3)
	v_mul_lo_u32 v0, v0, v246
	v_add3_u32 v1, v1, v2, v115
	v_mul_i32_i24_e32 v2, v96, v250
	v_mul_i32_i24_e32 v115, v97, v251
	s_delay_alu instid0(VALU_DEP_1) | instskip(SKIP_2) | instid1(VALU_DEP_3)
	v_add3_u32 v1, v1, v2, v115
	v_mul_i32_i24_e32 v2, v100, v254
	v_mul_i32_i24_e32 v115, v101, v23
	v_add3_u32 v1, v1, v116, v117
	v_mul_i32_i24_e32 v116, v102, v29
	v_mul_i32_i24_e32 v117, v103, v49
	s_delay_alu instid0(VALU_DEP_3) | instskip(SKIP_2) | instid1(VALU_DEP_3)
	v_add3_u32 v1, v1, v2, v115
	v_mul_i32_i24_e32 v2, v104, v46
	v_mul_i32_i24_e32 v115, v105, v50
	v_add3_u32 v1, v1, v116, v117
	v_mul_i32_i24_e32 v116, v106, v52
	v_mul_i32_i24_e32 v117, v3, v53
	s_delay_alu instid0(VALU_DEP_3) | instskip(SKIP_1) | instid1(VALU_DEP_2)
	v_add3_u32 v1, v1, v2, v115
	v_mul_i32_i24_e32 v2, v108, v227
	v_add3_u32 v115, v1, v116, v117
	v_mul_i32_i24_e32 v1, v107, v229
	v_mul_i32_i24_e32 v117, v110, v226
	;; [unrolled: 1-line block ×3, first 2 shown]
	s_delay_alu instid0(VALU_DEP_2) | instskip(SKIP_2) | instid1(VALU_DEP_3)
	v_add3_u32 v1, v118, v117, v1
	v_mul_i32_i24_e32 v117, v99, v213
	v_mul_i32_i24_e32 v118, v112, v18
	v_add3_u32 v116, v1, v2, v116
	v_mad_u64_u32 v[1:2], null, v115, v180, v[0:1]
	v_mul_i32_i24_e32 v2, v24, v192
	v_mul_i32_i24_e32 v115, v81, v191
	v_add3_u32 v118, v127, v118, v123
	s_delay_alu instid0(VALU_DEP_4) | instskip(SKIP_2) | instid1(VALU_DEP_2)
	v_cvt_f32_i32_e32 v0, v1
	v_cvt_f32_i32_e32 v1, v116
	v_mul_i32_i24_e32 v116, v83, v27
	v_mul_f32_e32 v1, v21, v1
	s_delay_alu instid0(VALU_DEP_1) | instskip(SKIP_1) | instid1(VALU_DEP_2)
	v_fma_mix_f32 v0, v138, v0, -v1 op_sel_hi:[1,0,0]
	v_mul_i32_i24_e32 v1, v7, v188
	v_fmac_f32_e32 v38, v4, v0
	v_mul_i32_i24_e32 v0, v5, v187
	s_delay_alu instid0(VALU_DEP_1) | instskip(NEXT) | instid1(VALU_DEP_1)
	v_mad_i32_i24 v0, v6, v25, v0
	v_add3_u32 v0, v0, v1, v2
	v_mul_i32_i24_e32 v1, v47, v190
	v_mul_i32_i24_e32 v2, v80, v26
	s_delay_alu instid0(VALU_DEP_1) | instskip(SKIP_2) | instid1(VALU_DEP_3)
	v_add3_u32 v0, v0, v1, v2
	v_mul_i32_i24_e32 v1, v84, v193
	v_mul_i32_i24_e32 v2, v85, v196
	v_add3_u32 v0, v0, v115, v116
	v_mul_i32_i24_e32 v115, v86, v197
	v_mul_i32_i24_e32 v116, v87, v199
	s_delay_alu instid0(VALU_DEP_3) | instskip(SKIP_2) | instid1(VALU_DEP_3)
	v_add3_u32 v0, v0, v1, v2
	v_mul_i32_i24_e32 v1, v88, v28
	v_mul_i32_i24_e32 v2, v89, v200
	v_add3_u32 v0, v0, v115, v116
	v_mul_i32_i24_e32 v115, v90, v202
	v_mul_i32_i24_e32 v116, v91, v203
	s_delay_alu instid0(VALU_DEP_3) | instskip(SKIP_2) | instid1(VALU_DEP_3)
	v_add3_u32 v0, v0, v1, v2
	v_mul_i32_i24_e32 v1, v92, v206
	v_mul_i32_i24_e32 v2, v94, v207
	v_add3_u32 v0, v0, v115, v116
	v_mul_i32_i24_e32 v115, v95, v211
	s_delay_alu instid0(VALU_DEP_4) | instskip(SKIP_1) | instid1(VALU_DEP_4)
	v_mad_i32_i24 v1, v93, v205, v1
	v_mul_i32_i24_e32 v116, v98, v30
	v_mul_lo_u32 v0, v0, v204
	s_delay_alu instid0(VALU_DEP_3) | instskip(SKIP_2) | instid1(VALU_DEP_1)
	v_add3_u32 v1, v1, v2, v115
	v_mul_i32_i24_e32 v2, v96, v208
	v_mul_i32_i24_e32 v115, v97, v209
	v_add3_u32 v1, v1, v2, v115
	v_mul_i32_i24_e32 v2, v100, v212
	v_mul_i32_i24_e32 v115, v101, v215
	s_delay_alu instid0(VALU_DEP_3) | instskip(SKIP_2) | instid1(VALU_DEP_3)
	v_add3_u32 v1, v1, v116, v117
	v_mul_i32_i24_e32 v116, v102, v35
	v_mul_i32_i24_e32 v117, v103, v39
	v_add3_u32 v1, v1, v2, v115
	v_mul_i32_i24_e32 v2, v104, v217
	v_mul_i32_i24_e32 v115, v105, v219
	s_delay_alu instid0(VALU_DEP_3) | instskip(SKIP_3) | instid1(VALU_DEP_4)
	v_add3_u32 v1, v1, v116, v117
	v_mul_i32_i24_e32 v116, v106, v220
	v_mul_i32_i24_e32 v117, v3, v56
	;; [unrolled: 1-line block ×3, first 2 shown]
	v_add3_u32 v1, v1, v2, v115
	v_mul_i32_i24_e32 v2, v108, v185
	s_delay_alu instid0(VALU_DEP_2) | instskip(SKIP_3) | instid1(VALU_DEP_2)
	v_add3_u32 v115, v1, v116, v117
	v_mul_i32_i24_e32 v1, v107, v186
	v_mul_i32_i24_e32 v117, v110, v183
	;; [unrolled: 1-line block ×3, first 2 shown]
	v_add3_u32 v1, v118, v117, v1
	s_delay_alu instid0(VALU_DEP_1) | instskip(SKIP_3) | instid1(VALU_DEP_3)
	v_add3_u32 v116, v1, v2, v116
	v_mad_u64_u32 v[1:2], null, v115, v136, v[0:1]
	v_mul_i32_i24_e32 v2, v24, v148
	v_mul_i32_i24_e32 v24, v113, v134
	v_cvt_f32_i32_e32 v0, v1
	v_cvt_f32_i32_e32 v1, v116
	s_delay_alu instid0(VALU_DEP_1) | instskip(NEXT) | instid1(VALU_DEP_1)
	v_mul_f32_e32 v1, v137, v1
	v_fma_mix_f32 v0, v131, v0, -v1 op_sel_hi:[1,0,0]
	v_mul_i32_i24_e32 v1, v7, v145
	v_mul_i32_i24_e32 v7, v99, v168
	s_delay_alu instid0(VALU_DEP_3) | instskip(SKIP_2) | instid1(VALU_DEP_2)
	v_fmac_f32_e32 v216, v4, v0
	v_mul_i32_i24_e32 v0, v5, v144
	v_mul_i32_i24_e32 v5, v81, v149
	v_mad_i32_i24 v0, v6, v142, v0
	v_mul_i32_i24_e32 v6, v83, v152
	s_delay_alu instid0(VALU_DEP_2) | instskip(SKIP_3) | instid1(VALU_DEP_2)
	v_add3_u32 v0, v0, v1, v2
	v_mul_i32_i24_e32 v1, v47, v146
	v_mul_i32_i24_e32 v2, v80, v147
	;; [unrolled: 1-line block ×3, first 2 shown]
	v_add3_u32 v0, v0, v1, v2
	v_mul_i32_i24_e32 v1, v84, v150
	v_mul_i32_i24_e32 v2, v85, v12
	s_delay_alu instid0(VALU_DEP_4) | instskip(NEXT) | instid1(VALU_DEP_4)
	v_mad_i32_i24 v47, v111, v129, v47
	v_add3_u32 v0, v0, v5, v6
	v_mul_i32_i24_e32 v5, v86, v153
	v_mul_i32_i24_e32 v6, v87, v154
	s_delay_alu instid0(VALU_DEP_3) | instskip(SKIP_2) | instid1(VALU_DEP_3)
	v_add3_u32 v0, v0, v1, v2
	v_mul_i32_i24_e32 v1, v88, v155
	v_mul_i32_i24_e32 v2, v89, v156
	v_add3_u32 v0, v0, v5, v6
	v_mul_i32_i24_e32 v5, v90, v158
	v_mul_i32_i24_e32 v6, v91, v159
	s_delay_alu instid0(VALU_DEP_3) | instskip(SKIP_2) | instid1(VALU_DEP_3)
	v_add3_u32 v0, v0, v1, v2
	v_mul_i32_i24_e32 v1, v92, v162
	v_mul_i32_i24_e32 v2, v94, v163
	v_add3_u32 v0, v0, v5, v6
	v_mul_i32_i24_e32 v5, v95, v167
	s_delay_alu instid0(VALU_DEP_4) | instskip(SKIP_1) | instid1(VALU_DEP_4)
	v_mad_i32_i24 v1, v93, v13, v1
	v_mul_i32_i24_e32 v6, v98, v14
	v_mul_lo_u32 v0, v0, v161
	s_delay_alu instid0(VALU_DEP_3) | instskip(SKIP_2) | instid1(VALU_DEP_1)
	v_add3_u32 v1, v1, v2, v5
	v_mul_i32_i24_e32 v2, v96, v165
	v_mul_i32_i24_e32 v5, v97, v164
	v_add3_u32 v1, v1, v2, v5
	v_mul_i32_i24_e32 v2, v100, v169
	v_mul_i32_i24_e32 v5, v101, v170
	s_delay_alu instid0(VALU_DEP_3) | instskip(SKIP_2) | instid1(VALU_DEP_3)
	v_add3_u32 v1, v1, v6, v7
	v_mul_i32_i24_e32 v6, v102, v171
	v_mul_i32_i24_e32 v7, v103, v173
	v_add3_u32 v1, v1, v2, v5
	v_mul_i32_i24_e32 v2, v104, v172
	v_mul_i32_i24_e32 v5, v105, v174
	s_delay_alu instid0(VALU_DEP_3) | instskip(SKIP_2) | instid1(VALU_DEP_3)
	v_add3_u32 v1, v1, v6, v7
	v_mul_i32_i24_e32 v6, v106, v175
	v_mul_i32_i24_e32 v7, v112, v135
	v_add3_u32 v1, v1, v2, v5
	v_mul_i32_i24_e32 v2, v108, v141
	s_delay_alu instid0(VALU_DEP_3) | instskip(SKIP_1) | instid1(VALU_DEP_4)
	v_add3_u32 v7, v47, v7, v24
	v_mul_i32_i24_e32 v5, v109, v140
	v_add3_u32 v3, v1, v6, v3
	v_mul_i32_i24_e32 v1, v107, v143
	v_mul_i32_i24_e32 v6, v110, v139
	s_delay_alu instid0(VALU_DEP_1) | instskip(NEXT) | instid1(VALU_DEP_1)
	v_add3_u32 v1, v7, v6, v1
	v_add3_u32 v5, v1, v2, v5
	v_mad_u64_u32 v[1:2], null, v3, v9, v[0:1]
	s_delay_alu instid0(VALU_DEP_1) | instskip(NEXT) | instid1(VALU_DEP_3)
	v_cvt_f32_i32_e32 v0, v1
	v_cvt_f32_i32_e32 v1, v5
	s_delay_alu instid0(VALU_DEP_1) | instskip(NEXT) | instid1(VALU_DEP_1)
	v_mul_f32_e32 v1, v8, v1
	v_fma_mix_f32 v0, v126, v0, -v1 op_sel_hi:[1,0,0]
	s_delay_alu instid0(VALU_DEP_1)
	v_fmac_f32_e32 v34, v4, v0
	ds_load_2addr_b32 v[3:4], v125 offset0:64 offset1:96
	ds_load_b128 v[83:86], v124 offset:2048
	s_waitcnt lgkmcnt(0)
	v_bfe_i32 v5, v83, 0, 8
	v_bfe_i32 v6, v83, 8, 8
	v_bfe_i32 v7, v83, 16, 8
	v_ashrrev_i32_e32 v24, 24, v83
	v_bfe_i32 v47, v84, 0, 8
	v_bfe_i32 v80, v84, 8, 8
	v_bfe_i32 v81, v84, 16, 8
	v_ashrrev_i32_e32 v87, 24, v84
	;; [unrolled: 4-line block ×4, first 2 shown]
	ds_load_b128 v[83:86], v124 offset:2064
	v_mul_i32_i24_e32 v1, v7, v66
	v_mul_i32_i24_e32 v2, v24, v72
	;; [unrolled: 1-line block ×4, first 2 shown]
	s_waitcnt lgkmcnt(0)
	v_bfe_i32 v96, v83, 0, 8
	v_bfe_i32 v97, v83, 8, 8
	v_bfe_i32 v98, v83, 16, 8
	v_ashrrev_i32_e32 v83, 24, v83
	v_bfe_i32 v99, v84, 0, 8
	v_bfe_i32 v100, v84, 8, 8
	v_bfe_i32 v101, v84, 16, 8
	v_ashrrev_i32_e32 v84, 24, v84
	;; [unrolled: 4-line block ×4, first 2 shown]
	v_add_nc_u32_e32 v0, v84, v83
	v_mul_i32_i24_e32 v118, v84, v48
	s_delay_alu instid0(VALU_DEP_2) | instskip(SKIP_1) | instid1(VALU_DEP_1)
	v_add3_u32 v108, v0, v85, v86
	v_add_nc_u32_e32 v0, v101, v98
	v_add3_u32 v109, v0, v104, v107
	v_add_nc_u32_e32 v0, v100, v97
	s_delay_alu instid0(VALU_DEP_1) | instskip(SKIP_1) | instid1(VALU_DEP_1)
	v_add3_u32 v110, v0, v103, v106
	v_add_nc_u32_e32 v0, v99, v96
	v_add3_u32 v111, v0, v102, v105
	v_add_nc_u32_e32 v0, v87, v24
	s_delay_alu instid0(VALU_DEP_1) | instskip(SKIP_1) | instid1(VALU_DEP_1)
	v_add3_u32 v112, v0, v91, v95
	v_add_nc_u32_e32 v0, v81, v7
	v_add3_u32 v113, v0, v90, v94
	v_add_nc_u32_e32 v0, v80, v6
	s_delay_alu instid0(VALU_DEP_2) | instskip(NEXT) | instid1(VALU_DEP_2)
	v_mul_i32_i24_e32 v123, v113, v55
	v_add3_u32 v114, v0, v89, v93
	v_add_nc_u32_e32 v0, v47, v5
	s_delay_alu instid0(VALU_DEP_2) | instskip(NEXT) | instid1(VALU_DEP_2)
	v_mul_i32_i24_e32 v127, v114, v54
	v_add3_u32 v115, v0, v88, v92
	v_mul_i32_i24_e32 v0, v5, v64
	s_delay_alu instid0(VALU_DEP_2) | instskip(NEXT) | instid1(VALU_DEP_2)
	v_mul_i32_i24_e32 v128, v115, v195
	v_mad_i32_i24 v0, v6, v61, v0
	s_delay_alu instid0(VALU_DEP_2) | instskip(NEXT) | instid1(VALU_DEP_2)
	v_mad_i32_i24 v128, v112, v201, v128
	v_add3_u32 v0, v0, v1, v2
	v_mul_i32_i24_e32 v1, v47, v69
	v_mul_i32_i24_e32 v2, v80, v71
	s_delay_alu instid0(VALU_DEP_4) | instskip(SKIP_2) | instid1(VALU_DEP_4)
	v_add3_u32 v123, v128, v123, v127
	v_mul_i32_i24_e32 v128, v115, v151
	v_mul_i32_i24_e32 v127, v114, v222
	v_add3_u32 v0, v0, v1, v2
	v_mul_i32_i24_e32 v1, v88, v74
	v_mul_i32_i24_e32 v2, v89, v77
	v_mad_i32_i24 v128, v112, v157, v128
	s_delay_alu instid0(VALU_DEP_4) | instskip(SKIP_2) | instid1(VALU_DEP_3)
	v_add3_u32 v0, v0, v116, v117
	v_mul_i32_i24_e32 v116, v90, v78
	v_mul_i32_i24_e32 v117, v91, v82
	v_add3_u32 v0, v0, v1, v2
	v_mul_i32_i24_e32 v1, v92, v79
	v_mul_i32_i24_e32 v2, v93, v119
	s_delay_alu instid0(VALU_DEP_3) | instskip(SKIP_2) | instid1(VALU_DEP_3)
	v_add3_u32 v0, v0, v116, v117
	v_mul_i32_i24_e32 v116, v94, v120
	v_mul_i32_i24_e32 v117, v95, v121
	v_add3_u32 v0, v0, v1, v2
	v_mul_i32_i24_e32 v1, v96, v36
	v_mul_i32_i24_e32 v2, v98, v37
	s_delay_alu instid0(VALU_DEP_3) | instskip(SKIP_1) | instid1(VALU_DEP_4)
	v_add3_u32 v0, v0, v116, v117
	v_mul_i32_i24_e32 v116, v83, v42
	v_mad_i32_i24 v1, v97, v31, v1
	v_mul_i32_i24_e32 v117, v101, v44
	s_delay_alu instid0(VALU_DEP_4) | instskip(NEXT) | instid1(VALU_DEP_3)
	v_mul_lo_u32 v0, v0, v122
	v_add3_u32 v1, v1, v2, v116
	v_mul_i32_i24_e32 v2, v99, v40
	v_mul_i32_i24_e32 v116, v100, v41
	s_delay_alu instid0(VALU_DEP_1) | instskip(SKIP_2) | instid1(VALU_DEP_3)
	v_add3_u32 v1, v1, v2, v116
	v_mul_i32_i24_e32 v2, v102, v45
	v_mul_i32_i24_e32 v116, v103, v51
	v_add3_u32 v1, v1, v117, v118
	v_mul_i32_i24_e32 v117, v104, v57
	v_mul_i32_i24_e32 v118, v85, v65
	s_delay_alu instid0(VALU_DEP_3) | instskip(SKIP_2) | instid1(VALU_DEP_3)
	v_add3_u32 v1, v1, v2, v116
	v_mul_i32_i24_e32 v2, v105, v62
	v_mul_i32_i24_e32 v116, v106, v67
	v_add3_u32 v1, v1, v117, v118
	v_mul_i32_i24_e32 v117, v107, v68
	v_mul_i32_i24_e32 v118, v86, v70
	s_delay_alu instid0(VALU_DEP_3) | instskip(SKIP_1) | instid1(VALU_DEP_2)
	v_add3_u32 v1, v1, v2, v116
	v_mul_i32_i24_e32 v2, v109, v60
	v_add3_u32 v116, v1, v117, v118
	v_mul_i32_i24_e32 v1, v108, v63
	v_mul_i32_i24_e32 v118, v111, v58
	;; [unrolled: 1-line block ×3, first 2 shown]
	s_delay_alu instid0(VALU_DEP_2) | instskip(SKIP_2) | instid1(VALU_DEP_3)
	v_add3_u32 v1, v123, v118, v1
	v_mul_i32_i24_e32 v118, v84, v255
	v_mul_i32_i24_e32 v123, v113, v75
	v_add3_u32 v117, v1, v2, v117
	v_mad_u64_u32 v[1:2], null, v116, v223, v[0:1]
	v_mul_i32_i24_e32 v2, v24, v234
	v_mul_i32_i24_e32 v116, v81, v235
	v_add3_u32 v123, v128, v123, v127
	v_mul_i32_i24_e32 v128, v115, v132
	v_mul_i32_i24_e32 v127, v114, v178
	v_cvt_f32_i32_e32 v0, v1
	v_cvt_f32_i32_e32 v1, v117
	v_mul_i32_i24_e32 v117, v87, v237
	v_mad_i32_i24 v128, v112, v133, v128
	s_delay_alu instid0(VALU_DEP_3) | instskip(NEXT) | instid1(VALU_DEP_1)
	v_mul_f32_e32 v1, v224, v1
	v_fma_mix_f32 v0, v182, v0, -v1 op_sel_hi:[1,0,0]
	v_mul_i32_i24_e32 v1, v7, v231
	s_delay_alu instid0(VALU_DEP_2) | instskip(SKIP_1) | instid1(VALU_DEP_1)
	v_fmac_f32_e32 v33, v3, v0
	v_mul_i32_i24_e32 v0, v5, v230
	v_mad_i32_i24 v0, v6, v228, v0
	s_delay_alu instid0(VALU_DEP_1) | instskip(SKIP_2) | instid1(VALU_DEP_1)
	v_add3_u32 v0, v0, v1, v2
	v_mul_i32_i24_e32 v1, v47, v232
	v_mul_i32_i24_e32 v2, v80, v233
	v_add3_u32 v0, v0, v1, v2
	v_mul_i32_i24_e32 v1, v88, v236
	v_mul_i32_i24_e32 v2, v89, v239
	s_delay_alu instid0(VALU_DEP_3) | instskip(SKIP_2) | instid1(VALU_DEP_3)
	v_add3_u32 v0, v0, v116, v117
	v_mul_i32_i24_e32 v116, v90, v240
	v_mul_i32_i24_e32 v117, v91, v242
	v_add3_u32 v0, v0, v1, v2
	v_mul_i32_i24_e32 v1, v92, v241
	v_mul_i32_i24_e32 v2, v93, v243
	s_delay_alu instid0(VALU_DEP_3) | instskip(SKIP_2) | instid1(VALU_DEP_3)
	v_add3_u32 v0, v0, v116, v117
	v_mul_i32_i24_e32 v116, v94, v244
	v_mul_i32_i24_e32 v117, v95, v245
	v_add3_u32 v0, v0, v1, v2
	v_mul_i32_i24_e32 v1, v96, v248
	v_mul_i32_i24_e32 v2, v98, v249
	s_delay_alu instid0(VALU_DEP_3) | instskip(SKIP_1) | instid1(VALU_DEP_4)
	v_add3_u32 v0, v0, v116, v117
	v_mul_i32_i24_e32 v116, v83, v252
	v_mad_i32_i24 v1, v97, v247, v1
	v_mul_i32_i24_e32 v117, v101, v253
	s_delay_alu instid0(VALU_DEP_4) | instskip(NEXT) | instid1(VALU_DEP_3)
	v_mul_lo_u32 v0, v0, v246
	v_add3_u32 v1, v1, v2, v116
	v_mul_i32_i24_e32 v2, v99, v250
	v_mul_i32_i24_e32 v116, v100, v251
	s_delay_alu instid0(VALU_DEP_1) | instskip(SKIP_2) | instid1(VALU_DEP_3)
	v_add3_u32 v1, v1, v2, v116
	v_mul_i32_i24_e32 v2, v102, v254
	v_mul_i32_i24_e32 v116, v103, v23
	v_add3_u32 v1, v1, v117, v118
	v_mul_i32_i24_e32 v117, v104, v29
	v_mul_i32_i24_e32 v118, v85, v49
	s_delay_alu instid0(VALU_DEP_3) | instskip(SKIP_2) | instid1(VALU_DEP_3)
	v_add3_u32 v1, v1, v2, v116
	v_mul_i32_i24_e32 v2, v105, v46
	v_mul_i32_i24_e32 v116, v106, v50
	v_add3_u32 v1, v1, v117, v118
	v_mul_i32_i24_e32 v117, v107, v52
	v_mul_i32_i24_e32 v118, v86, v53
	s_delay_alu instid0(VALU_DEP_3) | instskip(SKIP_1) | instid1(VALU_DEP_2)
	v_add3_u32 v1, v1, v2, v116
	v_mul_i32_i24_e32 v2, v109, v227
	v_add3_u32 v116, v1, v117, v118
	v_mul_i32_i24_e32 v1, v108, v229
	v_mul_i32_i24_e32 v118, v111, v226
	;; [unrolled: 1-line block ×3, first 2 shown]
	s_delay_alu instid0(VALU_DEP_2) | instskip(SKIP_2) | instid1(VALU_DEP_3)
	v_add3_u32 v1, v123, v118, v1
	v_mul_i32_i24_e32 v118, v84, v213
	v_mul_i32_i24_e32 v123, v113, v18
	v_add3_u32 v117, v1, v2, v117
	v_mad_u64_u32 v[1:2], null, v116, v180, v[0:1]
	v_mul_i32_i24_e32 v2, v24, v192
	v_mul_i32_i24_e32 v116, v81, v191
	v_add3_u32 v123, v128, v123, v127
	s_delay_alu instid0(VALU_DEP_4) | instskip(SKIP_2) | instid1(VALU_DEP_2)
	v_cvt_f32_i32_e32 v0, v1
	v_cvt_f32_i32_e32 v1, v117
	v_mul_i32_i24_e32 v117, v87, v27
	v_mul_f32_e32 v1, v21, v1
	s_delay_alu instid0(VALU_DEP_1) | instskip(SKIP_1) | instid1(VALU_DEP_2)
	v_fma_mix_f32 v0, v138, v0, -v1 op_sel_hi:[1,0,0]
	v_mul_i32_i24_e32 v1, v7, v188
	v_fmac_f32_e32 v32, v3, v0
	v_mul_i32_i24_e32 v0, v5, v187
	s_delay_alu instid0(VALU_DEP_1) | instskip(NEXT) | instid1(VALU_DEP_1)
	v_mad_i32_i24 v0, v6, v25, v0
	v_add3_u32 v0, v0, v1, v2
	v_mul_i32_i24_e32 v1, v47, v190
	v_mul_i32_i24_e32 v2, v80, v26
	s_delay_alu instid0(VALU_DEP_1) | instskip(SKIP_2) | instid1(VALU_DEP_3)
	v_add3_u32 v0, v0, v1, v2
	v_mul_i32_i24_e32 v1, v88, v193
	v_mul_i32_i24_e32 v2, v89, v196
	v_add3_u32 v0, v0, v116, v117
	v_mul_i32_i24_e32 v116, v90, v197
	v_mul_i32_i24_e32 v117, v91, v199
	s_delay_alu instid0(VALU_DEP_3) | instskip(SKIP_2) | instid1(VALU_DEP_3)
	v_add3_u32 v0, v0, v1, v2
	v_mul_i32_i24_e32 v1, v92, v28
	v_mul_i32_i24_e32 v2, v93, v200
	v_add3_u32 v0, v0, v116, v117
	v_mul_i32_i24_e32 v116, v94, v202
	v_mul_i32_i24_e32 v117, v95, v203
	s_delay_alu instid0(VALU_DEP_3) | instskip(SKIP_2) | instid1(VALU_DEP_3)
	v_add3_u32 v0, v0, v1, v2
	v_mul_i32_i24_e32 v1, v96, v206
	v_mul_i32_i24_e32 v2, v98, v207
	v_add3_u32 v0, v0, v116, v117
	v_mul_i32_i24_e32 v116, v83, v211
	s_delay_alu instid0(VALU_DEP_4) | instskip(SKIP_1) | instid1(VALU_DEP_4)
	v_mad_i32_i24 v1, v97, v205, v1
	v_mul_i32_i24_e32 v117, v101, v30
	v_mul_lo_u32 v0, v0, v204
	s_delay_alu instid0(VALU_DEP_3) | instskip(SKIP_2) | instid1(VALU_DEP_1)
	v_add3_u32 v1, v1, v2, v116
	v_mul_i32_i24_e32 v2, v99, v208
	v_mul_i32_i24_e32 v116, v100, v209
	v_add3_u32 v1, v1, v2, v116
	v_mul_i32_i24_e32 v2, v102, v212
	v_mul_i32_i24_e32 v116, v103, v215
	s_delay_alu instid0(VALU_DEP_3) | instskip(SKIP_2) | instid1(VALU_DEP_3)
	v_add3_u32 v1, v1, v117, v118
	v_mul_i32_i24_e32 v117, v104, v35
	v_mul_i32_i24_e32 v118, v85, v39
	v_add3_u32 v1, v1, v2, v116
	v_mul_i32_i24_e32 v2, v105, v217
	v_mul_i32_i24_e32 v116, v106, v219
	s_delay_alu instid0(VALU_DEP_3) | instskip(SKIP_2) | instid1(VALU_DEP_3)
	v_add3_u32 v1, v1, v117, v118
	v_mul_i32_i24_e32 v117, v107, v220
	v_mul_i32_i24_e32 v118, v86, v56
	v_add3_u32 v1, v1, v2, v116
	v_mul_i32_i24_e32 v2, v109, v185
	s_delay_alu instid0(VALU_DEP_2) | instskip(SKIP_3) | instid1(VALU_DEP_2)
	v_add3_u32 v116, v1, v117, v118
	v_mul_i32_i24_e32 v1, v108, v186
	v_mul_i32_i24_e32 v118, v111, v183
	;; [unrolled: 1-line block ×3, first 2 shown]
	v_add3_u32 v1, v123, v118, v1
	s_delay_alu instid0(VALU_DEP_1) | instskip(SKIP_3) | instid1(VALU_DEP_3)
	v_add3_u32 v117, v1, v2, v117
	v_mad_u64_u32 v[1:2], null, v116, v136, v[0:1]
	v_mul_i32_i24_e32 v2, v24, v148
	v_mul_i32_i24_e32 v24, v113, v135
	v_cvt_f32_i32_e32 v0, v1
	v_cvt_f32_i32_e32 v1, v117
	s_delay_alu instid0(VALU_DEP_1) | instskip(NEXT) | instid1(VALU_DEP_1)
	v_mul_f32_e32 v1, v137, v1
	v_fma_mix_f32 v0, v131, v0, -v1 op_sel_hi:[1,0,0]
	v_mul_i32_i24_e32 v1, v7, v145
	v_mul_i32_i24_e32 v7, v84, v168
	s_delay_alu instid0(VALU_DEP_3) | instskip(SKIP_2) | instid1(VALU_DEP_2)
	v_fmac_f32_e32 v214, v3, v0
	v_mul_i32_i24_e32 v0, v5, v144
	v_mul_i32_i24_e32 v5, v81, v149
	v_mad_i32_i24 v0, v6, v142, v0
	v_mul_i32_i24_e32 v6, v87, v152
	s_delay_alu instid0(VALU_DEP_2) | instskip(SKIP_4) | instid1(VALU_DEP_3)
	v_add3_u32 v0, v0, v1, v2
	v_mul_i32_i24_e32 v1, v47, v146
	v_mul_i32_i24_e32 v2, v80, v147
	;; [unrolled: 1-line block ×4, first 2 shown]
	v_add3_u32 v0, v0, v1, v2
	v_mul_i32_i24_e32 v1, v88, v150
	v_mul_i32_i24_e32 v2, v89, v12
	v_mad_i32_i24 v80, v112, v129, v80
	s_delay_alu instid0(VALU_DEP_4) | instskip(SKIP_2) | instid1(VALU_DEP_4)
	v_add3_u32 v0, v0, v5, v6
	v_mul_i32_i24_e32 v5, v90, v153
	v_mul_i32_i24_e32 v6, v91, v154
	v_add3_u32 v24, v80, v24, v47
	s_delay_alu instid0(VALU_DEP_4) | instskip(SKIP_2) | instid1(VALU_DEP_3)
	v_add3_u32 v0, v0, v1, v2
	v_mul_i32_i24_e32 v1, v92, v155
	v_mul_i32_i24_e32 v2, v93, v156
	v_add3_u32 v0, v0, v5, v6
	v_mul_i32_i24_e32 v5, v94, v158
	v_mul_i32_i24_e32 v6, v95, v159
	s_delay_alu instid0(VALU_DEP_3) | instskip(SKIP_2) | instid1(VALU_DEP_3)
	v_add3_u32 v0, v0, v1, v2
	v_mul_i32_i24_e32 v1, v96, v162
	v_mul_i32_i24_e32 v2, v98, v163
	v_add3_u32 v0, v0, v5, v6
	v_mul_i32_i24_e32 v5, v83, v167
	s_delay_alu instid0(VALU_DEP_4) | instskip(SKIP_1) | instid1(VALU_DEP_4)
	v_mad_i32_i24 v1, v97, v13, v1
	v_mul_i32_i24_e32 v6, v101, v14
	v_mul_lo_u32 v0, v0, v161
	s_delay_alu instid0(VALU_DEP_3) | instskip(SKIP_2) | instid1(VALU_DEP_1)
	v_add3_u32 v1, v1, v2, v5
	v_mul_i32_i24_e32 v2, v99, v165
	v_mul_i32_i24_e32 v5, v100, v164
	v_add3_u32 v1, v1, v2, v5
	v_mul_i32_i24_e32 v2, v102, v169
	v_mul_i32_i24_e32 v5, v103, v170
	s_delay_alu instid0(VALU_DEP_3) | instskip(SKIP_2) | instid1(VALU_DEP_3)
	v_add3_u32 v1, v1, v6, v7
	v_mul_i32_i24_e32 v6, v104, v171
	v_mul_i32_i24_e32 v7, v85, v173
	v_add3_u32 v1, v1, v2, v5
	v_mul_i32_i24_e32 v2, v105, v172
	v_mul_i32_i24_e32 v5, v106, v174
	s_delay_alu instid0(VALU_DEP_3) | instskip(SKIP_2) | instid1(VALU_DEP_3)
	v_add3_u32 v1, v1, v6, v7
	v_mul_i32_i24_e32 v6, v107, v175
	v_mul_i32_i24_e32 v7, v86, v176
	v_add3_u32 v1, v1, v2, v5
	v_mul_i32_i24_e32 v2, v109, v141
	s_delay_alu instid0(VALU_DEP_2) | instskip(SKIP_3) | instid1(VALU_DEP_2)
	v_add3_u32 v5, v1, v6, v7
	v_mul_i32_i24_e32 v1, v108, v143
	v_mul_i32_i24_e32 v7, v111, v139
	v_mul_i32_i24_e32 v6, v110, v140
	v_add3_u32 v1, v24, v7, v1
	s_delay_alu instid0(VALU_DEP_1) | instskip(SKIP_1) | instid1(VALU_DEP_1)
	v_add3_u32 v6, v1, v2, v6
	v_mad_u64_u32 v[1:2], null, v5, v9, v[0:1]
	v_cvt_f32_i32_e32 v0, v1
	s_delay_alu instid0(VALU_DEP_3) | instskip(NEXT) | instid1(VALU_DEP_1)
	v_cvt_f32_i32_e32 v1, v6
	v_mul_f32_e32 v1, v8, v1
	s_delay_alu instid0(VALU_DEP_1) | instskip(NEXT) | instid1(VALU_DEP_1)
	v_fma_mix_f32 v0, v126, v0, -v1 op_sel_hi:[1,0,0]
	v_fmac_f32_e32 v210, v3, v0
	ds_load_b128 v[0:3], v124 offset:3072
	s_waitcnt lgkmcnt(0)
	v_bfe_i32 v5, v0, 0, 8
	v_bfe_i32 v6, v0, 8, 8
	v_bfe_i32 v7, v0, 16, 8
	v_ashrrev_i32_e32 v24, 24, v0
	v_bfe_i32 v47, v1, 0, 8
	v_bfe_i32 v80, v1, 8, 8
	v_bfe_i32 v81, v1, 16, 8
	v_ashrrev_i32_e32 v83, 24, v1
	;; [unrolled: 4-line block ×4, first 2 shown]
	ds_load_b128 v[0:3], v124 offset:3088
	v_mul_i32_i24_e32 v115, v81, v73
	v_mul_i32_i24_e32 v116, v83, v76
	s_waitcnt lgkmcnt(0)
	v_ashrrev_i32_e32 v95, 24, v0
	v_ashrrev_i32_e32 v99, 24, v1
	v_bfe_i32 v92, v0, 0, 8
	v_bfe_i32 v93, v0, 8, 8
	;; [unrolled: 1-line block ×4, first 2 shown]
	v_ashrrev_i32_e32 v103, 24, v2
	v_bfe_i32 v104, v3, 0, 8
	v_bfe_i32 v105, v3, 8, 8
	;; [unrolled: 1-line block ×3, first 2 shown]
	v_ashrrev_i32_e32 v3, 24, v3
	v_add_nc_u32_e32 v0, v99, v95
	v_bfe_i32 v97, v1, 8, 8
	v_bfe_i32 v102, v2, 16, 8
	;; [unrolled: 1-line block ×4, first 2 shown]
	v_add3_u32 v107, v0, v103, v3
	v_add_nc_u32_e32 v0, v98, v94
	v_bfe_i32 v100, v2, 0, 8
	v_mul_i32_i24_e32 v1, v7, v66
	v_mul_i32_i24_e32 v2, v24, v72
	;; [unrolled: 1-line block ×3, first 2 shown]
	v_add3_u32 v108, v0, v102, v106
	v_add_nc_u32_e32 v0, v97, v93
	s_delay_alu instid0(VALU_DEP_1) | instskip(SKIP_1) | instid1(VALU_DEP_1)
	v_add3_u32 v109, v0, v101, v105
	v_add_nc_u32_e32 v0, v96, v92
	v_add3_u32 v110, v0, v100, v104
	v_add_nc_u32_e32 v0, v83, v24
	s_delay_alu instid0(VALU_DEP_1) | instskip(SKIP_1) | instid1(VALU_DEP_1)
	v_add3_u32 v111, v0, v87, v91
	v_add_nc_u32_e32 v0, v81, v7
	v_add3_u32 v112, v0, v86, v90
	v_add_nc_u32_e32 v0, v80, v6
	s_delay_alu instid0(VALU_DEP_2) | instskip(NEXT) | instid1(VALU_DEP_2)
	v_mul_i32_i24_e32 v118, v112, v55
	v_add3_u32 v113, v0, v85, v89
	v_add_nc_u32_e32 v0, v47, v5
	s_delay_alu instid0(VALU_DEP_2) | instskip(NEXT) | instid1(VALU_DEP_2)
	v_mul_i32_i24_e32 v123, v113, v54
	v_add3_u32 v114, v0, v84, v88
	v_mul_i32_i24_e32 v0, v5, v64
	s_delay_alu instid0(VALU_DEP_2) | instskip(NEXT) | instid1(VALU_DEP_2)
	v_mul_i32_i24_e32 v127, v114, v195
	v_mad_i32_i24 v0, v6, v61, v0
	s_delay_alu instid0(VALU_DEP_2) | instskip(NEXT) | instid1(VALU_DEP_2)
	v_mad_i32_i24 v127, v111, v201, v127
	v_add3_u32 v0, v0, v1, v2
	v_mul_i32_i24_e32 v1, v47, v69
	v_mul_i32_i24_e32 v2, v80, v71
	s_delay_alu instid0(VALU_DEP_4) | instskip(SKIP_2) | instid1(VALU_DEP_4)
	v_add3_u32 v118, v127, v118, v123
	v_mul_i32_i24_e32 v127, v114, v151
	v_mul_i32_i24_e32 v123, v113, v222
	v_add3_u32 v0, v0, v1, v2
	v_mul_i32_i24_e32 v1, v84, v74
	v_mul_i32_i24_e32 v2, v85, v77
	v_mad_i32_i24 v127, v111, v157, v127
	s_delay_alu instid0(VALU_DEP_4) | instskip(SKIP_2) | instid1(VALU_DEP_3)
	v_add3_u32 v0, v0, v115, v116
	v_mul_i32_i24_e32 v115, v86, v78
	v_mul_i32_i24_e32 v116, v87, v82
	v_add3_u32 v0, v0, v1, v2
	v_mul_i32_i24_e32 v1, v88, v79
	v_mul_i32_i24_e32 v2, v89, v119
	s_delay_alu instid0(VALU_DEP_3) | instskip(SKIP_2) | instid1(VALU_DEP_3)
	v_add3_u32 v0, v0, v115, v116
	v_mul_i32_i24_e32 v115, v90, v120
	v_mul_i32_i24_e32 v116, v91, v121
	v_add3_u32 v0, v0, v1, v2
	v_mul_i32_i24_e32 v1, v92, v36
	v_mul_i32_i24_e32 v2, v94, v37
	s_delay_alu instid0(VALU_DEP_3) | instskip(SKIP_1) | instid1(VALU_DEP_4)
	v_add3_u32 v0, v0, v115, v116
	v_mul_i32_i24_e32 v115, v95, v42
	v_mad_i32_i24 v1, v93, v31, v1
	v_mul_i32_i24_e32 v116, v98, v44
	s_delay_alu instid0(VALU_DEP_4) | instskip(NEXT) | instid1(VALU_DEP_3)
	v_mul_lo_u32 v0, v0, v122
	v_add3_u32 v1, v1, v2, v115
	v_mul_i32_i24_e32 v2, v96, v40
	v_mul_i32_i24_e32 v115, v97, v41
	s_delay_alu instid0(VALU_DEP_1) | instskip(SKIP_2) | instid1(VALU_DEP_3)
	v_add3_u32 v1, v1, v2, v115
	v_mul_i32_i24_e32 v2, v100, v45
	v_mul_i32_i24_e32 v115, v101, v51
	v_add3_u32 v1, v1, v116, v117
	v_mul_i32_i24_e32 v116, v102, v57
	v_mul_i32_i24_e32 v117, v103, v65
	s_delay_alu instid0(VALU_DEP_3) | instskip(SKIP_2) | instid1(VALU_DEP_3)
	v_add3_u32 v1, v1, v2, v115
	v_mul_i32_i24_e32 v2, v104, v62
	v_mul_i32_i24_e32 v115, v105, v67
	v_add3_u32 v1, v1, v116, v117
	v_mul_i32_i24_e32 v116, v106, v68
	v_mul_i32_i24_e32 v117, v3, v70
	s_delay_alu instid0(VALU_DEP_3) | instskip(SKIP_1) | instid1(VALU_DEP_2)
	v_add3_u32 v1, v1, v2, v115
	v_mul_i32_i24_e32 v2, v108, v60
	v_add3_u32 v115, v1, v116, v117
	v_mul_i32_i24_e32 v1, v107, v63
	v_mul_i32_i24_e32 v117, v110, v58
	;; [unrolled: 1-line block ×3, first 2 shown]
	s_delay_alu instid0(VALU_DEP_2) | instskip(SKIP_2) | instid1(VALU_DEP_3)
	v_add3_u32 v1, v118, v117, v1
	v_mul_i32_i24_e32 v117, v99, v255
	v_mul_i32_i24_e32 v118, v112, v75
	v_add3_u32 v116, v1, v2, v116
	v_mad_u64_u32 v[1:2], null, v115, v223, v[0:1]
	v_mul_i32_i24_e32 v2, v24, v234
	v_mul_i32_i24_e32 v115, v81, v235
	v_add3_u32 v118, v127, v118, v123
	v_mul_i32_i24_e32 v127, v114, v132
	v_mul_i32_i24_e32 v123, v113, v178
	v_cvt_f32_i32_e32 v0, v1
	v_cvt_f32_i32_e32 v1, v116
	v_mul_i32_i24_e32 v116, v83, v237
	v_mad_i32_i24 v127, v111, v133, v127
	s_delay_alu instid0(VALU_DEP_3) | instskip(NEXT) | instid1(VALU_DEP_1)
	v_mul_f32_e32 v1, v224, v1
	v_fma_mix_f32 v0, v182, v0, -v1 op_sel_hi:[1,0,0]
	v_mul_i32_i24_e32 v1, v7, v231
	s_delay_alu instid0(VALU_DEP_2) | instskip(SKIP_1) | instid1(VALU_DEP_1)
	v_fmac_f32_e32 v198, v4, v0
	v_mul_i32_i24_e32 v0, v5, v230
	v_mad_i32_i24 v0, v6, v228, v0
	s_delay_alu instid0(VALU_DEP_1) | instskip(SKIP_2) | instid1(VALU_DEP_1)
	v_add3_u32 v0, v0, v1, v2
	v_mul_i32_i24_e32 v1, v47, v232
	v_mul_i32_i24_e32 v2, v80, v233
	v_add3_u32 v0, v0, v1, v2
	v_mul_i32_i24_e32 v1, v84, v236
	v_mul_i32_i24_e32 v2, v85, v239
	s_delay_alu instid0(VALU_DEP_3) | instskip(SKIP_2) | instid1(VALU_DEP_3)
	v_add3_u32 v0, v0, v115, v116
	v_mul_i32_i24_e32 v115, v86, v240
	v_mul_i32_i24_e32 v116, v87, v242
	v_add3_u32 v0, v0, v1, v2
	v_mul_i32_i24_e32 v1, v88, v241
	v_mul_i32_i24_e32 v2, v89, v243
	s_delay_alu instid0(VALU_DEP_3) | instskip(SKIP_2) | instid1(VALU_DEP_3)
	v_add3_u32 v0, v0, v115, v116
	v_mul_i32_i24_e32 v115, v90, v244
	v_mul_i32_i24_e32 v116, v91, v245
	v_add3_u32 v0, v0, v1, v2
	v_mul_i32_i24_e32 v1, v92, v248
	v_mul_i32_i24_e32 v2, v94, v249
	s_delay_alu instid0(VALU_DEP_3) | instskip(SKIP_1) | instid1(VALU_DEP_4)
	v_add3_u32 v0, v0, v115, v116
	v_mul_i32_i24_e32 v115, v95, v252
	v_mad_i32_i24 v1, v93, v247, v1
	v_mul_i32_i24_e32 v116, v98, v253
	s_delay_alu instid0(VALU_DEP_4) | instskip(NEXT) | instid1(VALU_DEP_3)
	v_mul_lo_u32 v0, v0, v246
	v_add3_u32 v1, v1, v2, v115
	v_mul_i32_i24_e32 v2, v96, v250
	v_mul_i32_i24_e32 v115, v97, v251
	s_delay_alu instid0(VALU_DEP_1) | instskip(SKIP_2) | instid1(VALU_DEP_3)
	v_add3_u32 v1, v1, v2, v115
	v_mul_i32_i24_e32 v2, v100, v254
	v_mul_i32_i24_e32 v115, v101, v23
	v_add3_u32 v1, v1, v116, v117
	v_mul_i32_i24_e32 v116, v102, v29
	v_mul_i32_i24_e32 v117, v103, v49
	s_delay_alu instid0(VALU_DEP_3) | instskip(SKIP_2) | instid1(VALU_DEP_3)
	v_add3_u32 v1, v1, v2, v115
	v_mul_i32_i24_e32 v2, v104, v46
	v_mul_i32_i24_e32 v115, v105, v50
	v_add3_u32 v1, v1, v116, v117
	v_mul_i32_i24_e32 v116, v106, v52
	v_mul_i32_i24_e32 v117, v3, v53
	s_delay_alu instid0(VALU_DEP_3) | instskip(SKIP_1) | instid1(VALU_DEP_2)
	v_add3_u32 v1, v1, v2, v115
	v_mul_i32_i24_e32 v2, v108, v227
	v_add3_u32 v115, v1, v116, v117
	v_mul_i32_i24_e32 v1, v107, v229
	v_mul_i32_i24_e32 v117, v110, v226
	;; [unrolled: 1-line block ×3, first 2 shown]
	s_delay_alu instid0(VALU_DEP_2) | instskip(SKIP_2) | instid1(VALU_DEP_3)
	v_add3_u32 v1, v118, v117, v1
	v_mul_i32_i24_e32 v117, v99, v213
	v_mul_i32_i24_e32 v118, v112, v18
	v_add3_u32 v116, v1, v2, v116
	v_mad_u64_u32 v[1:2], null, v115, v180, v[0:1]
	v_mul_i32_i24_e32 v2, v24, v192
	v_mul_i32_i24_e32 v115, v81, v191
	v_add3_u32 v118, v127, v118, v123
	s_delay_alu instid0(VALU_DEP_4) | instskip(SKIP_2) | instid1(VALU_DEP_2)
	v_cvt_f32_i32_e32 v0, v1
	v_cvt_f32_i32_e32 v1, v116
	v_mul_i32_i24_e32 v116, v83, v27
	v_mul_f32_e32 v1, v21, v1
	s_delay_alu instid0(VALU_DEP_1) | instskip(SKIP_1) | instid1(VALU_DEP_2)
	v_fma_mix_f32 v0, v138, v0, -v1 op_sel_hi:[1,0,0]
	v_mul_i32_i24_e32 v1, v7, v188
	v_fmac_f32_e32 v189, v4, v0
	v_mul_i32_i24_e32 v0, v5, v187
	s_delay_alu instid0(VALU_DEP_1) | instskip(NEXT) | instid1(VALU_DEP_1)
	v_mad_i32_i24 v0, v6, v25, v0
	v_add3_u32 v0, v0, v1, v2
	v_mul_i32_i24_e32 v1, v47, v190
	v_mul_i32_i24_e32 v2, v80, v26
	s_delay_alu instid0(VALU_DEP_1) | instskip(SKIP_2) | instid1(VALU_DEP_3)
	v_add3_u32 v0, v0, v1, v2
	v_mul_i32_i24_e32 v1, v84, v193
	v_mul_i32_i24_e32 v2, v85, v196
	v_add3_u32 v0, v0, v115, v116
	v_mul_i32_i24_e32 v115, v86, v197
	v_mul_i32_i24_e32 v116, v87, v199
	s_delay_alu instid0(VALU_DEP_3) | instskip(SKIP_2) | instid1(VALU_DEP_3)
	v_add3_u32 v0, v0, v1, v2
	v_mul_i32_i24_e32 v1, v88, v28
	v_mul_i32_i24_e32 v2, v89, v200
	v_add3_u32 v0, v0, v115, v116
	v_mul_i32_i24_e32 v115, v90, v202
	v_mul_i32_i24_e32 v116, v91, v203
	s_delay_alu instid0(VALU_DEP_3) | instskip(SKIP_2) | instid1(VALU_DEP_3)
	v_add3_u32 v0, v0, v1, v2
	v_mul_i32_i24_e32 v1, v92, v206
	v_mul_i32_i24_e32 v2, v94, v207
	v_add3_u32 v0, v0, v115, v116
	v_mul_i32_i24_e32 v115, v95, v211
	s_delay_alu instid0(VALU_DEP_4) | instskip(SKIP_1) | instid1(VALU_DEP_4)
	v_mad_i32_i24 v1, v93, v205, v1
	v_mul_i32_i24_e32 v116, v98, v30
	v_mul_lo_u32 v0, v0, v204
	s_delay_alu instid0(VALU_DEP_3) | instskip(SKIP_2) | instid1(VALU_DEP_1)
	v_add3_u32 v1, v1, v2, v115
	v_mul_i32_i24_e32 v2, v96, v208
	v_mul_i32_i24_e32 v115, v97, v209
	v_add3_u32 v1, v1, v2, v115
	v_mul_i32_i24_e32 v2, v100, v212
	v_mul_i32_i24_e32 v115, v101, v215
	s_delay_alu instid0(VALU_DEP_3) | instskip(SKIP_2) | instid1(VALU_DEP_3)
	v_add3_u32 v1, v1, v116, v117
	v_mul_i32_i24_e32 v116, v102, v35
	v_mul_i32_i24_e32 v117, v103, v39
	v_add3_u32 v1, v1, v2, v115
	v_mul_i32_i24_e32 v2, v104, v217
	v_mul_i32_i24_e32 v115, v105, v219
	s_delay_alu instid0(VALU_DEP_3) | instskip(SKIP_3) | instid1(VALU_DEP_4)
	v_add3_u32 v1, v1, v116, v117
	v_mul_i32_i24_e32 v116, v106, v220
	v_mul_i32_i24_e32 v117, v3, v56
	;; [unrolled: 1-line block ×3, first 2 shown]
	v_add3_u32 v1, v1, v2, v115
	v_mul_i32_i24_e32 v2, v108, v185
	s_delay_alu instid0(VALU_DEP_2) | instskip(SKIP_3) | instid1(VALU_DEP_2)
	v_add3_u32 v115, v1, v116, v117
	v_mul_i32_i24_e32 v1, v107, v186
	v_mul_i32_i24_e32 v117, v110, v183
	;; [unrolled: 1-line block ×3, first 2 shown]
	v_add3_u32 v1, v118, v117, v1
	s_delay_alu instid0(VALU_DEP_1) | instskip(SKIP_3) | instid1(VALU_DEP_3)
	v_add3_u32 v116, v1, v2, v116
	v_mad_u64_u32 v[1:2], null, v115, v136, v[0:1]
	v_mul_i32_i24_e32 v2, v24, v148
	v_mul_i32_i24_e32 v24, v113, v134
	v_cvt_f32_i32_e32 v0, v1
	v_cvt_f32_i32_e32 v1, v116
	s_delay_alu instid0(VALU_DEP_1) | instskip(NEXT) | instid1(VALU_DEP_1)
	v_mul_f32_e32 v1, v137, v1
	v_fma_mix_f32 v0, v131, v0, -v1 op_sel_hi:[1,0,0]
	v_mul_i32_i24_e32 v1, v7, v145
	v_mul_i32_i24_e32 v7, v99, v168
	s_delay_alu instid0(VALU_DEP_3) | instskip(SKIP_2) | instid1(VALU_DEP_2)
	v_fmac_f32_e32 v22, v4, v0
	v_mul_i32_i24_e32 v0, v5, v144
	v_mul_i32_i24_e32 v5, v81, v149
	v_mad_i32_i24 v0, v6, v142, v0
	v_mul_i32_i24_e32 v6, v83, v152
	s_delay_alu instid0(VALU_DEP_2) | instskip(SKIP_3) | instid1(VALU_DEP_2)
	v_add3_u32 v0, v0, v1, v2
	v_mul_i32_i24_e32 v1, v47, v146
	v_mul_i32_i24_e32 v2, v80, v147
	;; [unrolled: 1-line block ×3, first 2 shown]
	v_add3_u32 v0, v0, v1, v2
	v_mul_i32_i24_e32 v1, v84, v150
	v_mul_i32_i24_e32 v2, v85, v12
	s_delay_alu instid0(VALU_DEP_4) | instskip(NEXT) | instid1(VALU_DEP_4)
	v_mad_i32_i24 v47, v111, v129, v47
	v_add3_u32 v0, v0, v5, v6
	v_mul_i32_i24_e32 v5, v86, v153
	v_mul_i32_i24_e32 v6, v87, v154
	s_delay_alu instid0(VALU_DEP_3) | instskip(SKIP_2) | instid1(VALU_DEP_3)
	v_add3_u32 v0, v0, v1, v2
	v_mul_i32_i24_e32 v1, v88, v155
	v_mul_i32_i24_e32 v2, v89, v156
	v_add3_u32 v0, v0, v5, v6
	v_mul_i32_i24_e32 v5, v90, v158
	v_mul_i32_i24_e32 v6, v91, v159
	s_delay_alu instid0(VALU_DEP_3) | instskip(SKIP_2) | instid1(VALU_DEP_3)
	v_add3_u32 v0, v0, v1, v2
	v_mul_i32_i24_e32 v1, v92, v162
	v_mul_i32_i24_e32 v2, v94, v163
	v_add3_u32 v0, v0, v5, v6
	v_mul_i32_i24_e32 v5, v95, v167
	s_delay_alu instid0(VALU_DEP_4) | instskip(SKIP_1) | instid1(VALU_DEP_4)
	v_mad_i32_i24 v1, v93, v13, v1
	v_mul_i32_i24_e32 v6, v98, v14
	v_mul_lo_u32 v0, v0, v161
	s_delay_alu instid0(VALU_DEP_3) | instskip(SKIP_2) | instid1(VALU_DEP_1)
	v_add3_u32 v1, v1, v2, v5
	v_mul_i32_i24_e32 v2, v96, v165
	v_mul_i32_i24_e32 v5, v97, v164
	v_add3_u32 v1, v1, v2, v5
	v_mul_i32_i24_e32 v2, v100, v169
	v_mul_i32_i24_e32 v5, v101, v170
	s_delay_alu instid0(VALU_DEP_3) | instskip(SKIP_2) | instid1(VALU_DEP_3)
	v_add3_u32 v1, v1, v6, v7
	v_mul_i32_i24_e32 v6, v102, v171
	v_mul_i32_i24_e32 v7, v103, v173
	v_add3_u32 v1, v1, v2, v5
	v_mul_i32_i24_e32 v2, v104, v172
	v_mul_i32_i24_e32 v5, v105, v174
	s_delay_alu instid0(VALU_DEP_3) | instskip(SKIP_2) | instid1(VALU_DEP_3)
	v_add3_u32 v1, v1, v6, v7
	v_mul_i32_i24_e32 v6, v106, v175
	v_mul_i32_i24_e32 v7, v112, v135
	v_add3_u32 v1, v1, v2, v5
	v_mul_i32_i24_e32 v2, v108, v141
	s_delay_alu instid0(VALU_DEP_3) | instskip(SKIP_1) | instid1(VALU_DEP_4)
	v_add3_u32 v7, v47, v7, v24
	v_mul_i32_i24_e32 v5, v109, v140
	v_add3_u32 v3, v1, v6, v3
	v_mul_i32_i24_e32 v1, v107, v143
	v_mul_i32_i24_e32 v6, v110, v139
	s_delay_alu instid0(VALU_DEP_1) | instskip(NEXT) | instid1(VALU_DEP_1)
	v_add3_u32 v1, v7, v6, v1
	v_add3_u32 v5, v1, v2, v5
	v_mad_u64_u32 v[1:2], null, v3, v9, v[0:1]
	s_delay_alu instid0(VALU_DEP_1) | instskip(NEXT) | instid1(VALU_DEP_3)
	v_cvt_f32_i32_e32 v0, v1
	v_cvt_f32_i32_e32 v1, v5
	s_delay_alu instid0(VALU_DEP_1) | instskip(NEXT) | instid1(VALU_DEP_1)
	v_mul_f32_e32 v1, v8, v1
	v_fma_mix_f32 v0, v126, v0, -v1 op_sel_hi:[1,0,0]
	s_delay_alu instid0(VALU_DEP_1)
	v_fmac_f32_e32 v181, v4, v0
	ds_load_2addr_b32 v[3:4], v125 offset0:128 offset1:160
	ds_load_b128 v[83:86], v124 offset:4096
	s_waitcnt lgkmcnt(0)
	v_bfe_i32 v5, v83, 0, 8
	v_bfe_i32 v6, v83, 8, 8
	v_bfe_i32 v7, v83, 16, 8
	v_ashrrev_i32_e32 v24, 24, v83
	v_bfe_i32 v47, v84, 0, 8
	v_bfe_i32 v80, v84, 8, 8
	v_bfe_i32 v81, v84, 16, 8
	v_ashrrev_i32_e32 v87, 24, v84
	;; [unrolled: 4-line block ×4, first 2 shown]
	ds_load_b128 v[83:86], v124 offset:4112
	v_mul_i32_i24_e32 v1, v7, v66
	v_mul_i32_i24_e32 v2, v24, v72
	;; [unrolled: 1-line block ×4, first 2 shown]
	s_waitcnt lgkmcnt(0)
	v_bfe_i32 v96, v83, 0, 8
	v_bfe_i32 v97, v83, 8, 8
	v_bfe_i32 v98, v83, 16, 8
	v_ashrrev_i32_e32 v83, 24, v83
	v_bfe_i32 v99, v84, 0, 8
	v_bfe_i32 v100, v84, 8, 8
	v_bfe_i32 v101, v84, 16, 8
	v_ashrrev_i32_e32 v84, 24, v84
	;; [unrolled: 4-line block ×4, first 2 shown]
	v_add_nc_u32_e32 v0, v84, v83
	v_mul_i32_i24_e32 v118, v84, v48
	s_delay_alu instid0(VALU_DEP_2) | instskip(SKIP_1) | instid1(VALU_DEP_1)
	v_add3_u32 v108, v0, v85, v86
	v_add_nc_u32_e32 v0, v101, v98
	v_add3_u32 v109, v0, v104, v107
	v_add_nc_u32_e32 v0, v100, v97
	s_delay_alu instid0(VALU_DEP_1) | instskip(SKIP_1) | instid1(VALU_DEP_1)
	v_add3_u32 v110, v0, v103, v106
	v_add_nc_u32_e32 v0, v99, v96
	v_add3_u32 v111, v0, v102, v105
	v_add_nc_u32_e32 v0, v87, v24
	s_delay_alu instid0(VALU_DEP_1) | instskip(SKIP_1) | instid1(VALU_DEP_1)
	v_add3_u32 v112, v0, v91, v95
	v_add_nc_u32_e32 v0, v81, v7
	v_add3_u32 v113, v0, v90, v94
	v_add_nc_u32_e32 v0, v80, v6
	s_delay_alu instid0(VALU_DEP_2) | instskip(NEXT) | instid1(VALU_DEP_2)
	v_mul_i32_i24_e32 v123, v113, v55
	v_add3_u32 v114, v0, v89, v93
	v_add_nc_u32_e32 v0, v47, v5
	s_delay_alu instid0(VALU_DEP_2) | instskip(NEXT) | instid1(VALU_DEP_2)
	v_mul_i32_i24_e32 v127, v114, v54
	v_add3_u32 v115, v0, v88, v92
	v_mul_i32_i24_e32 v0, v5, v64
	s_delay_alu instid0(VALU_DEP_2) | instskip(NEXT) | instid1(VALU_DEP_2)
	v_mul_i32_i24_e32 v128, v115, v195
	v_mad_i32_i24 v0, v6, v61, v0
	s_delay_alu instid0(VALU_DEP_2) | instskip(NEXT) | instid1(VALU_DEP_2)
	v_mad_i32_i24 v128, v112, v201, v128
	v_add3_u32 v0, v0, v1, v2
	v_mul_i32_i24_e32 v1, v47, v69
	v_mul_i32_i24_e32 v2, v80, v71
	s_delay_alu instid0(VALU_DEP_4) | instskip(SKIP_2) | instid1(VALU_DEP_4)
	v_add3_u32 v123, v128, v123, v127
	v_mul_i32_i24_e32 v128, v115, v151
	v_mul_i32_i24_e32 v127, v114, v222
	v_add3_u32 v0, v0, v1, v2
	v_mul_i32_i24_e32 v1, v88, v74
	v_mul_i32_i24_e32 v2, v89, v77
	v_mad_i32_i24 v128, v112, v157, v128
	s_delay_alu instid0(VALU_DEP_4) | instskip(SKIP_2) | instid1(VALU_DEP_3)
	v_add3_u32 v0, v0, v116, v117
	v_mul_i32_i24_e32 v116, v90, v78
	v_mul_i32_i24_e32 v117, v91, v82
	v_add3_u32 v0, v0, v1, v2
	v_mul_i32_i24_e32 v1, v92, v79
	v_mul_i32_i24_e32 v2, v93, v119
	s_delay_alu instid0(VALU_DEP_3) | instskip(SKIP_2) | instid1(VALU_DEP_3)
	v_add3_u32 v0, v0, v116, v117
	v_mul_i32_i24_e32 v116, v94, v120
	v_mul_i32_i24_e32 v117, v95, v121
	v_add3_u32 v0, v0, v1, v2
	v_mul_i32_i24_e32 v1, v96, v36
	v_mul_i32_i24_e32 v2, v98, v37
	s_delay_alu instid0(VALU_DEP_3) | instskip(SKIP_1) | instid1(VALU_DEP_4)
	v_add3_u32 v0, v0, v116, v117
	v_mul_i32_i24_e32 v116, v83, v42
	v_mad_i32_i24 v1, v97, v31, v1
	v_mul_i32_i24_e32 v117, v101, v44
	s_delay_alu instid0(VALU_DEP_4) | instskip(NEXT) | instid1(VALU_DEP_3)
	v_mul_lo_u32 v0, v0, v122
	v_add3_u32 v1, v1, v2, v116
	v_mul_i32_i24_e32 v2, v99, v40
	v_mul_i32_i24_e32 v116, v100, v41
	s_delay_alu instid0(VALU_DEP_1) | instskip(SKIP_2) | instid1(VALU_DEP_3)
	v_add3_u32 v1, v1, v2, v116
	v_mul_i32_i24_e32 v2, v102, v45
	v_mul_i32_i24_e32 v116, v103, v51
	v_add3_u32 v1, v1, v117, v118
	v_mul_i32_i24_e32 v117, v104, v57
	v_mul_i32_i24_e32 v118, v85, v65
	s_delay_alu instid0(VALU_DEP_3) | instskip(SKIP_2) | instid1(VALU_DEP_3)
	v_add3_u32 v1, v1, v2, v116
	v_mul_i32_i24_e32 v2, v105, v62
	v_mul_i32_i24_e32 v116, v106, v67
	v_add3_u32 v1, v1, v117, v118
	v_mul_i32_i24_e32 v117, v107, v68
	v_mul_i32_i24_e32 v118, v86, v70
	s_delay_alu instid0(VALU_DEP_3) | instskip(SKIP_1) | instid1(VALU_DEP_2)
	v_add3_u32 v1, v1, v2, v116
	v_mul_i32_i24_e32 v2, v109, v60
	v_add3_u32 v116, v1, v117, v118
	v_mul_i32_i24_e32 v1, v108, v63
	v_mul_i32_i24_e32 v118, v111, v58
	;; [unrolled: 1-line block ×3, first 2 shown]
	s_delay_alu instid0(VALU_DEP_2) | instskip(SKIP_2) | instid1(VALU_DEP_3)
	v_add3_u32 v1, v123, v118, v1
	v_mul_i32_i24_e32 v118, v84, v255
	v_mul_i32_i24_e32 v123, v113, v75
	v_add3_u32 v117, v1, v2, v117
	v_mad_u64_u32 v[1:2], null, v116, v223, v[0:1]
	v_mul_i32_i24_e32 v2, v24, v234
	v_mul_i32_i24_e32 v116, v81, v235
	v_add3_u32 v123, v128, v123, v127
	v_mul_i32_i24_e32 v128, v115, v132
	v_mul_i32_i24_e32 v127, v114, v178
	v_cvt_f32_i32_e32 v0, v1
	v_cvt_f32_i32_e32 v1, v117
	v_mul_i32_i24_e32 v117, v87, v237
	v_mad_i32_i24 v128, v112, v133, v128
	s_delay_alu instid0(VALU_DEP_3) | instskip(NEXT) | instid1(VALU_DEP_1)
	v_mul_f32_e32 v1, v224, v1
	v_fma_mix_f32 v0, v182, v0, -v1 op_sel_hi:[1,0,0]
	v_mul_i32_i24_e32 v1, v7, v231
	s_delay_alu instid0(VALU_DEP_2) | instskip(SKIP_1) | instid1(VALU_DEP_1)
	v_fmac_f32_e32 v20, v3, v0
	v_mul_i32_i24_e32 v0, v5, v230
	v_mad_i32_i24 v0, v6, v228, v0
	s_delay_alu instid0(VALU_DEP_1) | instskip(SKIP_2) | instid1(VALU_DEP_1)
	v_add3_u32 v0, v0, v1, v2
	v_mul_i32_i24_e32 v1, v47, v232
	v_mul_i32_i24_e32 v2, v80, v233
	v_add3_u32 v0, v0, v1, v2
	v_mul_i32_i24_e32 v1, v88, v236
	v_mul_i32_i24_e32 v2, v89, v239
	s_delay_alu instid0(VALU_DEP_3) | instskip(SKIP_2) | instid1(VALU_DEP_3)
	v_add3_u32 v0, v0, v116, v117
	v_mul_i32_i24_e32 v116, v90, v240
	v_mul_i32_i24_e32 v117, v91, v242
	v_add3_u32 v0, v0, v1, v2
	v_mul_i32_i24_e32 v1, v92, v241
	v_mul_i32_i24_e32 v2, v93, v243
	s_delay_alu instid0(VALU_DEP_3) | instskip(SKIP_2) | instid1(VALU_DEP_3)
	v_add3_u32 v0, v0, v116, v117
	v_mul_i32_i24_e32 v116, v94, v244
	v_mul_i32_i24_e32 v117, v95, v245
	v_add3_u32 v0, v0, v1, v2
	v_mul_i32_i24_e32 v1, v96, v248
	v_mul_i32_i24_e32 v2, v98, v249
	s_delay_alu instid0(VALU_DEP_3) | instskip(SKIP_1) | instid1(VALU_DEP_4)
	v_add3_u32 v0, v0, v116, v117
	v_mul_i32_i24_e32 v116, v83, v252
	v_mad_i32_i24 v1, v97, v247, v1
	v_mul_i32_i24_e32 v117, v101, v253
	s_delay_alu instid0(VALU_DEP_4) | instskip(NEXT) | instid1(VALU_DEP_3)
	v_mul_lo_u32 v0, v0, v246
	v_add3_u32 v1, v1, v2, v116
	v_mul_i32_i24_e32 v2, v99, v250
	v_mul_i32_i24_e32 v116, v100, v251
	s_delay_alu instid0(VALU_DEP_1) | instskip(SKIP_2) | instid1(VALU_DEP_3)
	v_add3_u32 v1, v1, v2, v116
	v_mul_i32_i24_e32 v2, v102, v254
	v_mul_i32_i24_e32 v116, v103, v23
	v_add3_u32 v1, v1, v117, v118
	v_mul_i32_i24_e32 v117, v104, v29
	v_mul_i32_i24_e32 v118, v85, v49
	s_delay_alu instid0(VALU_DEP_3) | instskip(SKIP_2) | instid1(VALU_DEP_3)
	v_add3_u32 v1, v1, v2, v116
	v_mul_i32_i24_e32 v2, v105, v46
	v_mul_i32_i24_e32 v116, v106, v50
	v_add3_u32 v1, v1, v117, v118
	v_mul_i32_i24_e32 v117, v107, v52
	v_mul_i32_i24_e32 v118, v86, v53
	s_delay_alu instid0(VALU_DEP_3) | instskip(SKIP_1) | instid1(VALU_DEP_2)
	v_add3_u32 v1, v1, v2, v116
	v_mul_i32_i24_e32 v2, v109, v227
	v_add3_u32 v116, v1, v117, v118
	v_mul_i32_i24_e32 v1, v108, v229
	v_mul_i32_i24_e32 v118, v111, v226
	;; [unrolled: 1-line block ×3, first 2 shown]
	s_delay_alu instid0(VALU_DEP_2) | instskip(SKIP_2) | instid1(VALU_DEP_3)
	v_add3_u32 v1, v123, v118, v1
	v_mul_i32_i24_e32 v118, v84, v213
	v_mul_i32_i24_e32 v123, v113, v18
	v_add3_u32 v117, v1, v2, v117
	v_mad_u64_u32 v[1:2], null, v116, v180, v[0:1]
	v_mul_i32_i24_e32 v2, v24, v192
	v_mul_i32_i24_e32 v116, v81, v191
	v_add3_u32 v123, v128, v123, v127
	s_delay_alu instid0(VALU_DEP_4) | instskip(SKIP_2) | instid1(VALU_DEP_2)
	v_cvt_f32_i32_e32 v0, v1
	v_cvt_f32_i32_e32 v1, v117
	v_mul_i32_i24_e32 v117, v87, v27
	v_mul_f32_e32 v1, v21, v1
	s_delay_alu instid0(VALU_DEP_1) | instskip(SKIP_1) | instid1(VALU_DEP_2)
	v_fma_mix_f32 v0, v138, v0, -v1 op_sel_hi:[1,0,0]
	v_mul_i32_i24_e32 v1, v7, v188
	v_fmac_f32_e32 v19, v3, v0
	v_mul_i32_i24_e32 v0, v5, v187
	s_delay_alu instid0(VALU_DEP_1) | instskip(NEXT) | instid1(VALU_DEP_1)
	v_mad_i32_i24 v0, v6, v25, v0
	v_add3_u32 v0, v0, v1, v2
	v_mul_i32_i24_e32 v1, v47, v190
	v_mul_i32_i24_e32 v2, v80, v26
	s_delay_alu instid0(VALU_DEP_1) | instskip(SKIP_2) | instid1(VALU_DEP_3)
	v_add3_u32 v0, v0, v1, v2
	v_mul_i32_i24_e32 v1, v88, v193
	v_mul_i32_i24_e32 v2, v89, v196
	v_add3_u32 v0, v0, v116, v117
	v_mul_i32_i24_e32 v116, v90, v197
	v_mul_i32_i24_e32 v117, v91, v199
	s_delay_alu instid0(VALU_DEP_3) | instskip(SKIP_2) | instid1(VALU_DEP_3)
	v_add3_u32 v0, v0, v1, v2
	v_mul_i32_i24_e32 v1, v92, v28
	v_mul_i32_i24_e32 v2, v93, v200
	v_add3_u32 v0, v0, v116, v117
	v_mul_i32_i24_e32 v116, v94, v202
	v_mul_i32_i24_e32 v117, v95, v203
	s_delay_alu instid0(VALU_DEP_3) | instskip(SKIP_2) | instid1(VALU_DEP_3)
	v_add3_u32 v0, v0, v1, v2
	v_mul_i32_i24_e32 v1, v96, v206
	v_mul_i32_i24_e32 v2, v98, v207
	v_add3_u32 v0, v0, v116, v117
	v_mul_i32_i24_e32 v116, v83, v211
	s_delay_alu instid0(VALU_DEP_4) | instskip(SKIP_1) | instid1(VALU_DEP_4)
	v_mad_i32_i24 v1, v97, v205, v1
	v_mul_i32_i24_e32 v117, v101, v30
	v_mul_lo_u32 v0, v0, v204
	s_delay_alu instid0(VALU_DEP_3) | instskip(SKIP_2) | instid1(VALU_DEP_1)
	v_add3_u32 v1, v1, v2, v116
	v_mul_i32_i24_e32 v2, v99, v208
	v_mul_i32_i24_e32 v116, v100, v209
	v_add3_u32 v1, v1, v2, v116
	v_mul_i32_i24_e32 v2, v102, v212
	v_mul_i32_i24_e32 v116, v103, v215
	s_delay_alu instid0(VALU_DEP_3) | instskip(SKIP_2) | instid1(VALU_DEP_3)
	v_add3_u32 v1, v1, v117, v118
	v_mul_i32_i24_e32 v117, v104, v35
	v_mul_i32_i24_e32 v118, v85, v39
	v_add3_u32 v1, v1, v2, v116
	v_mul_i32_i24_e32 v2, v105, v217
	v_mul_i32_i24_e32 v116, v106, v219
	s_delay_alu instid0(VALU_DEP_3) | instskip(SKIP_2) | instid1(VALU_DEP_3)
	v_add3_u32 v1, v1, v117, v118
	v_mul_i32_i24_e32 v117, v107, v220
	v_mul_i32_i24_e32 v118, v86, v56
	v_add3_u32 v1, v1, v2, v116
	v_mul_i32_i24_e32 v2, v109, v185
	s_delay_alu instid0(VALU_DEP_2) | instskip(SKIP_3) | instid1(VALU_DEP_2)
	v_add3_u32 v116, v1, v117, v118
	v_mul_i32_i24_e32 v1, v108, v186
	v_mul_i32_i24_e32 v118, v111, v183
	;; [unrolled: 1-line block ×3, first 2 shown]
	v_add3_u32 v1, v123, v118, v1
	s_delay_alu instid0(VALU_DEP_1) | instskip(SKIP_3) | instid1(VALU_DEP_3)
	v_add3_u32 v117, v1, v2, v117
	v_mad_u64_u32 v[1:2], null, v116, v136, v[0:1]
	v_mul_i32_i24_e32 v2, v24, v148
	v_mul_i32_i24_e32 v24, v113, v135
	v_cvt_f32_i32_e32 v0, v1
	v_cvt_f32_i32_e32 v1, v117
	s_delay_alu instid0(VALU_DEP_1) | instskip(NEXT) | instid1(VALU_DEP_1)
	v_mul_f32_e32 v1, v137, v1
	v_fma_mix_f32 v0, v131, v0, -v1 op_sel_hi:[1,0,0]
	v_mul_i32_i24_e32 v1, v7, v145
	v_mul_i32_i24_e32 v7, v84, v168
	s_delay_alu instid0(VALU_DEP_3) | instskip(SKIP_2) | instid1(VALU_DEP_2)
	v_fmac_f32_e32 v179, v3, v0
	v_mul_i32_i24_e32 v0, v5, v144
	v_mul_i32_i24_e32 v5, v81, v149
	v_mad_i32_i24 v0, v6, v142, v0
	v_mul_i32_i24_e32 v6, v87, v152
	s_delay_alu instid0(VALU_DEP_2) | instskip(SKIP_4) | instid1(VALU_DEP_3)
	v_add3_u32 v0, v0, v1, v2
	v_mul_i32_i24_e32 v1, v47, v146
	v_mul_i32_i24_e32 v2, v80, v147
	;; [unrolled: 1-line block ×4, first 2 shown]
	v_add3_u32 v0, v0, v1, v2
	v_mul_i32_i24_e32 v1, v88, v150
	v_mul_i32_i24_e32 v2, v89, v12
	v_mad_i32_i24 v80, v112, v129, v80
	s_delay_alu instid0(VALU_DEP_4) | instskip(SKIP_2) | instid1(VALU_DEP_4)
	v_add3_u32 v0, v0, v5, v6
	v_mul_i32_i24_e32 v5, v90, v153
	v_mul_i32_i24_e32 v6, v91, v154
	v_add3_u32 v24, v80, v24, v47
	s_delay_alu instid0(VALU_DEP_4) | instskip(SKIP_2) | instid1(VALU_DEP_3)
	v_add3_u32 v0, v0, v1, v2
	v_mul_i32_i24_e32 v1, v92, v155
	v_mul_i32_i24_e32 v2, v93, v156
	v_add3_u32 v0, v0, v5, v6
	v_mul_i32_i24_e32 v5, v94, v158
	v_mul_i32_i24_e32 v6, v95, v159
	s_delay_alu instid0(VALU_DEP_3) | instskip(SKIP_2) | instid1(VALU_DEP_3)
	v_add3_u32 v0, v0, v1, v2
	v_mul_i32_i24_e32 v1, v96, v162
	v_mul_i32_i24_e32 v2, v98, v163
	v_add3_u32 v0, v0, v5, v6
	v_mul_i32_i24_e32 v5, v83, v167
	s_delay_alu instid0(VALU_DEP_4) | instskip(SKIP_1) | instid1(VALU_DEP_4)
	v_mad_i32_i24 v1, v97, v13, v1
	v_mul_i32_i24_e32 v6, v101, v14
	v_mul_lo_u32 v0, v0, v161
	s_delay_alu instid0(VALU_DEP_3) | instskip(SKIP_2) | instid1(VALU_DEP_1)
	v_add3_u32 v1, v1, v2, v5
	v_mul_i32_i24_e32 v2, v99, v165
	v_mul_i32_i24_e32 v5, v100, v164
	v_add3_u32 v1, v1, v2, v5
	v_mul_i32_i24_e32 v2, v102, v169
	v_mul_i32_i24_e32 v5, v103, v170
	s_delay_alu instid0(VALU_DEP_3) | instskip(SKIP_2) | instid1(VALU_DEP_3)
	v_add3_u32 v1, v1, v6, v7
	v_mul_i32_i24_e32 v6, v104, v171
	v_mul_i32_i24_e32 v7, v85, v173
	v_add3_u32 v1, v1, v2, v5
	v_mul_i32_i24_e32 v2, v105, v172
	v_mul_i32_i24_e32 v5, v106, v174
	s_delay_alu instid0(VALU_DEP_3) | instskip(SKIP_2) | instid1(VALU_DEP_3)
	v_add3_u32 v1, v1, v6, v7
	v_mul_i32_i24_e32 v6, v107, v175
	v_mul_i32_i24_e32 v7, v86, v176
	v_add3_u32 v1, v1, v2, v5
	v_mul_i32_i24_e32 v2, v109, v141
	s_delay_alu instid0(VALU_DEP_2) | instskip(SKIP_3) | instid1(VALU_DEP_2)
	v_add3_u32 v5, v1, v6, v7
	v_mul_i32_i24_e32 v1, v108, v143
	v_mul_i32_i24_e32 v7, v111, v139
	;; [unrolled: 1-line block ×3, first 2 shown]
	v_add3_u32 v1, v24, v7, v1
	s_delay_alu instid0(VALU_DEP_1) | instskip(SKIP_1) | instid1(VALU_DEP_1)
	v_add3_u32 v6, v1, v2, v6
	v_mad_u64_u32 v[1:2], null, v5, v9, v[0:1]
	v_cvt_f32_i32_e32 v0, v1
	s_delay_alu instid0(VALU_DEP_3) | instskip(NEXT) | instid1(VALU_DEP_1)
	v_cvt_f32_i32_e32 v1, v6
	v_mul_f32_e32 v1, v8, v1
	s_delay_alu instid0(VALU_DEP_1) | instskip(NEXT) | instid1(VALU_DEP_1)
	v_fma_mix_f32 v0, v126, v0, -v1 op_sel_hi:[1,0,0]
	v_fmac_f32_e32 v17, v3, v0
	ds_load_b128 v[0:3], v124 offset:5120
	s_waitcnt lgkmcnt(0)
	v_bfe_i32 v5, v0, 0, 8
	v_bfe_i32 v6, v0, 8, 8
	v_bfe_i32 v7, v0, 16, 8
	v_ashrrev_i32_e32 v24, 24, v0
	v_bfe_i32 v47, v1, 0, 8
	v_bfe_i32 v80, v1, 8, 8
	v_bfe_i32 v81, v1, 16, 8
	v_ashrrev_i32_e32 v83, 24, v1
	;; [unrolled: 4-line block ×4, first 2 shown]
	ds_load_b128 v[0:3], v124 offset:5136
	v_mul_i32_i24_e32 v115, v81, v73
	v_mul_i32_i24_e32 v116, v83, v76
	s_waitcnt lgkmcnt(0)
	v_ashrrev_i32_e32 v95, 24, v0
	v_ashrrev_i32_e32 v99, 24, v1
	v_bfe_i32 v92, v0, 0, 8
	v_bfe_i32 v93, v0, 8, 8
	;; [unrolled: 1-line block ×4, first 2 shown]
	v_ashrrev_i32_e32 v103, 24, v2
	v_bfe_i32 v104, v3, 0, 8
	v_bfe_i32 v105, v3, 8, 8
	;; [unrolled: 1-line block ×3, first 2 shown]
	v_ashrrev_i32_e32 v3, 24, v3
	v_add_nc_u32_e32 v0, v99, v95
	v_bfe_i32 v97, v1, 8, 8
	v_bfe_i32 v102, v2, 16, 8
	;; [unrolled: 1-line block ×4, first 2 shown]
	v_add3_u32 v107, v0, v103, v3
	v_add_nc_u32_e32 v0, v98, v94
	v_bfe_i32 v100, v2, 0, 8
	v_mul_i32_i24_e32 v1, v7, v66
	v_mul_i32_i24_e32 v2, v24, v72
	;; [unrolled: 1-line block ×3, first 2 shown]
	v_add3_u32 v108, v0, v102, v106
	v_add_nc_u32_e32 v0, v97, v93
	s_delay_alu instid0(VALU_DEP_1) | instskip(SKIP_1) | instid1(VALU_DEP_1)
	v_add3_u32 v109, v0, v101, v105
	v_add_nc_u32_e32 v0, v96, v92
	v_add3_u32 v110, v0, v100, v104
	v_add_nc_u32_e32 v0, v83, v24
	s_delay_alu instid0(VALU_DEP_1) | instskip(SKIP_1) | instid1(VALU_DEP_1)
	v_add3_u32 v111, v0, v87, v91
	v_add_nc_u32_e32 v0, v81, v7
	v_add3_u32 v112, v0, v86, v90
	v_add_nc_u32_e32 v0, v80, v6
	s_delay_alu instid0(VALU_DEP_2) | instskip(NEXT) | instid1(VALU_DEP_2)
	v_mul_i32_i24_e32 v118, v112, v55
	v_add3_u32 v113, v0, v85, v89
	v_add_nc_u32_e32 v0, v47, v5
	s_delay_alu instid0(VALU_DEP_2) | instskip(NEXT) | instid1(VALU_DEP_2)
	v_mul_i32_i24_e32 v123, v113, v54
	v_add3_u32 v114, v0, v84, v88
	v_mul_i32_i24_e32 v0, v5, v64
	s_delay_alu instid0(VALU_DEP_2) | instskip(NEXT) | instid1(VALU_DEP_2)
	v_mul_i32_i24_e32 v127, v114, v195
	v_mad_i32_i24 v0, v6, v61, v0
	s_delay_alu instid0(VALU_DEP_2) | instskip(NEXT) | instid1(VALU_DEP_2)
	v_mad_i32_i24 v127, v111, v201, v127
	v_add3_u32 v0, v0, v1, v2
	v_mul_i32_i24_e32 v1, v47, v69
	v_mul_i32_i24_e32 v2, v80, v71
	s_delay_alu instid0(VALU_DEP_4) | instskip(SKIP_2) | instid1(VALU_DEP_4)
	v_add3_u32 v118, v127, v118, v123
	v_mul_i32_i24_e32 v127, v114, v151
	v_mul_i32_i24_e32 v123, v113, v222
	v_add3_u32 v0, v0, v1, v2
	v_mul_i32_i24_e32 v1, v84, v74
	v_mul_i32_i24_e32 v2, v85, v77
	v_mad_i32_i24 v127, v111, v157, v127
	s_delay_alu instid0(VALU_DEP_4) | instskip(SKIP_2) | instid1(VALU_DEP_3)
	v_add3_u32 v0, v0, v115, v116
	v_mul_i32_i24_e32 v115, v86, v78
	v_mul_i32_i24_e32 v116, v87, v82
	v_add3_u32 v0, v0, v1, v2
	v_mul_i32_i24_e32 v1, v88, v79
	v_mul_i32_i24_e32 v2, v89, v119
	s_delay_alu instid0(VALU_DEP_3) | instskip(SKIP_2) | instid1(VALU_DEP_3)
	v_add3_u32 v0, v0, v115, v116
	v_mul_i32_i24_e32 v115, v90, v120
	v_mul_i32_i24_e32 v116, v91, v121
	v_add3_u32 v0, v0, v1, v2
	v_mul_i32_i24_e32 v1, v92, v36
	v_mul_i32_i24_e32 v2, v94, v37
	s_delay_alu instid0(VALU_DEP_3) | instskip(SKIP_1) | instid1(VALU_DEP_4)
	v_add3_u32 v0, v0, v115, v116
	v_mul_i32_i24_e32 v115, v95, v42
	v_mad_i32_i24 v1, v93, v31, v1
	v_mul_i32_i24_e32 v116, v98, v44
	s_delay_alu instid0(VALU_DEP_4) | instskip(NEXT) | instid1(VALU_DEP_3)
	v_mul_lo_u32 v0, v0, v122
	v_add3_u32 v1, v1, v2, v115
	v_mul_i32_i24_e32 v2, v96, v40
	v_mul_i32_i24_e32 v115, v97, v41
	s_delay_alu instid0(VALU_DEP_1) | instskip(SKIP_2) | instid1(VALU_DEP_3)
	v_add3_u32 v1, v1, v2, v115
	v_mul_i32_i24_e32 v2, v100, v45
	v_mul_i32_i24_e32 v115, v101, v51
	v_add3_u32 v1, v1, v116, v117
	v_mul_i32_i24_e32 v116, v102, v57
	v_mul_i32_i24_e32 v117, v103, v65
	s_delay_alu instid0(VALU_DEP_3) | instskip(SKIP_2) | instid1(VALU_DEP_3)
	v_add3_u32 v1, v1, v2, v115
	v_mul_i32_i24_e32 v2, v104, v62
	v_mul_i32_i24_e32 v115, v105, v67
	v_add3_u32 v1, v1, v116, v117
	v_mul_i32_i24_e32 v116, v106, v68
	v_mul_i32_i24_e32 v117, v3, v70
	s_delay_alu instid0(VALU_DEP_3) | instskip(SKIP_1) | instid1(VALU_DEP_2)
	v_add3_u32 v1, v1, v2, v115
	v_mul_i32_i24_e32 v2, v108, v60
	v_add3_u32 v115, v1, v116, v117
	v_mul_i32_i24_e32 v1, v107, v63
	v_mul_i32_i24_e32 v117, v110, v58
	;; [unrolled: 1-line block ×3, first 2 shown]
	s_delay_alu instid0(VALU_DEP_2) | instskip(SKIP_2) | instid1(VALU_DEP_3)
	v_add3_u32 v1, v118, v117, v1
	v_mul_i32_i24_e32 v117, v99, v255
	v_mul_i32_i24_e32 v118, v112, v75
	v_add3_u32 v116, v1, v2, v116
	v_mad_u64_u32 v[1:2], null, v115, v223, v[0:1]
	v_mul_i32_i24_e32 v2, v24, v234
	v_mul_i32_i24_e32 v115, v81, v235
	v_add3_u32 v118, v127, v118, v123
	v_mul_i32_i24_e32 v127, v114, v132
	v_mul_i32_i24_e32 v123, v113, v178
	v_cvt_f32_i32_e32 v0, v1
	v_cvt_f32_i32_e32 v1, v116
	v_mul_i32_i24_e32 v116, v83, v237
	v_mad_i32_i24 v127, v111, v133, v127
	s_delay_alu instid0(VALU_DEP_3) | instskip(NEXT) | instid1(VALU_DEP_1)
	v_mul_f32_e32 v1, v224, v1
	v_fma_mix_f32 v0, v182, v0, -v1 op_sel_hi:[1,0,0]
	v_mul_i32_i24_e32 v1, v7, v231
	s_delay_alu instid0(VALU_DEP_2) | instskip(SKIP_1) | instid1(VALU_DEP_1)
	v_fmac_f32_e32 v16, v4, v0
	v_mul_i32_i24_e32 v0, v5, v230
	v_mad_i32_i24 v0, v6, v228, v0
	s_delay_alu instid0(VALU_DEP_1) | instskip(SKIP_2) | instid1(VALU_DEP_1)
	v_add3_u32 v0, v0, v1, v2
	v_mul_i32_i24_e32 v1, v47, v232
	v_mul_i32_i24_e32 v2, v80, v233
	v_add3_u32 v0, v0, v1, v2
	v_mul_i32_i24_e32 v1, v84, v236
	v_mul_i32_i24_e32 v2, v85, v239
	s_delay_alu instid0(VALU_DEP_3) | instskip(SKIP_2) | instid1(VALU_DEP_3)
	v_add3_u32 v0, v0, v115, v116
	v_mul_i32_i24_e32 v115, v86, v240
	v_mul_i32_i24_e32 v116, v87, v242
	v_add3_u32 v0, v0, v1, v2
	v_mul_i32_i24_e32 v1, v88, v241
	v_mul_i32_i24_e32 v2, v89, v243
	s_delay_alu instid0(VALU_DEP_3) | instskip(SKIP_2) | instid1(VALU_DEP_3)
	v_add3_u32 v0, v0, v115, v116
	v_mul_i32_i24_e32 v115, v90, v244
	v_mul_i32_i24_e32 v116, v91, v245
	v_add3_u32 v0, v0, v1, v2
	v_mul_i32_i24_e32 v1, v92, v248
	v_mul_i32_i24_e32 v2, v94, v249
	s_delay_alu instid0(VALU_DEP_3) | instskip(SKIP_1) | instid1(VALU_DEP_4)
	v_add3_u32 v0, v0, v115, v116
	v_mul_i32_i24_e32 v115, v95, v252
	v_mad_i32_i24 v1, v93, v247, v1
	v_mul_i32_i24_e32 v116, v98, v253
	s_delay_alu instid0(VALU_DEP_4) | instskip(NEXT) | instid1(VALU_DEP_3)
	v_mul_lo_u32 v0, v0, v246
	v_add3_u32 v1, v1, v2, v115
	v_mul_i32_i24_e32 v2, v96, v250
	v_mul_i32_i24_e32 v115, v97, v251
	s_delay_alu instid0(VALU_DEP_1) | instskip(SKIP_2) | instid1(VALU_DEP_3)
	v_add3_u32 v1, v1, v2, v115
	v_mul_i32_i24_e32 v2, v100, v254
	v_mul_i32_i24_e32 v115, v101, v23
	v_add3_u32 v1, v1, v116, v117
	v_mul_i32_i24_e32 v116, v102, v29
	v_mul_i32_i24_e32 v117, v103, v49
	s_delay_alu instid0(VALU_DEP_3) | instskip(SKIP_2) | instid1(VALU_DEP_3)
	v_add3_u32 v1, v1, v2, v115
	v_mul_i32_i24_e32 v2, v104, v46
	v_mul_i32_i24_e32 v115, v105, v50
	v_add3_u32 v1, v1, v116, v117
	v_mul_i32_i24_e32 v116, v106, v52
	v_mul_i32_i24_e32 v117, v3, v53
	s_delay_alu instid0(VALU_DEP_3) | instskip(SKIP_1) | instid1(VALU_DEP_2)
	v_add3_u32 v1, v1, v2, v115
	v_mul_i32_i24_e32 v2, v108, v227
	v_add3_u32 v115, v1, v116, v117
	v_mul_i32_i24_e32 v1, v107, v229
	v_mul_i32_i24_e32 v117, v110, v226
	;; [unrolled: 1-line block ×3, first 2 shown]
	s_delay_alu instid0(VALU_DEP_2) | instskip(SKIP_2) | instid1(VALU_DEP_3)
	v_add3_u32 v1, v118, v117, v1
	v_mul_i32_i24_e32 v117, v99, v213
	v_mul_i32_i24_e32 v118, v112, v18
	v_add3_u32 v116, v1, v2, v116
	v_mad_u64_u32 v[1:2], null, v115, v180, v[0:1]
	v_mul_i32_i24_e32 v2, v24, v192
	v_mul_i32_i24_e32 v115, v81, v191
	v_add3_u32 v118, v127, v118, v123
	s_delay_alu instid0(VALU_DEP_4) | instskip(SKIP_2) | instid1(VALU_DEP_2)
	v_cvt_f32_i32_e32 v0, v1
	v_cvt_f32_i32_e32 v1, v116
	v_mul_i32_i24_e32 v116, v83, v27
	v_mul_f32_e32 v1, v21, v1
	s_delay_alu instid0(VALU_DEP_1) | instskip(SKIP_1) | instid1(VALU_DEP_2)
	v_fma_mix_f32 v0, v138, v0, -v1 op_sel_hi:[1,0,0]
	v_mul_i32_i24_e32 v1, v7, v188
	v_fmac_f32_e32 v15, v4, v0
	v_mul_i32_i24_e32 v0, v5, v187
	s_delay_alu instid0(VALU_DEP_1) | instskip(NEXT) | instid1(VALU_DEP_1)
	v_mad_i32_i24 v0, v6, v25, v0
	v_add3_u32 v0, v0, v1, v2
	v_mul_i32_i24_e32 v1, v47, v190
	v_mul_i32_i24_e32 v2, v80, v26
	s_delay_alu instid0(VALU_DEP_1) | instskip(SKIP_2) | instid1(VALU_DEP_3)
	v_add3_u32 v0, v0, v1, v2
	v_mul_i32_i24_e32 v1, v84, v193
	v_mul_i32_i24_e32 v2, v85, v196
	v_add3_u32 v0, v0, v115, v116
	v_mul_i32_i24_e32 v115, v86, v197
	v_mul_i32_i24_e32 v116, v87, v199
	s_delay_alu instid0(VALU_DEP_3) | instskip(SKIP_2) | instid1(VALU_DEP_3)
	v_add3_u32 v0, v0, v1, v2
	v_mul_i32_i24_e32 v1, v88, v28
	v_mul_i32_i24_e32 v2, v89, v200
	v_add3_u32 v0, v0, v115, v116
	v_mul_i32_i24_e32 v115, v90, v202
	v_mul_i32_i24_e32 v116, v91, v203
	s_delay_alu instid0(VALU_DEP_3) | instskip(SKIP_2) | instid1(VALU_DEP_3)
	v_add3_u32 v0, v0, v1, v2
	v_mul_i32_i24_e32 v1, v92, v206
	v_mul_i32_i24_e32 v2, v94, v207
	v_add3_u32 v0, v0, v115, v116
	v_mul_i32_i24_e32 v115, v95, v211
	s_delay_alu instid0(VALU_DEP_4) | instskip(SKIP_1) | instid1(VALU_DEP_4)
	v_mad_i32_i24 v1, v93, v205, v1
	v_mul_i32_i24_e32 v116, v98, v30
	v_mul_lo_u32 v0, v0, v204
	s_delay_alu instid0(VALU_DEP_3) | instskip(SKIP_2) | instid1(VALU_DEP_1)
	v_add3_u32 v1, v1, v2, v115
	v_mul_i32_i24_e32 v2, v96, v208
	v_mul_i32_i24_e32 v115, v97, v209
	v_add3_u32 v1, v1, v2, v115
	v_mul_i32_i24_e32 v2, v100, v212
	v_mul_i32_i24_e32 v115, v101, v215
	s_delay_alu instid0(VALU_DEP_3) | instskip(SKIP_2) | instid1(VALU_DEP_3)
	v_add3_u32 v1, v1, v116, v117
	v_mul_i32_i24_e32 v116, v102, v35
	v_mul_i32_i24_e32 v117, v103, v39
	v_add3_u32 v1, v1, v2, v115
	v_mul_i32_i24_e32 v2, v104, v217
	v_mul_i32_i24_e32 v115, v105, v219
	s_delay_alu instid0(VALU_DEP_3) | instskip(SKIP_3) | instid1(VALU_DEP_4)
	v_add3_u32 v1, v1, v116, v117
	v_mul_i32_i24_e32 v116, v106, v220
	v_mul_i32_i24_e32 v117, v3, v56
	;; [unrolled: 1-line block ×3, first 2 shown]
	v_add3_u32 v1, v1, v2, v115
	v_mul_i32_i24_e32 v2, v108, v185
	s_delay_alu instid0(VALU_DEP_2) | instskip(SKIP_3) | instid1(VALU_DEP_2)
	v_add3_u32 v115, v1, v116, v117
	v_mul_i32_i24_e32 v1, v107, v186
	v_mul_i32_i24_e32 v117, v110, v183
	;; [unrolled: 1-line block ×3, first 2 shown]
	v_add3_u32 v1, v118, v117, v1
	s_delay_alu instid0(VALU_DEP_1) | instskip(SKIP_3) | instid1(VALU_DEP_3)
	v_add3_u32 v116, v1, v2, v116
	v_mad_u64_u32 v[1:2], null, v115, v136, v[0:1]
	v_mul_i32_i24_e32 v2, v24, v148
	v_mul_i32_i24_e32 v24, v113, v134
	v_cvt_f32_i32_e32 v0, v1
	v_cvt_f32_i32_e32 v1, v116
	s_delay_alu instid0(VALU_DEP_1) | instskip(NEXT) | instid1(VALU_DEP_1)
	v_mul_f32_e32 v1, v137, v1
	v_fma_mix_f32 v0, v131, v0, -v1 op_sel_hi:[1,0,0]
	v_mul_i32_i24_e32 v1, v7, v145
	v_mul_i32_i24_e32 v7, v99, v168
	s_delay_alu instid0(VALU_DEP_3) | instskip(SKIP_2) | instid1(VALU_DEP_2)
	v_fmac_f32_e32 v177, v4, v0
	v_mul_i32_i24_e32 v0, v5, v144
	v_mul_i32_i24_e32 v5, v81, v149
	v_mad_i32_i24 v0, v6, v142, v0
	v_mul_i32_i24_e32 v6, v83, v152
	s_delay_alu instid0(VALU_DEP_2) | instskip(SKIP_3) | instid1(VALU_DEP_2)
	v_add3_u32 v0, v0, v1, v2
	v_mul_i32_i24_e32 v1, v47, v146
	v_mul_i32_i24_e32 v2, v80, v147
	;; [unrolled: 1-line block ×3, first 2 shown]
	v_add3_u32 v0, v0, v1, v2
	v_mul_i32_i24_e32 v1, v84, v150
	v_mul_i32_i24_e32 v2, v85, v12
	s_delay_alu instid0(VALU_DEP_4) | instskip(NEXT) | instid1(VALU_DEP_4)
	v_mad_i32_i24 v47, v111, v129, v47
	v_add3_u32 v0, v0, v5, v6
	v_mul_i32_i24_e32 v5, v86, v153
	v_mul_i32_i24_e32 v6, v87, v154
	s_delay_alu instid0(VALU_DEP_3) | instskip(SKIP_2) | instid1(VALU_DEP_3)
	v_add3_u32 v0, v0, v1, v2
	v_mul_i32_i24_e32 v1, v88, v155
	v_mul_i32_i24_e32 v2, v89, v156
	v_add3_u32 v0, v0, v5, v6
	v_mul_i32_i24_e32 v5, v90, v158
	v_mul_i32_i24_e32 v6, v91, v159
	s_delay_alu instid0(VALU_DEP_3) | instskip(SKIP_2) | instid1(VALU_DEP_3)
	v_add3_u32 v0, v0, v1, v2
	v_mul_i32_i24_e32 v1, v92, v162
	v_mul_i32_i24_e32 v2, v94, v163
	v_add3_u32 v0, v0, v5, v6
	v_mul_i32_i24_e32 v5, v95, v167
	s_delay_alu instid0(VALU_DEP_4) | instskip(SKIP_1) | instid1(VALU_DEP_4)
	v_mad_i32_i24 v1, v93, v13, v1
	v_mul_i32_i24_e32 v6, v98, v14
	v_mul_lo_u32 v0, v0, v161
	s_delay_alu instid0(VALU_DEP_3) | instskip(SKIP_2) | instid1(VALU_DEP_1)
	v_add3_u32 v1, v1, v2, v5
	v_mul_i32_i24_e32 v2, v96, v165
	v_mul_i32_i24_e32 v5, v97, v164
	v_add3_u32 v1, v1, v2, v5
	v_mul_i32_i24_e32 v2, v100, v169
	v_mul_i32_i24_e32 v5, v101, v170
	s_delay_alu instid0(VALU_DEP_3) | instskip(SKIP_2) | instid1(VALU_DEP_3)
	v_add3_u32 v1, v1, v6, v7
	v_mul_i32_i24_e32 v6, v102, v171
	v_mul_i32_i24_e32 v7, v103, v173
	v_add3_u32 v1, v1, v2, v5
	v_mul_i32_i24_e32 v2, v104, v172
	v_mul_i32_i24_e32 v5, v105, v174
	s_delay_alu instid0(VALU_DEP_3) | instskip(SKIP_2) | instid1(VALU_DEP_3)
	v_add3_u32 v1, v1, v6, v7
	v_mul_i32_i24_e32 v6, v106, v175
	v_mul_i32_i24_e32 v7, v112, v135
	v_add3_u32 v1, v1, v2, v5
	v_mul_i32_i24_e32 v2, v108, v141
	s_delay_alu instid0(VALU_DEP_3) | instskip(SKIP_1) | instid1(VALU_DEP_4)
	v_add3_u32 v7, v47, v7, v24
	v_mul_i32_i24_e32 v5, v109, v140
	v_add3_u32 v3, v1, v6, v3
	v_mul_i32_i24_e32 v1, v107, v143
	v_mul_i32_i24_e32 v6, v110, v139
	s_delay_alu instid0(VALU_DEP_1) | instskip(NEXT) | instid1(VALU_DEP_1)
	v_add3_u32 v1, v7, v6, v1
	v_add3_u32 v5, v1, v2, v5
	v_mad_u64_u32 v[1:2], null, v3, v9, v[0:1]
	s_delay_alu instid0(VALU_DEP_1) | instskip(NEXT) | instid1(VALU_DEP_3)
	v_cvt_f32_i32_e32 v0, v1
	v_cvt_f32_i32_e32 v1, v5
	s_delay_alu instid0(VALU_DEP_1) | instskip(NEXT) | instid1(VALU_DEP_1)
	v_mul_f32_e32 v1, v8, v1
	v_fma_mix_f32 v0, v126, v0, -v1 op_sel_hi:[1,0,0]
	s_delay_alu instid0(VALU_DEP_1)
	v_fmac_f32_e32 v166, v4, v0
	ds_load_2addr_b32 v[3:4], v125 offset0:192 offset1:224
	ds_load_b128 v[83:86], v124 offset:6144
	v_add_nc_u32_e32 v125, 4, v125
	s_waitcnt lgkmcnt(0)
	v_bfe_i32 v5, v83, 0, 8
	v_bfe_i32 v6, v83, 8, 8
	v_bfe_i32 v7, v83, 16, 8
	v_ashrrev_i32_e32 v24, 24, v83
	v_bfe_i32 v47, v84, 0, 8
	v_bfe_i32 v80, v84, 8, 8
	v_bfe_i32 v81, v84, 16, 8
	v_ashrrev_i32_e32 v87, 24, v84
	;; [unrolled: 4-line block ×4, first 2 shown]
	ds_load_b128 v[83:86], v124 offset:6160
	v_mul_i32_i24_e32 v1, v7, v66
	v_mul_i32_i24_e32 v2, v24, v72
	v_mul_i32_i24_e32 v116, v81, v73
	v_mul_i32_i24_e32 v117, v87, v76
	s_waitcnt lgkmcnt(0)
	v_bfe_i32 v96, v83, 0, 8
	v_bfe_i32 v97, v83, 8, 8
	v_bfe_i32 v98, v83, 16, 8
	v_ashrrev_i32_e32 v83, 24, v83
	v_bfe_i32 v99, v84, 0, 8
	v_bfe_i32 v100, v84, 8, 8
	v_bfe_i32 v101, v84, 16, 8
	v_ashrrev_i32_e32 v84, 24, v84
	;; [unrolled: 4-line block ×4, first 2 shown]
	v_add_nc_u32_e32 v0, v84, v83
	v_mul_i32_i24_e32 v118, v84, v48
	s_delay_alu instid0(VALU_DEP_2) | instskip(SKIP_1) | instid1(VALU_DEP_1)
	v_add3_u32 v108, v0, v85, v86
	v_add_nc_u32_e32 v0, v101, v98
	v_add3_u32 v109, v0, v104, v107
	v_add_nc_u32_e32 v0, v100, v97
	s_delay_alu instid0(VALU_DEP_1) | instskip(SKIP_1) | instid1(VALU_DEP_1)
	v_add3_u32 v110, v0, v103, v106
	v_add_nc_u32_e32 v0, v99, v96
	v_add3_u32 v111, v0, v102, v105
	v_add_nc_u32_e32 v0, v87, v24
	s_delay_alu instid0(VALU_DEP_1) | instskip(SKIP_1) | instid1(VALU_DEP_1)
	v_add3_u32 v112, v0, v91, v95
	v_add_nc_u32_e32 v0, v81, v7
	v_add3_u32 v113, v0, v90, v94
	v_add_nc_u32_e32 v0, v80, v6
	s_delay_alu instid0(VALU_DEP_2) | instskip(NEXT) | instid1(VALU_DEP_2)
	v_mul_i32_i24_e32 v123, v113, v55
	v_add3_u32 v114, v0, v89, v93
	v_add_nc_u32_e32 v0, v47, v5
	s_delay_alu instid0(VALU_DEP_2) | instskip(NEXT) | instid1(VALU_DEP_2)
	v_mul_i32_i24_e32 v127, v114, v54
	v_add3_u32 v115, v0, v88, v92
	v_mul_i32_i24_e32 v0, v5, v64
	s_delay_alu instid0(VALU_DEP_2) | instskip(NEXT) | instid1(VALU_DEP_2)
	v_mul_i32_i24_e32 v128, v115, v195
	v_mad_i32_i24 v0, v6, v61, v0
	s_delay_alu instid0(VALU_DEP_2) | instskip(NEXT) | instid1(VALU_DEP_2)
	v_mad_i32_i24 v128, v112, v201, v128
	v_add3_u32 v0, v0, v1, v2
	v_mul_i32_i24_e32 v1, v47, v69
	v_mul_i32_i24_e32 v2, v80, v71
	s_delay_alu instid0(VALU_DEP_4) | instskip(SKIP_2) | instid1(VALU_DEP_4)
	v_add3_u32 v123, v128, v123, v127
	v_mul_i32_i24_e32 v128, v115, v151
	v_mul_i32_i24_e32 v127, v114, v222
	v_add3_u32 v0, v0, v1, v2
	v_mul_i32_i24_e32 v1, v88, v74
	v_mul_i32_i24_e32 v2, v89, v77
	v_mad_i32_i24 v128, v112, v157, v128
	s_delay_alu instid0(VALU_DEP_4) | instskip(SKIP_2) | instid1(VALU_DEP_3)
	v_add3_u32 v0, v0, v116, v117
	v_mul_i32_i24_e32 v116, v90, v78
	v_mul_i32_i24_e32 v117, v91, v82
	v_add3_u32 v0, v0, v1, v2
	v_mul_i32_i24_e32 v1, v92, v79
	v_mul_i32_i24_e32 v2, v93, v119
	s_delay_alu instid0(VALU_DEP_3) | instskip(SKIP_2) | instid1(VALU_DEP_3)
	v_add3_u32 v0, v0, v116, v117
	v_mul_i32_i24_e32 v116, v94, v120
	v_mul_i32_i24_e32 v117, v95, v121
	v_add3_u32 v0, v0, v1, v2
	v_mul_i32_i24_e32 v1, v96, v36
	v_mul_i32_i24_e32 v2, v98, v37
	s_delay_alu instid0(VALU_DEP_3) | instskip(SKIP_1) | instid1(VALU_DEP_4)
	v_add3_u32 v0, v0, v116, v117
	v_mul_i32_i24_e32 v116, v83, v42
	v_mad_i32_i24 v1, v97, v31, v1
	v_mul_i32_i24_e32 v117, v101, v44
	s_delay_alu instid0(VALU_DEP_4) | instskip(NEXT) | instid1(VALU_DEP_3)
	v_mul_lo_u32 v0, v0, v122
	v_add3_u32 v1, v1, v2, v116
	v_mul_i32_i24_e32 v2, v99, v40
	v_mul_i32_i24_e32 v116, v100, v41
	s_delay_alu instid0(VALU_DEP_1) | instskip(SKIP_2) | instid1(VALU_DEP_3)
	v_add3_u32 v1, v1, v2, v116
	v_mul_i32_i24_e32 v2, v102, v45
	v_mul_i32_i24_e32 v116, v103, v51
	v_add3_u32 v1, v1, v117, v118
	v_mul_i32_i24_e32 v117, v104, v57
	v_mul_i32_i24_e32 v118, v85, v65
	s_delay_alu instid0(VALU_DEP_3) | instskip(SKIP_2) | instid1(VALU_DEP_3)
	v_add3_u32 v1, v1, v2, v116
	v_mul_i32_i24_e32 v2, v105, v62
	v_mul_i32_i24_e32 v116, v106, v67
	v_add3_u32 v1, v1, v117, v118
	v_mul_i32_i24_e32 v117, v107, v68
	v_mul_i32_i24_e32 v118, v86, v70
	s_delay_alu instid0(VALU_DEP_3) | instskip(SKIP_1) | instid1(VALU_DEP_2)
	v_add3_u32 v1, v1, v2, v116
	v_mul_i32_i24_e32 v2, v109, v60
	v_add3_u32 v116, v1, v117, v118
	v_mul_i32_i24_e32 v1, v108, v63
	v_mul_i32_i24_e32 v118, v111, v58
	;; [unrolled: 1-line block ×3, first 2 shown]
	s_delay_alu instid0(VALU_DEP_2) | instskip(SKIP_2) | instid1(VALU_DEP_3)
	v_add3_u32 v1, v123, v118, v1
	v_mul_i32_i24_e32 v118, v84, v255
	v_mul_i32_i24_e32 v123, v113, v75
	v_add3_u32 v117, v1, v2, v117
	v_mad_u64_u32 v[1:2], null, v116, v223, v[0:1]
	v_mul_i32_i24_e32 v2, v24, v234
	v_mul_i32_i24_e32 v116, v81, v235
	v_add3_u32 v123, v128, v123, v127
	v_mul_i32_i24_e32 v128, v115, v132
	v_mul_i32_i24_e32 v127, v114, v178
	v_cvt_f32_i32_e32 v0, v1
	v_cvt_f32_i32_e32 v1, v117
	v_mul_i32_i24_e32 v117, v87, v237
	v_mad_i32_i24 v128, v112, v133, v128
	s_delay_alu instid0(VALU_DEP_3) | instskip(NEXT) | instid1(VALU_DEP_1)
	v_mul_f32_e32 v1, v224, v1
	v_fma_mix_f32 v0, v182, v0, -v1 op_sel_hi:[1,0,0]
	v_mul_i32_i24_e32 v1, v7, v231
	s_delay_alu instid0(VALU_DEP_2) | instskip(SKIP_1) | instid1(VALU_DEP_1)
	v_fmac_f32_e32 v160, v3, v0
	v_mul_i32_i24_e32 v0, v5, v230
	v_mad_i32_i24 v0, v6, v228, v0
	s_delay_alu instid0(VALU_DEP_1) | instskip(SKIP_2) | instid1(VALU_DEP_1)
	v_add3_u32 v0, v0, v1, v2
	v_mul_i32_i24_e32 v1, v47, v232
	v_mul_i32_i24_e32 v2, v80, v233
	v_add3_u32 v0, v0, v1, v2
	v_mul_i32_i24_e32 v1, v88, v236
	v_mul_i32_i24_e32 v2, v89, v239
	s_delay_alu instid0(VALU_DEP_3) | instskip(SKIP_2) | instid1(VALU_DEP_3)
	v_add3_u32 v0, v0, v116, v117
	v_mul_i32_i24_e32 v116, v90, v240
	v_mul_i32_i24_e32 v117, v91, v242
	v_add3_u32 v0, v0, v1, v2
	v_mul_i32_i24_e32 v1, v92, v241
	v_mul_i32_i24_e32 v2, v93, v243
	s_delay_alu instid0(VALU_DEP_3) | instskip(SKIP_2) | instid1(VALU_DEP_3)
	v_add3_u32 v0, v0, v116, v117
	v_mul_i32_i24_e32 v116, v94, v244
	v_mul_i32_i24_e32 v117, v95, v245
	v_add3_u32 v0, v0, v1, v2
	v_mul_i32_i24_e32 v1, v96, v248
	v_mul_i32_i24_e32 v2, v98, v249
	s_delay_alu instid0(VALU_DEP_3) | instskip(SKIP_1) | instid1(VALU_DEP_4)
	v_add3_u32 v0, v0, v116, v117
	v_mul_i32_i24_e32 v116, v83, v252
	v_mad_i32_i24 v1, v97, v247, v1
	v_mul_i32_i24_e32 v117, v101, v253
	s_delay_alu instid0(VALU_DEP_4) | instskip(NEXT) | instid1(VALU_DEP_3)
	v_mul_lo_u32 v0, v0, v246
	v_add3_u32 v1, v1, v2, v116
	v_mul_i32_i24_e32 v2, v99, v250
	v_mul_i32_i24_e32 v116, v100, v251
	s_delay_alu instid0(VALU_DEP_1) | instskip(SKIP_2) | instid1(VALU_DEP_3)
	v_add3_u32 v1, v1, v2, v116
	v_mul_i32_i24_e32 v2, v102, v254
	v_mul_i32_i24_e32 v116, v103, v23
	v_add3_u32 v1, v1, v117, v118
	v_mul_i32_i24_e32 v117, v104, v29
	v_mul_i32_i24_e32 v118, v85, v49
	s_delay_alu instid0(VALU_DEP_3) | instskip(SKIP_2) | instid1(VALU_DEP_3)
	v_add3_u32 v1, v1, v2, v116
	v_mul_i32_i24_e32 v2, v105, v46
	v_mul_i32_i24_e32 v116, v106, v50
	v_add3_u32 v1, v1, v117, v118
	v_mul_i32_i24_e32 v117, v107, v52
	v_mul_i32_i24_e32 v118, v86, v53
	s_delay_alu instid0(VALU_DEP_3) | instskip(SKIP_1) | instid1(VALU_DEP_2)
	v_add3_u32 v1, v1, v2, v116
	v_mul_i32_i24_e32 v2, v109, v227
	v_add3_u32 v116, v1, v117, v118
	v_mul_i32_i24_e32 v1, v108, v229
	v_mul_i32_i24_e32 v118, v111, v226
	;; [unrolled: 1-line block ×3, first 2 shown]
	s_delay_alu instid0(VALU_DEP_2) | instskip(SKIP_2) | instid1(VALU_DEP_3)
	v_add3_u32 v1, v123, v118, v1
	v_mul_i32_i24_e32 v118, v84, v213
	v_mul_i32_i24_e32 v123, v113, v18
	v_add3_u32 v117, v1, v2, v117
	v_mad_u64_u32 v[1:2], null, v116, v180, v[0:1]
	v_mul_i32_i24_e32 v2, v24, v192
	v_mul_i32_i24_e32 v116, v81, v191
	v_add3_u32 v123, v128, v123, v127
	s_delay_alu instid0(VALU_DEP_4) | instskip(SKIP_2) | instid1(VALU_DEP_2)
	v_cvt_f32_i32_e32 v0, v1
	v_cvt_f32_i32_e32 v1, v117
	v_mul_i32_i24_e32 v117, v87, v27
	v_mul_f32_e32 v1, v21, v1
	s_delay_alu instid0(VALU_DEP_1) | instskip(SKIP_1) | instid1(VALU_DEP_2)
	v_fma_mix_f32 v0, v138, v0, -v1 op_sel_hi:[1,0,0]
	v_mul_i32_i24_e32 v1, v7, v188
	v_fmac_f32_e32 v11, v3, v0
	v_mul_i32_i24_e32 v0, v5, v187
	s_delay_alu instid0(VALU_DEP_1) | instskip(NEXT) | instid1(VALU_DEP_1)
	v_mad_i32_i24 v0, v6, v25, v0
	v_add3_u32 v0, v0, v1, v2
	v_mul_i32_i24_e32 v1, v47, v190
	v_mul_i32_i24_e32 v2, v80, v26
	s_delay_alu instid0(VALU_DEP_1) | instskip(SKIP_2) | instid1(VALU_DEP_3)
	v_add3_u32 v0, v0, v1, v2
	v_mul_i32_i24_e32 v1, v88, v193
	v_mul_i32_i24_e32 v2, v89, v196
	v_add3_u32 v0, v0, v116, v117
	v_mul_i32_i24_e32 v116, v90, v197
	v_mul_i32_i24_e32 v117, v91, v199
	s_delay_alu instid0(VALU_DEP_3) | instskip(SKIP_2) | instid1(VALU_DEP_3)
	v_add3_u32 v0, v0, v1, v2
	v_mul_i32_i24_e32 v1, v92, v28
	v_mul_i32_i24_e32 v2, v93, v200
	v_add3_u32 v0, v0, v116, v117
	v_mul_i32_i24_e32 v116, v94, v202
	v_mul_i32_i24_e32 v117, v95, v203
	s_delay_alu instid0(VALU_DEP_3) | instskip(SKIP_2) | instid1(VALU_DEP_3)
	v_add3_u32 v0, v0, v1, v2
	v_mul_i32_i24_e32 v1, v96, v206
	v_mul_i32_i24_e32 v2, v98, v207
	v_add3_u32 v0, v0, v116, v117
	v_mul_i32_i24_e32 v116, v83, v211
	s_delay_alu instid0(VALU_DEP_4) | instskip(SKIP_1) | instid1(VALU_DEP_4)
	v_mad_i32_i24 v1, v97, v205, v1
	v_mul_i32_i24_e32 v117, v101, v30
	v_mul_lo_u32 v0, v0, v204
	s_delay_alu instid0(VALU_DEP_3) | instskip(SKIP_2) | instid1(VALU_DEP_1)
	v_add3_u32 v1, v1, v2, v116
	v_mul_i32_i24_e32 v2, v99, v208
	v_mul_i32_i24_e32 v116, v100, v209
	v_add3_u32 v1, v1, v2, v116
	v_mul_i32_i24_e32 v2, v102, v212
	v_mul_i32_i24_e32 v116, v103, v215
	s_delay_alu instid0(VALU_DEP_3) | instskip(SKIP_2) | instid1(VALU_DEP_3)
	v_add3_u32 v1, v1, v117, v118
	v_mul_i32_i24_e32 v117, v104, v35
	v_mul_i32_i24_e32 v118, v85, v39
	v_add3_u32 v1, v1, v2, v116
	v_mul_i32_i24_e32 v2, v105, v217
	v_mul_i32_i24_e32 v116, v106, v219
	s_delay_alu instid0(VALU_DEP_3) | instskip(SKIP_2) | instid1(VALU_DEP_3)
	v_add3_u32 v1, v1, v117, v118
	v_mul_i32_i24_e32 v117, v107, v220
	v_mul_i32_i24_e32 v118, v86, v56
	v_add3_u32 v1, v1, v2, v116
	v_mul_i32_i24_e32 v2, v109, v185
	s_delay_alu instid0(VALU_DEP_2) | instskip(SKIP_3) | instid1(VALU_DEP_2)
	v_add3_u32 v116, v1, v117, v118
	v_mul_i32_i24_e32 v1, v108, v186
	v_mul_i32_i24_e32 v118, v111, v183
	;; [unrolled: 1-line block ×3, first 2 shown]
	v_add3_u32 v1, v123, v118, v1
	s_delay_alu instid0(VALU_DEP_1) | instskip(SKIP_3) | instid1(VALU_DEP_3)
	v_add3_u32 v117, v1, v2, v117
	v_mad_u64_u32 v[1:2], null, v116, v136, v[0:1]
	v_mul_i32_i24_e32 v2, v24, v148
	v_mul_i32_i24_e32 v24, v113, v135
	v_cvt_f32_i32_e32 v0, v1
	v_cvt_f32_i32_e32 v1, v117
	s_delay_alu instid0(VALU_DEP_1) | instskip(NEXT) | instid1(VALU_DEP_1)
	v_mul_f32_e32 v1, v137, v1
	v_fma_mix_f32 v0, v131, v0, -v1 op_sel_hi:[1,0,0]
	v_mul_i32_i24_e32 v1, v7, v145
	v_mul_i32_i24_e32 v7, v84, v168
	s_delay_alu instid0(VALU_DEP_3) | instskip(SKIP_2) | instid1(VALU_DEP_2)
	v_fmac_f32_e32 v10, v3, v0
	v_mul_i32_i24_e32 v0, v5, v144
	v_mul_i32_i24_e32 v5, v81, v149
	v_mad_i32_i24 v0, v6, v142, v0
	v_mul_i32_i24_e32 v6, v87, v152
	s_delay_alu instid0(VALU_DEP_2) | instskip(SKIP_4) | instid1(VALU_DEP_3)
	v_add3_u32 v0, v0, v1, v2
	v_mul_i32_i24_e32 v1, v47, v146
	v_mul_i32_i24_e32 v2, v80, v147
	;; [unrolled: 1-line block ×4, first 2 shown]
	v_add3_u32 v0, v0, v1, v2
	v_mul_i32_i24_e32 v1, v88, v150
	v_mul_i32_i24_e32 v2, v89, v12
	v_mad_i32_i24 v80, v112, v129, v80
	s_delay_alu instid0(VALU_DEP_4) | instskip(SKIP_2) | instid1(VALU_DEP_4)
	v_add3_u32 v0, v0, v5, v6
	v_mul_i32_i24_e32 v5, v90, v153
	v_mul_i32_i24_e32 v6, v91, v154
	v_add3_u32 v24, v80, v24, v47
	s_delay_alu instid0(VALU_DEP_4) | instskip(SKIP_2) | instid1(VALU_DEP_3)
	v_add3_u32 v0, v0, v1, v2
	v_mul_i32_i24_e32 v1, v92, v155
	v_mul_i32_i24_e32 v2, v93, v156
	v_add3_u32 v0, v0, v5, v6
	v_mul_i32_i24_e32 v5, v94, v158
	v_mul_i32_i24_e32 v6, v95, v159
	s_delay_alu instid0(VALU_DEP_3) | instskip(SKIP_2) | instid1(VALU_DEP_3)
	v_add3_u32 v0, v0, v1, v2
	v_mul_i32_i24_e32 v1, v96, v162
	v_mul_i32_i24_e32 v2, v98, v163
	v_add3_u32 v0, v0, v5, v6
	v_mul_i32_i24_e32 v5, v83, v167
	s_delay_alu instid0(VALU_DEP_4) | instskip(SKIP_1) | instid1(VALU_DEP_4)
	v_mad_i32_i24 v1, v97, v13, v1
	v_mul_i32_i24_e32 v6, v101, v14
	v_mul_lo_u32 v0, v0, v161
	s_delay_alu instid0(VALU_DEP_3)
	v_add3_u32 v1, v1, v2, v5
	v_mul_i32_i24_e32 v2, v99, v165
	v_mul_i32_i24_e32 v5, v100, v164
	ds_load_b128 v[98:101], v124 offset:7184
	v_add3_u32 v1, v1, v2, v5
	v_mul_i32_i24_e32 v2, v102, v169
	v_mul_i32_i24_e32 v5, v103, v170
	s_delay_alu instid0(VALU_DEP_3) | instskip(SKIP_2) | instid1(VALU_DEP_3)
	v_add3_u32 v1, v1, v6, v7
	v_mul_i32_i24_e32 v6, v104, v171
	v_mul_i32_i24_e32 v7, v85, v173
	v_add3_u32 v1, v1, v2, v5
	v_mul_i32_i24_e32 v2, v105, v172
	scratch_load_b32 v105, off, off offset:52 ; 4-byte Folded Reload
	v_mul_i32_i24_e32 v5, v106, v174
	v_add3_u32 v1, v1, v6, v7
	v_mul_i32_i24_e32 v6, v107, v175
	v_mul_i32_i24_e32 v7, v86, v176
	s_waitcnt lgkmcnt(0)
	v_ashrrev_i32_e32 v116, 24, v98
	v_bfe_i32 v113, v98, 16, 8
	v_add3_u32 v1, v1, v2, v5
	v_mul_i32_i24_e32 v2, v109, v141
	v_ashrrev_i32_e32 v117, 24, v101
	v_bfe_i32 v112, v98, 0, 8
	v_bfe_i32 v123, v98, 8, 8
	v_add3_u32 v5, v1, v6, v7
	v_mul_i32_i24_e32 v1, v108, v143
	v_mul_i32_i24_e32 v7, v111, v139
	;; [unrolled: 1-line block ×3, first 2 shown]
	v_ashrrev_i32_e32 v111, 24, v99
	v_bfe_i32 v110, v99, 16, 8
	v_bfe_i32 v114, v100, 16, 8
	v_add3_u32 v1, v24, v7, v1
	v_ashrrev_i32_e32 v24, 24, v100
	v_bfe_i32 v98, v101, 16, 8
	v_bfe_i32 v109, v100, 8, 8
	;; [unrolled: 1-line block ×3, first 2 shown]
	v_add3_u32 v6, v1, v2, v6
	v_mad_u64_u32 v[1:2], null, v5, v9, v[0:1]
	v_bfe_i32 v96, v101, 0, 8
	s_delay_alu instid0(VALU_DEP_2) | instskip(NEXT) | instid1(VALU_DEP_4)
	v_cvt_f32_i32_e32 v0, v1
	v_cvt_f32_i32_e32 v1, v6
	s_delay_alu instid0(VALU_DEP_1) | instskip(NEXT) | instid1(VALU_DEP_1)
	v_mul_f32_e32 v1, v8, v1
	v_fma_mix_f32 v0, v126, v0, -v1 op_sel_hi:[1,0,0]
	s_waitcnt vmcnt(0)
	s_delay_alu instid0(VALU_DEP_1)
	v_fmac_f32_e32 v105, v3, v0
	ds_load_b128 v[0:3], v124 offset:7168
	v_add_nc_u32_e32 v124, 32, v124
	s_waitcnt lgkmcnt(0)
	v_bfe_i32 v84, v2, 0, 8
	v_bfe_i32 v85, v2, 8, 8
	;; [unrolled: 1-line block ×3, first 2 shown]
	v_ashrrev_i32_e32 v87, 24, v2
	v_bfe_i32 v81, v3, 0, 8
	v_bfe_i32 v47, v3, 8, 8
	;; [unrolled: 1-line block ×3, first 2 shown]
	v_ashrrev_i32_e32 v83, 24, v3
	v_add_nc_u32_e32 v3, v111, v116
	v_bfe_i32 v89, v1, 0, 8
	v_bfe_i32 v90, v1, 8, 8
	;; [unrolled: 1-line block ×3, first 2 shown]
	v_ashrrev_i32_e32 v92, 24, v1
	v_bfe_i32 v1, v99, 8, 8
	v_add3_u32 v115, v3, v24, v117
	v_add_nc_u32_e32 v3, v110, v113
	v_bfe_i32 v93, v0, 0, 8
	v_bfe_i32 v88, v0, 8, 8
	;; [unrolled: 1-line block ×3, first 2 shown]
	v_ashrrev_i32_e32 v95, 24, v0
	v_bfe_i32 v0, v99, 0, 8
	v_add3_u32 v118, v3, v114, v98
	v_add_nc_u32_e32 v3, v1, v123
	v_bfe_i32 v99, v100, 0, 8
	v_mul_i32_i24_e32 v5, v94, v66
	v_mul_i32_i24_e32 v6, v95, v72
	;; [unrolled: 1-line block ×3, first 2 shown]
	v_add3_u32 v100, v3, v109, v97
	v_add_nc_u32_e32 v3, v0, v112
	scratch_load_b32 v72, off, off offset:20 ; 4-byte Folded Reload
	v_add3_u32 v101, v3, v99, v96
	v_add_nc_u32_e32 v3, v92, v95
	s_delay_alu instid0(VALU_DEP_1) | instskip(SKIP_1) | instid1(VALU_DEP_1)
	v_add3_u32 v80, v3, v87, v83
	v_add_nc_u32_e32 v3, v91, v94
	v_add3_u32 v102, v3, v86, v2
	v_add_nc_u32_e32 v3, v90, v88
	s_delay_alu instid0(VALU_DEP_1) | instskip(SKIP_1) | instid1(VALU_DEP_1)
	v_add3_u32 v103, v3, v85, v47
	v_add_nc_u32_e32 v3, v89, v93
	v_add3_u32 v104, v3, v84, v81
	v_mul_i32_i24_e32 v3, v93, v64
	s_delay_alu instid0(VALU_DEP_1) | instskip(SKIP_1) | instid1(VALU_DEP_2)
	v_mad_i32_i24 v3, v88, v61, v3
	v_mul_i32_i24_e32 v61, v92, v76
	v_add3_u32 v3, v3, v5, v6
	v_mul_i32_i24_e32 v5, v89, v69
	v_mul_i32_i24_e32 v6, v90, v71
	scratch_load_b32 v69, off, off offset:8 ; 4-byte Folded Reload
	v_add3_u32 v3, v3, v5, v6
	v_mul_i32_i24_e32 v5, v84, v74
	v_mul_i32_i24_e32 v6, v85, v77
	s_delay_alu instid0(VALU_DEP_3)
	v_add3_u32 v3, v3, v7, v61
	v_mul_i32_i24_e32 v61, v87, v82
	scratch_load_b32 v82, off, off offset:48 ; 4-byte Folded Reload
	v_mul_i32_i24_e32 v7, v86, v78
	scratch_load_b32 v71, off, off offset:16 ; 4-byte Folded Reload
	v_add3_u32 v3, v3, v5, v6
	v_mul_i32_i24_e32 v5, v81, v79
	v_mul_i32_i24_e32 v6, v47, v119
	s_delay_alu instid0(VALU_DEP_3) | instskip(SKIP_2) | instid1(VALU_DEP_3)
	v_add3_u32 v3, v3, v7, v61
	v_mul_i32_i24_e32 v7, v2, v120
	v_mul_i32_i24_e32 v61, v83, v121
	v_add3_u32 v3, v3, v5, v6
	v_mul_i32_i24_e32 v5, v112, v36
	v_mul_i32_i24_e32 v6, v113, v37
	;; [unrolled: 1-line block ×4, first 2 shown]
	v_add3_u32 v3, v3, v7, v61
	v_mul_i32_i24_e32 v7, v116, v42
	v_mad_i32_i24 v5, v123, v31, v5
	v_mul_i32_i24_e32 v31, v110, v44
	v_mul_i32_i24_e32 v42, v102, v55
	;; [unrolled: 1-line block ×3, first 2 shown]
	v_mul_lo_u32 v3, v3, v122
	v_add3_u32 v5, v5, v6, v7
	v_mul_i32_i24_e32 v6, v0, v40
	v_mul_i32_i24_e32 v7, v1, v41
	;; [unrolled: 1-line block ×4, first 2 shown]
	s_delay_alu instid0(VALU_DEP_3) | instskip(SKIP_2) | instid1(VALU_DEP_3)
	v_add3_u32 v5, v5, v6, v7
	v_mul_i32_i24_e32 v6, v99, v45
	v_mul_i32_i24_e32 v7, v109, v51
	v_add3_u32 v5, v5, v31, v36
	v_mul_i32_i24_e32 v31, v114, v57
	v_mul_i32_i24_e32 v36, v24, v65
	s_delay_alu instid0(VALU_DEP_3)
	v_add3_u32 v5, v5, v6, v7
	v_mul_i32_i24_e32 v7, v97, v67
	scratch_load_b32 v67, off, off          ; 4-byte Folded Reload
	v_mul_i32_i24_e32 v6, v96, v62
	v_add3_u32 v5, v5, v31, v36
	v_mul_i32_i24_e32 v31, v98, v68
	v_mul_i32_i24_e32 v36, v117, v70
	s_clause 0x1
	scratch_load_b32 v70, off, off offset:12
	scratch_load_b32 v68, off, off offset:4
	v_add3_u32 v5, v5, v6, v7
	v_mul_i32_i24_e32 v6, v95, v234
	v_mul_i32_i24_e32 v7, v91, v235
	s_delay_alu instid0(VALU_DEP_3) | instskip(SKIP_2) | instid1(VALU_DEP_2)
	v_add3_u32 v31, v5, v31, v36
	v_mul_i32_i24_e32 v5, v104, v195
	v_mul_i32_i24_e32 v36, v115, v63
	v_mad_i32_i24 v5, v80, v201, v5
	s_delay_alu instid0(VALU_DEP_1) | instskip(NEXT) | instid1(VALU_DEP_1)
	v_add3_u32 v5, v5, v42, v44
	v_add3_u32 v5, v5, v41, v36
	s_delay_alu instid0(VALU_DEP_1) | instskip(SKIP_3) | instid1(VALU_DEP_4)
	v_add3_u32 v5, v5, v37, v40
	v_mad_u64_u32 v[36:37], null, v31, v223, v[3:4]
	v_mul_i32_i24_e32 v31, v92, v237
	v_mul_i32_i24_e32 v37, v104, v151
	v_cvt_f32_i32_e32 v5, v5
	s_delay_alu instid0(VALU_DEP_4) | instskip(NEXT) | instid1(VALU_DEP_2)
	v_cvt_f32_i32_e32 v3, v36
	v_mul_f32_e32 v5, v224, v5
	v_mul_i32_i24_e32 v36, v111, v255
	v_mad_i32_i24 v37, v80, v157, v37
	s_delay_alu instid0(VALU_DEP_3) | instskip(SKIP_2) | instid1(VALU_DEP_2)
	v_fma_mix_f32 v3, v182, v3, -v5 op_sel_hi:[1,0,0]
	v_mul_i32_i24_e32 v5, v94, v231
	s_waitcnt vmcnt(4)
	v_fmac_f32_e32 v82, v4, v3
	v_mul_i32_i24_e32 v3, v93, v230
	s_delay_alu instid0(VALU_DEP_1) | instskip(NEXT) | instid1(VALU_DEP_1)
	v_mad_i32_i24 v3, v88, v228, v3
	v_add3_u32 v3, v3, v5, v6
	v_mul_i32_i24_e32 v5, v89, v232
	v_mul_i32_i24_e32 v6, v90, v233
	s_delay_alu instid0(VALU_DEP_1) | instskip(SKIP_2) | instid1(VALU_DEP_3)
	v_add3_u32 v3, v3, v5, v6
	v_mul_i32_i24_e32 v5, v84, v236
	v_mul_i32_i24_e32 v6, v85, v239
	v_add3_u32 v3, v3, v7, v31
	v_mul_i32_i24_e32 v7, v86, v240
	v_mul_i32_i24_e32 v31, v87, v242
	s_delay_alu instid0(VALU_DEP_3) | instskip(SKIP_2) | instid1(VALU_DEP_3)
	v_add3_u32 v3, v3, v5, v6
	v_mul_i32_i24_e32 v5, v81, v241
	v_mul_i32_i24_e32 v6, v47, v243
	v_add3_u32 v3, v3, v7, v31
	v_mul_i32_i24_e32 v7, v2, v244
	v_mul_i32_i24_e32 v31, v83, v245
	s_delay_alu instid0(VALU_DEP_3) | instskip(SKIP_2) | instid1(VALU_DEP_3)
	v_add3_u32 v3, v3, v5, v6
	v_mul_i32_i24_e32 v5, v112, v248
	v_mul_i32_i24_e32 v6, v113, v249
	v_add3_u32 v3, v3, v7, v31
	v_mul_i32_i24_e32 v7, v116, v252
	s_delay_alu instid0(VALU_DEP_4) | instskip(SKIP_1) | instid1(VALU_DEP_4)
	v_mad_i32_i24 v5, v123, v247, v5
	v_mul_i32_i24_e32 v31, v110, v253
	v_mul_lo_u32 v3, v3, v246
	s_delay_alu instid0(VALU_DEP_3) | instskip(SKIP_2) | instid1(VALU_DEP_1)
	v_add3_u32 v5, v5, v6, v7
	v_mul_i32_i24_e32 v6, v0, v250
	v_mul_i32_i24_e32 v7, v1, v251
	v_add3_u32 v5, v5, v6, v7
	v_mul_i32_i24_e32 v6, v99, v254
	v_mul_i32_i24_e32 v7, v109, v23
	;; [unrolled: 1-line block ×4, first 2 shown]
	v_add3_u32 v5, v5, v31, v36
	v_mul_i32_i24_e32 v31, v102, v75
	v_mul_i32_i24_e32 v36, v103, v222
	s_delay_alu instid0(VALU_DEP_3) | instskip(SKIP_2) | instid1(VALU_DEP_4)
	v_add3_u32 v5, v5, v6, v7
	v_mul_i32_i24_e32 v6, v96, v46
	v_mul_i32_i24_e32 v7, v97, v50
	v_add3_u32 v31, v37, v31, v36
	s_delay_alu instid0(VALU_DEP_4) | instskip(SKIP_2) | instid1(VALU_DEP_3)
	v_add3_u32 v5, v5, v23, v29
	v_mul_i32_i24_e32 v23, v98, v52
	v_mul_i32_i24_e32 v29, v117, v53
	v_add3_u32 v5, v5, v6, v7
	v_mul_i32_i24_e32 v6, v115, v229
	v_mul_i32_i24_e32 v7, v118, v227
	s_delay_alu instid0(VALU_DEP_3) | instskip(SKIP_2) | instid1(VALU_DEP_3)
	v_add3_u32 v5, v5, v23, v29
	v_mul_i32_i24_e32 v29, v101, v226
	v_mul_i32_i24_e32 v23, v100, v225
	v_mad_u64_u32 v[36:37], null, v5, v180, v[3:4]
	s_delay_alu instid0(VALU_DEP_3) | instskip(SKIP_3) | instid1(VALU_DEP_4)
	v_add3_u32 v6, v31, v29, v6
	v_mul_i32_i24_e32 v29, v111, v213
	v_mul_i32_i24_e32 v37, v104, v132
	v_mul_i32_i24_e32 v31, v102, v18
	v_add3_u32 v6, v6, v7, v23
	v_cvt_f32_i32_e32 v3, v36
	v_mul_i32_i24_e32 v7, v91, v191
	v_mul_i32_i24_e32 v23, v92, v27
	;; [unrolled: 1-line block ×3, first 2 shown]
	v_cvt_f32_i32_e32 v5, v6
	v_mul_i32_i24_e32 v6, v95, v192
	v_mad_i32_i24 v37, v80, v133, v37
	s_delay_alu instid0(VALU_DEP_3) | instskip(NEXT) | instid1(VALU_DEP_2)
	v_mul_f32_e32 v5, v21, v5
	v_add3_u32 v31, v37, v31, v36
	s_delay_alu instid0(VALU_DEP_2) | instskip(SKIP_1) | instid1(VALU_DEP_2)
	v_fma_mix_f32 v3, v138, v3, -v5 op_sel_hi:[1,0,0]
	v_mul_i32_i24_e32 v5, v94, v188
	v_fmac_f32_e32 v69, v4, v3
	v_mul_i32_i24_e32 v3, v93, v187
	s_delay_alu instid0(VALU_DEP_1) | instskip(NEXT) | instid1(VALU_DEP_1)
	v_mad_i32_i24 v3, v88, v25, v3
	v_add3_u32 v3, v3, v5, v6
	v_mul_i32_i24_e32 v5, v89, v190
	v_mul_i32_i24_e32 v6, v90, v26
	s_delay_alu instid0(VALU_DEP_1) | instskip(SKIP_2) | instid1(VALU_DEP_3)
	v_add3_u32 v3, v3, v5, v6
	v_mul_i32_i24_e32 v5, v84, v193
	v_mul_i32_i24_e32 v6, v85, v196
	v_add3_u32 v3, v3, v7, v23
	v_mul_i32_i24_e32 v7, v86, v197
	v_mul_i32_i24_e32 v23, v87, v199
	s_delay_alu instid0(VALU_DEP_3) | instskip(SKIP_2) | instid1(VALU_DEP_3)
	v_add3_u32 v3, v3, v5, v6
	v_mul_i32_i24_e32 v5, v81, v28
	v_mul_i32_i24_e32 v6, v47, v200
	v_add3_u32 v3, v3, v7, v23
	v_mul_i32_i24_e32 v7, v2, v202
	v_mul_i32_i24_e32 v23, v83, v203
	;; [unrolled: 1-line block ×3, first 2 shown]
	s_delay_alu instid0(VALU_DEP_4) | instskip(SKIP_2) | instid1(VALU_DEP_3)
	v_add3_u32 v3, v3, v5, v6
	v_mul_i32_i24_e32 v5, v112, v206
	v_mul_i32_i24_e32 v6, v113, v207
	v_add3_u32 v3, v3, v7, v23
	v_mul_i32_i24_e32 v7, v116, v211
	s_delay_alu instid0(VALU_DEP_4) | instskip(SKIP_1) | instid1(VALU_DEP_4)
	v_mad_i32_i24 v5, v123, v205, v5
	v_mul_i32_i24_e32 v23, v110, v30
	v_mul_lo_u32 v3, v3, v204
	s_delay_alu instid0(VALU_DEP_3) | instskip(SKIP_4) | instid1(VALU_DEP_3)
	v_add3_u32 v5, v5, v6, v7
	v_mul_i32_i24_e32 v6, v0, v208
	v_mul_i32_i24_e32 v7, v1, v209
	;; [unrolled: 1-line block ×4, first 2 shown]
	v_add3_u32 v5, v5, v6, v7
	v_mul_i32_i24_e32 v6, v99, v212
	v_mul_i32_i24_e32 v7, v109, v215
	s_delay_alu instid0(VALU_DEP_3) | instskip(SKIP_2) | instid1(VALU_DEP_3)
	v_add3_u32 v5, v5, v23, v29
	v_mul_i32_i24_e32 v23, v114, v35
	v_mul_i32_i24_e32 v29, v24, v39
	v_add3_u32 v5, v5, v6, v7
	v_mul_i32_i24_e32 v6, v96, v217
	v_mul_i32_i24_e32 v7, v97, v219
	s_delay_alu instid0(VALU_DEP_3) | instskip(SKIP_2) | instid1(VALU_DEP_3)
	v_add3_u32 v5, v5, v23, v29
	v_mul_i32_i24_e32 v23, v98, v220
	v_mul_i32_i24_e32 v29, v117, v56
	;; [unrolled: 7-line block ×3, first 2 shown]
	v_mad_u64_u32 v[36:37], null, v5, v136, v[3:4]
	s_delay_alu instid0(VALU_DEP_3)
	v_add3_u32 v6, v31, v29, v6
	scratch_load_b32 v136, off, off offset:28 ; 4-byte Folded Reload
	v_mul_i32_i24_e32 v29, v102, v135
	v_mul_i32_i24_e32 v31, v103, v134
	v_add3_u32 v6, v6, v7, v23
	v_cvt_f32_i32_e32 v3, v36
	v_mul_i32_i24_e32 v7, v91, v149
	v_mul_i32_i24_e32 v23, v92, v152
	scratch_load_b32 v152, off, off offset:44 ; 4-byte Folded Reload
	v_cvt_f32_i32_e32 v5, v6
	v_mul_i32_i24_e32 v6, v95, v148
	s_delay_alu instid0(VALU_DEP_2) | instskip(NEXT) | instid1(VALU_DEP_1)
	v_mul_f32_e32 v5, v137, v5
	v_fma_mix_f32 v3, v131, v3, -v5 op_sel_hi:[1,0,0]
	v_mul_i32_i24_e32 v5, v94, v145
	s_waitcnt vmcnt(2)
	s_delay_alu instid0(VALU_DEP_2) | instskip(SKIP_1) | instid1(VALU_DEP_1)
	v_fmac_f32_e32 v68, v4, v3
	v_mul_i32_i24_e32 v3, v93, v144
	v_mad_i32_i24 v3, v88, v142, v3
	s_delay_alu instid0(VALU_DEP_1) | instskip(SKIP_2) | instid1(VALU_DEP_1)
	v_add3_u32 v3, v3, v5, v6
	v_mul_i32_i24_e32 v5, v89, v146
	v_mul_i32_i24_e32 v6, v90, v147
	v_add3_u32 v3, v3, v5, v6
	v_mul_i32_i24_e32 v5, v84, v150
	scratch_load_b32 v150, off, off offset:40 ; 4-byte Folded Reload
	v_mul_i32_i24_e32 v6, v85, v12
	v_add3_u32 v3, v3, v7, v23
	v_mul_i32_i24_e32 v7, v86, v153
	v_mul_i32_i24_e32 v23, v87, v154
	s_delay_alu instid0(VALU_DEP_3) | instskip(SKIP_2) | instid1(VALU_DEP_3)
	v_add3_u32 v3, v3, v5, v6
	v_mul_i32_i24_e32 v5, v81, v155
	v_mul_i32_i24_e32 v6, v47, v156
	v_add3_u32 v3, v3, v7, v23
	v_mul_i32_i24_e32 v7, v83, v159
	v_mul_i32_i24_e32 v23, v115, v143
	s_delay_alu instid0(VALU_DEP_3) | instskip(SKIP_2) | instid1(VALU_DEP_3)
	v_add3_u32 v3, v3, v5, v6
	v_mul_i32_i24_e32 v5, v113, v163
	v_mul_i32_i24_e32 v6, v116, v167
	v_add3_u32 v2, v3, v2, v7
	s_delay_alu instid0(VALU_DEP_1) | instskip(SKIP_1) | instid1(VALU_DEP_1)
	v_mul_lo_u32 v3, v2, v161
	v_mul_i32_i24_e32 v2, v112, v162
	v_mad_i32_i24 v2, v123, v13, v2
	s_delay_alu instid0(VALU_DEP_1) | instskip(SKIP_2) | instid1(VALU_DEP_3)
	v_add3_u32 v2, v2, v5, v6
	v_mul_i32_i24_e32 v5, v110, v14
	v_mul_i32_i24_e32 v6, v111, v168
	v_add3_u32 v0, v2, v0, v1
	v_mul_i32_i24_e32 v1, v99, v169
	v_mul_i32_i24_e32 v2, v109, v170
	s_delay_alu instid0(VALU_DEP_3) | instskip(SKIP_3) | instid1(VALU_DEP_4)
	v_add3_u32 v0, v0, v5, v6
	v_mul_i32_i24_e32 v5, v114, v171
	v_mul_i32_i24_e32 v6, v24, v173
	;; [unrolled: 1-line block ×3, first 2 shown]
	v_add3_u32 v0, v0, v1, v2
	v_mul_i32_i24_e32 v1, v96, v172
	v_mul_i32_i24_e32 v2, v97, v174
	s_delay_alu instid0(VALU_DEP_3) | instskip(SKIP_2) | instid1(VALU_DEP_3)
	v_add3_u32 v0, v0, v5, v6
	v_mul_i32_i24_e32 v5, v98, v175
	v_mul_i32_i24_e32 v6, v117, v176
	v_add3_u32 v0, v0, v1, v2
	v_mul_i32_i24_e32 v1, v118, v141
	scratch_load_b32 v141, off, off offset:36 ; 4-byte Folded Reload
	v_mul_i32_i24_e32 v2, v100, v140
	s_clause 0x1
	scratch_load_b32 v140, off, off offset:32
	scratch_load_b32 v135, off, off offset:24
	v_add3_u32 v0, v0, v5, v6
	v_mul_i32_i24_e32 v5, v104, v130
	s_delay_alu instid0(VALU_DEP_1) | instskip(NEXT) | instid1(VALU_DEP_1)
	v_mad_i32_i24 v5, v80, v129, v5
	v_add3_u32 v29, v5, v29, v31
	s_delay_alu instid0(VALU_DEP_1) | instskip(SKIP_1) | instid1(VALU_DEP_2)
	v_add3_u32 v5, v29, v24, v23
	v_mad_u64_u32 v[23:24], null, v0, v9, v[3:4]
	v_add3_u32 v1, v5, v1, v2
	s_delay_alu instid0(VALU_DEP_2) | instskip(NEXT) | instid1(VALU_DEP_2)
	v_cvt_f32_i32_e32 v0, v23
	v_cvt_f32_i32_e32 v1, v1
	s_delay_alu instid0(VALU_DEP_1) | instskip(NEXT) | instid1(VALU_DEP_1)
	v_mul_f32_e32 v1, v8, v1
	v_fma_mix_f32 v0, v126, v0, -v1 op_sel_hi:[1,0,0]
	s_delay_alu instid0(VALU_DEP_1)
	v_fmac_f32_e32 v67, v4, v0
	s_cbranch_scc1 .LBB167_12
; %bb.13:                               ;   in Loop: Header=BB167_8 Depth=2
	s_waitcnt vmcnt(0)
	s_waitcnt_vscnt null, 0x0
	s_barrier
	buffer_gl0_inv
	s_clause 0x7
	scratch_load_b32 v7, off, off offset:64
	scratch_load_b32 v73, off, off offset:68
	;; [unrolled: 1-line block ×8, first 2 shown]
	s_add_i32 s13, s13, 16
	s_cmp_eq_u32 s14, 4
	s_cselect_b32 s15, -1, 0
	s_delay_alu instid0(SALU_CYCLE_1)
	s_and_b32 vcc_lo, exec_lo, s15
	s_cbranch_vccz .LBB167_8
	s_branch .LBB167_5
.LBB167_14:
	s_clause 0x2
	scratch_load_b32 v1, off, off offset:384
	scratch_load_b32 v0, off, off offset:100
	;; [unrolled: 1-line block ×3, first 2 shown]
.LBB167_15:
	s_mov_b32 s0, exec_lo
	s_waitcnt vmcnt(0)
	v_cmpx_gt_u32_e64 s4, v2
	s_cbranch_execz .LBB167_66
; %bb.16:
	v_add_nc_u32_e32 v0, s10, v0
	v_mul_lo_u32 v23, v2, s6
	s_delay_alu instid0(VALU_DEP_2)
	v_cmp_gt_u32_e32 vcc_lo, s6, v0
	s_and_saveexec_b32 s1, vcc_lo
	s_cbranch_execz .LBB167_18
; %bb.17:
	v_bfe_u32 v3, v194, 16, 1
	s_delay_alu instid0(VALU_DEP_3) | instskip(SKIP_1) | instid1(VALU_DEP_3)
	v_add_nc_u32_e32 v2, v0, v23
	v_cmp_o_f32_e64 s0, v194, v194
	v_add3_u32 v4, v194, v3, 0x7fff
	v_mov_b32_e32 v3, 0
	s_delay_alu instid0(VALU_DEP_2) | instskip(NEXT) | instid1(VALU_DEP_2)
	v_lshrrev_b32_e32 v4, 16, v4
	v_lshlrev_b64 v[2:3], 1, v[2:3]
	s_delay_alu instid0(VALU_DEP_2) | instskip(SKIP_1) | instid1(VALU_DEP_2)
	v_cndmask_b32_e64 v4, 0x7fc0, v4, s0
	s_waitcnt lgkmcnt(0)
	v_add_co_u32 v2, s0, s8, v2
	s_delay_alu instid0(VALU_DEP_1)
	v_add_co_ci_u32_e64 v3, s0, s9, v3, s0
	global_store_b16 v[2:3], v4, off
.LBB167_18:
	s_or_b32 exec_lo, exec_lo, s1
	v_add_nc_u32_e32 v2, 32, v0
	s_delay_alu instid0(VALU_DEP_1) | instskip(NEXT) | instid1(VALU_DEP_1)
	v_cmp_gt_u32_e64 s0, s6, v2
	s_and_saveexec_b32 s2, s0
	s_cbranch_execz .LBB167_20
; %bb.19:
	v_bfe_u32 v4, v238, 16, 1
	v_add_nc_u32_e32 v3, v2, v23
	v_cmp_o_f32_e64 s1, v238, v238
	s_delay_alu instid0(VALU_DEP_3) | instskip(SKIP_1) | instid1(VALU_DEP_2)
	v_add3_u32 v5, v238, v4, 0x7fff
	v_mov_b32_e32 v4, 0
	v_lshrrev_b32_e32 v5, 16, v5
	s_delay_alu instid0(VALU_DEP_2) | instskip(NEXT) | instid1(VALU_DEP_2)
	v_lshlrev_b64 v[3:4], 1, v[3:4]
	v_cndmask_b32_e64 v5, 0x7fc0, v5, s1
	s_waitcnt lgkmcnt(0)
	s_delay_alu instid0(VALU_DEP_2) | instskip(NEXT) | instid1(VALU_DEP_1)
	v_add_co_u32 v3, s1, s8, v3
	v_add_co_ci_u32_e64 v4, s1, s9, v4, s1
	global_store_b16 v[3:4], v5, off
.LBB167_20:
	s_or_b32 exec_lo, exec_lo, s2
	v_add_nc_u32_e32 v3, 64, v0
	s_delay_alu instid0(VALU_DEP_1) | instskip(NEXT) | instid1(VALU_DEP_1)
	v_cmp_gt_u32_e64 s1, s6, v3
	s_and_saveexec_b32 s3, s1
	s_cbranch_execz .LBB167_22
; %bb.21:
	v_bfe_u32 v4, v221, 16, 1
	v_dual_mov_b32 v37, 0 :: v_dual_add_nc_u32 v36, v3, v23
	v_cmp_o_f32_e64 s2, v221, v221
	s_delay_alu instid0(VALU_DEP_3) | instskip(NEXT) | instid1(VALU_DEP_3)
	v_add3_u32 v4, v221, v4, 0x7fff
	v_lshlrev_b64 v[36:37], 1, v[36:37]
	s_delay_alu instid0(VALU_DEP_2) | instskip(NEXT) | instid1(VALU_DEP_1)
	v_lshrrev_b32_e32 v4, 16, v4
	v_cndmask_b32_e64 v4, 0x7fc0, v4, s2
	s_waitcnt lgkmcnt(0)
	s_delay_alu instid0(VALU_DEP_3) | instskip(NEXT) | instid1(VALU_DEP_1)
	v_add_co_u32 v36, s2, s8, v36
	v_add_co_ci_u32_e64 v37, s2, s9, v37, s2
	global_store_b16 v[36:37], v4, off
.LBB167_22:
	s_or_b32 exec_lo, exec_lo, s3
	v_add_nc_u32_e32 v4, 0x60, v0
	s_delay_alu instid0(VALU_DEP_1) | instskip(NEXT) | instid1(VALU_DEP_1)
	v_cmp_gt_u32_e64 s2, s6, v4
	s_and_saveexec_b32 s5, s2
	s_cbranch_execz .LBB167_24
; %bb.23:
	v_bfe_u32 v5, v43, 16, 1
	v_dual_mov_b32 v24, 0 :: v_dual_add_nc_u32 v23, v4, v23
	v_cmp_o_f32_e64 s3, v43, v43
	s_delay_alu instid0(VALU_DEP_3) | instskip(NEXT) | instid1(VALU_DEP_3)
	v_add3_u32 v5, v43, v5, 0x7fff
	v_lshlrev_b64 v[23:24], 1, v[23:24]
	s_delay_alu instid0(VALU_DEP_2) | instskip(NEXT) | instid1(VALU_DEP_1)
	v_lshrrev_b32_e32 v5, 16, v5
	v_cndmask_b32_e64 v5, 0x7fc0, v5, s3
	s_waitcnt lgkmcnt(0)
	s_delay_alu instid0(VALU_DEP_3) | instskip(NEXT) | instid1(VALU_DEP_1)
	v_add_co_u32 v23, s3, s8, v23
	v_add_co_ci_u32_e64 v24, s3, s9, v24, s3
	global_store_b16 v[23:24], v5, off
.LBB167_24:
	s_or_b32 exec_lo, exec_lo, s5
	v_add3_u32 v23, v1, s7, 8
	s_delay_alu instid0(VALU_DEP_1) | instskip(NEXT) | instid1(VALU_DEP_1)
	v_cmp_gt_u32_e64 s3, s4, v23
	s_and_b32 exec_lo, exec_lo, s3
	s_cbranch_execz .LBB167_66
; %bb.25:
	v_mul_lo_u32 v23, v23, s6
	s_and_saveexec_b32 s5, vcc_lo
	s_cbranch_execnz .LBB167_67
; %bb.26:
	s_or_b32 exec_lo, exec_lo, s5
	s_and_saveexec_b32 s5, s0
	s_cbranch_execnz .LBB167_68
.LBB167_27:
	s_or_b32 exec_lo, exec_lo, s5
	s_and_saveexec_b32 s5, s1
	s_cbranch_execnz .LBB167_69
.LBB167_28:
	s_or_b32 exec_lo, exec_lo, s5
	s_and_saveexec_b32 s5, s2
	s_cbranch_execz .LBB167_30
.LBB167_29:
	v_bfe_u32 v5, v34, 16, 1
	v_dual_mov_b32 v24, 0 :: v_dual_add_nc_u32 v23, v23, v4
	v_cmp_o_f32_e64 s3, v34, v34
	s_delay_alu instid0(VALU_DEP_3) | instskip(NEXT) | instid1(VALU_DEP_3)
	v_add3_u32 v5, v34, v5, 0x7fff
	v_lshlrev_b64 v[23:24], 1, v[23:24]
	s_delay_alu instid0(VALU_DEP_2) | instskip(NEXT) | instid1(VALU_DEP_1)
	v_lshrrev_b32_e32 v5, 16, v5
	v_cndmask_b32_e64 v5, 0x7fc0, v5, s3
	s_waitcnt lgkmcnt(0)
	s_delay_alu instid0(VALU_DEP_3) | instskip(NEXT) | instid1(VALU_DEP_1)
	v_add_co_u32 v23, s3, s8, v23
	v_add_co_ci_u32_e64 v24, s3, s9, v24, s3
	global_store_b16 v[23:24], v5, off
.LBB167_30:
	s_or_b32 exec_lo, exec_lo, s5
	v_add3_u32 v23, v1, s7, 16
	s_delay_alu instid0(VALU_DEP_1) | instskip(NEXT) | instid1(VALU_DEP_1)
	v_cmp_gt_u32_e64 s3, s4, v23
	s_and_b32 exec_lo, exec_lo, s3
	s_cbranch_execz .LBB167_66
; %bb.31:
	v_mul_lo_u32 v23, v23, s6
	s_and_saveexec_b32 s5, vcc_lo
	s_cbranch_execnz .LBB167_70
; %bb.32:
	s_or_b32 exec_lo, exec_lo, s5
	s_and_saveexec_b32 s5, s0
	s_cbranch_execnz .LBB167_71
.LBB167_33:
	s_or_b32 exec_lo, exec_lo, s5
	s_and_saveexec_b32 s5, s1
	s_cbranch_execnz .LBB167_72
.LBB167_34:
	s_or_b32 exec_lo, exec_lo, s5
	s_and_saveexec_b32 s5, s2
	s_cbranch_execz .LBB167_36
.LBB167_35:
	v_bfe_u32 v5, v210, 16, 1
	v_dual_mov_b32 v24, 0 :: v_dual_add_nc_u32 v23, v23, v4
	v_cmp_o_f32_e64 s3, v210, v210
	s_delay_alu instid0(VALU_DEP_3) | instskip(NEXT) | instid1(VALU_DEP_3)
	v_add3_u32 v5, v210, v5, 0x7fff
	v_lshlrev_b64 v[23:24], 1, v[23:24]
	s_delay_alu instid0(VALU_DEP_2) | instskip(NEXT) | instid1(VALU_DEP_1)
	v_lshrrev_b32_e32 v5, 16, v5
	v_cndmask_b32_e64 v5, 0x7fc0, v5, s3
	s_waitcnt lgkmcnt(0)
	s_delay_alu instid0(VALU_DEP_3) | instskip(NEXT) | instid1(VALU_DEP_1)
	v_add_co_u32 v23, s3, s8, v23
	v_add_co_ci_u32_e64 v24, s3, s9, v24, s3
	global_store_b16 v[23:24], v5, off
.LBB167_36:
	s_or_b32 exec_lo, exec_lo, s5
	v_add3_u32 v23, v1, s7, 24
	s_delay_alu instid0(VALU_DEP_1) | instskip(NEXT) | instid1(VALU_DEP_1)
	v_cmp_gt_u32_e64 s3, s4, v23
	s_and_b32 exec_lo, exec_lo, s3
	s_cbranch_execz .LBB167_66
; %bb.37:
	v_mul_lo_u32 v23, v23, s6
	s_and_saveexec_b32 s5, vcc_lo
	s_cbranch_execnz .LBB167_73
; %bb.38:
	s_or_b32 exec_lo, exec_lo, s5
	s_and_saveexec_b32 s5, s0
	s_cbranch_execnz .LBB167_74
.LBB167_39:
	s_or_b32 exec_lo, exec_lo, s5
	s_and_saveexec_b32 s5, s1
	s_cbranch_execnz .LBB167_75
.LBB167_40:
	s_or_b32 exec_lo, exec_lo, s5
	s_and_saveexec_b32 s5, s2
	s_cbranch_execz .LBB167_42
.LBB167_41:
	v_bfe_u32 v5, v181, 16, 1
	v_dual_mov_b32 v23, 0 :: v_dual_add_nc_u32 v22, v23, v4
	v_cmp_o_f32_e64 s3, v181, v181
	s_delay_alu instid0(VALU_DEP_3) | instskip(NEXT) | instid1(VALU_DEP_3)
	v_add3_u32 v5, v181, v5, 0x7fff
	v_lshlrev_b64 v[22:23], 1, v[22:23]
	s_delay_alu instid0(VALU_DEP_2) | instskip(NEXT) | instid1(VALU_DEP_1)
	v_lshrrev_b32_e32 v5, 16, v5
	v_cndmask_b32_e64 v5, 0x7fc0, v5, s3
	s_waitcnt lgkmcnt(0)
	s_delay_alu instid0(VALU_DEP_3) | instskip(NEXT) | instid1(VALU_DEP_1)
	v_add_co_u32 v21, s3, s8, v22
	v_add_co_ci_u32_e64 v22, s3, s9, v23, s3
	global_store_b16 v[21:22], v5, off
.LBB167_42:
	s_or_b32 exec_lo, exec_lo, s5
	v_add3_u32 v21, v1, s7, 32
	s_delay_alu instid0(VALU_DEP_1) | instskip(NEXT) | instid1(VALU_DEP_1)
	v_cmp_gt_u32_e64 s3, s4, v21
	s_and_b32 exec_lo, exec_lo, s3
	s_cbranch_execz .LBB167_66
; %bb.43:
	v_mul_lo_u32 v21, v21, s6
	s_and_saveexec_b32 s5, vcc_lo
	s_cbranch_execnz .LBB167_76
; %bb.44:
	s_or_b32 exec_lo, exec_lo, s5
	s_and_saveexec_b32 s5, s0
	s_cbranch_execnz .LBB167_77
.LBB167_45:
	s_or_b32 exec_lo, exec_lo, s5
	s_and_saveexec_b32 s5, s1
	s_cbranch_execnz .LBB167_78
.LBB167_46:
	s_or_b32 exec_lo, exec_lo, s5
	s_and_saveexec_b32 s5, s2
	s_cbranch_execz .LBB167_48
.LBB167_47:
	v_bfe_u32 v5, v17, 16, 1
	v_dual_mov_b32 v19, 0 :: v_dual_add_nc_u32 v18, v21, v4
	v_cmp_o_f32_e64 s3, v17, v17
	s_delay_alu instid0(VALU_DEP_3) | instskip(NEXT) | instid1(VALU_DEP_3)
	v_add3_u32 v5, v17, v5, 0x7fff
	v_lshlrev_b64 v[18:19], 1, v[18:19]
	s_delay_alu instid0(VALU_DEP_2) | instskip(NEXT) | instid1(VALU_DEP_1)
	v_lshrrev_b32_e32 v5, 16, v5
	v_cndmask_b32_e64 v5, 0x7fc0, v5, s3
	s_waitcnt lgkmcnt(0)
	s_delay_alu instid0(VALU_DEP_3) | instskip(NEXT) | instid1(VALU_DEP_1)
	v_add_co_u32 v17, s3, s8, v18
	v_add_co_ci_u32_e64 v18, s3, s9, v19, s3
	global_store_b16 v[17:18], v5, off
.LBB167_48:
	s_or_b32 exec_lo, exec_lo, s5
	v_add3_u32 v17, v1, s7, 40
	s_delay_alu instid0(VALU_DEP_1) | instskip(NEXT) | instid1(VALU_DEP_1)
	v_cmp_gt_u32_e64 s3, s4, v17
	s_and_b32 exec_lo, exec_lo, s3
	s_cbranch_execz .LBB167_66
; %bb.49:
	v_mul_lo_u32 v17, v17, s6
	s_and_saveexec_b32 s5, vcc_lo
	s_cbranch_execnz .LBB167_79
; %bb.50:
	s_or_b32 exec_lo, exec_lo, s5
	s_and_saveexec_b32 s5, s0
	s_cbranch_execnz .LBB167_80
.LBB167_51:
	s_or_b32 exec_lo, exec_lo, s5
	s_and_saveexec_b32 s5, s1
	s_cbranch_execnz .LBB167_81
.LBB167_52:
	s_or_b32 exec_lo, exec_lo, s5
	s_and_saveexec_b32 s5, s2
	s_cbranch_execz .LBB167_54
.LBB167_53:
	v_bfe_u32 v5, v166, 16, 1
	v_dual_mov_b32 v15, 0 :: v_dual_add_nc_u32 v14, v17, v4
	v_cmp_o_f32_e64 s3, v166, v166
	s_delay_alu instid0(VALU_DEP_3) | instskip(NEXT) | instid1(VALU_DEP_3)
	v_add3_u32 v5, v166, v5, 0x7fff
	v_lshlrev_b64 v[14:15], 1, v[14:15]
	s_delay_alu instid0(VALU_DEP_2) | instskip(NEXT) | instid1(VALU_DEP_1)
	v_lshrrev_b32_e32 v5, 16, v5
	v_cndmask_b32_e64 v5, 0x7fc0, v5, s3
	s_waitcnt lgkmcnt(0)
	s_delay_alu instid0(VALU_DEP_3) | instskip(NEXT) | instid1(VALU_DEP_1)
	v_add_co_u32 v13, s3, s8, v14
	v_add_co_ci_u32_e64 v14, s3, s9, v15, s3
	global_store_b16 v[13:14], v5, off
.LBB167_54:
	s_or_b32 exec_lo, exec_lo, s5
	v_add3_u32 v13, v1, s7, 48
	s_delay_alu instid0(VALU_DEP_1) | instskip(NEXT) | instid1(VALU_DEP_1)
	v_cmp_gt_u32_e64 s3, s4, v13
	s_and_b32 exec_lo, exec_lo, s3
	s_cbranch_execz .LBB167_66
; %bb.55:
	v_mul_lo_u32 v13, v13, s6
	s_and_saveexec_b32 s5, vcc_lo
	s_cbranch_execnz .LBB167_82
; %bb.56:
	s_or_b32 exec_lo, exec_lo, s5
	s_and_saveexec_b32 s5, s0
	s_cbranch_execnz .LBB167_83
.LBB167_57:
	s_or_b32 exec_lo, exec_lo, s5
	s_and_saveexec_b32 s5, s1
	s_cbranch_execnz .LBB167_84
.LBB167_58:
	s_or_b32 exec_lo, exec_lo, s5
	s_and_saveexec_b32 s5, s2
	s_cbranch_execz .LBB167_60
.LBB167_59:
	v_bfe_u32 v5, v105, 16, 1
	v_dual_mov_b32 v11, 0 :: v_dual_add_nc_u32 v10, v13, v4
	v_cmp_o_f32_e64 s3, v105, v105
	s_delay_alu instid0(VALU_DEP_3) | instskip(NEXT) | instid1(VALU_DEP_3)
	v_add3_u32 v5, v105, v5, 0x7fff
	v_lshlrev_b64 v[10:11], 1, v[10:11]
	s_delay_alu instid0(VALU_DEP_2) | instskip(NEXT) | instid1(VALU_DEP_1)
	v_lshrrev_b32_e32 v5, 16, v5
	v_cndmask_b32_e64 v5, 0x7fc0, v5, s3
	s_waitcnt lgkmcnt(0)
	s_delay_alu instid0(VALU_DEP_3) | instskip(NEXT) | instid1(VALU_DEP_1)
	v_add_co_u32 v9, s3, s8, v10
	v_add_co_ci_u32_e64 v10, s3, s9, v11, s3
	global_store_b16 v[9:10], v5, off
.LBB167_60:
	s_or_b32 exec_lo, exec_lo, s5
	v_add3_u32 v1, v1, s7, 56
	s_delay_alu instid0(VALU_DEP_1) | instskip(NEXT) | instid1(VALU_DEP_1)
	v_cmp_gt_u32_e64 s3, s4, v1
	s_and_b32 exec_lo, exec_lo, s3
	s_cbranch_execz .LBB167_66
; %bb.61:
	v_mul_lo_u32 v1, v1, s6
	s_and_saveexec_b32 s3, vcc_lo
	s_cbranch_execnz .LBB167_85
; %bb.62:
	s_or_b32 exec_lo, exec_lo, s3
	s_and_saveexec_b32 s3, s0
	s_cbranch_execnz .LBB167_86
.LBB167_63:
	s_or_b32 exec_lo, exec_lo, s3
	s_and_saveexec_b32 s0, s1
	s_cbranch_execnz .LBB167_87
.LBB167_64:
	s_or_b32 exec_lo, exec_lo, s0
	s_delay_alu instid0(SALU_CYCLE_1)
	s_and_b32 exec_lo, exec_lo, s2
	s_cbranch_execz .LBB167_66
.LBB167_65:
	v_bfe_u32 v2, v67, 16, 1
	v_dual_mov_b32 v1, 0 :: v_dual_add_nc_u32 v0, v1, v4
	v_cmp_o_f32_e32 vcc_lo, v67, v67
	s_delay_alu instid0(VALU_DEP_3) | instskip(NEXT) | instid1(VALU_DEP_3)
	v_add3_u32 v2, v67, v2, 0x7fff
	v_lshlrev_b64 v[0:1], 1, v[0:1]
	s_delay_alu instid0(VALU_DEP_2) | instskip(NEXT) | instid1(VALU_DEP_1)
	v_lshrrev_b32_e32 v2, 16, v2
	v_cndmask_b32_e32 v2, 0x7fc0, v2, vcc_lo
	s_waitcnt lgkmcnt(0)
	s_delay_alu instid0(VALU_DEP_3) | instskip(NEXT) | instid1(VALU_DEP_4)
	v_add_co_u32 v0, vcc_lo, s8, v0
	v_add_co_ci_u32_e32 v1, vcc_lo, s9, v1, vcc_lo
	global_store_b16 v[0:1], v2, off
.LBB167_66:
	s_endpgm
.LBB167_67:
	v_bfe_u32 v5, v218, 16, 1
	s_delay_alu instid0(VALU_DEP_2) | instskip(SKIP_1) | instid1(VALU_DEP_3)
	v_dual_mov_b32 v37, 0 :: v_dual_add_nc_u32 v36, v23, v0
	v_cmp_o_f32_e64 s3, v218, v218
	v_add3_u32 v5, v218, v5, 0x7fff
	s_delay_alu instid0(VALU_DEP_3) | instskip(NEXT) | instid1(VALU_DEP_2)
	v_lshlrev_b64 v[36:37], 1, v[36:37]
	v_lshrrev_b32_e32 v5, 16, v5
	s_delay_alu instid0(VALU_DEP_1) | instskip(SKIP_1) | instid1(VALU_DEP_3)
	v_cndmask_b32_e64 v5, 0x7fc0, v5, s3
	s_waitcnt lgkmcnt(0)
	v_add_co_u32 v36, s3, s8, v36
	s_delay_alu instid0(VALU_DEP_1)
	v_add_co_ci_u32_e64 v37, s3, s9, v37, s3
	global_store_b16 v[36:37], v5, off
	s_or_b32 exec_lo, exec_lo, s5
	s_and_saveexec_b32 s5, s0
	s_cbranch_execz .LBB167_27
.LBB167_68:
	v_bfe_u32 v5, v38, 16, 1
	s_delay_alu instid0(VALU_DEP_2) | instskip(SKIP_1) | instid1(VALU_DEP_3)
	v_dual_mov_b32 v37, 0 :: v_dual_add_nc_u32 v36, v23, v2
	v_cmp_o_f32_e64 s3, v38, v38
	v_add3_u32 v5, v38, v5, 0x7fff
	s_delay_alu instid0(VALU_DEP_3) | instskip(NEXT) | instid1(VALU_DEP_2)
	v_lshlrev_b64 v[36:37], 1, v[36:37]
	v_lshrrev_b32_e32 v5, 16, v5
	s_delay_alu instid0(VALU_DEP_1) | instskip(SKIP_1) | instid1(VALU_DEP_3)
	v_cndmask_b32_e64 v5, 0x7fc0, v5, s3
	s_waitcnt lgkmcnt(0)
	v_add_co_u32 v36, s3, s8, v36
	s_delay_alu instid0(VALU_DEP_1)
	v_add_co_ci_u32_e64 v37, s3, s9, v37, s3
	global_store_b16 v[36:37], v5, off
	s_or_b32 exec_lo, exec_lo, s5
	s_and_saveexec_b32 s5, s1
	s_cbranch_execz .LBB167_28
.LBB167_69:
	v_bfe_u32 v5, v216, 16, 1
	v_dual_mov_b32 v37, 0 :: v_dual_add_nc_u32 v36, v23, v3
	v_cmp_o_f32_e64 s3, v216, v216
	s_delay_alu instid0(VALU_DEP_3) | instskip(NEXT) | instid1(VALU_DEP_3)
	v_add3_u32 v5, v216, v5, 0x7fff
	v_lshlrev_b64 v[36:37], 1, v[36:37]
	s_delay_alu instid0(VALU_DEP_2) | instskip(NEXT) | instid1(VALU_DEP_1)
	v_lshrrev_b32_e32 v5, 16, v5
	v_cndmask_b32_e64 v5, 0x7fc0, v5, s3
	s_waitcnt lgkmcnt(0)
	s_delay_alu instid0(VALU_DEP_3) | instskip(NEXT) | instid1(VALU_DEP_1)
	v_add_co_u32 v35, s3, s8, v36
	v_add_co_ci_u32_e64 v36, s3, s9, v37, s3
	global_store_b16 v[35:36], v5, off
	s_or_b32 exec_lo, exec_lo, s5
	s_and_saveexec_b32 s5, s2
	s_cbranch_execnz .LBB167_29
	s_branch .LBB167_30
.LBB167_70:
	v_bfe_u32 v5, v33, 16, 1
	s_delay_alu instid0(VALU_DEP_2) | instskip(SKIP_1) | instid1(VALU_DEP_3)
	v_dual_mov_b32 v35, 0 :: v_dual_add_nc_u32 v34, v23, v0
	v_cmp_o_f32_e64 s3, v33, v33
	v_add3_u32 v5, v33, v5, 0x7fff
	s_delay_alu instid0(VALU_DEP_3) | instskip(NEXT) | instid1(VALU_DEP_2)
	v_lshlrev_b64 v[34:35], 1, v[34:35]
	v_lshrrev_b32_e32 v5, 16, v5
	s_delay_alu instid0(VALU_DEP_1) | instskip(SKIP_1) | instid1(VALU_DEP_3)
	v_cndmask_b32_e64 v5, 0x7fc0, v5, s3
	s_waitcnt lgkmcnt(0)
	v_add_co_u32 v33, s3, s8, v34
	s_delay_alu instid0(VALU_DEP_1)
	v_add_co_ci_u32_e64 v34, s3, s9, v35, s3
	global_store_b16 v[33:34], v5, off
	s_or_b32 exec_lo, exec_lo, s5
	s_and_saveexec_b32 s5, s0
	s_cbranch_execz .LBB167_33
.LBB167_71:
	v_bfe_u32 v5, v32, 16, 1
	s_delay_alu instid0(VALU_DEP_2) | instskip(SKIP_1) | instid1(VALU_DEP_3)
	v_dual_mov_b32 v34, 0 :: v_dual_add_nc_u32 v33, v23, v2
	v_cmp_o_f32_e64 s3, v32, v32
	v_add3_u32 v5, v32, v5, 0x7fff
	s_delay_alu instid0(VALU_DEP_3) | instskip(NEXT) | instid1(VALU_DEP_2)
	v_lshlrev_b64 v[33:34], 1, v[33:34]
	v_lshrrev_b32_e32 v5, 16, v5
	s_delay_alu instid0(VALU_DEP_1) | instskip(SKIP_1) | instid1(VALU_DEP_3)
	v_cndmask_b32_e64 v5, 0x7fc0, v5, s3
	s_waitcnt lgkmcnt(0)
	v_add_co_u32 v31, s3, s8, v33
	s_delay_alu instid0(VALU_DEP_1)
	v_add_co_ci_u32_e64 v32, s3, s9, v34, s3
	global_store_b16 v[31:32], v5, off
	s_or_b32 exec_lo, exec_lo, s5
	s_and_saveexec_b32 s5, s1
	s_cbranch_execz .LBB167_34
.LBB167_72:
	v_bfe_u32 v5, v214, 16, 1
	v_dual_mov_b32 v32, 0 :: v_dual_add_nc_u32 v31, v23, v3
	v_cmp_o_f32_e64 s3, v214, v214
	s_delay_alu instid0(VALU_DEP_3) | instskip(NEXT) | instid1(VALU_DEP_3)
	v_add3_u32 v5, v214, v5, 0x7fff
	v_lshlrev_b64 v[31:32], 1, v[31:32]
	s_delay_alu instid0(VALU_DEP_2) | instskip(NEXT) | instid1(VALU_DEP_1)
	v_lshrrev_b32_e32 v5, 16, v5
	v_cndmask_b32_e64 v5, 0x7fc0, v5, s3
	s_waitcnt lgkmcnt(0)
	s_delay_alu instid0(VALU_DEP_3) | instskip(NEXT) | instid1(VALU_DEP_1)
	v_add_co_u32 v29, s3, s8, v31
	v_add_co_ci_u32_e64 v30, s3, s9, v32, s3
	global_store_b16 v[29:30], v5, off
	s_or_b32 exec_lo, exec_lo, s5
	s_and_saveexec_b32 s5, s2
	s_cbranch_execnz .LBB167_35
	s_branch .LBB167_36
.LBB167_73:
	v_bfe_u32 v5, v198, 16, 1
	s_delay_alu instid0(VALU_DEP_2) | instskip(SKIP_1) | instid1(VALU_DEP_3)
	v_dual_mov_b32 v29, 0 :: v_dual_add_nc_u32 v28, v23, v0
	v_cmp_o_f32_e64 s3, v198, v198
	v_add3_u32 v5, v198, v5, 0x7fff
	s_delay_alu instid0(VALU_DEP_3) | instskip(NEXT) | instid1(VALU_DEP_2)
	v_lshlrev_b64 v[28:29], 1, v[28:29]
	v_lshrrev_b32_e32 v5, 16, v5
	s_delay_alu instid0(VALU_DEP_1) | instskip(SKIP_1) | instid1(VALU_DEP_3)
	v_cndmask_b32_e64 v5, 0x7fc0, v5, s3
	s_waitcnt lgkmcnt(0)
	v_add_co_u32 v26, s3, s8, v28
	s_delay_alu instid0(VALU_DEP_1)
	v_add_co_ci_u32_e64 v27, s3, s9, v29, s3
	global_store_b16 v[26:27], v5, off
	s_or_b32 exec_lo, exec_lo, s5
	s_and_saveexec_b32 s5, s0
	s_cbranch_execz .LBB167_39
.LBB167_74:
	v_bfe_u32 v5, v189, 16, 1
	s_delay_alu instid0(VALU_DEP_2) | instskip(SKIP_1) | instid1(VALU_DEP_3)
	v_dual_mov_b32 v27, 0 :: v_dual_add_nc_u32 v26, v23, v2
	v_cmp_o_f32_e64 s3, v189, v189
	v_add3_u32 v5, v189, v5, 0x7fff
	s_delay_alu instid0(VALU_DEP_3) | instskip(NEXT) | instid1(VALU_DEP_2)
	v_lshlrev_b64 v[26:27], 1, v[26:27]
	v_lshrrev_b32_e32 v5, 16, v5
	s_delay_alu instid0(VALU_DEP_1) | instskip(SKIP_1) | instid1(VALU_DEP_3)
	v_cndmask_b32_e64 v5, 0x7fc0, v5, s3
	s_waitcnt lgkmcnt(0)
	v_add_co_u32 v24, s3, s8, v26
	s_delay_alu instid0(VALU_DEP_1)
	v_add_co_ci_u32_e64 v25, s3, s9, v27, s3
	global_store_b16 v[24:25], v5, off
	s_or_b32 exec_lo, exec_lo, s5
	s_and_saveexec_b32 s5, s1
	s_cbranch_execz .LBB167_40
.LBB167_75:
	v_bfe_u32 v5, v22, 16, 1
	v_dual_mov_b32 v25, 0 :: v_dual_add_nc_u32 v24, v23, v3
	v_cmp_o_f32_e64 s3, v22, v22
	s_delay_alu instid0(VALU_DEP_3) | instskip(NEXT) | instid1(VALU_DEP_3)
	v_add3_u32 v5, v22, v5, 0x7fff
	v_lshlrev_b64 v[24:25], 1, v[24:25]
	s_delay_alu instid0(VALU_DEP_2) | instskip(NEXT) | instid1(VALU_DEP_1)
	v_lshrrev_b32_e32 v5, 16, v5
	v_cndmask_b32_e64 v5, 0x7fc0, v5, s3
	s_waitcnt lgkmcnt(0)
	s_delay_alu instid0(VALU_DEP_3) | instskip(NEXT) | instid1(VALU_DEP_1)
	v_add_co_u32 v24, s3, s8, v24
	v_add_co_ci_u32_e64 v25, s3, s9, v25, s3
	global_store_b16 v[24:25], v5, off
	s_or_b32 exec_lo, exec_lo, s5
	s_and_saveexec_b32 s5, s2
	s_cbranch_execnz .LBB167_41
	s_branch .LBB167_42
.LBB167_76:
	v_bfe_u32 v5, v20, 16, 1
	s_delay_alu instid0(VALU_DEP_2) | instskip(SKIP_1) | instid1(VALU_DEP_3)
	v_dual_mov_b32 v23, 0 :: v_dual_add_nc_u32 v22, v21, v0
	v_cmp_o_f32_e64 s3, v20, v20
	v_add3_u32 v5, v20, v5, 0x7fff
	s_delay_alu instid0(VALU_DEP_3) | instskip(NEXT) | instid1(VALU_DEP_2)
	v_lshlrev_b64 v[22:23], 1, v[22:23]
	v_lshrrev_b32_e32 v5, 16, v5
	s_delay_alu instid0(VALU_DEP_1) | instskip(SKIP_1) | instid1(VALU_DEP_3)
	v_cndmask_b32_e64 v5, 0x7fc0, v5, s3
	s_waitcnt lgkmcnt(0)
	v_add_co_u32 v22, s3, s8, v22
	s_delay_alu instid0(VALU_DEP_1)
	v_add_co_ci_u32_e64 v23, s3, s9, v23, s3
	global_store_b16 v[22:23], v5, off
	s_or_b32 exec_lo, exec_lo, s5
	s_and_saveexec_b32 s5, s0
	s_cbranch_execz .LBB167_45
.LBB167_77:
	v_bfe_u32 v5, v19, 16, 1
	s_delay_alu instid0(VALU_DEP_2) | instskip(SKIP_1) | instid1(VALU_DEP_3)
	v_dual_mov_b32 v23, 0 :: v_dual_add_nc_u32 v22, v21, v2
	v_cmp_o_f32_e64 s3, v19, v19
	v_add3_u32 v5, v19, v5, 0x7fff
	s_delay_alu instid0(VALU_DEP_3) | instskip(NEXT) | instid1(VALU_DEP_2)
	v_lshlrev_b64 v[22:23], 1, v[22:23]
	v_lshrrev_b32_e32 v5, 16, v5
	s_delay_alu instid0(VALU_DEP_1) | instskip(SKIP_1) | instid1(VALU_DEP_3)
	v_cndmask_b32_e64 v5, 0x7fc0, v5, s3
	s_waitcnt lgkmcnt(0)
	v_add_co_u32 v19, s3, s8, v22
	s_delay_alu instid0(VALU_DEP_1)
	v_add_co_ci_u32_e64 v20, s3, s9, v23, s3
	global_store_b16 v[19:20], v5, off
	s_or_b32 exec_lo, exec_lo, s5
	s_and_saveexec_b32 s5, s1
	s_cbranch_execz .LBB167_46
.LBB167_78:
	v_bfe_u32 v5, v179, 16, 1
	v_dual_mov_b32 v20, 0 :: v_dual_add_nc_u32 v19, v21, v3
	v_cmp_o_f32_e64 s3, v179, v179
	s_delay_alu instid0(VALU_DEP_3) | instskip(NEXT) | instid1(VALU_DEP_3)
	v_add3_u32 v5, v179, v5, 0x7fff
	v_lshlrev_b64 v[19:20], 1, v[19:20]
	s_delay_alu instid0(VALU_DEP_2) | instskip(NEXT) | instid1(VALU_DEP_1)
	v_lshrrev_b32_e32 v5, 16, v5
	v_cndmask_b32_e64 v5, 0x7fc0, v5, s3
	s_waitcnt lgkmcnt(0)
	s_delay_alu instid0(VALU_DEP_3) | instskip(NEXT) | instid1(VALU_DEP_1)
	v_add_co_u32 v18, s3, s8, v19
	v_add_co_ci_u32_e64 v19, s3, s9, v20, s3
	global_store_b16 v[18:19], v5, off
	s_or_b32 exec_lo, exec_lo, s5
	s_and_saveexec_b32 s5, s2
	s_cbranch_execnz .LBB167_47
	s_branch .LBB167_48
.LBB167_79:
	v_bfe_u32 v5, v16, 16, 1
	s_delay_alu instid0(VALU_DEP_2) | instskip(SKIP_1) | instid1(VALU_DEP_3)
	v_dual_mov_b32 v19, 0 :: v_dual_add_nc_u32 v18, v17, v0
	v_cmp_o_f32_e64 s3, v16, v16
	v_add3_u32 v5, v16, v5, 0x7fff
	s_delay_alu instid0(VALU_DEP_3) | instskip(NEXT) | instid1(VALU_DEP_2)
	v_lshlrev_b64 v[18:19], 1, v[18:19]
	v_lshrrev_b32_e32 v5, 16, v5
	s_delay_alu instid0(VALU_DEP_1) | instskip(SKIP_1) | instid1(VALU_DEP_3)
	v_cndmask_b32_e64 v5, 0x7fc0, v5, s3
	s_waitcnt lgkmcnt(0)
	v_add_co_u32 v18, s3, s8, v18
	s_delay_alu instid0(VALU_DEP_1)
	v_add_co_ci_u32_e64 v19, s3, s9, v19, s3
	global_store_b16 v[18:19], v5, off
	s_or_b32 exec_lo, exec_lo, s5
	s_and_saveexec_b32 s5, s0
	s_cbranch_execz .LBB167_51
.LBB167_80:
	v_bfe_u32 v5, v15, 16, 1
	s_delay_alu instid0(VALU_DEP_2) | instskip(SKIP_1) | instid1(VALU_DEP_3)
	v_dual_mov_b32 v19, 0 :: v_dual_add_nc_u32 v18, v17, v2
	v_cmp_o_f32_e64 s3, v15, v15
	v_add3_u32 v5, v15, v5, 0x7fff
	s_delay_alu instid0(VALU_DEP_3) | instskip(NEXT) | instid1(VALU_DEP_2)
	v_lshlrev_b64 v[18:19], 1, v[18:19]
	v_lshrrev_b32_e32 v5, 16, v5
	s_delay_alu instid0(VALU_DEP_1) | instskip(SKIP_1) | instid1(VALU_DEP_3)
	v_cndmask_b32_e64 v5, 0x7fc0, v5, s3
	s_waitcnt lgkmcnt(0)
	v_add_co_u32 v15, s3, s8, v18
	s_delay_alu instid0(VALU_DEP_1)
	v_add_co_ci_u32_e64 v16, s3, s9, v19, s3
	global_store_b16 v[15:16], v5, off
	s_or_b32 exec_lo, exec_lo, s5
	s_and_saveexec_b32 s5, s1
	s_cbranch_execz .LBB167_52
.LBB167_81:
	v_bfe_u32 v5, v177, 16, 1
	v_dual_mov_b32 v16, 0 :: v_dual_add_nc_u32 v15, v17, v3
	v_cmp_o_f32_e64 s3, v177, v177
	s_delay_alu instid0(VALU_DEP_3) | instskip(NEXT) | instid1(VALU_DEP_3)
	v_add3_u32 v5, v177, v5, 0x7fff
	v_lshlrev_b64 v[15:16], 1, v[15:16]
	s_delay_alu instid0(VALU_DEP_2) | instskip(NEXT) | instid1(VALU_DEP_1)
	v_lshrrev_b32_e32 v5, 16, v5
	v_cndmask_b32_e64 v5, 0x7fc0, v5, s3
	s_waitcnt lgkmcnt(0)
	s_delay_alu instid0(VALU_DEP_3) | instskip(NEXT) | instid1(VALU_DEP_1)
	v_add_co_u32 v14, s3, s8, v15
	v_add_co_ci_u32_e64 v15, s3, s9, v16, s3
	global_store_b16 v[14:15], v5, off
	s_or_b32 exec_lo, exec_lo, s5
	s_and_saveexec_b32 s5, s2
	s_cbranch_execnz .LBB167_53
	s_branch .LBB167_54
.LBB167_82:
	v_bfe_u32 v5, v160, 16, 1
	s_delay_alu instid0(VALU_DEP_2) | instskip(SKIP_1) | instid1(VALU_DEP_3)
	v_dual_mov_b32 v15, 0 :: v_dual_add_nc_u32 v14, v13, v0
	v_cmp_o_f32_e64 s3, v160, v160
	v_add3_u32 v5, v160, v5, 0x7fff
	s_delay_alu instid0(VALU_DEP_3) | instskip(NEXT) | instid1(VALU_DEP_2)
	v_lshlrev_b64 v[14:15], 1, v[14:15]
	v_lshrrev_b32_e32 v5, 16, v5
	s_delay_alu instid0(VALU_DEP_1) | instskip(SKIP_1) | instid1(VALU_DEP_3)
	v_cndmask_b32_e64 v5, 0x7fc0, v5, s3
	s_waitcnt lgkmcnt(0)
	v_add_co_u32 v14, s3, s8, v14
	s_delay_alu instid0(VALU_DEP_1)
	v_add_co_ci_u32_e64 v15, s3, s9, v15, s3
	global_store_b16 v[14:15], v5, off
	s_or_b32 exec_lo, exec_lo, s5
	s_and_saveexec_b32 s5, s0
	s_cbranch_execz .LBB167_57
.LBB167_83:
	v_bfe_u32 v5, v11, 16, 1
	s_delay_alu instid0(VALU_DEP_2) | instskip(SKIP_1) | instid1(VALU_DEP_3)
	v_dual_mov_b32 v15, 0 :: v_dual_add_nc_u32 v14, v13, v2
	v_cmp_o_f32_e64 s3, v11, v11
	v_add3_u32 v5, v11, v5, 0x7fff
	s_delay_alu instid0(VALU_DEP_3) | instskip(NEXT) | instid1(VALU_DEP_2)
	v_lshlrev_b64 v[14:15], 1, v[14:15]
	v_lshrrev_b32_e32 v5, 16, v5
	s_delay_alu instid0(VALU_DEP_1) | instskip(SKIP_1) | instid1(VALU_DEP_3)
	v_cndmask_b32_e64 v5, 0x7fc0, v5, s3
	s_waitcnt lgkmcnt(0)
	v_add_co_u32 v11, s3, s8, v14
	s_delay_alu instid0(VALU_DEP_1)
	v_add_co_ci_u32_e64 v12, s3, s9, v15, s3
	global_store_b16 v[11:12], v5, off
	s_or_b32 exec_lo, exec_lo, s5
	s_and_saveexec_b32 s5, s1
	s_cbranch_execz .LBB167_58
.LBB167_84:
	v_bfe_u32 v5, v10, 16, 1
	v_dual_mov_b32 v12, 0 :: v_dual_add_nc_u32 v11, v13, v3
	v_cmp_o_f32_e64 s3, v10, v10
	s_delay_alu instid0(VALU_DEP_3) | instskip(NEXT) | instid1(VALU_DEP_3)
	v_add3_u32 v5, v10, v5, 0x7fff
	v_lshlrev_b64 v[11:12], 1, v[11:12]
	s_delay_alu instid0(VALU_DEP_2) | instskip(NEXT) | instid1(VALU_DEP_1)
	v_lshrrev_b32_e32 v5, 16, v5
	v_cndmask_b32_e64 v5, 0x7fc0, v5, s3
	s_waitcnt lgkmcnt(0)
	s_delay_alu instid0(VALU_DEP_3) | instskip(NEXT) | instid1(VALU_DEP_1)
	v_add_co_u32 v10, s3, s8, v11
	v_add_co_ci_u32_e64 v11, s3, s9, v12, s3
	global_store_b16 v[10:11], v5, off
	s_or_b32 exec_lo, exec_lo, s5
	s_and_saveexec_b32 s5, s2
	s_cbranch_execnz .LBB167_59
	s_branch .LBB167_60
.LBB167_85:
	v_bfe_u32 v5, v82, 16, 1
	s_delay_alu instid0(VALU_DEP_2) | instskip(SKIP_1) | instid1(VALU_DEP_3)
	v_dual_mov_b32 v10, 0 :: v_dual_add_nc_u32 v9, v1, v0
	v_cmp_o_f32_e32 vcc_lo, v82, v82
	v_add3_u32 v0, v82, v5, 0x7fff
	s_delay_alu instid0(VALU_DEP_3) | instskip(NEXT) | instid1(VALU_DEP_2)
	v_lshlrev_b64 v[9:10], 1, v[9:10]
	v_lshrrev_b32_e32 v0, 16, v0
	s_delay_alu instid0(VALU_DEP_1) | instskip(SKIP_1) | instid1(VALU_DEP_3)
	v_cndmask_b32_e32 v0, 0x7fc0, v0, vcc_lo
	s_waitcnt lgkmcnt(0)
	v_add_co_u32 v8, vcc_lo, s8, v9
	s_delay_alu instid0(VALU_DEP_4)
	v_add_co_ci_u32_e32 v9, vcc_lo, s9, v10, vcc_lo
	global_store_b16 v[8:9], v0, off
	s_or_b32 exec_lo, exec_lo, s3
	s_and_saveexec_b32 s3, s0
	s_cbranch_execz .LBB167_63
.LBB167_86:
	v_bfe_u32 v0, v69, 16, 1
	s_delay_alu instid0(VALU_DEP_2) | instskip(SKIP_1) | instid1(VALU_DEP_3)
	v_dual_mov_b32 v9, 0 :: v_dual_add_nc_u32 v8, v1, v2
	v_cmp_o_f32_e32 vcc_lo, v69, v69
	v_add3_u32 v0, v69, v0, 0x7fff
	s_delay_alu instid0(VALU_DEP_3) | instskip(NEXT) | instid1(VALU_DEP_2)
	v_lshlrev_b64 v[8:9], 1, v[8:9]
	v_lshrrev_b32_e32 v0, 16, v0
	s_delay_alu instid0(VALU_DEP_1) | instskip(SKIP_1) | instid1(VALU_DEP_3)
	v_cndmask_b32_e32 v0, 0x7fc0, v0, vcc_lo
	s_waitcnt lgkmcnt(0)
	v_add_co_u32 v7, vcc_lo, s8, v8
	s_delay_alu instid0(VALU_DEP_4)
	v_add_co_ci_u32_e32 v8, vcc_lo, s9, v9, vcc_lo
	global_store_b16 v[7:8], v0, off
	s_or_b32 exec_lo, exec_lo, s3
	s_and_saveexec_b32 s0, s1
	s_cbranch_execz .LBB167_64
.LBB167_87:
	v_bfe_u32 v0, v68, 16, 1
	v_dual_mov_b32 v3, 0 :: v_dual_add_nc_u32 v2, v1, v3
	v_cmp_o_f32_e32 vcc_lo, v68, v68
	s_delay_alu instid0(VALU_DEP_3) | instskip(NEXT) | instid1(VALU_DEP_3)
	v_add3_u32 v0, v68, v0, 0x7fff
	v_lshlrev_b64 v[2:3], 1, v[2:3]
	s_delay_alu instid0(VALU_DEP_2) | instskip(NEXT) | instid1(VALU_DEP_1)
	v_lshrrev_b32_e32 v0, 16, v0
	v_cndmask_b32_e32 v0, 0x7fc0, v0, vcc_lo
	s_waitcnt lgkmcnt(0)
	s_delay_alu instid0(VALU_DEP_3) | instskip(NEXT) | instid1(VALU_DEP_4)
	v_add_co_u32 v2, vcc_lo, s8, v2
	v_add_co_ci_u32_e32 v3, vcc_lo, s9, v3, vcc_lo
	global_store_b16 v[2:3], v0, off
	s_or_b32 exec_lo, exec_lo, s0
	s_delay_alu instid0(SALU_CYCLE_1)
	s_and_b32 exec_lo, exec_lo, s2
	s_cbranch_execnz .LBB167_65
	s_branch .LBB167_66
	.section	.rodata,"a",@progbits
	.p2align	6, 0x0
	.amdhsa_kernel _ZL12mul_mat_q2_KIN3c108BFloat16ELb0EEvPKvS3_PT_iiiii
		.amdhsa_group_segment_fixed_size 31392
		.amdhsa_private_segment_fixed_size 396
		.amdhsa_kernarg_size 44
		.amdhsa_user_sgpr_count 14
		.amdhsa_user_sgpr_dispatch_ptr 0
		.amdhsa_user_sgpr_queue_ptr 0
		.amdhsa_user_sgpr_kernarg_segment_ptr 1
		.amdhsa_user_sgpr_dispatch_id 0
		.amdhsa_user_sgpr_private_segment_size 0
		.amdhsa_wavefront_size32 1
		.amdhsa_uses_dynamic_stack 0
		.amdhsa_enable_private_segment 1
		.amdhsa_system_sgpr_workgroup_id_x 1
		.amdhsa_system_sgpr_workgroup_id_y 1
		.amdhsa_system_sgpr_workgroup_id_z 0
		.amdhsa_system_sgpr_workgroup_info 0
		.amdhsa_system_vgpr_workitem_id 1
		.amdhsa_next_free_vgpr 256
		.amdhsa_next_free_sgpr 22
		.amdhsa_reserve_vcc 1
		.amdhsa_float_round_mode_32 0
		.amdhsa_float_round_mode_16_64 0
		.amdhsa_float_denorm_mode_32 3
		.amdhsa_float_denorm_mode_16_64 3
		.amdhsa_dx10_clamp 1
		.amdhsa_ieee_mode 1
		.amdhsa_fp16_overflow 0
		.amdhsa_workgroup_processor_mode 1
		.amdhsa_memory_ordered 1
		.amdhsa_forward_progress 0
		.amdhsa_shared_vgpr_count 0
		.amdhsa_exception_fp_ieee_invalid_op 0
		.amdhsa_exception_fp_denorm_src 0
		.amdhsa_exception_fp_ieee_div_zero 0
		.amdhsa_exception_fp_ieee_overflow 0
		.amdhsa_exception_fp_ieee_underflow 0
		.amdhsa_exception_fp_ieee_inexact 0
		.amdhsa_exception_int_div_zero 0
	.end_amdhsa_kernel
	.section	.text._ZL12mul_mat_q2_KIN3c108BFloat16ELb0EEvPKvS3_PT_iiiii,"axG",@progbits,_ZL12mul_mat_q2_KIN3c108BFloat16ELb0EEvPKvS3_PT_iiiii,comdat
.Lfunc_end167:
	.size	_ZL12mul_mat_q2_KIN3c108BFloat16ELb0EEvPKvS3_PT_iiiii, .Lfunc_end167-_ZL12mul_mat_q2_KIN3c108BFloat16ELb0EEvPKvS3_PT_iiiii
                                        ; -- End function
	.section	.AMDGPU.csdata,"",@progbits
; Kernel info:
; codeLenInByte = 45132
; NumSgprs: 24
; NumVgprs: 256
; ScratchSize: 396
; MemoryBound: 0
; FloatMode: 240
; IeeeMode: 1
; LDSByteSize: 31392 bytes/workgroup (compile time only)
; SGPRBlocks: 2
; VGPRBlocks: 31
; NumSGPRsForWavesPerEU: 24
; NumVGPRsForWavesPerEU: 256
; Occupancy: 5
; WaveLimiterHint : 0
; COMPUTE_PGM_RSRC2:SCRATCH_EN: 1
; COMPUTE_PGM_RSRC2:USER_SGPR: 14
; COMPUTE_PGM_RSRC2:TRAP_HANDLER: 0
; COMPUTE_PGM_RSRC2:TGID_X_EN: 1
; COMPUTE_PGM_RSRC2:TGID_Y_EN: 1
; COMPUTE_PGM_RSRC2:TGID_Z_EN: 0
; COMPUTE_PGM_RSRC2:TIDIG_COMP_CNT: 1
	.section	.text._ZL12mul_mat_q2_KIN3c108BFloat16ELb1EEvPKvS3_PT_iiiii,"axG",@progbits,_ZL12mul_mat_q2_KIN3c108BFloat16ELb1EEvPKvS3_PT_iiiii,comdat
	.globl	_ZL12mul_mat_q2_KIN3c108BFloat16ELb1EEvPKvS3_PT_iiiii ; -- Begin function _ZL12mul_mat_q2_KIN3c108BFloat16ELb1EEvPKvS3_PT_iiiii
	.p2align	8
	.type	_ZL12mul_mat_q2_KIN3c108BFloat16ELb1EEvPKvS3_PT_iiiii,@function
_ZL12mul_mat_q2_KIN3c108BFloat16ELb1EEvPKvS3_PT_iiiii: ; @_ZL12mul_mat_q2_KIN3c108BFloat16ELb1EEvPKvS3_PT_iiiii
; %bb.0:
	s_clause 0x1
	s_load_b128 s[4:7], s[0:1], 0x18
	s_load_b32 s10, s[0:1], 0x28
	v_bfe_u32 v1, v0, 10, 10
	s_lshl_b32 s11, s15, 6
	scratch_store_b32 off, v1, off offset:444 ; 4-byte Folded Spill
	v_and_b32_e32 v1, 0x3ff, v0
	scratch_store_b32 off, v1, off offset:96 ; 4-byte Folded Spill
	s_waitcnt lgkmcnt(0)
	s_cmpk_gt_i32 s4, 0xff
	s_cbranch_scc1 .LBB168_2
; %bb.1:
	v_bfe_u32 v1, v0, 10, 10
	v_and_b32_e32 v0, 0x3ff, v0
	s_mov_b32 s2, 0
	s_mov_b32 s3, 0
	s_delay_alu instid0(VALU_DEP_2)
	v_add_nc_u32_e32 v2, s11, v1
	s_branch .LBB168_3
.LBB168_2:
	s_mov_b32 s2, -1
                                        ; implicit-def: $sgpr3
                                        ; implicit-def: $vgpr1
                                        ; implicit-def: $vgpr0
                                        ; implicit-def: $vgpr2
.LBB168_3:
	s_load_b64 s[8:9], s[0:1], 0x10
	v_dual_mov_b32 v21, s3 :: v_dual_mov_b32 v104, s3
	v_dual_mov_b32 v29, s3 :: v_dual_mov_b32 v40, s3
	;; [unrolled: 1-line block ×16, first 2 shown]
	s_and_not1_b32 vcc_lo, exec_lo, s2
	s_lshl_b32 s12, s14, 7
	s_cbranch_vccnz .LBB168_15
; %bb.4:
	s_clause 0x1
	scratch_load_b32 v37, off, off offset:96
	scratch_load_b32 v36, off, off offset:444
	s_load_b128 s[0:3], s[0:1], 0x0
	s_ashr_i32 s13, s4, 31
	s_ashr_i32 s14, s7, 31
	s_lshr_b32 s13, s13, 24
	v_mov_b32_e32 v204, 0
	s_add_i32 s4, s4, s13
	s_lshr_b32 s13, s14, 27
	s_ashr_i32 s4, s4, 8
	s_add_i32 s7, s7, s13
	s_mul_i32 s13, s4, s12
	s_ashr_i32 s7, s7, 5
	s_mul_i32 s14, s13, 0x54
	s_mul_hi_i32 s13, s13, 0x54
	v_mov_b32_e32 v43, 0
	v_dual_mov_b32 v67, 0 :: v_dual_mov_b32 v68, 0
	v_dual_mov_b32 v45, 0 :: v_dual_mov_b32 v60, 0
	;; [unrolled: 1-line block ×3, first 2 shown]
	s_waitcnt lgkmcnt(0)
	s_add_u32 s0, s0, s14
	s_addc_u32 s1, s1, s13
	s_not_b32 s13, s12
	v_mov_b32_e32 v188, 0
	s_add_i32 s5, s13, s5
	v_mov_b32_e32 v41, 0
	s_add_i32 s13, s6, -1
	v_dual_mov_b32 v55, 0 :: v_dual_mov_b32 v50, 0
	v_mov_b32_e32 v181, 0
	v_mov_b32_e32 v127, 0
	;; [unrolled: 1-line block ×3, first 2 shown]
	v_dual_mov_b32 v177, 0 :: v_dual_mov_b32 v80, 0
	v_mov_b32_e32 v76, 0
	v_mov_b32_e32 v42, 0
	;; [unrolled: 1-line block ×3, first 2 shown]
	v_dual_mov_b32 v104, 0 :: v_dual_mov_b32 v65, 0
	s_waitcnt vmcnt(1)
	v_lshlrev_b32_e32 v0, 2, v37
	s_waitcnt vmcnt(0)
	v_min_i32_e32 v1, s5, v36
	v_add_nc_u32_e32 v19, 8, v36
	v_add_nc_u32_e32 v11, 0x70, v36
	;; [unrolled: 1-line block ×3, first 2 shown]
	v_and_b32_e32 v2, 60, v0
	v_mul_lo_u32 v4, v1, s4
	v_add_nc_u32_e32 v21, 24, v36
	v_min_i32_e32 v28, s5, v11
	v_min_i32_e32 v3, s5, v20
	scratch_store_b32 off, v2, off offset:188 ; 4-byte Folded Spill
	v_min_i32_e32 v2, s5, v19
	v_add_nc_u32_e32 v22, 32, v36
	v_mul_lo_u32 v18, v28, s4
	scratch_store_b32 off, v4, off offset:192 ; 4-byte Folded Spill
	v_mad_u64_u32 v[4:5], null, 0x84, v1, v[0:1]
	v_mul_lo_u32 v1, v2, s4
	v_add_nc_u32_e32 v23, 40, v36
	v_and_b32_e32 v32, 1, v37
	v_add_nc_u32_e32 v17, s11, v36
	v_add_nc_u32_e32 v24, 48, v36
	v_add_nc_u32_e32 v25, 56, v36
	scratch_store_b64 off, v[4:5], off offset:196 ; 8-byte Folded Spill
	v_lshlrev_b32_e32 v26, 4, v36
	v_mad_u64_u32 v[4:5], null, 0x84, v2, v[0:1]
	scratch_store_b32 off, v1, off offset:204 ; 4-byte Folded Spill
	v_mul_lo_u32 v1, v3, s4
	v_add_nc_u32_e32 v9, 24, v17
	v_add_nc_u32_e32 v6, 8, v17
	;; [unrolled: 1-line block ×4, first 2 shown]
	scratch_store_b64 off, v[4:5], off offset:208 ; 8-byte Folded Spill
	v_cvt_f64_u32_e32 v[9:10], v9
	v_add_nc_u32_e32 v14, 40, v17
	scratch_store_b32 off, v1, off offset:216 ; 4-byte Folded Spill
	v_min_i32_e32 v1, s5, v21
	v_add_nc_u32_e32 v16, 48, v17
	scratch_store_b32 off, v17, off offset:448 ; 4-byte Folded Spill
	v_cvt_f64_u32_e32 v[7:8], v7
	v_lshrrev_b32_e32 v31, 3, v37
	v_mad_u64_u32 v[4:5], null, 0x84, v3, v[0:1]
	v_mul_lo_u32 v2, v1, s4
	v_add_nc_u32_e32 v29, 0x78, v36
	s_delay_alu instid0(VALU_DEP_4)
	v_lshl_add_u32 v31, v36, 2, v31
	scratch_store_b32 off, v32, off offset:364 ; 4-byte Folded Spill
	v_and_b32_e32 v40, 12, v0
	v_lshrrev_b32_e32 v38, 4, v37
	scratch_store_b64 off, v[4:5], off offset:220 ; 8-byte Folded Spill
	v_mad_u64_u32 v[3:4], null, 0x84, v1, v[0:1]
	scratch_store_b32 off, v2, off offset:228 ; 4-byte Folded Spill
	v_min_i32_e32 v2, s5, v22
	v_min_i32_e32 v1, s5, v23
	;; [unrolled: 1-line block ×3, first 2 shown]
	v_add_nc_u32_e32 v35, 64, v31
	v_mul_u32_u24_e32 v62, 0x84, v37
	scratch_store_b64 off, v[3:4], off offset:232 ; 8-byte Folded Spill
	v_mul_lo_u32 v3, v2, s4
	v_lshlrev_b32_e32 v63, 5, v37
	v_min_i32_e32 v35, s5, v35
	v_and_b32_e32 v74, 0xfc, v37
	s_clause 0x1
	scratch_store_b32 off, v38, off offset:184
	scratch_store_b32 off, v3, off offset:240
	v_mad_u64_u32 v[3:4], null, 0x84, v2, v[0:1]
	v_mul_lo_u32 v2, v1, s4
	v_add_nc_u32_e32 v79, 0x6208, v74
	scratch_store_b64 off, v[3:4], off offset:244 ; 8-byte Folded Spill
	v_mad_u64_u32 v[3:4], null, 0x84, v1, v[0:1]
	scratch_store_b32 off, v2, off offset:252 ; 4-byte Folded Spill
	v_min_i32_e32 v2, s5, v24
	v_add_nc_u32_e32 v1, 64, v36
	scratch_store_b64 off, v[3:4], off offset:256 ; 8-byte Folded Spill
	v_mul_lo_u32 v3, v2, s4
	v_mad_u64_u32 v[4:5], null, 0x84, v2, v[0:1]
	v_min_i32_e32 v1, s5, v1
	v_add_nc_u32_e32 v2, 0x48, v36
	s_clause 0x1
	scratch_store_b32 off, v3, off offset:264
	scratch_store_b64 off, v[4:5], off offset:268
	v_min_i32_e32 v3, s5, v25
	v_min_i32_e32 v2, s5, v2
	s_delay_alu instid0(VALU_DEP_2)
	v_mul_lo_u32 v4, v3, s4
	scratch_store_b32 off, v4, off offset:276 ; 4-byte Folded Spill
	v_mad_u64_u32 v[4:5], null, 0x84, v3, v[0:1]
	v_mul_lo_u32 v3, v1, s4
	scratch_store_b64 off, v[4:5], off offset:280 ; 8-byte Folded Spill
	v_mad_u64_u32 v[4:5], null, 0x84, v1, v[0:1]
	scratch_store_b32 off, v3, off offset:288 ; 4-byte Folded Spill
	v_add_nc_u32_e32 v1, 0x58, v36
	v_add_nc_u32_e32 v3, 0x50, v36
	scratch_store_b64 off, v[4:5], off offset:292 ; 8-byte Folded Spill
	v_mul_lo_u32 v4, v2, s4
	v_min_i32_e32 v3, s5, v3
	scratch_store_b32 off, v4, off offset:300 ; 4-byte Folded Spill
	v_mad_u64_u32 v[4:5], null, 0x84, v2, v[0:1]
	v_min_i32_e32 v1, s5, v1
	v_add_nc_u32_e32 v2, 0x60, v36
	scratch_store_b64 off, v[4:5], off offset:304 ; 8-byte Folded Spill
	v_mul_lo_u32 v4, v3, s4
	v_min_i32_e32 v2, s5, v2
	scratch_store_b32 off, v4, off offset:312 ; 4-byte Folded Spill
	v_mad_u64_u32 v[4:5], null, 0x84, v3, v[0:1]
	v_mul_lo_u32 v3, v1, s4
	scratch_store_b64 off, v[4:5], off offset:316 ; 8-byte Folded Spill
	v_mad_u64_u32 v[4:5], null, 0x84, v1, v[0:1]
	scratch_store_b32 off, v3, off offset:324 ; 4-byte Folded Spill
	v_lshrrev_b32_e32 v1, 1, v37
	v_add_nc_u32_e32 v3, 0x68, v36
	scratch_store_b64 off, v[4:5], off offset:328 ; 8-byte Folded Spill
	v_mul_lo_u32 v4, v2, s4
	v_min_i32_e32 v3, s5, v3
	scratch_store_b32 off, v4, off offset:336 ; 4-byte Folded Spill
	v_mad_u64_u32 v[4:5], null, 0x84, v2, v[0:1]
	v_add_nc_u32_e32 v1, v1, v26
	v_mul_lo_u32 v2, v3, s4
	scratch_store_b64 off, v[4:5], off offset:340 ; 8-byte Folded Spill
	v_mad_u64_u32 v[4:5], null, 0x84, v3, v[0:1]
	s_clause 0x1
	scratch_store_b32 off, v2, off offset:348
	scratch_store_b64 off, v[4:5], off offset:352
	v_and_b32_e32 v5, 0x7f, v1
	v_cvt_f64_i32_e32 v[1:2], s13
	v_cvt_f64_u32_e32 v[3:4], v17
	v_add_nc_u32_e32 v17, 56, v17
	s_delay_alu instid0(VALU_DEP_4) | instskip(SKIP_1) | instid1(VALU_DEP_2)
	v_min_i32_e32 v27, s5, v5
	v_cvt_f64_u32_e32 v[5:6], v6
	v_ashrrev_i32_e32 v12, 31, v27
	s_delay_alu instid0(VALU_DEP_1) | instskip(SKIP_2) | instid1(VALU_DEP_3)
	v_lshrrev_b32_e32 v15, 28, v12
	v_cvt_f64_u32_e32 v[11:12], v13
	v_cvt_f64_u32_e32 v[13:14], v14
	v_add_nc_u32_e32 v30, v27, v15
	v_cvt_f64_u32_e32 v[15:16], v16
	s_delay_alu instid0(VALU_DEP_2)
	v_ashrrev_i32_e32 v30, 4, v30
	v_mad_u64_u32 v[33:34], null, 0x84, v28, v[0:1]
	v_min_f64 v[3:4], v[3:4], v[1:2]
	scratch_store_b32 off, v18, off offset:360 ; 4-byte Folded Spill
	v_cvt_f64_u32_e32 v[17:18], v17
	v_min_f64 v[9:10], v[9:10], v[1:2]
	v_mul_lo_u32 v28, v29, s4
	v_min_f64 v[5:6], v[5:6], v[1:2]
	scratch_store_b64 off, v[33:34], off offset:368 ; 8-byte Folded Spill
	v_min_f64 v[7:8], v[7:8], v[1:2]
	v_min_f64 v[11:12], v[11:12], v[1:2]
	;; [unrolled: 1-line block ×4, first 2 shown]
	v_cvt_i32_f64_e32 v4, v[3:4]
	v_mul_lo_u32 v3, v35, s4
	scratch_store_b32 off, v28, off offset:376 ; 4-byte Folded Spill
	v_lshlrev_b32_e32 v28, 2, v30
	v_lshlrev_b32_e32 v30, 2, v32
	v_mad_u64_u32 v[32:33], null, 0x84, v29, v[0:1]
	v_min_f64 v[1:2], v[17:18], v[1:2]
	v_mul_lo_u32 v29, v27, s4
	s_delay_alu instid0(VALU_DEP_4)
	v_add3_u32 v28, v28, v30, 0x7280
	v_add_nc_u32_e32 v30, 32, v31
	v_cvt_i32_f64_e32 v9, v[9:10]
	v_ashrrev_i32_e32 v18, 31, v35
	scratch_store_b64 off, v[32:33], off offset:380 ; 8-byte Folded Spill
	v_and_b32_e32 v32, 7, v37
	v_min_i32_e32 v30, s5, v30
	v_cvt_i32_f64_e32 v5, v[5:6]
	v_lshrrev_b32_e32 v18, 30, v18
	scratch_store_b32 off, v3, off offset:408 ; 4-byte Folded Spill
	v_cmp_lt_u32_e32 vcc_lo, 3, v32
	v_lshlrev_b32_e32 v32, 2, v32
	v_cvt_i32_f64_e32 v7, v[7:8]
	v_add_nc_u32_e32 v18, v35, v18
	v_cvt_i32_f64_e32 v11, v[11:12]
	v_cndmask_b32_e64 v34, 0, 1, vcc_lo
	scratch_store_b32 off, v29, off offset:388 ; 4-byte Folded Spill
	v_min_i32_e32 v29, s5, v31
	v_add_nc_u32_e32 v31, 0x60, v31
	v_and_b32_e32 v18, -4, v18
	v_and_b32_e32 v0, 28, v0
	v_cvt_i32_f64_e32 v13, v[13:14]
	v_ashrrev_i32_e32 v33, 31, v29
	v_min_i32_e32 v31, s5, v31
	v_add3_u32 v6, v18, v32, 0x6200
	v_lshrrev_b32_e32 v18, 2, v37
	v_cvt_i32_f64_e32 v14, v[15:16]
	v_lshrrev_b32_e32 v33, 30, v33
	v_mul_lo_u32 v10, v31, s4
	scratch_store_b32 off, v34, off offset:392 ; 4-byte Folded Spill
	v_ashrrev_i32_e32 v34, 31, v30
	v_and_b32_e32 v15, 31, v37
	v_add_nc_u32_e32 v33, v29, v33
	v_lshlrev_b32_e32 v8, 5, v35
	v_lshlrev_b32_e32 v27, 3, v27
	v_lshrrev_b32_e32 v34, 30, v34
	scratch_store_b32 off, v10, off offset:412 ; 4-byte Folded Spill
	v_and_b32_e32 v17, -4, v33
	v_cvt_i32_f64_e32 v1, v[1:2]
	v_lshl_add_u32 v10, v36, 3, v18
	v_add_nc_u32_e32 v33, v30, v34
	v_mul_lo_u32 v34, v29, s4
	v_lshlrev_b32_e32 v18, 5, v31
	v_lshlrev_b32_e32 v15, 2, v15
	v_and_b32_e32 v10, 63, v10
	v_add3_u32 v17, v17, v32, 0x6200
	v_and_b32_e32 v33, -4, v33
	v_lshlrev_b32_e32 v29, 5, v29
	scratch_store_b32 off, v34, off offset:400 ; 4-byte Folded Spill
	v_ashrrev_i32_e32 v34, 31, v31
	v_or_b32_e32 v2, s11, v10
	v_add3_u32 v33, v33, v32, 0x6200
	s_delay_alu instid0(VALU_DEP_3) | instskip(NEXT) | instid1(VALU_DEP_1)
	v_lshrrev_b32_e32 v34, 30, v34
	v_add_nc_u32_e32 v3, v31, v34
	v_add_co_u32 v34, s5, s2, v0
	s_delay_alu instid0(VALU_DEP_1) | instskip(NEXT) | instid1(VALU_DEP_3)
	v_add_co_ci_u32_e64 v35, null, s3, 0, s5
	v_and_b32_e32 v3, -4, v3
	v_min_i32_e32 v0, s13, v2
	v_lshlrev_b32_e32 v31, 7, v36
	s_movk_i32 s5, 0x1080
	s_delay_alu instid0(VALU_DEP_3)
	v_add3_u32 v12, v3, v32, 0x6200
	v_and_b32_e32 v3, 3, v37
	v_mad_u32_u24 v136, 0x84, v37, s5
	s_movk_i32 s5, 0x2100
	v_mov_b32_e32 v32, 0
	v_mad_u32_u24 v144, 0x84, v37, s5
	v_lshlrev_b32_e32 v16, 2, v3
	v_mul_lo_u32 v1, s7, v1
	scratch_store_b64 off, v[34:35], off offset:100 ; 8-byte Folded Spill
	v_mad_u64_u32 v[34:35], null, v0, s7, v[3:4]
	v_lshl_or_b32 v2, v10, 4, v16
	v_or_b32_e32 v10, v31, v15
	v_mul_lo_u32 v3, s7, v5
	v_add_nc_u32_e32 v5, 0x60, v37
	scratch_store_b32 off, v1, off offset:168 ; 4-byte Folded Spill
	v_add_nc_u32_e32 v0, 0x76a0, v2
	v_mul_lo_u32 v2, s7, v4
	v_add_nc_u32_e32 v1, 32, v37
	s_movk_i32 s5, 0x3180
	v_and_b32_e32 v71, 0x1fc, v5
	scratch_store_b32 off, v0, off offset:108 ; 4-byte Folded Spill
	v_lshl_or_b32 v0, v19, 7, v15
	v_lshrrev_b32_e32 v4, 2, v1
	v_mad_u32_u24 v152, 0x84, v37, s5
	scratch_store_b32 off, v2, off offset:112 ; 4-byte Folded Spill
	v_add_nc_u32_e32 v2, 0x4200, v10
	v_add_nc_u32_e32 v0, 0x4200, v0
	v_and_b32_e32 v73, 0x1fc, v1
	s_mov_b32 s5, 0
	v_add_nc_u32_e32 v75, 0x6e08, v71
	scratch_store_b32 off, v2, off offset:116 ; 4-byte Folded Spill
	v_lshl_or_b32 v2, v20, 7, v15
	v_add_nc_u32_e32 v78, 0x6608, v73
	s_delay_alu instid0(VALU_DEP_2)
	v_add_nc_u32_e32 v2, 0x4200, v2
	scratch_store_b32 off, v3, off offset:120 ; 4-byte Folded Spill
	v_mul_lo_u32 v3, s7, v7
	scratch_store_b32 off, v0, off offset:124 ; 4-byte Folded Spill
	v_lshl_or_b32 v0, v21, 7, v15
	v_lshrrev_b32_e32 v7, 2, v5
	s_delay_alu instid0(VALU_DEP_2)
	v_dual_mov_b32 v21, 0 :: v_dual_add_nc_u32 v0, 0x4200, v0
	scratch_store_b32 off, v3, off offset:128 ; 4-byte Folded Spill
	v_mul_lo_u32 v3, s7, v9
	scratch_store_b32 off, v2, off offset:132 ; 4-byte Folded Spill
	v_lshl_or_b32 v2, v22, 7, v15
	v_mov_b32_e32 v22, 0
	s_delay_alu instid0(VALU_DEP_2) | instskip(SKIP_4) | instid1(VALU_DEP_1)
	v_add_nc_u32_e32 v2, 0x4200, v2
	scratch_store_b32 off, v3, off offset:136 ; 4-byte Folded Spill
	v_mul_lo_u32 v3, s7, v11
	scratch_store_b32 off, v0, off offset:140 ; 4-byte Folded Spill
	v_lshl_or_b32 v0, v23, 7, v15
	v_dual_mov_b32 v23, 0 :: v_dual_add_nc_u32 v0, 0x4200, v0
	scratch_store_b32 off, v3, off offset:144 ; 4-byte Folded Spill
	v_mul_lo_u32 v3, s7, v13
	scratch_store_b32 off, v2, off offset:148 ; 4-byte Folded Spill
	v_lshl_or_b32 v2, v24, 7, v15
	s_delay_alu instid0(VALU_DEP_1)
	v_add_nc_u32_e32 v2, 0x4200, v2
	scratch_store_b32 off, v3, off offset:152 ; 4-byte Folded Spill
	v_mul_lo_u32 v3, s7, v14
	scratch_store_b32 off, v0, off offset:156 ; 4-byte Folded Spill
	v_lshl_or_b32 v0, v25, 7, v15
	scratch_store_b32 off, v2, off offset:164 ; 4-byte Folded Spill
	v_lshlrev_b32_e32 v2, 2, v38
	v_add_nc_u32_e32 v0, 0x4200, v0
	scratch_store_b32 off, v3, off offset:160 ; 4-byte Folded Spill
	v_lshlrev_b32_e32 v3, 3, v37
	scratch_store_b32 off, v0, off offset:172 ; 4-byte Folded Spill
	v_add_nc_u32_e32 v0, 64, v37
	v_add3_u32 v64, v2, v3, 0x7280
	v_and_b32_e32 v2, 0x7c, v4
	v_lshlrev_b32_e32 v3, 3, v1
	s_delay_alu instid0(VALU_DEP_4) | instskip(SKIP_1) | instid1(VALU_DEP_3)
	v_lshrrev_b32_e32 v4, 2, v0
	v_and_b32_e32 v72, 0x1fc, v0
	v_add3_u32 v137, v3, v2, 0x7280
	v_lshlrev_b32_e32 v3, 3, v0
	s_delay_alu instid0(VALU_DEP_4)
	v_and_b32_e32 v2, 0x7c, v4
	v_add_nc_u32_e32 v0, 0x4200, v31
	v_and_b32_e32 v4, 0x7c, v7
	v_lshlrev_b32_e32 v7, 3, v5
	v_add_nc_u32_e32 v77, 0x6a08, v72
	v_add3_u32 v145, v3, v2, 0x7280
	v_add_nc_u32_e32 v2, 0x76a0, v26
	scratch_store_b32 off, v0, off offset:180 ; 4-byte Folded Spill
	v_add_nc_u32_e32 v0, v28, v27
	v_add3_u32 v153, v7, v4, 0x7280
	v_mov_b32_e32 v28, 0
	s_clause 0x1
	scratch_store_b32 off, v2, off offset:176
	scratch_store_b32 off, v40, off offset:396
	v_mul_lo_u32 v40, v30, s4
	v_lshlrev_b32_e32 v30, 5, v30
	scratch_store_b32 off, v0, off offset:424 ; 4-byte Folded Spill
	v_add_nc_u32_e32 v0, v17, v29
	scratch_store_b64 off, v[34:35], off offset:416 ; 8-byte Folded Spill
	v_mov_b32_e32 v35, 0
	v_mov_b32_e32 v29, 0
	s_clause 0x1
	scratch_store_b32 off, v0, off offset:428
	scratch_store_b32 off, v40, off offset:404
	v_add_nc_u32_e32 v0, v33, v30
	v_mov_b32_e32 v30, 0
	v_dual_mov_b32 v40, 0 :: v_dual_mov_b32 v33, 0
	scratch_store_b32 off, v0, off offset:432 ; 4-byte Folded Spill
	v_add_nc_u32_e32 v0, v6, v8
	scratch_store_b32 off, v0, off offset:436 ; 4-byte Folded Spill
	v_add_nc_u32_e32 v0, v12, v18
	s_clause 0x11
	scratch_store_b32 off, v0, off offset:440
	scratch_store_b32 off, v62, off offset:12
	;; [unrolled: 1-line block ×18, first 2 shown]
	s_branch .LBB168_6
.LBB168_5:                              ;   in Loop: Header=BB168_6 Depth=1
	s_add_i32 s5, s5, 2
	s_delay_alu instid0(SALU_CYCLE_1)
	s_cmp_ge_i32 s5, s4
	s_cbranch_scc1 .LBB168_14
.LBB168_6:                              ; =>This Loop Header: Depth=1
                                        ;     Child Loop BB168_8 Depth 2
                                        ;       Child Loop BB168_10 Depth 3
                                        ;       Child Loop BB168_12 Depth 3
	s_clause 0x4
	scratch_load_b32 v2, off, off offset:184
	scratch_load_b32 v4, off, off offset:192
	;; [unrolled: 1-line block ×5, first 2 shown]
	s_mul_i32 s7, s5, 0x54
	s_mul_hi_u32 s13, s5, 0x54
	s_add_u32 s14, s0, s7
	s_addc_u32 s15, s1, s13
	s_lshl_b32 s7, s5, 3
	s_mov_b32 s13, 0
	s_clause 0x3
	scratch_load_b32 v6, off, off offset:204
	scratch_load_b32 v10, off, off offset:228
	;; [unrolled: 1-line block ×4, first 2 shown]
	s_waitcnt vmcnt(8)
	v_mad_u64_u32 v[0:1], null, 0x54, v2, s[14:15]
	scratch_load_b32 v2, off, off offset:188 ; 4-byte Folded Reload
	s_waitcnt vmcnt(0)
	v_add_co_u32 v0, vcc_lo, v0, v2
	v_add_co_ci_u32_e32 v1, vcc_lo, 0, v1, vcc_lo
	s_delay_alu instid0(VALU_DEP_2) | instskip(NEXT) | instid1(VALU_DEP_2)
	v_add_co_u32 v0, vcc_lo, v0, 16
	v_add_co_ci_u32_e32 v1, vcc_lo, 0, v1, vcc_lo
	s_delay_alu instid0(VALU_DEP_1)
	v_mad_i64_i32 v[2:3], null, 0x54, v4, v[0:1]
	v_mad_i64_i32 v[4:5], null, 0x54, v6, v[0:1]
	;; [unrolled: 1-line block ×8, first 2 shown]
	s_clause 0x7
	global_load_b32 v20, v[2:3], off
	global_load_b32 v44, v[4:5], off
	;; [unrolled: 1-line block ×8, first 2 shown]
	s_clause 0xc
	scratch_load_b32 v4, off, off offset:288
	scratch_load_b32 v6, off, off offset:300
	;; [unrolled: 1-line block ×13, first 2 shown]
	s_waitcnt vmcnt(12)
	v_mad_i64_i32 v[2:3], null, 0x54, v4, v[0:1]
	s_waitcnt vmcnt(11)
	v_mad_i64_i32 v[4:5], null, 0x54, v6, v[0:1]
	;; [unrolled: 2-line block ×5, first 2 shown]
	s_waitcnt vmcnt(4)
	v_mad_u64_u32 v[12:13], null, 0x54, v14, s[14:15]
	v_mad_i64_i32 v[14:15], null, 0x54, v16, v[0:1]
	v_mad_i64_i32 v[16:17], null, 0x54, v18, v[0:1]
	s_waitcnt vmcnt(2)
	v_mad_i64_i32 v[18:19], null, 0x54, v36, s[14:15]
	scratch_load_b32 v36, off, off offset:396 ; 4-byte Folded Reload
	s_mov_b32 s14, 0
	s_waitcnt vmcnt(0)
	v_add_co_u32 v12, vcc_lo, v12, v36
	v_mad_i64_i32 v[36:37], null, 0x54, v46, v[0:1]
	scratch_load_b32 v46, off, off offset:364 ; 4-byte Folded Reload
	v_add_co_ci_u32_e32 v13, vcc_lo, 0, v13, vcc_lo
	s_waitcnt vmcnt(0)
	v_mad_u64_u32 v[0:1], null, 0x54, v46, v[18:19]
	scratch_load_b32 v46, off, off offset:400 ; 4-byte Folded Reload
	s_waitcnt vmcnt(0)
	v_mad_i64_i32 v[18:19], null, 0x54, v46, v[12:13]
	v_mad_i64_i32 v[46:47], null, 0x54, v48, v[12:13]
	;; [unrolled: 1-line block ×4, first 2 shown]
	s_clause 0xc
	global_load_b32 v2, v[2:3], off
	global_load_b32 v3, v[4:5], off
	;; [unrolled: 1-line block ×8, first 2 shown]
	global_load_b32 v0, v[0:1], off offset:80
	global_load_b32 v1, v[18:19], off
	global_load_b32 v10, v[46:47], off
	;; [unrolled: 1-line block ×4, first 2 shown]
	scratch_load_b64 v[13:14], off, off offset:416 ; 8-byte Folded Reload
	s_waitcnt vmcnt(0)
	v_add_nc_u32_e32 v13, s7, v13
	scratch_store_b32 off, v13, off offset:92 ; 4-byte Folded Spill
	scratch_load_b64 v[13:14], off, off offset:196 ; 8-byte Folded Reload
	s_waitcnt vmcnt(0)
	ds_store_b32 v13, v20
	scratch_load_b64 v[13:14], off, off offset:208 ; 8-byte Folded Reload
	s_waitcnt vmcnt(0)
	ds_store_b32 v13, v44
	;; [unrolled: 3-line block ×16, first 2 shown]
	scratch_load_b32 v2, off, off offset:424 ; 4-byte Folded Reload
	s_waitcnt vmcnt(0)
	ds_store_b32 v2, v0
	scratch_load_b32 v0, off, off offset:428 ; 4-byte Folded Reload
	s_waitcnt vmcnt(0)
	ds_store_b32 v0, v1
	;; [unrolled: 3-line block ×5, first 2 shown]
	s_branch .LBB168_8
.LBB168_7:                              ;   in Loop: Header=BB168_8 Depth=2
                                        ; implicit-def: $sgpr14
                                        ; implicit-def: $sgpr13
	s_cbranch_execnz .LBB168_5
.LBB168_8:                              ;   Parent Loop BB168_6 Depth=1
                                        ; =>  This Loop Header: Depth=2
                                        ;       Child Loop BB168_10 Depth 3
                                        ;       Child Loop BB168_12 Depth 3
	s_lshr_b32 s15, s14, 1
	s_delay_alu instid0(SALU_CYCLE_1) | instskip(NEXT) | instid1(SALU_CYCLE_1)
	s_or_b32 s15, s15, s5
	s_cmp_lt_i32 s15, s4
	s_cbranch_scc0 .LBB168_7
; %bb.9:                                ;   in Loop: Header=BB168_8 Depth=2
	scratch_load_b32 v0, off, off offset:96 ; 4-byte Folded Reload
	v_mov_b32_e32 v154, v80
	s_or_b32 s16, s14, 1
	s_lshl_b32 s17, s14, 3
	s_mov_b32 s18, 0
	s_lshl_b32 s15, s16, 3
	scratch_load_b64 v[19:20], off, off offset:100 ; 8-byte Folded Reload
	s_waitcnt vmcnt(1)
	v_lshl_add_u32 v0, s14, 5, v0
	s_delay_alu instid0(VALU_DEP_1) | instskip(NEXT) | instid1(VALU_DEP_1)
	v_lshrrev_b32_e32 v0, 3, v0
	v_add_nc_u32_e32 v12, s7, v0
	scratch_load_b32 v0, off, off offset:92 ; 4-byte Folded Reload
	s_waitcnt vmcnt(0)
	v_lshl_add_u32 v13, s14, 2, v0
	scratch_load_b32 v0, off, off offset:112 ; 4-byte Folded Reload
	s_waitcnt vmcnt(0)
	v_add_nc_u32_e32 v2, v12, v0
	scratch_load_b32 v0, off, off offset:120 ; 4-byte Folded Reload
	s_waitcnt vmcnt(0)
	v_add_nc_u32_e32 v4, v12, v0
	;; [unrolled: 3-line block ×7, first 2 shown]
	v_mad_i64_i32 v[0:1], null, v2, 36, v[19:20]
	v_mad_i64_i32 v[2:3], null, v4, 36, v[19:20]
	;; [unrolled: 1-line block ×5, first 2 shown]
	v_mad_u64_u32 v[10:11], null, v13, 36, s[2:3]
	scratch_load_b32 v13, off, off offset:168 ; 4-byte Folded Reload
	s_waitcnt vmcnt(0)
	v_add_nc_u32_e32 v18, v12, v13
	v_mad_i64_i32 v[12:13], null, v14, 36, v[19:20]
	v_mad_i64_i32 v[14:15], null, v16, 36, v[19:20]
	s_delay_alu instid0(VALU_DEP_3)
	v_mad_i64_i32 v[16:17], null, v18, 36, v[19:20]
	s_clause 0x8
	global_load_b32 v10, v[10:11], off
	global_load_b32 v2, v[2:3], off offset:4
	global_load_b32 v3, v[4:5], off offset:4
	;; [unrolled: 1-line block ×8, first 2 shown]
	s_clause 0x2
	scratch_load_b32 v124, off, off offset:180
	scratch_load_b32 v125, off, off offset:176
	;; [unrolled: 1-line block ×3, first 2 shown]
	s_waitcnt vmcnt(11)
	v_cvt_f32_f16_e32 v1, v10
	s_waitcnt vmcnt(0)
	ds_store_b32 v9, v2
	scratch_load_b32 v2, off, off offset:132 ; 4-byte Folded Reload
	s_waitcnt vmcnt(0)
	ds_store_b32 v2, v3
	scratch_load_b32 v2, off, off offset:140 ; 4-byte Folded Reload
	;; [unrolled: 3-line block ×8, first 2 shown]
	s_waitcnt vmcnt(0)
	ds_store_b32 v0, v1
	s_waitcnt lgkmcnt(0)
	s_waitcnt_vscnt null, 0x0
	s_barrier
	buffer_gl0_inv
.LBB168_10:                             ;   Parent Loop BB168_6 Depth=1
                                        ;     Parent Loop BB168_8 Depth=2
                                        ; =>    This Inner Loop Header: Depth=3
	s_clause 0x4
	scratch_store_b32 off, v127, off offset:52
	scratch_store_b32 off, v104, off offset:48
	;; [unrolled: 1-line block ×4, first 2 shown]
	scratch_store_b32 off, v21, off
	ds_load_2addr_b32 v[19:20], v125 offset1:32
	ds_load_b128 v[0:3], v124
	ds_load_b128 v[4:7], v124 offset:16
	s_add_i32 s21, s13, s18
	s_waitcnt vmcnt(7)
	v_add_nc_u32_e32 v126, s18, v63
	s_and_b32 s20, s21, 0x3ffffff8
	s_lshr_b32 s21, s21, 2
	s_lshl_b32 s20, s20, 2
	s_and_b32 s21, s21, 0x3ffffffc
	s_and_b32 s19, s17, -16
	s_add_i32 s17, s17, 2
	s_waitcnt lgkmcnt(1)
	v_bfe_i32 v84, v0, 0, 8
	s_waitcnt lgkmcnt(0)
	v_ashrrev_i32_e32 v103, 24, v4
	v_ashrrev_i32_e32 v110, 24, v5
	v_bfe_i32 v85, v0, 8, 8
	v_bfe_i32 v86, v0, 16, 8
	v_ashrrev_i32_e32 v87, 24, v0
	v_bfe_i32 v102, v4, 16, 8
	v_bfe_i32 v109, v5, 16, 8
	v_ashrrev_i32_e32 v114, 24, v6
	v_ashrrev_i32_e32 v123, 24, v7
	v_add_nc_u32_e32 v0, v110, v103
	v_bfe_i32 v101, v4, 8, 8
	v_bfe_i32 v108, v5, 8, 8
	;; [unrolled: 1-line block ×4, first 2 shown]
	v_add3_u32 v15, v0, v114, v123
	v_add_nc_u32_e32 v0, v109, v102
	v_bfe_i32 v100, v4, 0, 8
	v_bfe_i32 v13, v5, 0, 8
	;; [unrolled: 1-line block ×4, first 2 shown]
	v_add3_u32 v16, v0, v113, v117
	v_add_nc_u32_e32 v0, v108, v101
	v_ashrrev_i32_e32 v91, 24, v1
	v_bfe_i32 v111, v6, 0, 8
	v_bfe_i32 v115, v7, 0, 8
	;; [unrolled: 1-line block ×3, first 2 shown]
	v_add3_u32 v17, v0, v112, v116
	v_add_nc_u32_e32 v0, v13, v100
	v_ashrrev_i32_e32 v95, 24, v2
	v_ashrrev_i32_e32 v99, 24, v3
	v_bfe_i32 v89, v1, 8, 8
	v_bfe_i32 v94, v2, 16, 8
	v_add3_u32 v14, v0, v111, v115
	v_add_nc_u32_e32 v0, v91, v87
	v_bfe_i32 v98, v3, 16, 8
	v_bfe_i32 v88, v1, 0, 8
	;; [unrolled: 1-line block ×4, first 2 shown]
	v_add3_u32 v18, v0, v95, v99
	v_add_nc_u32_e32 v0, v90, v86
	v_bfe_i32 v92, v2, 0, 8
	v_bfe_i32 v96, v3, 0, 8
	v_add_nc_u32_e32 v2, s20, v62
	s_delay_alu instid0(VALU_DEP_4) | instskip(SKIP_1) | instid1(VALU_DEP_1)
	v_add3_u32 v127, v0, v94, v98
	v_add_nc_u32_e32 v0, v89, v85
	v_add3_u32 v128, v0, v93, v97
	v_add_nc_u32_e32 v0, v88, v84
	s_delay_alu instid0(VALU_DEP_1)
	v_add3_u32 v104, v0, v92, v96
	ds_load_2addr_b32 v[0:1], v2 offset1:1
	s_waitcnt lgkmcnt(0)
	v_ashrrev_i32_e32 v4, s18, v0
	v_ashrrev_i32_e32 v11, s18, v1
	ds_load_2addr_b32 v[0:1], v2 offset0:2 offset1:3
	v_and_b32_e32 v5, 3, v4
	v_bfe_u32 v3, v4, 8, 2
	v_and_b32_e32 v7, 3, v11
	v_bfe_u32 v8, v11, 8, 2
	v_bfe_u32 v10, v11, 16, 2
	;; [unrolled: 1-line block ×3, first 2 shown]
	v_mul_i32_i24_e32 v51, v3, v85
	v_bfe_u32 v6, v4, 16, 2
	v_bfe_u32 v9, v4, 24, 2
	v_mul_i32_i24_e32 v63, v8, v89
	v_mul_i32_i24_e32 v71, v12, v91
	s_delay_alu instid0(VALU_DEP_4) | instskip(NEXT) | instid1(VALU_DEP_4)
	v_mul_i32_i24_e32 v52, v6, v86
	v_mul_i32_i24_e32 v4, v9, v87
	s_waitcnt lgkmcnt(0)
	v_ashrrev_i32_e32 v36, s18, v0
	v_ashrrev_i32_e32 v37, s18, v1
	ds_load_2addr_b32 v[0:1], v2 offset0:4 offset1:5
	v_and_b32_e32 v11, 3, v36
	v_and_b32_e32 v57, 3, v37
	v_bfe_u32 v44, v36, 8, 2
	v_bfe_u32 v56, v36, 16, 2
	;; [unrolled: 1-line block ×3, first 2 shown]
	v_mul_i32_i24_e32 v72, v11, v92
	v_mul_i32_i24_e32 v75, v57, v96
	;; [unrolled: 1-line block ×4, first 2 shown]
	v_bfe_u32 v59, v37, 8, 2
	v_mul_i32_i24_e32 v36, v58, v95
	v_bfe_u32 v61, v37, 16, 2
	v_bfe_u32 v62, v37, 24, 2
	s_delay_alu instid0(VALU_DEP_4) | instskip(NEXT) | instid1(VALU_DEP_3)
	v_mul_i32_i24_e32 v77, v59, v97
	v_mul_i32_i24_e32 v78, v61, v98
	s_waitcnt lgkmcnt(0)
	v_ashrrev_i32_e32 v46, s18, v0
	v_ashrrev_i32_e32 v47, s18, v1
	ds_load_2addr_b32 v[0:1], v2 offset0:6 offset1:7
	v_mul_i32_i24_e32 v37, v62, v99
	v_bfe_u32 v79, v47, 24, 2
	s_waitcnt lgkmcnt(0)
	v_ashrrev_i32_e32 v48, s18, v0
	scratch_load_b32 v0, off, off offset:72 ; 4-byte Folded Reload
	v_ashrrev_i32_e32 v49, s18, v1
	s_waitcnt vmcnt(7)
	v_add_nc_u32_e32 v1, s21, v64
	v_mul_i32_i24_e32 v64, v10, v90
	v_bfe_u32 v80, v48, 8, 2
	v_bfe_u32 v81, v48, 16, 2
	v_and_b32_e32 v118, 3, v49
	v_bfe_u32 v119, v48, 24, 2
	v_bfe_u32 v120, v49, 8, 2
	v_mul_i32_i24_e32 v131, v80, v112
	v_mul_i32_i24_e32 v132, v81, v113
	;; [unrolled: 1-line block ×3, first 2 shown]
	v_bfe_u32 v121, v49, 16, 2
	v_mul_i32_i24_e32 v134, v120, v116
	v_bfe_u32 v122, v49, 24, 2
	s_delay_alu instid0(VALU_DEP_3) | instskip(NEXT) | instid1(VALU_DEP_2)
	v_mul_i32_i24_e32 v135, v121, v117
	v_mul_i32_i24_e32 v49, v122, v123
	s_waitcnt vmcnt(0)
	v_add3_u32 v0, v0, s19, v126
	ds_load_b32 v182, v1
	ds_load_u16 v0, v0 offset:25088
	scratch_load_b32 v21, off, off offset:68 ; 4-byte Folded Reload
	s_waitcnt lgkmcnt(0)
	v_bfe_u32 v195, v0, 4, 4
	v_lshrrev_b16 v1, 8, v0
	s_delay_alu instid0(VALU_DEP_2) | instskip(NEXT) | instid1(VALU_DEP_1)
	v_mul_lo_u32 v2, 0x1010101, v195
	v_bfe_i32 v53, v2, 8, 8
	v_bfe_i32 v54, v2, 16, 8
	v_lshrrev_b32_e32 v201, 24, v2
	v_mul_i32_i24_e32 v2, v5, v84
	s_delay_alu instid0(VALU_DEP_1) | instskip(NEXT) | instid1(VALU_DEP_1)
	v_mad_i32_i24 v2, v7, v88, v2
	v_add3_u32 v2, v2, v72, v51
	v_bfe_u32 v72, v46, 16, 2
	s_delay_alu instid0(VALU_DEP_2) | instskip(NEXT) | instid1(VALU_DEP_2)
	v_add3_u32 v2, v2, v52, v4
	v_mul_i32_i24_e32 v82, v72, v102
	s_delay_alu instid0(VALU_DEP_2) | instskip(SKIP_2) | instid1(VALU_DEP_3)
	v_add3_u32 v2, v2, v75, v63
	v_bfe_u32 v75, v46, 24, 2
	v_and_b32_e32 v63, 15, v0
	v_add3_u32 v2, v2, v64, v71
	v_and_b32_e32 v71, 3, v46
	v_bfe_u32 v64, v46, 8, 2
	v_mul_i32_i24_e32 v46, v75, v103
	s_delay_alu instid0(VALU_DEP_4) | instskip(NEXT) | instid1(VALU_DEP_4)
	v_add3_u32 v2, v2, v73, v74
	v_mul_i32_i24_e32 v51, v71, v100
	v_and_b32_e32 v73, 3, v47
	v_mul_i32_i24_e32 v52, v64, v101
	v_bfe_u32 v74, v47, 8, 2
	v_add3_u32 v2, v2, v36, v77
	v_and_b32_e32 v36, 0xffff, v1
	v_mad_i32_i24 v51, v73, v13, v51
	v_bfe_u32 v77, v47, 16, 2
	v_mul_i32_i24_e32 v83, v74, v108
	v_add3_u32 v2, v2, v78, v37
	v_and_b32_e32 v78, 3, v48
	v_lshrrev_b32_e32 v0, 4, v36
	v_mul_i32_i24_e32 v129, v77, v109
	v_mul_i32_i24_e32 v47, v79, v110
	v_mul_lo_u32 v37, v2, v63
	v_mul_i32_i24_e32 v130, v78, v111
	v_mul_lo_u32 v4, 0x1010101, v0
	v_mul_i32_i24_e32 v48, v119, v114
	v_and_b32_e32 v36, 15, v36
	s_delay_alu instid0(VALU_DEP_4) | instskip(SKIP_2) | instid1(VALU_DEP_3)
	v_add3_u32 v51, v51, v130, v52
	v_mul_i32_i24_e32 v52, v127, v54
	v_bfe_i32 v1, v4, 8, 8
	v_add3_u32 v46, v51, v82, v46
	v_bfe_i32 v2, v4, 16, 8
	v_lshrrev_b32_e32 v4, 24, v4
	v_mul_i32_i24_e32 v51, v18, v201
	v_mul_i32_i24_e32 v82, v128, v53
	v_add3_u32 v46, v46, v133, v83
	v_mul_i32_i24_e32 v83, v195, v104
	s_delay_alu instid0(VALU_DEP_2) | instskip(NEXT) | instid1(VALU_DEP_2)
	v_add3_u32 v46, v46, v129, v47
	v_mad_i32_i24 v83, v0, v14, v83
	v_mul_i32_i24_e32 v47, v15, v4
	s_delay_alu instid0(VALU_DEP_3) | instskip(NEXT) | instid1(VALU_DEP_3)
	v_add3_u32 v46, v46, v131, v132
	v_add3_u32 v51, v83, v51, v52
	s_delay_alu instid0(VALU_DEP_2) | instskip(SKIP_1) | instid1(VALU_DEP_3)
	v_add3_u32 v46, v46, v48, v134
	v_mul_i32_i24_e32 v48, v16, v2
	v_add3_u32 v47, v51, v82, v47
	s_delay_alu instid0(VALU_DEP_3) | instskip(SKIP_1) | instid1(VALU_DEP_1)
	v_add3_u32 v46, v46, v135, v49
	v_mul_i32_i24_e32 v49, v17, v1
	v_add3_u32 v49, v47, v48, v49
	s_delay_alu instid0(VALU_DEP_3) | instskip(SKIP_1) | instid1(VALU_DEP_1)
	v_mad_u64_u32 v[47:48], null, v46, v36, v[37:38]
	v_lshrrev_b32_e32 v37, 16, v182
	v_cvt_f32_f16_e32 v46, v37
	s_delay_alu instid0(VALU_DEP_3) | instskip(SKIP_1) | instid1(VALU_DEP_1)
	v_cvt_f32_i32_e32 v37, v47
	v_cvt_f32_i32_e32 v47, v49
	v_mul_f32_e32 v47, v46, v47
	s_delay_alu instid0(VALU_DEP_1) | instskip(NEXT) | instid1(VALU_DEP_1)
	v_fma_mix_f32 v37, v182, v37, -v47 op_sel_hi:[1,0,0]
	v_dual_fmac_f32 v204, v19, v37 :: v_dual_add_nc_u32 v37, s20, v136
	ds_load_2addr_b32 v[47:48], v37 offset1:1
	s_waitcnt lgkmcnt(0)
	v_ashrrev_i32_e32 v49, s18, v47
	v_ashrrev_i32_e32 v52, s18, v48
	ds_load_2addr_b32 v[47:48], v37 offset0:2 offset1:3
	v_and_b32_e32 v224, 3, v49
	v_bfe_u32 v51, v49, 8, 2
	v_and_b32_e32 v226, 3, v52
	v_bfe_u32 v225, v49, 16, 2
	v_bfe_u32 v228, v49, 24, 2
	;; [unrolled: 1-line block ×3, first 2 shown]
	v_mul_i32_i24_e32 v133, v51, v85
	v_bfe_u32 v229, v52, 16, 2
	v_mul_i32_i24_e32 v134, v225, v86
	v_mul_i32_i24_e32 v49, v228, v87
	;; [unrolled: 1-line block ×3, first 2 shown]
	v_bfe_u32 v231, v52, 24, 2
	v_mul_i32_i24_e32 v136, v229, v90
	s_delay_alu instid0(VALU_DEP_2)
	v_mul_i32_i24_e32 v52, v231, v91
	s_waitcnt lgkmcnt(0)
	v_ashrrev_i32_e32 v82, s18, v47
	v_ashrrev_i32_e32 v83, s18, v48
	ds_load_2addr_b32 v[47:48], v37 offset0:4 offset1:5
	v_and_b32_e32 v230, 3, v82
	v_and_b32_e32 v234, 3, v83
	v_bfe_u32 v232, v82, 8, 2
	v_bfe_u32 v233, v82, 16, 2
	;; [unrolled: 1-line block ×4, first 2 shown]
	v_mul_i32_i24_e32 v141, v234, v96
	v_mul_i32_i24_e32 v139, v232, v93
	;; [unrolled: 1-line block ×5, first 2 shown]
	v_bfe_u32 v237, v83, 16, 2
	v_bfe_u32 v238, v83, 24, 2
	s_delay_alu instid0(VALU_DEP_2)
	v_mul_i32_i24_e32 v143, v237, v98
	s_waitcnt lgkmcnt(0)
	v_ashrrev_i32_e32 v129, s18, v47
	v_ashrrev_i32_e32 v130, s18, v48
	ds_load_2addr_b32 v[47:48], v37 offset0:6 offset1:7
	v_mul_i32_i24_e32 v83, v238, v99
	v_and_b32_e32 v241, 3, v129
	v_bfe_u32 v240, v129, 8, 2
	v_and_b32_e32 v243, 3, v130
	v_bfe_u32 v242, v129, 16, 2
	v_bfe_u32 v245, v129, 24, 2
	;; [unrolled: 1-line block ×5, first 2 shown]
	s_delay_alu instid0(VALU_DEP_4) | instskip(NEXT) | instid1(VALU_DEP_2)
	v_mul_i32_i24_e32 v129, v245, v103
	v_mul_i32_i24_e32 v130, v248, v110
	s_waitcnt lgkmcnt(0)
	v_ashrrev_i32_e32 v131, s18, v47
	v_add_nc_u32_e32 v47, s21, v137
	v_ashrrev_i32_e32 v132, s18, v48
	v_mul_i32_i24_e32 v137, v230, v92
	s_delay_alu instid0(VALU_DEP_4) | instskip(SKIP_1) | instid1(VALU_DEP_4)
	v_and_b32_e32 v247, 3, v131
	v_bfe_u32 v249, v131, 8, 2
	v_and_b32_e32 v251, 3, v132
	v_bfe_u32 v250, v131, 16, 2
	v_bfe_u32 v252, v131, 24, 2
	v_bfe_u32 v253, v132, 8, 2
	v_bfe_u32 v254, v132, 16, 2
	v_bfe_u32 v255, v132, 24, 2
	s_delay_alu instid0(VALU_DEP_4) | instskip(NEXT) | instid1(VALU_DEP_2)
	v_mul_i32_i24_e32 v131, v252, v114
	v_mul_i32_i24_e32 v132, v255, v123
	s_waitcnt vmcnt(0)
	v_add3_u32 v37, v21, s19, v126
	ds_load_b32 v138, v47
	ds_load_u16 v37, v37 offset:26112
	scratch_load_b32 v21, off, off offset:64 ; 4-byte Folded Reload
	s_waitcnt lgkmcnt(0)
	v_bfe_u32 v151, v37, 4, 4
	v_lshrrev_b16 v47, 8, v37
	v_and_b32_e32 v239, 15, v37
	s_delay_alu instid0(VALU_DEP_3) | instskip(NEXT) | instid1(VALU_DEP_1)
	v_mul_lo_u32 v48, 0x1010101, v151
	v_bfe_i32 v222, v48, 8, 8
	v_bfe_i32 v223, v48, 16, 8
	v_lshrrev_b32_e32 v155, 24, v48
	v_mul_i32_i24_e32 v48, v224, v84
	s_delay_alu instid0(VALU_DEP_1) | instskip(NEXT) | instid1(VALU_DEP_1)
	v_mad_i32_i24 v48, v226, v88, v48
	v_add3_u32 v48, v48, v137, v133
	v_mul_i32_i24_e32 v133, v240, v101
	v_mul_i32_i24_e32 v137, v247, v111
	s_delay_alu instid0(VALU_DEP_3) | instskip(SKIP_1) | instid1(VALU_DEP_2)
	v_add3_u32 v48, v48, v134, v49
	v_mul_i32_i24_e32 v134, v242, v102
	v_add3_u32 v48, v48, v141, v135
	v_mul_i32_i24_e32 v135, v244, v108
	v_mul_i32_i24_e32 v141, v251, v115
	s_delay_alu instid0(VALU_DEP_3) | instskip(SKIP_1) | instid1(VALU_DEP_2)
	v_add3_u32 v48, v48, v136, v52
	v_mul_i32_i24_e32 v136, v246, v109
	v_add3_u32 v48, v48, v139, v140
	v_mul_i32_i24_e32 v139, v249, v112
	v_mul_i32_i24_e32 v140, v250, v113
	s_delay_alu instid0(VALU_DEP_3) | instskip(SKIP_2) | instid1(VALU_DEP_3)
	v_add3_u32 v48, v48, v82, v142
	v_and_b32_e32 v82, 0xffff, v47
	v_mul_i32_i24_e32 v142, v253, v116
	v_add3_u32 v48, v48, v143, v83
	v_mul_i32_i24_e32 v83, v241, v100
	s_delay_alu instid0(VALU_DEP_4)
	v_lshrrev_b32_e32 v47, 4, v82
	v_mul_i32_i24_e32 v143, v254, v117
	v_and_b32_e32 v34, 15, v82
	v_mul_lo_u32 v37, v48, v239
	v_mad_i32_i24 v83, v243, v13, v83
	v_mul_lo_u32 v52, 0x1010101, v47
	s_delay_alu instid0(VALU_DEP_2) | instskip(SKIP_1) | instid1(VALU_DEP_3)
	v_add3_u32 v83, v83, v137, v133
	v_mul_i32_i24_e32 v133, v127, v223
	v_bfe_i32 v48, v52, 8, 8
	s_delay_alu instid0(VALU_DEP_3) | instskip(SKIP_3) | instid1(VALU_DEP_4)
	v_add3_u32 v83, v83, v134, v129
	v_bfe_i32 v49, v52, 16, 8
	v_lshrrev_b32_e32 v52, 24, v52
	v_mul_i32_i24_e32 v134, v128, v222
	v_add3_u32 v83, v83, v141, v135
	v_mul_i32_i24_e32 v135, v151, v104
	s_delay_alu instid0(VALU_DEP_2) | instskip(NEXT) | instid1(VALU_DEP_2)
	v_add3_u32 v83, v83, v136, v130
	v_mad_i32_i24 v135, v47, v14, v135
	v_mul_i32_i24_e32 v130, v16, v49
	s_delay_alu instid0(VALU_DEP_3) | instskip(NEXT) | instid1(VALU_DEP_1)
	v_add3_u32 v83, v83, v139, v140
	v_add3_u32 v83, v83, v131, v142
	v_mul_i32_i24_e32 v131, v17, v48
	s_delay_alu instid0(VALU_DEP_2) | instskip(SKIP_2) | instid1(VALU_DEP_2)
	v_add3_u32 v129, v83, v143, v132
	v_mul_i32_i24_e32 v132, v18, v155
	v_mul_i32_i24_e32 v83, v15, v52
	v_add3_u32 v132, v135, v132, v133
	s_delay_alu instid0(VALU_DEP_1) | instskip(NEXT) | instid1(VALU_DEP_1)
	v_add3_u32 v83, v132, v134, v83
	v_add3_u32 v130, v83, v130, v131
	v_mad_u64_u32 v[82:83], null, v129, v34, v[37:38]
	v_lshrrev_b32_e32 v37, 16, v138
	v_add_nc_u32_e32 v131, s21, v145
	s_delay_alu instid0(VALU_DEP_2) | instskip(NEXT) | instid1(VALU_DEP_4)
	v_cvt_f32_f16_e64 v180, v37
	v_cvt_f32_i32_e32 v37, v82
	v_cvt_f32_i32_e32 v82, v130
	s_delay_alu instid0(VALU_DEP_1) | instskip(NEXT) | instid1(VALU_DEP_1)
	v_mul_f32_e32 v82, v180, v82
	v_fma_mix_f32 v37, v138, v37, -v82 op_sel_hi:[1,0,0]
	s_delay_alu instid0(VALU_DEP_1)
	v_dual_fmac_f32 v76, v19, v37 :: v_dual_add_nc_u32 v37, s20, v144
	ds_load_2addr_b32 v[82:83], v37 offset1:1
	s_waitcnt lgkmcnt(0)
	v_ashrrev_i32_e32 v129, s18, v82
	v_ashrrev_i32_e32 v130, s18, v83
	ds_load_2addr_b32 v[82:83], v37 offset0:2 offset1:3
	v_and_b32_e32 v187, 3, v129
	v_bfe_u32 v185, v129, 8, 2
	v_and_b32_e32 v39, 3, v130
	v_bfe_u32 v189, v129, 16, 2
	v_bfe_u32 v191, v129, 24, 2
	v_mul_i32_i24_e32 v140, v187, v84
	v_mul_i32_i24_e32 v141, v185, v85
	v_bfe_u32 v190, v130, 8, 2
	v_mul_i32_i24_e32 v142, v189, v86
	v_mul_i32_i24_e32 v129, v191, v87
	v_mad_i32_i24 v140, v39, v88, v140
	v_bfe_u32 v192, v130, 16, 2
	v_mul_i32_i24_e32 v143, v190, v89
	v_bfe_u32 v194, v130, 24, 2
	s_delay_alu instid0(VALU_DEP_3)
	v_mul_i32_i24_e32 v144, v192, v90
	s_waitcnt lgkmcnt(0)
	v_ashrrev_i32_e32 v134, s18, v82
	v_ashrrev_i32_e32 v135, s18, v83
	ds_load_2addr_b32 v[82:83], v37 offset0:4 offset1:5
	v_mul_i32_i24_e32 v130, v194, v91
	v_and_b32_e32 v193, 3, v134
	v_and_b32_e32 v198, 3, v135
	v_bfe_u32 v196, v134, 8, 2
	v_bfe_u32 v197, v134, 16, 2
	v_bfe_u32 v199, v134, 24, 2
	v_mul_i32_i24_e32 v145, v193, v92
	v_mul_i32_i24_e32 v148, v198, v96
	;; [unrolled: 1-line block ×4, first 2 shown]
	v_bfe_u32 v200, v135, 8, 2
	v_add3_u32 v140, v140, v145, v141
	v_mul_i32_i24_e32 v134, v199, v95
	v_bfe_u32 v202, v135, 16, 2
	v_bfe_u32 v203, v135, 24, 2
	v_mul_i32_i24_e32 v149, v200, v97
	v_add3_u32 v129, v140, v142, v129
	s_waitcnt lgkmcnt(0)
	v_ashrrev_i32_e32 v136, s18, v82
	v_ashrrev_i32_e32 v137, s18, v83
	ds_load_2addr_b32 v[82:83], v37 offset0:6 offset1:7
	v_add3_u32 v129, v129, v148, v143
	v_mul_i32_i24_e32 v150, v202, v98
	v_mul_i32_i24_e32 v135, v203, v99
	v_and_b32_e32 v207, 3, v136
	v_bfe_u32 v206, v136, 8, 2
	v_add3_u32 v129, v129, v144, v130
	v_and_b32_e32 v209, 3, v137
	v_bfe_u32 v208, v136, 16, 2
	v_bfe_u32 v211, v136, 24, 2
	;; [unrolled: 1-line block ×3, first 2 shown]
	v_add3_u32 v129, v129, v146, v147
	v_bfe_u32 v212, v137, 16, 2
	v_bfe_u32 v214, v137, 24, 2
	v_mul_i32_i24_e32 v136, v211, v103
	s_delay_alu instid0(VALU_DEP_4)
	v_add3_u32 v129, v129, v134, v149
	v_mul_i32_i24_e32 v134, v206, v101
	v_mul_i32_i24_e32 v140, v212, v109
	;; [unrolled: 1-line block ×3, first 2 shown]
	s_waitcnt lgkmcnt(0)
	v_ashrrev_i32_e32 v82, s18, v82
	v_add3_u32 v129, v129, v150, v135
	v_ashrrev_i32_e32 v83, s18, v83
	v_mul_i32_i24_e32 v135, v208, v102
	s_delay_alu instid0(VALU_DEP_4) | instskip(SKIP_1) | instid1(VALU_DEP_4)
	v_and_b32_e32 v213, 3, v82
	v_bfe_u32 v215, v82, 8, 2
	v_and_b32_e32 v217, 3, v83
	v_bfe_u32 v216, v82, 16, 2
	v_bfe_u32 v218, v82, 24, 2
	v_mul_i32_i24_e32 v141, v213, v111
	v_mul_i32_i24_e32 v142, v215, v112
	;; [unrolled: 1-line block ×4, first 2 shown]
	v_bfe_u32 v219, v83, 8, 2
	v_mul_i32_i24_e32 v82, v218, v114
	v_bfe_u32 v220, v83, 16, 2
	v_bfe_u32 v221, v83, 24, 2
	s_delay_alu instid0(VALU_DEP_4) | instskip(NEXT) | instid1(VALU_DEP_3)
	v_mul_i32_i24_e32 v145, v219, v116
	v_mul_i32_i24_e32 v146, v220, v117
	s_delay_alu instid0(VALU_DEP_3)
	v_mul_i32_i24_e32 v83, v221, v123
	s_waitcnt vmcnt(0)
	v_add3_u32 v37, v21, s19, v126
	ds_load_b32 v131, v131
	ds_load_u16 v37, v37 offset:27136
	scratch_load_b32 v21, off, off offset:60 ; 4-byte Folded Reload
	s_waitcnt lgkmcnt(0)
	v_lshrrev_b16 v139, 8, v37
	v_and_b32_e32 v205, 15, v37
	v_bfe_u32 v132, v37, 4, 4
	s_delay_alu instid0(VALU_DEP_2) | instskip(NEXT) | instid1(VALU_DEP_4)
	v_mul_lo_u32 v37, v129, v205
	v_and_b32_e32 v129, 0xffff, v139
	v_mul_i32_i24_e32 v139, v210, v108
	s_delay_alu instid0(VALU_DEP_4) | instskip(NEXT) | instid1(VALU_DEP_3)
	v_mul_lo_u32 v133, 0x1010101, v132
	v_lshrrev_b32_e32 v183, 4, v129
	s_delay_alu instid0(VALU_DEP_1) | instskip(NEXT) | instid1(VALU_DEP_3)
	v_mul_lo_u32 v130, 0x1010101, v183
	v_bfe_i32 v178, v133, 16, 8
	v_lshrrev_b32_e32 v159, 24, v133
	v_bfe_i32 v31, v133, 8, 8
	s_delay_alu instid0(VALU_DEP_4) | instskip(SKIP_3) | instid1(VALU_DEP_1)
	v_bfe_i32 v184, v130, 8, 8
	v_bfe_i32 v38, v130, 16, 8
	v_lshrrev_b32_e32 v186, 24, v130
	v_mul_i32_i24_e32 v130, v207, v100
	v_mad_i32_i24 v130, v209, v13, v130
	s_delay_alu instid0(VALU_DEP_1) | instskip(SKIP_1) | instid1(VALU_DEP_2)
	v_add3_u32 v130, v130, v141, v134
	v_mul_i32_i24_e32 v134, v17, v184
	v_add3_u32 v130, v130, v135, v136
	v_mul_i32_i24_e32 v135, v18, v159
	v_mul_i32_i24_e32 v136, v127, v178
	s_delay_alu instid0(VALU_DEP_3) | instskip(SKIP_1) | instid1(VALU_DEP_2)
	v_add3_u32 v130, v130, v144, v139
	v_mul_i32_i24_e32 v139, v132, v104
	v_add3_u32 v130, v130, v140, v137
	s_delay_alu instid0(VALU_DEP_2) | instskip(SKIP_1) | instid1(VALU_DEP_3)
	v_mad_i32_i24 v139, v183, v14, v139
	v_mul_i32_i24_e32 v137, v128, v31
	v_add3_u32 v130, v130, v142, v143
	s_delay_alu instid0(VALU_DEP_3) | instskip(SKIP_1) | instid1(VALU_DEP_3)
	v_add3_u32 v135, v139, v135, v136
	v_and_b32_e32 v136, 15, v129
	v_add3_u32 v82, v130, v82, v145
	s_delay_alu instid0(VALU_DEP_1) | instskip(SKIP_2) | instid1(VALU_DEP_2)
	v_add3_u32 v130, v82, v146, v83
	v_mul_i32_i24_e32 v82, v15, v186
	v_mul_i32_i24_e32 v83, v16, v38
	v_add3_u32 v82, v135, v137, v82
	s_delay_alu instid0(VALU_DEP_1) | instskip(SKIP_2) | instid1(VALU_DEP_1)
	v_add3_u32 v134, v82, v83, v134
	v_mad_u64_u32 v[82:83], null, v130, v136, v[37:38]
	v_lshrrev_b32_e32 v37, 16, v131
	v_cvt_f32_f16_e64 v137, v37
	s_delay_alu instid0(VALU_DEP_3) | instskip(SKIP_1) | instid1(VALU_DEP_1)
	v_cvt_f32_i32_e32 v37, v82
	v_cvt_f32_i32_e32 v82, v134
	v_mul_f32_e32 v82, v137, v82
	s_delay_alu instid0(VALU_DEP_1) | instskip(NEXT) | instid1(VALU_DEP_1)
	v_fma_mix_f32 v37, v131, v37, -v82 op_sel_hi:[1,0,0]
	v_dual_fmac_f32 v70, v19, v37 :: v_dual_add_nc_u32 v37, s20, v152
	ds_load_2addr_b32 v[82:83], v37 offset1:1
	s_waitcnt lgkmcnt(0)
	v_ashrrev_i32_e32 v139, s18, v82
	v_ashrrev_i32_e32 v140, s18, v83
	ds_load_2addr_b32 v[82:83], v37 offset0:2 offset1:3
	v_and_b32_e32 v144, 3, v139
	v_bfe_u32 v142, v139, 8, 2
	v_and_b32_e32 v146, 3, v140
	v_bfe_u32 v145, v139, 16, 2
	v_bfe_u32 v148, v139, 24, 2
	v_mul_i32_i24_e32 v84, v144, v84
	v_mul_i32_i24_e32 v85, v142, v85
	v_bfe_u32 v147, v140, 8, 2
	v_mul_i32_i24_e32 v86, v145, v86
	v_mul_i32_i24_e32 v87, v148, v87
	v_mad_i32_i24 v84, v146, v88, v84
	v_bfe_u32 v149, v140, 16, 2
	v_mul_i32_i24_e32 v89, v147, v89
	v_bfe_u32 v152, v140, 24, 2
	s_delay_alu instid0(VALU_DEP_3)
	v_mul_i32_i24_e32 v90, v149, v90
	s_waitcnt lgkmcnt(0)
	v_ashrrev_i32_e32 v141, s18, v82
	v_ashrrev_i32_e32 v143, s18, v83
	ds_load_2addr_b32 v[82:83], v37 offset0:4 offset1:5
	v_mul_i32_i24_e32 v91, v152, v91
	v_and_b32_e32 v150, 3, v141
	v_and_b32_e32 v135, 3, v143
	v_bfe_u32 v134, v141, 16, 2
	v_bfe_u32 v133, v141, 24, 2
	;; [unrolled: 1-line block ×3, first 2 shown]
	v_mul_i32_i24_e32 v92, v150, v92
	v_mul_i32_i24_e32 v96, v135, v96
	;; [unrolled: 1-line block ×5, first 2 shown]
	v_add3_u32 v84, v84, v92, v85
	v_bfe_u32 v158, v143, 16, 2
	s_delay_alu instid0(VALU_DEP_2) | instskip(NEXT) | instid1(VALU_DEP_2)
	v_add3_u32 v84, v84, v86, v87
	v_mul_i32_i24_e32 v98, v158, v98
	s_waitcnt lgkmcnt(0)
	v_ashrrev_i32_e32 v165, s18, v82
	v_ashrrev_i32_e32 v169, s18, v83
	ds_load_2addr_b32 v[82:83], v37 offset0:6 offset1:7
	v_add3_u32 v84, v84, v96, v89
	v_and_b32_e32 v27, 3, v165
	v_bfe_u32 v163, v165, 16, 2
	v_bfe_u32 v166, v165, 24, 2
	s_delay_alu instid0(VALU_DEP_4)
	v_add3_u32 v84, v84, v90, v91
	v_bfe_u32 v164, v169, 8, 2
	v_bfe_u32 v167, v169, 16, 2
	;; [unrolled: 1-line block ×3, first 2 shown]
	v_mul_i32_i24_e32 v87, v163, v102
	v_mul_i32_i24_e32 v88, v166, v103
	;; [unrolled: 1-line block ×5, first 2 shown]
	s_waitcnt lgkmcnt(0)
	v_ashrrev_i32_e32 v82, s18, v82
	v_ashrrev_i32_e32 v83, s18, v83
	s_add_i32 s18, s18, 2
	s_delay_alu instid0(VALU_DEP_2) | instskip(NEXT) | instid1(VALU_DEP_2)
	v_bfe_u32 v170, v82, 8, 2
	v_and_b32_e32 v172, 3, v83
	v_bfe_u32 v171, v82, 16, 2
	v_bfe_u32 v173, v82, 24, 2
	;; [unrolled: 1-line block ×5, first 2 shown]
	s_delay_alu instid0(VALU_DEP_3) | instskip(NEXT) | instid1(VALU_DEP_2)
	v_mul_i32_i24_e32 v96, v174, v116
	v_mul_i32_i24_e32 v83, v176, v123
	s_waitcnt vmcnt(0)
	v_add3_u32 v37, v21, s19, v126
	v_add_nc_u32_e32 v126, s21, v153
	ds_load_b32 v126, v126
	ds_load_u16 v37, v37 offset:28160
	v_bfe_u32 v153, v141, 8, 2
	s_add_i32 s19, s13, s18
	s_delay_alu instid0(SALU_CYCLE_1) | instskip(NEXT) | instid1(VALU_DEP_1)
	s_cmp_lt_u32 s19, s15
	v_mul_i32_i24_e32 v93, v153, v93
	s_delay_alu instid0(VALU_DEP_1) | instskip(SKIP_2) | instid1(VALU_DEP_3)
	v_add3_u32 v84, v84, v93, v94
	v_mul_i32_i24_e32 v93, v170, v112
	v_mul_i32_i24_e32 v94, v171, v113
	v_add3_u32 v84, v84, v95, v97
	v_mul_i32_i24_e32 v95, v172, v115
	v_mul_i32_i24_e32 v97, v175, v117
	s_waitcnt lgkmcnt(0)
	v_bfe_u32 v130, v37, 4, 4
	v_lshrrev_b16 v162, 8, v37
	v_and_b32_e32 v26, 15, v37
	s_delay_alu instid0(VALU_DEP_3) | instskip(NEXT) | instid1(VALU_DEP_1)
	v_mul_lo_u32 v129, 0x1010101, v130
	v_bfe_i32 v160, v129, 8, 8
	v_bfe_i32 v161, v129, 16, 8
	v_lshrrev_b32_e32 v157, 24, v129
	v_bfe_u32 v129, v143, 24, 2
	s_delay_alu instid0(VALU_DEP_1) | instskip(NEXT) | instid1(VALU_DEP_1)
	v_mul_i32_i24_e32 v99, v129, v99
	v_add3_u32 v84, v84, v98, v99
	s_delay_alu instid0(VALU_DEP_1)
	v_mul_lo_u32 v37, v84, v26
	v_and_b32_e32 v84, 0xffff, v162
	v_bfe_u32 v162, v165, 8, 2
	v_and_b32_e32 v165, 3, v169
	v_and_b32_e32 v169, 3, v82
	v_mul_i32_i24_e32 v82, v173, v114
	v_lshrrev_b32_e32 v139, 4, v84
	v_mul_i32_i24_e32 v86, v162, v101
	v_and_b32_e32 v25, 15, v84
	v_mul_i32_i24_e32 v92, v169, v111
	s_delay_alu instid0(VALU_DEP_4) | instskip(NEXT) | instid1(VALU_DEP_1)
	v_mul_lo_u32 v85, 0x1010101, v139
	v_bfe_i32 v140, v85, 8, 8
	v_bfe_i32 v141, v85, 16, 8
	v_lshrrev_b32_e32 v143, 24, v85
	v_mul_i32_i24_e32 v85, v27, v100
	s_delay_alu instid0(VALU_DEP_1) | instskip(SKIP_1) | instid1(VALU_DEP_2)
	v_mad_i32_i24 v13, v165, v13, v85
	v_mul_i32_i24_e32 v85, v130, v104
	v_add3_u32 v13, v13, v92, v86
	s_delay_alu instid0(VALU_DEP_2) | instskip(NEXT) | instid1(VALU_DEP_2)
	v_mad_i32_i24 v14, v139, v14, v85
	v_add3_u32 v13, v13, v87, v88
	s_delay_alu instid0(VALU_DEP_1) | instskip(NEXT) | instid1(VALU_DEP_1)
	v_add3_u32 v13, v13, v95, v89
	v_add3_u32 v13, v13, v90, v91
	s_delay_alu instid0(VALU_DEP_1) | instskip(NEXT) | instid1(VALU_DEP_1)
	v_add3_u32 v13, v13, v93, v94
	v_add3_u32 v13, v13, v82, v96
	s_delay_alu instid0(VALU_DEP_1)
	v_add3_u32 v82, v13, v97, v83
	v_mul_i32_i24_e32 v13, v15, v143
	v_mul_i32_i24_e32 v15, v16, v141
	;; [unrolled: 1-line block ×6, first 2 shown]
	s_delay_alu instid0(VALU_DEP_2) | instskip(NEXT) | instid1(VALU_DEP_1)
	v_add3_u32 v14, v14, v17, v18
	v_add3_u32 v13, v14, v83, v13
	s_delay_alu instid0(VALU_DEP_1) | instskip(SKIP_2) | instid1(VALU_DEP_1)
	v_add3_u32 v15, v13, v15, v16
	v_mad_u64_u32 v[13:14], null, v82, v25, v[37:38]
	v_lshrrev_b32_e32 v14, 16, v126
	v_cvt_f32_f16_e32 v24, v14
	s_delay_alu instid0(VALU_DEP_4) | instskip(NEXT) | instid1(VALU_DEP_4)
	v_cvt_f32_i32_e32 v14, v15
	v_cvt_f32_i32_e32 v13, v13
	s_delay_alu instid0(VALU_DEP_2) | instskip(NEXT) | instid1(VALU_DEP_1)
	v_mul_f32_e32 v14, v24, v14
	v_fma_mix_f32 v13, v126, v13, -v14 op_sel_hi:[1,0,0]
	s_delay_alu instid0(VALU_DEP_1)
	v_fmac_f32_e32 v69, v19, v13
	ds_load_b128 v[13:16], v124 offset:1024
	s_waitcnt lgkmcnt(0)
	v_bfe_i32 v17, v13, 0, 8
	v_bfe_i32 v18, v13, 8, 8
	v_bfe_i32 v19, v13, 16, 8
	v_ashrrev_i32_e32 v37, 24, v13
	v_bfe_i32 v82, v14, 0, 8
	v_bfe_i32 v83, v14, 8, 8
	v_bfe_i32 v84, v14, 16, 8
	v_ashrrev_i32_e32 v85, 24, v14
	v_bfe_i32 v86, v15, 0, 8
	v_bfe_i32 v87, v15, 8, 8
	v_bfe_i32 v88, v15, 16, 8
	v_ashrrev_i32_e32 v89, 24, v15
	v_bfe_i32 v90, v16, 0, 8
	v_bfe_i32 v91, v16, 8, 8
	v_bfe_i32 v92, v16, 16, 8
	v_ashrrev_i32_e32 v93, 24, v16
	ds_load_b128 v[13:16], v124 offset:1040
	v_mul_i32_i24_e32 v106, v84, v10
	v_mul_i32_i24_e32 v107, v85, v12
	s_waitcnt lgkmcnt(0)
	v_ashrrev_i32_e32 v97, 24, v13
	v_ashrrev_i32_e32 v101, 24, v14
	v_bfe_i32 v94, v13, 0, 8
	v_bfe_i32 v95, v13, 8, 8
	;; [unrolled: 1-line block ×4, first 2 shown]
	v_ashrrev_i32_e32 v108, 24, v15
	v_bfe_i32 v109, v16, 0, 8
	v_bfe_i32 v110, v16, 8, 8
	;; [unrolled: 1-line block ×3, first 2 shown]
	v_ashrrev_i32_e32 v16, 24, v16
	v_add_nc_u32_e32 v13, v101, v97
	v_bfe_i32 v99, v14, 8, 8
	v_bfe_i32 v104, v15, 16, 8
	;; [unrolled: 1-line block ×4, first 2 shown]
	v_add3_u32 v112, v13, v108, v16
	v_add_nc_u32_e32 v13, v100, v96
	v_bfe_i32 v102, v15, 0, 8
	v_mul_i32_i24_e32 v14, v19, v6
	v_mul_i32_i24_e32 v15, v37, v9
	;; [unrolled: 1-line block ×3, first 2 shown]
	v_add3_u32 v113, v13, v104, v111
	v_add_nc_u32_e32 v13, v99, v95
	s_delay_alu instid0(VALU_DEP_1) | instskip(SKIP_1) | instid1(VALU_DEP_1)
	v_add3_u32 v114, v13, v103, v110
	v_add_nc_u32_e32 v13, v98, v94
	v_add3_u32 v115, v13, v102, v109
	v_add_nc_u32_e32 v13, v85, v37
	s_delay_alu instid0(VALU_DEP_1) | instskip(SKIP_1) | instid1(VALU_DEP_1)
	v_add3_u32 v116, v13, v89, v93
	v_add_nc_u32_e32 v13, v84, v19
	v_add3_u32 v117, v13, v88, v92
	v_add_nc_u32_e32 v13, v83, v18
	s_delay_alu instid0(VALU_DEP_2) | instskip(NEXT) | instid1(VALU_DEP_2)
	v_mul_i32_i24_e32 v22, v117, v54
	v_add3_u32 v123, v13, v87, v91
	v_add_nc_u32_e32 v13, v82, v17
	s_delay_alu instid0(VALU_DEP_2) | instskip(NEXT) | instid1(VALU_DEP_2)
	v_mul_i32_i24_e32 v23, v123, v53
	v_add3_u32 v105, v13, v86, v90
	v_mul_i32_i24_e32 v13, v17, v5
	s_delay_alu instid0(VALU_DEP_2) | instskip(NEXT) | instid1(VALU_DEP_2)
	v_mul_i32_i24_e32 v127, v105, v195
	v_mad_i32_i24 v13, v18, v3, v13
	s_delay_alu instid0(VALU_DEP_2) | instskip(NEXT) | instid1(VALU_DEP_2)
	v_mad_i32_i24 v127, v116, v201, v127
	v_add3_u32 v13, v13, v14, v15
	v_mul_i32_i24_e32 v14, v82, v7
	v_mul_i32_i24_e32 v15, v83, v8
	s_delay_alu instid0(VALU_DEP_4) | instskip(SKIP_2) | instid1(VALU_DEP_4)
	v_add3_u32 v22, v127, v22, v23
	v_mul_i32_i24_e32 v23, v101, v248
	v_mul_i32_i24_e32 v127, v105, v151
	v_add3_u32 v13, v13, v14, v15
	v_mul_i32_i24_e32 v14, v86, v11
	v_mul_i32_i24_e32 v15, v87, v44
	s_delay_alu instid0(VALU_DEP_4) | instskip(NEXT) | instid1(VALU_DEP_4)
	v_mad_i32_i24 v127, v116, v155, v127
	v_add3_u32 v13, v13, v106, v107
	v_mul_i32_i24_e32 v106, v88, v56
	v_mul_i32_i24_e32 v107, v89, v58
	s_delay_alu instid0(VALU_DEP_3) | instskip(SKIP_2) | instid1(VALU_DEP_3)
	v_add3_u32 v13, v13, v14, v15
	v_mul_i32_i24_e32 v14, v90, v57
	v_mul_i32_i24_e32 v15, v91, v59
	v_add3_u32 v13, v13, v106, v107
	v_mul_i32_i24_e32 v106, v92, v61
	v_mul_i32_i24_e32 v107, v93, v62
	s_delay_alu instid0(VALU_DEP_3) | instskip(SKIP_2) | instid1(VALU_DEP_3)
	v_add3_u32 v13, v13, v14, v15
	v_mul_i32_i24_e32 v14, v94, v71
	v_mul_i32_i24_e32 v15, v96, v72
	v_add3_u32 v13, v13, v106, v107
	v_mul_i32_i24_e32 v106, v97, v75
	s_delay_alu instid0(VALU_DEP_4) | instskip(SKIP_1) | instid1(VALU_DEP_4)
	v_mad_i32_i24 v14, v95, v64, v14
	v_mul_i32_i24_e32 v107, v100, v77
	v_mul_lo_u32 v13, v13, v63
	s_delay_alu instid0(VALU_DEP_3) | instskip(SKIP_2) | instid1(VALU_DEP_1)
	v_add3_u32 v14, v14, v15, v106
	v_mul_i32_i24_e32 v15, v98, v73
	v_mul_i32_i24_e32 v106, v99, v74
	v_add3_u32 v14, v14, v15, v106
	v_mul_i32_i24_e32 v15, v102, v78
	v_mul_i32_i24_e32 v106, v104, v81
	s_delay_alu instid0(VALU_DEP_3) | instskip(SKIP_2) | instid1(VALU_DEP_2)
	v_add3_u32 v14, v14, v107, v21
	v_mul_i32_i24_e32 v21, v103, v80
	v_mul_i32_i24_e32 v107, v108, v119
	v_add3_u32 v14, v14, v15, v21
	v_mul_i32_i24_e32 v15, v109, v118
	v_mul_i32_i24_e32 v21, v110, v120
	s_delay_alu instid0(VALU_DEP_3) | instskip(SKIP_2) | instid1(VALU_DEP_3)
	v_add3_u32 v14, v14, v106, v107
	v_mul_i32_i24_e32 v106, v111, v121
	v_mul_i32_i24_e32 v107, v16, v122
	v_add3_u32 v14, v14, v15, v21
	v_mul_i32_i24_e32 v15, v113, v2
	s_delay_alu instid0(VALU_DEP_2) | instskip(SKIP_3) | instid1(VALU_DEP_2)
	v_add3_u32 v21, v14, v106, v107
	v_mul_i32_i24_e32 v14, v112, v4
	v_mul_i32_i24_e32 v107, v115, v0
	;; [unrolled: 1-line block ×3, first 2 shown]
	v_add3_u32 v14, v22, v107, v14
	v_mul_i32_i24_e32 v107, v123, v222
	s_delay_alu instid0(VALU_DEP_2) | instskip(SKIP_4) | instid1(VALU_DEP_4)
	v_add3_u32 v22, v14, v15, v106
	v_mad_u64_u32 v[14:15], null, v21, v36, v[13:14]
	v_mul_i32_i24_e32 v15, v37, v228
	v_mul_i32_i24_e32 v21, v84, v229
	;; [unrolled: 1-line block ×3, first 2 shown]
	v_cvt_f32_i32_e32 v13, v14
	v_cvt_f32_i32_e32 v14, v22
	v_mul_i32_i24_e32 v22, v85, v231
	s_delay_alu instid0(VALU_DEP_4) | instskip(SKIP_3) | instid1(VALU_DEP_3)
	v_add3_u32 v106, v127, v106, v107
	v_mul_i32_i24_e32 v127, v105, v132
	v_mul_i32_i24_e32 v107, v123, v31
	v_mul_f32_e32 v14, v46, v14
	v_mad_i32_i24 v127, v116, v159, v127
	s_delay_alu instid0(VALU_DEP_2) | instskip(SKIP_1) | instid1(VALU_DEP_2)
	v_fma_mix_f32 v13, v182, v13, -v14 op_sel_hi:[1,0,0]
	v_mul_i32_i24_e32 v14, v19, v225
	v_fmac_f32_e32 v68, v20, v13
	v_mul_i32_i24_e32 v13, v17, v224
	s_delay_alu instid0(VALU_DEP_1) | instskip(NEXT) | instid1(VALU_DEP_1)
	v_mad_i32_i24 v13, v18, v51, v13
	v_add3_u32 v13, v13, v14, v15
	v_mul_i32_i24_e32 v14, v82, v226
	v_mul_i32_i24_e32 v15, v83, v227
	s_delay_alu instid0(VALU_DEP_1) | instskip(SKIP_2) | instid1(VALU_DEP_3)
	v_add3_u32 v13, v13, v14, v15
	v_mul_i32_i24_e32 v14, v86, v230
	v_mul_i32_i24_e32 v15, v87, v232
	v_add3_u32 v13, v13, v21, v22
	v_mul_i32_i24_e32 v21, v88, v233
	v_mul_i32_i24_e32 v22, v89, v235
	s_delay_alu instid0(VALU_DEP_3) | instskip(SKIP_2) | instid1(VALU_DEP_3)
	v_add3_u32 v13, v13, v14, v15
	v_mul_i32_i24_e32 v14, v90, v234
	v_mul_i32_i24_e32 v15, v91, v236
	v_add3_u32 v13, v13, v21, v22
	v_mul_i32_i24_e32 v21, v92, v237
	v_mul_i32_i24_e32 v22, v93, v238
	s_delay_alu instid0(VALU_DEP_3) | instskip(SKIP_2) | instid1(VALU_DEP_3)
	v_add3_u32 v13, v13, v14, v15
	v_mul_i32_i24_e32 v14, v94, v241
	v_mul_i32_i24_e32 v15, v96, v242
	v_add3_u32 v13, v13, v21, v22
	v_mul_i32_i24_e32 v21, v97, v245
	s_delay_alu instid0(VALU_DEP_4) | instskip(SKIP_1) | instid1(VALU_DEP_4)
	v_mad_i32_i24 v14, v95, v240, v14
	v_mul_i32_i24_e32 v22, v100, v246
	v_mul_lo_u32 v13, v13, v239
	s_delay_alu instid0(VALU_DEP_3) | instskip(SKIP_2) | instid1(VALU_DEP_1)
	v_add3_u32 v14, v14, v15, v21
	v_mul_i32_i24_e32 v15, v98, v243
	v_mul_i32_i24_e32 v21, v99, v244
	v_add3_u32 v14, v14, v15, v21
	v_mul_i32_i24_e32 v15, v102, v247
	v_mul_i32_i24_e32 v21, v103, v249
	s_delay_alu instid0(VALU_DEP_3) | instskip(SKIP_2) | instid1(VALU_DEP_3)
	v_add3_u32 v14, v14, v22, v23
	v_mul_i32_i24_e32 v22, v104, v250
	v_mul_i32_i24_e32 v23, v108, v252
	v_add3_u32 v14, v14, v15, v21
	v_mul_i32_i24_e32 v15, v109, v251
	v_mul_i32_i24_e32 v21, v110, v253
	s_delay_alu instid0(VALU_DEP_3) | instskip(SKIP_2) | instid1(VALU_DEP_3)
	v_add3_u32 v14, v14, v22, v23
	v_mul_i32_i24_e32 v22, v111, v254
	v_mul_i32_i24_e32 v23, v16, v255
	v_add3_u32 v14, v14, v15, v21
	v_mul_i32_i24_e32 v15, v113, v49
	s_delay_alu instid0(VALU_DEP_2) | instskip(SKIP_3) | instid1(VALU_DEP_2)
	v_add3_u32 v21, v14, v22, v23
	v_mul_i32_i24_e32 v14, v112, v52
	v_mul_i32_i24_e32 v23, v115, v47
	;; [unrolled: 1-line block ×3, first 2 shown]
	v_add3_u32 v14, v106, v23, v14
	v_mul_i32_i24_e32 v23, v101, v214
	v_mul_i32_i24_e32 v106, v117, v178
	s_delay_alu instid0(VALU_DEP_3) | instskip(SKIP_4) | instid1(VALU_DEP_4)
	v_add3_u32 v22, v14, v15, v22
	v_mad_u64_u32 v[14:15], null, v21, v34, v[13:14]
	v_mul_i32_i24_e32 v15, v37, v191
	v_mul_i32_i24_e32 v21, v84, v192
	v_add3_u32 v106, v127, v106, v107
	v_cvt_f32_i32_e32 v13, v14
	v_cvt_f32_i32_e32 v14, v22
	v_mul_i32_i24_e32 v22, v85, v194
	s_delay_alu instid0(VALU_DEP_2) | instskip(NEXT) | instid1(VALU_DEP_1)
	v_mul_f32_e32 v14, v180, v14
	v_fma_mix_f32 v13, v138, v13, -v14 op_sel_hi:[1,0,0]
	v_mul_i32_i24_e32 v14, v19, v189
	s_delay_alu instid0(VALU_DEP_2) | instskip(SKIP_1) | instid1(VALU_DEP_1)
	v_fmac_f32_e32 v67, v20, v13
	v_mul_i32_i24_e32 v13, v17, v187
	v_mad_i32_i24 v13, v18, v185, v13
	s_delay_alu instid0(VALU_DEP_1) | instskip(SKIP_2) | instid1(VALU_DEP_1)
	v_add3_u32 v13, v13, v14, v15
	v_mul_i32_i24_e32 v14, v82, v39
	v_mul_i32_i24_e32 v15, v83, v190
	v_add3_u32 v13, v13, v14, v15
	v_mul_i32_i24_e32 v14, v86, v193
	v_mul_i32_i24_e32 v15, v87, v196
	s_delay_alu instid0(VALU_DEP_3) | instskip(SKIP_2) | instid1(VALU_DEP_3)
	v_add3_u32 v13, v13, v21, v22
	v_mul_i32_i24_e32 v21, v88, v197
	v_mul_i32_i24_e32 v22, v89, v199
	v_add3_u32 v13, v13, v14, v15
	v_mul_i32_i24_e32 v14, v90, v198
	v_mul_i32_i24_e32 v15, v91, v200
	s_delay_alu instid0(VALU_DEP_3) | instskip(SKIP_2) | instid1(VALU_DEP_3)
	v_add3_u32 v13, v13, v21, v22
	v_mul_i32_i24_e32 v21, v92, v202
	v_mul_i32_i24_e32 v22, v93, v203
	v_add3_u32 v13, v13, v14, v15
	v_mul_i32_i24_e32 v14, v94, v207
	v_mul_i32_i24_e32 v15, v96, v208
	s_delay_alu instid0(VALU_DEP_3) | instskip(SKIP_1) | instid1(VALU_DEP_4)
	v_add3_u32 v13, v13, v21, v22
	v_mul_i32_i24_e32 v21, v97, v211
	v_mad_i32_i24 v14, v95, v206, v14
	v_mul_i32_i24_e32 v22, v100, v212
	s_delay_alu instid0(VALU_DEP_4) | instskip(NEXT) | instid1(VALU_DEP_3)
	v_mul_lo_u32 v13, v13, v205
	v_add3_u32 v14, v14, v15, v21
	v_mul_i32_i24_e32 v15, v98, v209
	v_mul_i32_i24_e32 v21, v99, v210
	s_delay_alu instid0(VALU_DEP_1) | instskip(SKIP_2) | instid1(VALU_DEP_3)
	v_add3_u32 v14, v14, v15, v21
	v_mul_i32_i24_e32 v15, v102, v213
	v_mul_i32_i24_e32 v21, v103, v215
	v_add3_u32 v14, v14, v22, v23
	v_mul_i32_i24_e32 v22, v104, v216
	v_mul_i32_i24_e32 v23, v108, v218
	s_delay_alu instid0(VALU_DEP_3) | instskip(SKIP_2) | instid1(VALU_DEP_3)
	v_add3_u32 v14, v14, v15, v21
	v_mul_i32_i24_e32 v15, v109, v217
	v_mul_i32_i24_e32 v21, v110, v219
	v_add3_u32 v14, v14, v22, v23
	v_mul_i32_i24_e32 v22, v111, v220
	v_mul_i32_i24_e32 v23, v16, v221
	v_mul_i32_i24_e32 v16, v16, v176
	s_delay_alu instid0(VALU_DEP_4) | instskip(SKIP_1) | instid1(VALU_DEP_2)
	v_add3_u32 v14, v14, v15, v21
	v_mul_i32_i24_e32 v15, v113, v38
	v_add3_u32 v21, v14, v22, v23
	v_mul_i32_i24_e32 v14, v112, v186
	v_mul_i32_i24_e32 v23, v115, v183
	;; [unrolled: 1-line block ×3, first 2 shown]
	s_delay_alu instid0(VALU_DEP_2) | instskip(NEXT) | instid1(VALU_DEP_1)
	v_add3_u32 v14, v106, v23, v14
	v_add3_u32 v22, v14, v15, v22
	v_mad_u64_u32 v[14:15], null, v21, v136, v[13:14]
	v_mul_i32_i24_e32 v15, v37, v148
	v_mul_i32_i24_e32 v21, v123, v160
	s_delay_alu instid0(VALU_DEP_3) | instskip(SKIP_2) | instid1(VALU_DEP_2)
	v_cvt_f32_i32_e32 v13, v14
	v_cvt_f32_i32_e32 v14, v22
	v_mul_i32_i24_e32 v22, v105, v130
	v_mul_f32_e32 v14, v137, v14
	s_delay_alu instid0(VALU_DEP_2) | instskip(NEXT) | instid1(VALU_DEP_2)
	v_mad_i32_i24 v22, v116, v157, v22
	v_fma_mix_f32 v13, v131, v13, -v14 op_sel_hi:[1,0,0]
	v_mul_i32_i24_e32 v14, v19, v145
	v_mul_i32_i24_e32 v19, v101, v168
	s_delay_alu instid0(VALU_DEP_3) | instskip(SKIP_2) | instid1(VALU_DEP_2)
	v_fmac_f32_e32 v66, v20, v13
	v_mul_i32_i24_e32 v13, v17, v144
	v_mul_i32_i24_e32 v17, v84, v149
	v_mad_i32_i24 v13, v18, v142, v13
	v_mul_i32_i24_e32 v18, v85, v152
	s_delay_alu instid0(VALU_DEP_2) | instskip(SKIP_2) | instid1(VALU_DEP_1)
	v_add3_u32 v13, v13, v14, v15
	v_mul_i32_i24_e32 v14, v82, v146
	v_mul_i32_i24_e32 v15, v83, v147
	v_add3_u32 v13, v13, v14, v15
	v_mul_i32_i24_e32 v14, v86, v150
	v_mul_i32_i24_e32 v15, v87, v153
	s_delay_alu instid0(VALU_DEP_3) | instskip(SKIP_2) | instid1(VALU_DEP_3)
	v_add3_u32 v13, v13, v17, v18
	v_mul_i32_i24_e32 v17, v88, v134
	v_mul_i32_i24_e32 v18, v89, v133
	v_add3_u32 v13, v13, v14, v15
	v_mul_i32_i24_e32 v14, v90, v135
	v_mul_i32_i24_e32 v15, v91, v156
	s_delay_alu instid0(VALU_DEP_3) | instskip(SKIP_2) | instid1(VALU_DEP_3)
	v_add3_u32 v13, v13, v17, v18
	v_mul_i32_i24_e32 v17, v92, v158
	v_mul_i32_i24_e32 v18, v93, v129
	v_add3_u32 v13, v13, v14, v15
	v_mul_i32_i24_e32 v14, v94, v27
	v_mul_i32_i24_e32 v15, v96, v163
	s_delay_alu instid0(VALU_DEP_3) | instskip(SKIP_1) | instid1(VALU_DEP_4)
	v_add3_u32 v13, v13, v17, v18
	v_mul_i32_i24_e32 v17, v97, v166
	v_mad_i32_i24 v14, v95, v162, v14
	v_mul_i32_i24_e32 v18, v100, v167
	s_delay_alu instid0(VALU_DEP_4) | instskip(NEXT) | instid1(VALU_DEP_3)
	v_mul_lo_u32 v13, v13, v26
	v_add3_u32 v14, v14, v15, v17
	v_mul_i32_i24_e32 v15, v98, v165
	v_mul_i32_i24_e32 v17, v99, v164
	s_delay_alu instid0(VALU_DEP_1) | instskip(SKIP_2) | instid1(VALU_DEP_3)
	v_add3_u32 v14, v14, v15, v17
	v_mul_i32_i24_e32 v15, v102, v169
	v_mul_i32_i24_e32 v17, v103, v170
	v_add3_u32 v14, v14, v18, v19
	v_mul_i32_i24_e32 v18, v104, v171
	v_mul_i32_i24_e32 v19, v108, v173
	s_delay_alu instid0(VALU_DEP_3) | instskip(SKIP_2) | instid1(VALU_DEP_3)
	v_add3_u32 v14, v14, v15, v17
	v_mul_i32_i24_e32 v15, v109, v172
	v_mul_i32_i24_e32 v17, v110, v174
	v_add3_u32 v14, v14, v18, v19
	v_mul_i32_i24_e32 v18, v111, v175
	v_mul_i32_i24_e32 v19, v117, v161
	s_delay_alu instid0(VALU_DEP_3) | instskip(SKIP_1) | instid1(VALU_DEP_3)
	v_add3_u32 v14, v14, v15, v17
	v_mul_i32_i24_e32 v15, v113, v141
	v_add3_u32 v19, v22, v19, v21
	v_mul_i32_i24_e32 v17, v114, v140
	s_delay_alu instid0(VALU_DEP_4) | instskip(SKIP_2) | instid1(VALU_DEP_1)
	v_add3_u32 v16, v14, v18, v16
	v_mul_i32_i24_e32 v14, v112, v143
	v_mul_i32_i24_e32 v18, v115, v139
	v_add3_u32 v14, v19, v18, v14
	s_delay_alu instid0(VALU_DEP_1) | instskip(SKIP_1) | instid1(VALU_DEP_1)
	v_add3_u32 v17, v14, v15, v17
	v_mad_u64_u32 v[14:15], null, v16, v25, v[13:14]
	v_cvt_f32_i32_e32 v13, v14
	s_delay_alu instid0(VALU_DEP_3) | instskip(NEXT) | instid1(VALU_DEP_1)
	v_cvt_f32_i32_e32 v14, v17
	v_mul_f32_e32 v14, v24, v14
	s_delay_alu instid0(VALU_DEP_1) | instskip(NEXT) | instid1(VALU_DEP_1)
	v_fma_mix_f32 v13, v126, v13, -v14 op_sel_hi:[1,0,0]
	v_fmac_f32_e32 v65, v20, v13
	ds_load_2addr_b32 v[19:20], v125 offset0:64 offset1:96
	ds_load_b128 v[13:16], v124 offset:2048
	s_waitcnt lgkmcnt(0)
	v_bfe_i32 v17, v13, 0, 8
	v_bfe_i32 v18, v13, 8, 8
	v_bfe_i32 v21, v13, 16, 8
	v_ashrrev_i32_e32 v22, 24, v13
	v_bfe_i32 v23, v14, 0, 8
	v_bfe_i32 v37, v14, 8, 8
	v_bfe_i32 v82, v14, 16, 8
	v_ashrrev_i32_e32 v83, 24, v14
	;; [unrolled: 4-line block ×4, first 2 shown]
	ds_load_b128 v[13:16], v124 offset:2064
	v_mul_i32_i24_e32 v115, v82, v10
	v_mul_i32_i24_e32 v116, v83, v12
	s_waitcnt lgkmcnt(0)
	v_ashrrev_i32_e32 v95, 24, v13
	v_ashrrev_i32_e32 v99, 24, v14
	v_bfe_i32 v92, v13, 0, 8
	v_bfe_i32 v93, v13, 8, 8
	;; [unrolled: 1-line block ×4, first 2 shown]
	v_ashrrev_i32_e32 v103, 24, v15
	v_bfe_i32 v104, v16, 0, 8
	v_bfe_i32 v105, v16, 8, 8
	;; [unrolled: 1-line block ×3, first 2 shown]
	v_ashrrev_i32_e32 v16, 24, v16
	v_add_nc_u32_e32 v13, v99, v95
	v_bfe_i32 v97, v14, 8, 8
	v_bfe_i32 v102, v15, 16, 8
	;; [unrolled: 1-line block ×4, first 2 shown]
	v_add3_u32 v107, v13, v103, v16
	v_add_nc_u32_e32 v13, v98, v94
	v_bfe_i32 v100, v15, 0, 8
	v_mul_i32_i24_e32 v14, v21, v6
	v_mul_i32_i24_e32 v15, v22, v9
	;; [unrolled: 1-line block ×3, first 2 shown]
	v_add3_u32 v108, v13, v102, v106
	v_add_nc_u32_e32 v13, v97, v93
	s_delay_alu instid0(VALU_DEP_1) | instskip(SKIP_1) | instid1(VALU_DEP_1)
	v_add3_u32 v109, v13, v101, v105
	v_add_nc_u32_e32 v13, v96, v92
	v_add3_u32 v110, v13, v100, v104
	v_add_nc_u32_e32 v13, v83, v22
	s_delay_alu instid0(VALU_DEP_1) | instskip(SKIP_1) | instid1(VALU_DEP_1)
	v_add3_u32 v111, v13, v87, v91
	v_add_nc_u32_e32 v13, v82, v21
	v_add3_u32 v112, v13, v86, v90
	v_add_nc_u32_e32 v13, v37, v18
	s_delay_alu instid0(VALU_DEP_2) | instskip(NEXT) | instid1(VALU_DEP_2)
	v_mul_i32_i24_e32 v123, v112, v54
	v_add3_u32 v113, v13, v85, v89
	v_add_nc_u32_e32 v13, v23, v17
	s_delay_alu instid0(VALU_DEP_2) | instskip(NEXT) | instid1(VALU_DEP_2)
	v_mul_i32_i24_e32 v127, v113, v53
	v_add3_u32 v114, v13, v84, v88
	v_mul_i32_i24_e32 v13, v17, v5
	s_delay_alu instid0(VALU_DEP_2) | instskip(NEXT) | instid1(VALU_DEP_2)
	v_mul_i32_i24_e32 v128, v114, v195
	v_mad_i32_i24 v13, v18, v3, v13
	s_delay_alu instid0(VALU_DEP_2) | instskip(NEXT) | instid1(VALU_DEP_2)
	v_mad_i32_i24 v128, v111, v201, v128
	v_add3_u32 v13, v13, v14, v15
	v_mul_i32_i24_e32 v14, v23, v7
	v_mul_i32_i24_e32 v15, v37, v8
	s_delay_alu instid0(VALU_DEP_4) | instskip(SKIP_2) | instid1(VALU_DEP_4)
	v_add3_u32 v123, v128, v123, v127
	v_mul_i32_i24_e32 v128, v114, v151
	v_mul_i32_i24_e32 v127, v113, v222
	v_add3_u32 v13, v13, v14, v15
	v_mul_i32_i24_e32 v14, v84, v11
	v_mul_i32_i24_e32 v15, v85, v44
	v_mad_i32_i24 v128, v111, v155, v128
	s_delay_alu instid0(VALU_DEP_4) | instskip(SKIP_2) | instid1(VALU_DEP_3)
	v_add3_u32 v13, v13, v115, v116
	v_mul_i32_i24_e32 v115, v86, v56
	v_mul_i32_i24_e32 v116, v87, v58
	v_add3_u32 v13, v13, v14, v15
	v_mul_i32_i24_e32 v14, v88, v57
	v_mul_i32_i24_e32 v15, v89, v59
	s_delay_alu instid0(VALU_DEP_3) | instskip(SKIP_2) | instid1(VALU_DEP_3)
	v_add3_u32 v13, v13, v115, v116
	v_mul_i32_i24_e32 v115, v90, v61
	v_mul_i32_i24_e32 v116, v91, v62
	v_add3_u32 v13, v13, v14, v15
	v_mul_i32_i24_e32 v14, v92, v71
	v_mul_i32_i24_e32 v15, v94, v72
	s_delay_alu instid0(VALU_DEP_3) | instskip(SKIP_1) | instid1(VALU_DEP_4)
	v_add3_u32 v13, v13, v115, v116
	v_mul_i32_i24_e32 v115, v95, v75
	v_mad_i32_i24 v14, v93, v64, v14
	v_mul_i32_i24_e32 v116, v98, v77
	s_delay_alu instid0(VALU_DEP_4) | instskip(NEXT) | instid1(VALU_DEP_3)
	v_mul_lo_u32 v13, v13, v63
	v_add3_u32 v14, v14, v15, v115
	v_mul_i32_i24_e32 v15, v96, v73
	v_mul_i32_i24_e32 v115, v97, v74
	s_delay_alu instid0(VALU_DEP_1) | instskip(SKIP_2) | instid1(VALU_DEP_3)
	v_add3_u32 v14, v14, v15, v115
	v_mul_i32_i24_e32 v15, v100, v78
	v_mul_i32_i24_e32 v115, v101, v80
	v_add3_u32 v14, v14, v116, v117
	v_mul_i32_i24_e32 v116, v102, v81
	v_mul_i32_i24_e32 v117, v103, v119
	s_delay_alu instid0(VALU_DEP_3) | instskip(SKIP_2) | instid1(VALU_DEP_3)
	v_add3_u32 v14, v14, v15, v115
	v_mul_i32_i24_e32 v15, v104, v118
	v_mul_i32_i24_e32 v115, v105, v120
	v_add3_u32 v14, v14, v116, v117
	v_mul_i32_i24_e32 v116, v106, v121
	v_mul_i32_i24_e32 v117, v16, v122
	s_delay_alu instid0(VALU_DEP_3) | instskip(SKIP_1) | instid1(VALU_DEP_2)
	v_add3_u32 v14, v14, v15, v115
	v_mul_i32_i24_e32 v15, v108, v2
	v_add3_u32 v115, v14, v116, v117
	v_mul_i32_i24_e32 v14, v107, v4
	v_mul_i32_i24_e32 v117, v110, v0
	;; [unrolled: 1-line block ×3, first 2 shown]
	s_delay_alu instid0(VALU_DEP_2) | instskip(SKIP_2) | instid1(VALU_DEP_3)
	v_add3_u32 v14, v123, v117, v14
	v_mul_i32_i24_e32 v117, v99, v248
	v_mul_i32_i24_e32 v123, v112, v223
	v_add3_u32 v116, v14, v15, v116
	v_mad_u64_u32 v[14:15], null, v115, v36, v[13:14]
	v_mul_i32_i24_e32 v15, v22, v228
	v_mul_i32_i24_e32 v115, v82, v229
	v_add3_u32 v123, v128, v123, v127
	v_mul_i32_i24_e32 v128, v114, v132
	v_mul_i32_i24_e32 v127, v113, v31
	v_cvt_f32_i32_e32 v13, v14
	v_cvt_f32_i32_e32 v14, v116
	v_mul_i32_i24_e32 v116, v83, v231
	v_mad_i32_i24 v128, v111, v159, v128
	s_delay_alu instid0(VALU_DEP_3) | instskip(NEXT) | instid1(VALU_DEP_1)
	v_mul_f32_e32 v14, v46, v14
	v_fma_mix_f32 v13, v182, v13, -v14 op_sel_hi:[1,0,0]
	v_mul_i32_i24_e32 v14, v21, v225
	s_delay_alu instid0(VALU_DEP_2) | instskip(SKIP_1) | instid1(VALU_DEP_1)
	v_fmac_f32_e32 v60, v19, v13
	v_mul_i32_i24_e32 v13, v17, v224
	v_mad_i32_i24 v13, v18, v51, v13
	s_delay_alu instid0(VALU_DEP_1) | instskip(SKIP_2) | instid1(VALU_DEP_1)
	v_add3_u32 v13, v13, v14, v15
	v_mul_i32_i24_e32 v14, v23, v226
	v_mul_i32_i24_e32 v15, v37, v227
	v_add3_u32 v13, v13, v14, v15
	v_mul_i32_i24_e32 v14, v84, v230
	v_mul_i32_i24_e32 v15, v85, v232
	s_delay_alu instid0(VALU_DEP_3) | instskip(SKIP_2) | instid1(VALU_DEP_3)
	v_add3_u32 v13, v13, v115, v116
	v_mul_i32_i24_e32 v115, v86, v233
	v_mul_i32_i24_e32 v116, v87, v235
	v_add3_u32 v13, v13, v14, v15
	v_mul_i32_i24_e32 v14, v88, v234
	v_mul_i32_i24_e32 v15, v89, v236
	s_delay_alu instid0(VALU_DEP_3) | instskip(SKIP_2) | instid1(VALU_DEP_3)
	v_add3_u32 v13, v13, v115, v116
	v_mul_i32_i24_e32 v115, v90, v237
	v_mul_i32_i24_e32 v116, v91, v238
	v_add3_u32 v13, v13, v14, v15
	v_mul_i32_i24_e32 v14, v92, v241
	v_mul_i32_i24_e32 v15, v94, v242
	s_delay_alu instid0(VALU_DEP_3) | instskip(SKIP_1) | instid1(VALU_DEP_4)
	v_add3_u32 v13, v13, v115, v116
	v_mul_i32_i24_e32 v115, v95, v245
	v_mad_i32_i24 v14, v93, v240, v14
	v_mul_i32_i24_e32 v116, v98, v246
	s_delay_alu instid0(VALU_DEP_4) | instskip(NEXT) | instid1(VALU_DEP_3)
	v_mul_lo_u32 v13, v13, v239
	v_add3_u32 v14, v14, v15, v115
	v_mul_i32_i24_e32 v15, v96, v243
	v_mul_i32_i24_e32 v115, v97, v244
	s_delay_alu instid0(VALU_DEP_1) | instskip(SKIP_2) | instid1(VALU_DEP_3)
	v_add3_u32 v14, v14, v15, v115
	v_mul_i32_i24_e32 v15, v100, v247
	v_mul_i32_i24_e32 v115, v101, v249
	v_add3_u32 v14, v14, v116, v117
	v_mul_i32_i24_e32 v116, v102, v250
	v_mul_i32_i24_e32 v117, v103, v252
	s_delay_alu instid0(VALU_DEP_3) | instskip(SKIP_2) | instid1(VALU_DEP_3)
	v_add3_u32 v14, v14, v15, v115
	v_mul_i32_i24_e32 v15, v104, v251
	v_mul_i32_i24_e32 v115, v105, v253
	v_add3_u32 v14, v14, v116, v117
	v_mul_i32_i24_e32 v116, v106, v254
	v_mul_i32_i24_e32 v117, v16, v255
	s_delay_alu instid0(VALU_DEP_3) | instskip(SKIP_1) | instid1(VALU_DEP_2)
	v_add3_u32 v14, v14, v15, v115
	v_mul_i32_i24_e32 v15, v108, v49
	v_add3_u32 v115, v14, v116, v117
	v_mul_i32_i24_e32 v14, v107, v52
	v_mul_i32_i24_e32 v117, v110, v47
	;; [unrolled: 1-line block ×3, first 2 shown]
	s_delay_alu instid0(VALU_DEP_2) | instskip(SKIP_2) | instid1(VALU_DEP_3)
	v_add3_u32 v14, v123, v117, v14
	v_mul_i32_i24_e32 v117, v99, v214
	v_mul_i32_i24_e32 v123, v112, v178
	v_add3_u32 v116, v14, v15, v116
	v_mad_u64_u32 v[14:15], null, v115, v34, v[13:14]
	v_mul_i32_i24_e32 v15, v22, v191
	v_mul_i32_i24_e32 v115, v82, v192
	v_add3_u32 v123, v128, v123, v127
	s_delay_alu instid0(VALU_DEP_4) | instskip(SKIP_2) | instid1(VALU_DEP_2)
	v_cvt_f32_i32_e32 v13, v14
	v_cvt_f32_i32_e32 v14, v116
	v_mul_i32_i24_e32 v116, v83, v194
	v_mul_f32_e32 v14, v180, v14
	s_delay_alu instid0(VALU_DEP_1) | instskip(SKIP_1) | instid1(VALU_DEP_2)
	v_fma_mix_f32 v13, v138, v13, -v14 op_sel_hi:[1,0,0]
	v_mul_i32_i24_e32 v14, v21, v189
	v_fmac_f32_e32 v55, v19, v13
	v_mul_i32_i24_e32 v13, v17, v187
	s_delay_alu instid0(VALU_DEP_1) | instskip(NEXT) | instid1(VALU_DEP_1)
	v_mad_i32_i24 v13, v18, v185, v13
	v_add3_u32 v13, v13, v14, v15
	v_mul_i32_i24_e32 v14, v23, v39
	v_mul_i32_i24_e32 v15, v37, v190
	s_delay_alu instid0(VALU_DEP_1) | instskip(SKIP_2) | instid1(VALU_DEP_3)
	v_add3_u32 v13, v13, v14, v15
	v_mul_i32_i24_e32 v14, v84, v193
	v_mul_i32_i24_e32 v15, v85, v196
	v_add3_u32 v13, v13, v115, v116
	v_mul_i32_i24_e32 v115, v86, v197
	v_mul_i32_i24_e32 v116, v87, v199
	s_delay_alu instid0(VALU_DEP_3) | instskip(SKIP_2) | instid1(VALU_DEP_3)
	v_add3_u32 v13, v13, v14, v15
	v_mul_i32_i24_e32 v14, v88, v198
	v_mul_i32_i24_e32 v15, v89, v200
	v_add3_u32 v13, v13, v115, v116
	v_mul_i32_i24_e32 v115, v90, v202
	v_mul_i32_i24_e32 v116, v91, v203
	s_delay_alu instid0(VALU_DEP_3) | instskip(SKIP_2) | instid1(VALU_DEP_3)
	v_add3_u32 v13, v13, v14, v15
	v_mul_i32_i24_e32 v14, v92, v207
	v_mul_i32_i24_e32 v15, v94, v208
	v_add3_u32 v13, v13, v115, v116
	v_mul_i32_i24_e32 v115, v95, v211
	s_delay_alu instid0(VALU_DEP_4) | instskip(SKIP_1) | instid1(VALU_DEP_4)
	v_mad_i32_i24 v14, v93, v206, v14
	v_mul_i32_i24_e32 v116, v98, v212
	v_mul_lo_u32 v13, v13, v205
	s_delay_alu instid0(VALU_DEP_3) | instskip(SKIP_2) | instid1(VALU_DEP_1)
	v_add3_u32 v14, v14, v15, v115
	v_mul_i32_i24_e32 v15, v96, v209
	v_mul_i32_i24_e32 v115, v97, v210
	v_add3_u32 v14, v14, v15, v115
	v_mul_i32_i24_e32 v15, v100, v213
	v_mul_i32_i24_e32 v115, v101, v215
	s_delay_alu instid0(VALU_DEP_3) | instskip(SKIP_2) | instid1(VALU_DEP_3)
	v_add3_u32 v14, v14, v116, v117
	v_mul_i32_i24_e32 v116, v102, v216
	v_mul_i32_i24_e32 v117, v103, v218
	v_add3_u32 v14, v14, v15, v115
	v_mul_i32_i24_e32 v15, v104, v217
	v_mul_i32_i24_e32 v115, v105, v219
	s_delay_alu instid0(VALU_DEP_3) | instskip(SKIP_3) | instid1(VALU_DEP_4)
	v_add3_u32 v14, v14, v116, v117
	v_mul_i32_i24_e32 v116, v106, v220
	v_mul_i32_i24_e32 v117, v16, v221
	v_mul_i32_i24_e32 v16, v16, v176
	v_add3_u32 v14, v14, v15, v115
	v_mul_i32_i24_e32 v15, v108, v38
	s_delay_alu instid0(VALU_DEP_2) | instskip(SKIP_3) | instid1(VALU_DEP_2)
	v_add3_u32 v115, v14, v116, v117
	v_mul_i32_i24_e32 v14, v107, v186
	v_mul_i32_i24_e32 v117, v110, v183
	;; [unrolled: 1-line block ×3, first 2 shown]
	v_add3_u32 v14, v123, v117, v14
	s_delay_alu instid0(VALU_DEP_1) | instskip(SKIP_3) | instid1(VALU_DEP_3)
	v_add3_u32 v116, v14, v15, v116
	v_mad_u64_u32 v[14:15], null, v115, v136, v[13:14]
	v_mul_i32_i24_e32 v15, v22, v148
	v_mul_i32_i24_e32 v22, v113, v160
	v_cvt_f32_i32_e32 v13, v14
	v_cvt_f32_i32_e32 v14, v116
	s_delay_alu instid0(VALU_DEP_1) | instskip(NEXT) | instid1(VALU_DEP_1)
	v_mul_f32_e32 v14, v137, v14
	v_fma_mix_f32 v13, v131, v13, -v14 op_sel_hi:[1,0,0]
	v_mul_i32_i24_e32 v14, v21, v145
	v_mul_i32_i24_e32 v21, v99, v168
	s_delay_alu instid0(VALU_DEP_3) | instskip(SKIP_2) | instid1(VALU_DEP_2)
	v_fmac_f32_e32 v50, v19, v13
	v_mul_i32_i24_e32 v13, v17, v144
	v_mul_i32_i24_e32 v17, v82, v149
	v_mad_i32_i24 v13, v18, v142, v13
	v_mul_i32_i24_e32 v18, v83, v152
	s_delay_alu instid0(VALU_DEP_2) | instskip(SKIP_3) | instid1(VALU_DEP_2)
	v_add3_u32 v13, v13, v14, v15
	v_mul_i32_i24_e32 v14, v23, v146
	v_mul_i32_i24_e32 v15, v37, v147
	;; [unrolled: 1-line block ×3, first 2 shown]
	v_add3_u32 v13, v13, v14, v15
	v_mul_i32_i24_e32 v14, v84, v150
	v_mul_i32_i24_e32 v15, v85, v153
	s_delay_alu instid0(VALU_DEP_4) | instskip(NEXT) | instid1(VALU_DEP_4)
	v_mad_i32_i24 v23, v111, v157, v23
	v_add3_u32 v13, v13, v17, v18
	v_mul_i32_i24_e32 v17, v86, v134
	v_mul_i32_i24_e32 v18, v87, v133
	s_delay_alu instid0(VALU_DEP_3) | instskip(SKIP_2) | instid1(VALU_DEP_3)
	v_add3_u32 v13, v13, v14, v15
	v_mul_i32_i24_e32 v14, v88, v135
	v_mul_i32_i24_e32 v15, v89, v156
	v_add3_u32 v13, v13, v17, v18
	v_mul_i32_i24_e32 v17, v90, v158
	v_mul_i32_i24_e32 v18, v91, v129
	s_delay_alu instid0(VALU_DEP_3) | instskip(SKIP_2) | instid1(VALU_DEP_3)
	v_add3_u32 v13, v13, v14, v15
	v_mul_i32_i24_e32 v14, v92, v27
	v_mul_i32_i24_e32 v15, v94, v163
	v_add3_u32 v13, v13, v17, v18
	v_mul_i32_i24_e32 v17, v95, v166
	s_delay_alu instid0(VALU_DEP_4) | instskip(SKIP_1) | instid1(VALU_DEP_4)
	v_mad_i32_i24 v14, v93, v162, v14
	v_mul_i32_i24_e32 v18, v98, v167
	v_mul_lo_u32 v13, v13, v26
	s_delay_alu instid0(VALU_DEP_3) | instskip(SKIP_2) | instid1(VALU_DEP_1)
	v_add3_u32 v14, v14, v15, v17
	v_mul_i32_i24_e32 v15, v96, v165
	v_mul_i32_i24_e32 v17, v97, v164
	v_add3_u32 v14, v14, v15, v17
	v_mul_i32_i24_e32 v15, v100, v169
	v_mul_i32_i24_e32 v17, v101, v170
	s_delay_alu instid0(VALU_DEP_3) | instskip(SKIP_2) | instid1(VALU_DEP_3)
	v_add3_u32 v14, v14, v18, v21
	v_mul_i32_i24_e32 v18, v102, v171
	v_mul_i32_i24_e32 v21, v103, v173
	v_add3_u32 v14, v14, v15, v17
	v_mul_i32_i24_e32 v15, v104, v172
	v_mul_i32_i24_e32 v17, v105, v174
	s_delay_alu instid0(VALU_DEP_3) | instskip(SKIP_2) | instid1(VALU_DEP_3)
	v_add3_u32 v14, v14, v18, v21
	v_mul_i32_i24_e32 v18, v106, v175
	v_mul_i32_i24_e32 v21, v112, v161
	v_add3_u32 v14, v14, v15, v17
	v_mul_i32_i24_e32 v15, v108, v141
	s_delay_alu instid0(VALU_DEP_3) | instskip(SKIP_1) | instid1(VALU_DEP_4)
	v_add3_u32 v21, v23, v21, v22
	v_mul_i32_i24_e32 v17, v109, v140
	v_add3_u32 v16, v14, v18, v16
	v_mul_i32_i24_e32 v14, v107, v143
	v_mul_i32_i24_e32 v18, v110, v139
	s_delay_alu instid0(VALU_DEP_1) | instskip(NEXT) | instid1(VALU_DEP_1)
	v_add3_u32 v14, v21, v18, v14
	v_add3_u32 v17, v14, v15, v17
	v_mad_u64_u32 v[14:15], null, v16, v25, v[13:14]
	s_delay_alu instid0(VALU_DEP_1) | instskip(NEXT) | instid1(VALU_DEP_3)
	v_cvt_f32_i32_e32 v13, v14
	v_cvt_f32_i32_e32 v14, v17
	s_delay_alu instid0(VALU_DEP_1) | instskip(NEXT) | instid1(VALU_DEP_1)
	v_mul_f32_e32 v14, v24, v14
	v_fma_mix_f32 v13, v126, v13, -v14 op_sel_hi:[1,0,0]
	s_delay_alu instid0(VALU_DEP_1)
	v_fmac_f32_e32 v45, v19, v13
	ds_load_b128 v[13:16], v124 offset:3072
	s_waitcnt lgkmcnt(0)
	v_bfe_i32 v17, v13, 0, 8
	v_bfe_i32 v18, v13, 8, 8
	v_bfe_i32 v19, v13, 16, 8
	v_ashrrev_i32_e32 v21, 24, v13
	v_bfe_i32 v22, v14, 0, 8
	v_bfe_i32 v23, v14, 8, 8
	v_bfe_i32 v37, v14, 16, 8
	v_ashrrev_i32_e32 v82, 24, v14
	;; [unrolled: 4-line block ×4, first 2 shown]
	ds_load_b128 v[13:16], v124 offset:3088
	v_mul_i32_i24_e32 v114, v37, v10
	v_mul_i32_i24_e32 v115, v82, v12
	s_waitcnt lgkmcnt(0)
	v_ashrrev_i32_e32 v94, 24, v13
	v_ashrrev_i32_e32 v98, 24, v14
	v_bfe_i32 v91, v13, 0, 8
	v_bfe_i32 v92, v13, 8, 8
	;; [unrolled: 1-line block ×4, first 2 shown]
	v_ashrrev_i32_e32 v102, 24, v15
	v_bfe_i32 v103, v16, 0, 8
	v_bfe_i32 v104, v16, 8, 8
	;; [unrolled: 1-line block ×3, first 2 shown]
	v_ashrrev_i32_e32 v16, 24, v16
	v_add_nc_u32_e32 v13, v98, v94
	v_bfe_i32 v96, v14, 8, 8
	v_bfe_i32 v101, v15, 16, 8
	;; [unrolled: 1-line block ×4, first 2 shown]
	v_add3_u32 v106, v13, v102, v16
	v_add_nc_u32_e32 v13, v97, v93
	v_bfe_i32 v99, v15, 0, 8
	v_mul_i32_i24_e32 v14, v19, v6
	v_mul_i32_i24_e32 v15, v21, v9
	;; [unrolled: 1-line block ×3, first 2 shown]
	v_add3_u32 v107, v13, v101, v105
	v_add_nc_u32_e32 v13, v96, v92
	s_delay_alu instid0(VALU_DEP_1) | instskip(SKIP_1) | instid1(VALU_DEP_1)
	v_add3_u32 v108, v13, v100, v104
	v_add_nc_u32_e32 v13, v95, v91
	v_add3_u32 v109, v13, v99, v103
	v_add_nc_u32_e32 v13, v82, v21
	s_delay_alu instid0(VALU_DEP_1) | instskip(SKIP_1) | instid1(VALU_DEP_1)
	v_add3_u32 v110, v13, v86, v90
	v_add_nc_u32_e32 v13, v37, v19
	v_add3_u32 v111, v13, v85, v89
	v_add_nc_u32_e32 v13, v23, v18
	s_delay_alu instid0(VALU_DEP_2) | instskip(NEXT) | instid1(VALU_DEP_2)
	v_mul_i32_i24_e32 v117, v111, v54
	v_add3_u32 v112, v13, v84, v88
	v_add_nc_u32_e32 v13, v22, v17
	s_delay_alu instid0(VALU_DEP_2) | instskip(NEXT) | instid1(VALU_DEP_2)
	v_mul_i32_i24_e32 v123, v112, v53
	v_add3_u32 v113, v13, v83, v87
	v_mul_i32_i24_e32 v13, v17, v5
	s_delay_alu instid0(VALU_DEP_2) | instskip(NEXT) | instid1(VALU_DEP_2)
	v_mul_i32_i24_e32 v127, v113, v195
	v_mad_i32_i24 v13, v18, v3, v13
	s_delay_alu instid0(VALU_DEP_2) | instskip(NEXT) | instid1(VALU_DEP_2)
	v_mad_i32_i24 v127, v110, v201, v127
	v_add3_u32 v13, v13, v14, v15
	v_mul_i32_i24_e32 v14, v22, v7
	v_mul_i32_i24_e32 v15, v23, v8
	s_delay_alu instid0(VALU_DEP_4) | instskip(SKIP_2) | instid1(VALU_DEP_4)
	v_add3_u32 v117, v127, v117, v123
	v_mul_i32_i24_e32 v127, v113, v151
	v_mul_i32_i24_e32 v123, v112, v222
	v_add3_u32 v13, v13, v14, v15
	v_mul_i32_i24_e32 v14, v83, v11
	v_mul_i32_i24_e32 v15, v84, v44
	v_mad_i32_i24 v127, v110, v155, v127
	s_delay_alu instid0(VALU_DEP_4) | instskip(SKIP_2) | instid1(VALU_DEP_3)
	v_add3_u32 v13, v13, v114, v115
	v_mul_i32_i24_e32 v114, v85, v56
	v_mul_i32_i24_e32 v115, v86, v58
	v_add3_u32 v13, v13, v14, v15
	v_mul_i32_i24_e32 v14, v87, v57
	v_mul_i32_i24_e32 v15, v88, v59
	s_delay_alu instid0(VALU_DEP_3) | instskip(SKIP_2) | instid1(VALU_DEP_3)
	v_add3_u32 v13, v13, v114, v115
	v_mul_i32_i24_e32 v114, v89, v61
	v_mul_i32_i24_e32 v115, v90, v62
	v_add3_u32 v13, v13, v14, v15
	v_mul_i32_i24_e32 v14, v91, v71
	v_mul_i32_i24_e32 v15, v93, v72
	s_delay_alu instid0(VALU_DEP_3) | instskip(SKIP_1) | instid1(VALU_DEP_4)
	v_add3_u32 v13, v13, v114, v115
	v_mul_i32_i24_e32 v114, v94, v75
	v_mad_i32_i24 v14, v92, v64, v14
	v_mul_i32_i24_e32 v115, v97, v77
	s_delay_alu instid0(VALU_DEP_4) | instskip(NEXT) | instid1(VALU_DEP_3)
	v_mul_lo_u32 v13, v13, v63
	v_add3_u32 v14, v14, v15, v114
	v_mul_i32_i24_e32 v15, v95, v73
	v_mul_i32_i24_e32 v114, v96, v74
	s_delay_alu instid0(VALU_DEP_1) | instskip(SKIP_2) | instid1(VALU_DEP_3)
	v_add3_u32 v14, v14, v15, v114
	v_mul_i32_i24_e32 v15, v99, v78
	v_mul_i32_i24_e32 v114, v100, v80
	v_add3_u32 v14, v14, v115, v116
	v_mul_i32_i24_e32 v115, v101, v81
	v_mul_i32_i24_e32 v116, v102, v119
	s_delay_alu instid0(VALU_DEP_3) | instskip(SKIP_2) | instid1(VALU_DEP_3)
	v_add3_u32 v14, v14, v15, v114
	v_mul_i32_i24_e32 v15, v103, v118
	v_mul_i32_i24_e32 v114, v104, v120
	v_add3_u32 v14, v14, v115, v116
	v_mul_i32_i24_e32 v115, v105, v121
	v_mul_i32_i24_e32 v116, v16, v122
	s_delay_alu instid0(VALU_DEP_3) | instskip(SKIP_1) | instid1(VALU_DEP_2)
	v_add3_u32 v14, v14, v15, v114
	v_mul_i32_i24_e32 v15, v107, v2
	v_add3_u32 v114, v14, v115, v116
	v_mul_i32_i24_e32 v14, v106, v4
	v_mul_i32_i24_e32 v116, v109, v0
	;; [unrolled: 1-line block ×3, first 2 shown]
	s_delay_alu instid0(VALU_DEP_2) | instskip(SKIP_2) | instid1(VALU_DEP_3)
	v_add3_u32 v14, v117, v116, v14
	v_mul_i32_i24_e32 v116, v98, v248
	v_mul_i32_i24_e32 v117, v111, v223
	v_add3_u32 v115, v14, v15, v115
	v_mad_u64_u32 v[14:15], null, v114, v36, v[13:14]
	v_mul_i32_i24_e32 v15, v21, v228
	v_mul_i32_i24_e32 v114, v37, v229
	v_add3_u32 v117, v127, v117, v123
	v_mul_i32_i24_e32 v127, v113, v132
	v_mul_i32_i24_e32 v123, v112, v31
	v_cvt_f32_i32_e32 v13, v14
	v_cvt_f32_i32_e32 v14, v115
	v_mul_i32_i24_e32 v115, v82, v231
	v_mad_i32_i24 v127, v110, v159, v127
	s_delay_alu instid0(VALU_DEP_3) | instskip(NEXT) | instid1(VALU_DEP_1)
	v_mul_f32_e32 v14, v46, v14
	v_fma_mix_f32 v13, v182, v13, -v14 op_sel_hi:[1,0,0]
	v_mul_i32_i24_e32 v14, v19, v225
	s_delay_alu instid0(VALU_DEP_2) | instskip(SKIP_1) | instid1(VALU_DEP_1)
	v_fmac_f32_e32 v43, v20, v13
	v_mul_i32_i24_e32 v13, v17, v224
	v_mad_i32_i24 v13, v18, v51, v13
	s_delay_alu instid0(VALU_DEP_1) | instskip(SKIP_2) | instid1(VALU_DEP_1)
	v_add3_u32 v13, v13, v14, v15
	v_mul_i32_i24_e32 v14, v22, v226
	v_mul_i32_i24_e32 v15, v23, v227
	v_add3_u32 v13, v13, v14, v15
	v_mul_i32_i24_e32 v14, v83, v230
	v_mul_i32_i24_e32 v15, v84, v232
	s_delay_alu instid0(VALU_DEP_3) | instskip(SKIP_2) | instid1(VALU_DEP_3)
	v_add3_u32 v13, v13, v114, v115
	v_mul_i32_i24_e32 v114, v85, v233
	v_mul_i32_i24_e32 v115, v86, v235
	v_add3_u32 v13, v13, v14, v15
	v_mul_i32_i24_e32 v14, v87, v234
	v_mul_i32_i24_e32 v15, v88, v236
	s_delay_alu instid0(VALU_DEP_3) | instskip(SKIP_2) | instid1(VALU_DEP_3)
	v_add3_u32 v13, v13, v114, v115
	v_mul_i32_i24_e32 v114, v89, v237
	v_mul_i32_i24_e32 v115, v90, v238
	v_add3_u32 v13, v13, v14, v15
	v_mul_i32_i24_e32 v14, v91, v241
	v_mul_i32_i24_e32 v15, v93, v242
	s_delay_alu instid0(VALU_DEP_3) | instskip(SKIP_1) | instid1(VALU_DEP_4)
	v_add3_u32 v13, v13, v114, v115
	v_mul_i32_i24_e32 v114, v94, v245
	v_mad_i32_i24 v14, v92, v240, v14
	v_mul_i32_i24_e32 v115, v97, v246
	s_delay_alu instid0(VALU_DEP_4) | instskip(NEXT) | instid1(VALU_DEP_3)
	v_mul_lo_u32 v13, v13, v239
	v_add3_u32 v14, v14, v15, v114
	v_mul_i32_i24_e32 v15, v95, v243
	v_mul_i32_i24_e32 v114, v96, v244
	s_delay_alu instid0(VALU_DEP_1) | instskip(SKIP_2) | instid1(VALU_DEP_3)
	v_add3_u32 v14, v14, v15, v114
	v_mul_i32_i24_e32 v15, v99, v247
	v_mul_i32_i24_e32 v114, v100, v249
	v_add3_u32 v14, v14, v115, v116
	v_mul_i32_i24_e32 v115, v101, v250
	v_mul_i32_i24_e32 v116, v102, v252
	s_delay_alu instid0(VALU_DEP_3) | instskip(SKIP_2) | instid1(VALU_DEP_3)
	v_add3_u32 v14, v14, v15, v114
	v_mul_i32_i24_e32 v15, v103, v251
	v_mul_i32_i24_e32 v114, v104, v253
	v_add3_u32 v14, v14, v115, v116
	v_mul_i32_i24_e32 v115, v105, v254
	v_mul_i32_i24_e32 v116, v16, v255
	s_delay_alu instid0(VALU_DEP_3) | instskip(SKIP_1) | instid1(VALU_DEP_2)
	v_add3_u32 v14, v14, v15, v114
	v_mul_i32_i24_e32 v15, v107, v49
	v_add3_u32 v114, v14, v115, v116
	v_mul_i32_i24_e32 v14, v106, v52
	v_mul_i32_i24_e32 v116, v109, v47
	;; [unrolled: 1-line block ×3, first 2 shown]
	s_delay_alu instid0(VALU_DEP_2) | instskip(SKIP_2) | instid1(VALU_DEP_3)
	v_add3_u32 v14, v117, v116, v14
	v_mul_i32_i24_e32 v116, v98, v214
	v_mul_i32_i24_e32 v117, v111, v178
	v_add3_u32 v115, v14, v15, v115
	v_mad_u64_u32 v[14:15], null, v114, v34, v[13:14]
	v_mul_i32_i24_e32 v15, v21, v191
	v_mul_i32_i24_e32 v114, v37, v192
	v_add3_u32 v117, v127, v117, v123
	s_delay_alu instid0(VALU_DEP_4) | instskip(SKIP_2) | instid1(VALU_DEP_2)
	v_cvt_f32_i32_e32 v13, v14
	v_cvt_f32_i32_e32 v14, v115
	v_mul_i32_i24_e32 v115, v82, v194
	v_mul_f32_e32 v14, v180, v14
	s_delay_alu instid0(VALU_DEP_1) | instskip(SKIP_1) | instid1(VALU_DEP_2)
	v_fma_mix_f32 v13, v138, v13, -v14 op_sel_hi:[1,0,0]
	v_mul_i32_i24_e32 v14, v19, v189
	v_fmac_f32_e32 v42, v20, v13
	v_mul_i32_i24_e32 v13, v17, v187
	s_delay_alu instid0(VALU_DEP_1) | instskip(NEXT) | instid1(VALU_DEP_1)
	v_mad_i32_i24 v13, v18, v185, v13
	v_add3_u32 v13, v13, v14, v15
	v_mul_i32_i24_e32 v14, v22, v39
	v_mul_i32_i24_e32 v15, v23, v190
	s_delay_alu instid0(VALU_DEP_1) | instskip(SKIP_2) | instid1(VALU_DEP_3)
	v_add3_u32 v13, v13, v14, v15
	v_mul_i32_i24_e32 v14, v83, v193
	v_mul_i32_i24_e32 v15, v84, v196
	v_add3_u32 v13, v13, v114, v115
	v_mul_i32_i24_e32 v114, v85, v197
	v_mul_i32_i24_e32 v115, v86, v199
	s_delay_alu instid0(VALU_DEP_3) | instskip(SKIP_2) | instid1(VALU_DEP_3)
	v_add3_u32 v13, v13, v14, v15
	v_mul_i32_i24_e32 v14, v87, v198
	v_mul_i32_i24_e32 v15, v88, v200
	v_add3_u32 v13, v13, v114, v115
	v_mul_i32_i24_e32 v114, v89, v202
	v_mul_i32_i24_e32 v115, v90, v203
	s_delay_alu instid0(VALU_DEP_3) | instskip(SKIP_2) | instid1(VALU_DEP_3)
	v_add3_u32 v13, v13, v14, v15
	v_mul_i32_i24_e32 v14, v91, v207
	v_mul_i32_i24_e32 v15, v93, v208
	v_add3_u32 v13, v13, v114, v115
	v_mul_i32_i24_e32 v114, v94, v211
	s_delay_alu instid0(VALU_DEP_4) | instskip(SKIP_1) | instid1(VALU_DEP_4)
	v_mad_i32_i24 v14, v92, v206, v14
	v_mul_i32_i24_e32 v115, v97, v212
	v_mul_lo_u32 v13, v13, v205
	s_delay_alu instid0(VALU_DEP_3) | instskip(SKIP_2) | instid1(VALU_DEP_1)
	v_add3_u32 v14, v14, v15, v114
	v_mul_i32_i24_e32 v15, v95, v209
	v_mul_i32_i24_e32 v114, v96, v210
	v_add3_u32 v14, v14, v15, v114
	v_mul_i32_i24_e32 v15, v99, v213
	v_mul_i32_i24_e32 v114, v100, v215
	s_delay_alu instid0(VALU_DEP_3) | instskip(SKIP_2) | instid1(VALU_DEP_3)
	v_add3_u32 v14, v14, v115, v116
	v_mul_i32_i24_e32 v115, v101, v216
	v_mul_i32_i24_e32 v116, v102, v218
	v_add3_u32 v14, v14, v15, v114
	v_mul_i32_i24_e32 v15, v103, v217
	v_mul_i32_i24_e32 v114, v104, v219
	s_delay_alu instid0(VALU_DEP_3) | instskip(SKIP_3) | instid1(VALU_DEP_4)
	v_add3_u32 v14, v14, v115, v116
	v_mul_i32_i24_e32 v115, v105, v220
	v_mul_i32_i24_e32 v116, v16, v221
	v_mul_i32_i24_e32 v16, v16, v176
	v_add3_u32 v14, v14, v15, v114
	v_mul_i32_i24_e32 v15, v107, v38
	s_delay_alu instid0(VALU_DEP_2) | instskip(SKIP_3) | instid1(VALU_DEP_2)
	v_add3_u32 v114, v14, v115, v116
	v_mul_i32_i24_e32 v14, v106, v186
	v_mul_i32_i24_e32 v116, v109, v183
	;; [unrolled: 1-line block ×3, first 2 shown]
	v_add3_u32 v14, v117, v116, v14
	s_delay_alu instid0(VALU_DEP_1) | instskip(SKIP_3) | instid1(VALU_DEP_3)
	v_add3_u32 v115, v14, v15, v115
	v_mad_u64_u32 v[14:15], null, v114, v136, v[13:14]
	v_mul_i32_i24_e32 v15, v21, v148
	v_mul_i32_i24_e32 v21, v112, v160
	v_cvt_f32_i32_e32 v13, v14
	v_cvt_f32_i32_e32 v14, v115
	s_delay_alu instid0(VALU_DEP_1) | instskip(NEXT) | instid1(VALU_DEP_1)
	v_mul_f32_e32 v14, v137, v14
	v_fma_mix_f32 v13, v131, v13, -v14 op_sel_hi:[1,0,0]
	v_mul_i32_i24_e32 v14, v19, v145
	v_mul_i32_i24_e32 v19, v98, v168
	s_delay_alu instid0(VALU_DEP_3) | instskip(SKIP_2) | instid1(VALU_DEP_2)
	v_fmac_f32_e32 v41, v20, v13
	v_mul_i32_i24_e32 v13, v17, v144
	v_mul_i32_i24_e32 v17, v37, v149
	v_mad_i32_i24 v13, v18, v142, v13
	v_mul_i32_i24_e32 v18, v82, v152
	s_delay_alu instid0(VALU_DEP_2) | instskip(SKIP_3) | instid1(VALU_DEP_2)
	v_add3_u32 v13, v13, v14, v15
	v_mul_i32_i24_e32 v14, v22, v146
	v_mul_i32_i24_e32 v15, v23, v147
	;; [unrolled: 1-line block ×3, first 2 shown]
	v_add3_u32 v13, v13, v14, v15
	v_mul_i32_i24_e32 v14, v83, v150
	v_mul_i32_i24_e32 v15, v84, v153
	s_delay_alu instid0(VALU_DEP_4) | instskip(NEXT) | instid1(VALU_DEP_4)
	v_mad_i32_i24 v22, v110, v157, v22
	v_add3_u32 v13, v13, v17, v18
	v_mul_i32_i24_e32 v17, v85, v134
	v_mul_i32_i24_e32 v18, v86, v133
	s_delay_alu instid0(VALU_DEP_3) | instskip(SKIP_2) | instid1(VALU_DEP_3)
	v_add3_u32 v13, v13, v14, v15
	v_mul_i32_i24_e32 v14, v87, v135
	v_mul_i32_i24_e32 v15, v88, v156
	v_add3_u32 v13, v13, v17, v18
	v_mul_i32_i24_e32 v17, v89, v158
	v_mul_i32_i24_e32 v18, v90, v129
	s_delay_alu instid0(VALU_DEP_3) | instskip(SKIP_2) | instid1(VALU_DEP_3)
	v_add3_u32 v13, v13, v14, v15
	v_mul_i32_i24_e32 v14, v91, v27
	v_mul_i32_i24_e32 v15, v93, v163
	v_add3_u32 v13, v13, v17, v18
	v_mul_i32_i24_e32 v17, v94, v166
	s_delay_alu instid0(VALU_DEP_4) | instskip(SKIP_1) | instid1(VALU_DEP_4)
	v_mad_i32_i24 v14, v92, v162, v14
	v_mul_i32_i24_e32 v18, v97, v167
	v_mul_lo_u32 v13, v13, v26
	s_delay_alu instid0(VALU_DEP_3) | instskip(SKIP_2) | instid1(VALU_DEP_1)
	v_add3_u32 v14, v14, v15, v17
	v_mul_i32_i24_e32 v15, v95, v165
	v_mul_i32_i24_e32 v17, v96, v164
	v_add3_u32 v14, v14, v15, v17
	v_mul_i32_i24_e32 v15, v99, v169
	v_mul_i32_i24_e32 v17, v100, v170
	s_delay_alu instid0(VALU_DEP_3) | instskip(SKIP_2) | instid1(VALU_DEP_3)
	v_add3_u32 v14, v14, v18, v19
	v_mul_i32_i24_e32 v18, v101, v171
	v_mul_i32_i24_e32 v19, v102, v173
	v_add3_u32 v14, v14, v15, v17
	v_mul_i32_i24_e32 v15, v103, v172
	v_mul_i32_i24_e32 v17, v104, v174
	s_delay_alu instid0(VALU_DEP_3) | instskip(SKIP_2) | instid1(VALU_DEP_3)
	v_add3_u32 v14, v14, v18, v19
	v_mul_i32_i24_e32 v18, v105, v175
	v_mul_i32_i24_e32 v19, v111, v161
	v_add3_u32 v14, v14, v15, v17
	v_mul_i32_i24_e32 v15, v107, v141
	s_delay_alu instid0(VALU_DEP_3) | instskip(SKIP_1) | instid1(VALU_DEP_4)
	v_add3_u32 v19, v22, v19, v21
	v_mul_i32_i24_e32 v17, v108, v140
	v_add3_u32 v16, v14, v18, v16
	v_mul_i32_i24_e32 v14, v106, v143
	v_mul_i32_i24_e32 v18, v109, v139
	s_delay_alu instid0(VALU_DEP_1) | instskip(NEXT) | instid1(VALU_DEP_1)
	v_add3_u32 v14, v19, v18, v14
	v_add3_u32 v17, v14, v15, v17
	v_mad_u64_u32 v[14:15], null, v16, v25, v[13:14]
	s_delay_alu instid0(VALU_DEP_1) | instskip(NEXT) | instid1(VALU_DEP_3)
	v_cvt_f32_i32_e32 v13, v14
	v_cvt_f32_i32_e32 v14, v17
	s_delay_alu instid0(VALU_DEP_1) | instskip(NEXT) | instid1(VALU_DEP_1)
	v_mul_f32_e32 v14, v24, v14
	v_fma_mix_f32 v13, v126, v13, -v14 op_sel_hi:[1,0,0]
	s_delay_alu instid0(VALU_DEP_1)
	v_fmac_f32_e32 v40, v20, v13
	ds_load_2addr_b32 v[19:20], v125 offset0:128 offset1:160
	ds_load_b128 v[13:16], v124 offset:4096
	s_waitcnt lgkmcnt(0)
	v_bfe_i32 v17, v13, 0, 8
	v_bfe_i32 v18, v13, 8, 8
	v_bfe_i32 v21, v13, 16, 8
	v_ashrrev_i32_e32 v22, 24, v13
	v_bfe_i32 v23, v14, 0, 8
	v_bfe_i32 v37, v14, 8, 8
	v_bfe_i32 v82, v14, 16, 8
	v_ashrrev_i32_e32 v83, 24, v14
	;; [unrolled: 4-line block ×4, first 2 shown]
	ds_load_b128 v[13:16], v124 offset:4112
	v_mul_i32_i24_e32 v115, v82, v10
	v_mul_i32_i24_e32 v116, v83, v12
	s_waitcnt lgkmcnt(0)
	v_ashrrev_i32_e32 v95, 24, v13
	v_ashrrev_i32_e32 v99, 24, v14
	v_bfe_i32 v92, v13, 0, 8
	v_bfe_i32 v93, v13, 8, 8
	v_bfe_i32 v94, v13, 16, 8
	v_bfe_i32 v98, v14, 16, 8
	v_ashrrev_i32_e32 v103, 24, v15
	v_bfe_i32 v104, v16, 0, 8
	v_bfe_i32 v105, v16, 8, 8
	;; [unrolled: 1-line block ×3, first 2 shown]
	v_ashrrev_i32_e32 v16, 24, v16
	v_add_nc_u32_e32 v13, v99, v95
	v_bfe_i32 v97, v14, 8, 8
	v_bfe_i32 v102, v15, 16, 8
	;; [unrolled: 1-line block ×4, first 2 shown]
	v_add3_u32 v107, v13, v103, v16
	v_add_nc_u32_e32 v13, v98, v94
	v_bfe_i32 v100, v15, 0, 8
	v_mul_i32_i24_e32 v14, v21, v6
	v_mul_i32_i24_e32 v15, v22, v9
	;; [unrolled: 1-line block ×3, first 2 shown]
	v_add3_u32 v108, v13, v102, v106
	v_add_nc_u32_e32 v13, v97, v93
	s_delay_alu instid0(VALU_DEP_1) | instskip(SKIP_1) | instid1(VALU_DEP_1)
	v_add3_u32 v109, v13, v101, v105
	v_add_nc_u32_e32 v13, v96, v92
	v_add3_u32 v110, v13, v100, v104
	v_add_nc_u32_e32 v13, v83, v22
	s_delay_alu instid0(VALU_DEP_1) | instskip(SKIP_1) | instid1(VALU_DEP_1)
	v_add3_u32 v111, v13, v87, v91
	v_add_nc_u32_e32 v13, v82, v21
	v_add3_u32 v112, v13, v86, v90
	v_add_nc_u32_e32 v13, v37, v18
	s_delay_alu instid0(VALU_DEP_2) | instskip(NEXT) | instid1(VALU_DEP_2)
	v_mul_i32_i24_e32 v123, v112, v54
	v_add3_u32 v113, v13, v85, v89
	v_add_nc_u32_e32 v13, v23, v17
	s_delay_alu instid0(VALU_DEP_2) | instskip(NEXT) | instid1(VALU_DEP_2)
	v_mul_i32_i24_e32 v127, v113, v53
	v_add3_u32 v114, v13, v84, v88
	v_mul_i32_i24_e32 v13, v17, v5
	s_delay_alu instid0(VALU_DEP_2) | instskip(NEXT) | instid1(VALU_DEP_2)
	v_mul_i32_i24_e32 v128, v114, v195
	v_mad_i32_i24 v13, v18, v3, v13
	s_delay_alu instid0(VALU_DEP_2) | instskip(NEXT) | instid1(VALU_DEP_2)
	v_mad_i32_i24 v128, v111, v201, v128
	v_add3_u32 v13, v13, v14, v15
	v_mul_i32_i24_e32 v14, v23, v7
	v_mul_i32_i24_e32 v15, v37, v8
	s_delay_alu instid0(VALU_DEP_4) | instskip(SKIP_2) | instid1(VALU_DEP_4)
	v_add3_u32 v123, v128, v123, v127
	v_mul_i32_i24_e32 v128, v114, v151
	v_mul_i32_i24_e32 v127, v113, v222
	v_add3_u32 v13, v13, v14, v15
	v_mul_i32_i24_e32 v14, v84, v11
	v_mul_i32_i24_e32 v15, v85, v44
	v_mad_i32_i24 v128, v111, v155, v128
	s_delay_alu instid0(VALU_DEP_4) | instskip(SKIP_2) | instid1(VALU_DEP_3)
	v_add3_u32 v13, v13, v115, v116
	v_mul_i32_i24_e32 v115, v86, v56
	v_mul_i32_i24_e32 v116, v87, v58
	v_add3_u32 v13, v13, v14, v15
	v_mul_i32_i24_e32 v14, v88, v57
	v_mul_i32_i24_e32 v15, v89, v59
	s_delay_alu instid0(VALU_DEP_3) | instskip(SKIP_2) | instid1(VALU_DEP_3)
	v_add3_u32 v13, v13, v115, v116
	v_mul_i32_i24_e32 v115, v90, v61
	v_mul_i32_i24_e32 v116, v91, v62
	v_add3_u32 v13, v13, v14, v15
	v_mul_i32_i24_e32 v14, v92, v71
	v_mul_i32_i24_e32 v15, v94, v72
	s_delay_alu instid0(VALU_DEP_3) | instskip(SKIP_1) | instid1(VALU_DEP_4)
	v_add3_u32 v13, v13, v115, v116
	v_mul_i32_i24_e32 v115, v95, v75
	v_mad_i32_i24 v14, v93, v64, v14
	v_mul_i32_i24_e32 v116, v98, v77
	s_delay_alu instid0(VALU_DEP_4) | instskip(NEXT) | instid1(VALU_DEP_3)
	v_mul_lo_u32 v13, v13, v63
	v_add3_u32 v14, v14, v15, v115
	v_mul_i32_i24_e32 v15, v96, v73
	v_mul_i32_i24_e32 v115, v97, v74
	s_delay_alu instid0(VALU_DEP_1) | instskip(SKIP_2) | instid1(VALU_DEP_3)
	v_add3_u32 v14, v14, v15, v115
	v_mul_i32_i24_e32 v15, v100, v78
	v_mul_i32_i24_e32 v115, v101, v80
	v_add3_u32 v14, v14, v116, v117
	v_mul_i32_i24_e32 v116, v102, v81
	v_mul_i32_i24_e32 v117, v103, v119
	s_delay_alu instid0(VALU_DEP_3) | instskip(SKIP_2) | instid1(VALU_DEP_3)
	v_add3_u32 v14, v14, v15, v115
	v_mul_i32_i24_e32 v15, v104, v118
	v_mul_i32_i24_e32 v115, v105, v120
	v_add3_u32 v14, v14, v116, v117
	v_mul_i32_i24_e32 v116, v106, v121
	v_mul_i32_i24_e32 v117, v16, v122
	s_delay_alu instid0(VALU_DEP_3) | instskip(SKIP_1) | instid1(VALU_DEP_2)
	v_add3_u32 v14, v14, v15, v115
	v_mul_i32_i24_e32 v15, v108, v2
	v_add3_u32 v115, v14, v116, v117
	v_mul_i32_i24_e32 v14, v107, v4
	v_mul_i32_i24_e32 v117, v110, v0
	;; [unrolled: 1-line block ×3, first 2 shown]
	s_delay_alu instid0(VALU_DEP_2) | instskip(SKIP_2) | instid1(VALU_DEP_3)
	v_add3_u32 v14, v123, v117, v14
	v_mul_i32_i24_e32 v117, v99, v248
	v_mul_i32_i24_e32 v123, v112, v223
	v_add3_u32 v116, v14, v15, v116
	v_mad_u64_u32 v[14:15], null, v115, v36, v[13:14]
	v_mul_i32_i24_e32 v15, v22, v228
	v_mul_i32_i24_e32 v115, v82, v229
	v_add3_u32 v123, v128, v123, v127
	v_mul_i32_i24_e32 v128, v114, v132
	v_mul_i32_i24_e32 v127, v113, v31
	v_cvt_f32_i32_e32 v13, v14
	v_cvt_f32_i32_e32 v14, v116
	v_mul_i32_i24_e32 v116, v83, v231
	v_mad_i32_i24 v128, v111, v159, v128
	s_delay_alu instid0(VALU_DEP_3) | instskip(NEXT) | instid1(VALU_DEP_1)
	v_mul_f32_e32 v14, v46, v14
	v_fma_mix_f32 v13, v182, v13, -v14 op_sel_hi:[1,0,0]
	v_mul_i32_i24_e32 v14, v21, v225
	s_delay_alu instid0(VALU_DEP_2) | instskip(SKIP_1) | instid1(VALU_DEP_1)
	v_fmac_f32_e32 v188, v19, v13
	v_mul_i32_i24_e32 v13, v17, v224
	v_mad_i32_i24 v13, v18, v51, v13
	s_delay_alu instid0(VALU_DEP_1) | instskip(SKIP_2) | instid1(VALU_DEP_1)
	v_add3_u32 v13, v13, v14, v15
	v_mul_i32_i24_e32 v14, v23, v226
	v_mul_i32_i24_e32 v15, v37, v227
	v_add3_u32 v13, v13, v14, v15
	v_mul_i32_i24_e32 v14, v84, v230
	v_mul_i32_i24_e32 v15, v85, v232
	s_delay_alu instid0(VALU_DEP_3) | instskip(SKIP_2) | instid1(VALU_DEP_3)
	v_add3_u32 v13, v13, v115, v116
	v_mul_i32_i24_e32 v115, v86, v233
	v_mul_i32_i24_e32 v116, v87, v235
	v_add3_u32 v13, v13, v14, v15
	v_mul_i32_i24_e32 v14, v88, v234
	v_mul_i32_i24_e32 v15, v89, v236
	s_delay_alu instid0(VALU_DEP_3) | instskip(SKIP_2) | instid1(VALU_DEP_3)
	v_add3_u32 v13, v13, v115, v116
	v_mul_i32_i24_e32 v115, v90, v237
	v_mul_i32_i24_e32 v116, v91, v238
	v_add3_u32 v13, v13, v14, v15
	v_mul_i32_i24_e32 v14, v92, v241
	v_mul_i32_i24_e32 v15, v94, v242
	s_delay_alu instid0(VALU_DEP_3) | instskip(SKIP_1) | instid1(VALU_DEP_4)
	v_add3_u32 v13, v13, v115, v116
	v_mul_i32_i24_e32 v115, v95, v245
	v_mad_i32_i24 v14, v93, v240, v14
	v_mul_i32_i24_e32 v116, v98, v246
	s_delay_alu instid0(VALU_DEP_4) | instskip(NEXT) | instid1(VALU_DEP_3)
	v_mul_lo_u32 v13, v13, v239
	v_add3_u32 v14, v14, v15, v115
	v_mul_i32_i24_e32 v15, v96, v243
	v_mul_i32_i24_e32 v115, v97, v244
	s_delay_alu instid0(VALU_DEP_1) | instskip(SKIP_2) | instid1(VALU_DEP_3)
	v_add3_u32 v14, v14, v15, v115
	v_mul_i32_i24_e32 v15, v100, v247
	v_mul_i32_i24_e32 v115, v101, v249
	v_add3_u32 v14, v14, v116, v117
	v_mul_i32_i24_e32 v116, v102, v250
	v_mul_i32_i24_e32 v117, v103, v252
	s_delay_alu instid0(VALU_DEP_3) | instskip(SKIP_2) | instid1(VALU_DEP_3)
	v_add3_u32 v14, v14, v15, v115
	v_mul_i32_i24_e32 v15, v104, v251
	v_mul_i32_i24_e32 v115, v105, v253
	v_add3_u32 v14, v14, v116, v117
	v_mul_i32_i24_e32 v116, v106, v254
	v_mul_i32_i24_e32 v117, v16, v255
	s_delay_alu instid0(VALU_DEP_3) | instskip(SKIP_1) | instid1(VALU_DEP_2)
	v_add3_u32 v14, v14, v15, v115
	v_mul_i32_i24_e32 v15, v108, v49
	v_add3_u32 v115, v14, v116, v117
	v_mul_i32_i24_e32 v14, v107, v52
	v_mul_i32_i24_e32 v117, v110, v47
	;; [unrolled: 1-line block ×3, first 2 shown]
	s_delay_alu instid0(VALU_DEP_2) | instskip(SKIP_2) | instid1(VALU_DEP_3)
	v_add3_u32 v14, v123, v117, v14
	v_mul_i32_i24_e32 v117, v99, v214
	v_mul_i32_i24_e32 v123, v112, v178
	v_add3_u32 v116, v14, v15, v116
	v_mad_u64_u32 v[14:15], null, v115, v34, v[13:14]
	v_mul_i32_i24_e32 v15, v22, v191
	v_mul_i32_i24_e32 v115, v82, v192
	v_add3_u32 v123, v128, v123, v127
	s_delay_alu instid0(VALU_DEP_4) | instskip(SKIP_2) | instid1(VALU_DEP_2)
	v_cvt_f32_i32_e32 v13, v14
	v_cvt_f32_i32_e32 v14, v116
	v_mul_i32_i24_e32 v116, v83, v194
	v_mul_f32_e32 v14, v180, v14
	s_delay_alu instid0(VALU_DEP_1) | instskip(SKIP_1) | instid1(VALU_DEP_2)
	v_fma_mix_f32 v13, v138, v13, -v14 op_sel_hi:[1,0,0]
	v_mul_i32_i24_e32 v14, v21, v189
	v_fmac_f32_e32 v35, v19, v13
	v_mul_i32_i24_e32 v13, v17, v187
	s_delay_alu instid0(VALU_DEP_1) | instskip(NEXT) | instid1(VALU_DEP_1)
	v_mad_i32_i24 v13, v18, v185, v13
	v_add3_u32 v13, v13, v14, v15
	v_mul_i32_i24_e32 v14, v23, v39
	v_mul_i32_i24_e32 v15, v37, v190
	s_delay_alu instid0(VALU_DEP_1) | instskip(SKIP_2) | instid1(VALU_DEP_3)
	v_add3_u32 v13, v13, v14, v15
	v_mul_i32_i24_e32 v14, v84, v193
	v_mul_i32_i24_e32 v15, v85, v196
	v_add3_u32 v13, v13, v115, v116
	v_mul_i32_i24_e32 v115, v86, v197
	v_mul_i32_i24_e32 v116, v87, v199
	s_delay_alu instid0(VALU_DEP_3) | instskip(SKIP_2) | instid1(VALU_DEP_3)
	v_add3_u32 v13, v13, v14, v15
	v_mul_i32_i24_e32 v14, v88, v198
	v_mul_i32_i24_e32 v15, v89, v200
	v_add3_u32 v13, v13, v115, v116
	v_mul_i32_i24_e32 v115, v90, v202
	v_mul_i32_i24_e32 v116, v91, v203
	s_delay_alu instid0(VALU_DEP_3) | instskip(SKIP_2) | instid1(VALU_DEP_3)
	v_add3_u32 v13, v13, v14, v15
	v_mul_i32_i24_e32 v14, v92, v207
	v_mul_i32_i24_e32 v15, v94, v208
	v_add3_u32 v13, v13, v115, v116
	v_mul_i32_i24_e32 v115, v95, v211
	s_delay_alu instid0(VALU_DEP_4) | instskip(SKIP_1) | instid1(VALU_DEP_4)
	v_mad_i32_i24 v14, v93, v206, v14
	v_mul_i32_i24_e32 v116, v98, v212
	v_mul_lo_u32 v13, v13, v205
	s_delay_alu instid0(VALU_DEP_3) | instskip(SKIP_2) | instid1(VALU_DEP_1)
	v_add3_u32 v14, v14, v15, v115
	v_mul_i32_i24_e32 v15, v96, v209
	v_mul_i32_i24_e32 v115, v97, v210
	v_add3_u32 v14, v14, v15, v115
	v_mul_i32_i24_e32 v15, v100, v213
	v_mul_i32_i24_e32 v115, v101, v215
	s_delay_alu instid0(VALU_DEP_3) | instskip(SKIP_2) | instid1(VALU_DEP_3)
	v_add3_u32 v14, v14, v116, v117
	v_mul_i32_i24_e32 v116, v102, v216
	v_mul_i32_i24_e32 v117, v103, v218
	v_add3_u32 v14, v14, v15, v115
	v_mul_i32_i24_e32 v15, v104, v217
	v_mul_i32_i24_e32 v115, v105, v219
	s_delay_alu instid0(VALU_DEP_3) | instskip(SKIP_3) | instid1(VALU_DEP_4)
	v_add3_u32 v14, v14, v116, v117
	v_mul_i32_i24_e32 v116, v106, v220
	v_mul_i32_i24_e32 v117, v16, v221
	;; [unrolled: 1-line block ×3, first 2 shown]
	v_add3_u32 v14, v14, v15, v115
	v_mul_i32_i24_e32 v15, v108, v38
	s_delay_alu instid0(VALU_DEP_2) | instskip(SKIP_3) | instid1(VALU_DEP_2)
	v_add3_u32 v115, v14, v116, v117
	v_mul_i32_i24_e32 v14, v107, v186
	v_mul_i32_i24_e32 v117, v110, v183
	v_mul_i32_i24_e32 v116, v109, v184
	v_add3_u32 v14, v123, v117, v14
	s_delay_alu instid0(VALU_DEP_1) | instskip(SKIP_3) | instid1(VALU_DEP_3)
	v_add3_u32 v116, v14, v15, v116
	v_mad_u64_u32 v[14:15], null, v115, v136, v[13:14]
	v_mul_i32_i24_e32 v15, v22, v148
	v_mul_i32_i24_e32 v22, v113, v160
	v_cvt_f32_i32_e32 v13, v14
	v_cvt_f32_i32_e32 v14, v116
	s_delay_alu instid0(VALU_DEP_1) | instskip(NEXT) | instid1(VALU_DEP_1)
	v_mul_f32_e32 v14, v137, v14
	v_fma_mix_f32 v13, v131, v13, -v14 op_sel_hi:[1,0,0]
	v_mul_i32_i24_e32 v14, v21, v145
	v_mul_i32_i24_e32 v21, v99, v168
	s_delay_alu instid0(VALU_DEP_3) | instskip(SKIP_2) | instid1(VALU_DEP_2)
	v_fmac_f32_e32 v181, v19, v13
	v_mul_i32_i24_e32 v13, v17, v144
	v_mul_i32_i24_e32 v17, v82, v149
	v_mad_i32_i24 v13, v18, v142, v13
	v_mul_i32_i24_e32 v18, v83, v152
	s_delay_alu instid0(VALU_DEP_2) | instskip(SKIP_3) | instid1(VALU_DEP_2)
	v_add3_u32 v13, v13, v14, v15
	v_mul_i32_i24_e32 v14, v23, v146
	v_mul_i32_i24_e32 v15, v37, v147
	;; [unrolled: 1-line block ×3, first 2 shown]
	v_add3_u32 v13, v13, v14, v15
	v_mul_i32_i24_e32 v14, v84, v150
	v_mul_i32_i24_e32 v15, v85, v153
	s_delay_alu instid0(VALU_DEP_4) | instskip(NEXT) | instid1(VALU_DEP_4)
	v_mad_i32_i24 v23, v111, v157, v23
	v_add3_u32 v13, v13, v17, v18
	v_mul_i32_i24_e32 v17, v86, v134
	v_mul_i32_i24_e32 v18, v87, v133
	s_delay_alu instid0(VALU_DEP_3) | instskip(SKIP_2) | instid1(VALU_DEP_3)
	v_add3_u32 v13, v13, v14, v15
	v_mul_i32_i24_e32 v14, v88, v135
	v_mul_i32_i24_e32 v15, v89, v156
	v_add3_u32 v13, v13, v17, v18
	v_mul_i32_i24_e32 v17, v90, v158
	v_mul_i32_i24_e32 v18, v91, v129
	s_delay_alu instid0(VALU_DEP_3) | instskip(SKIP_2) | instid1(VALU_DEP_3)
	v_add3_u32 v13, v13, v14, v15
	v_mul_i32_i24_e32 v14, v92, v27
	v_mul_i32_i24_e32 v15, v94, v163
	v_add3_u32 v13, v13, v17, v18
	v_mul_i32_i24_e32 v17, v95, v166
	s_delay_alu instid0(VALU_DEP_4) | instskip(SKIP_1) | instid1(VALU_DEP_4)
	v_mad_i32_i24 v14, v93, v162, v14
	v_mul_i32_i24_e32 v18, v98, v167
	v_mul_lo_u32 v13, v13, v26
	s_delay_alu instid0(VALU_DEP_3) | instskip(SKIP_2) | instid1(VALU_DEP_1)
	v_add3_u32 v14, v14, v15, v17
	v_mul_i32_i24_e32 v15, v96, v165
	v_mul_i32_i24_e32 v17, v97, v164
	v_add3_u32 v14, v14, v15, v17
	v_mul_i32_i24_e32 v15, v100, v169
	v_mul_i32_i24_e32 v17, v101, v170
	s_delay_alu instid0(VALU_DEP_3) | instskip(SKIP_2) | instid1(VALU_DEP_3)
	v_add3_u32 v14, v14, v18, v21
	v_mul_i32_i24_e32 v18, v102, v171
	v_mul_i32_i24_e32 v21, v103, v173
	v_add3_u32 v14, v14, v15, v17
	v_mul_i32_i24_e32 v15, v104, v172
	v_mul_i32_i24_e32 v17, v105, v174
	s_delay_alu instid0(VALU_DEP_3) | instskip(SKIP_2) | instid1(VALU_DEP_3)
	v_add3_u32 v14, v14, v18, v21
	v_mul_i32_i24_e32 v18, v106, v175
	v_mul_i32_i24_e32 v21, v112, v161
	v_add3_u32 v14, v14, v15, v17
	v_mul_i32_i24_e32 v15, v108, v141
	s_delay_alu instid0(VALU_DEP_3) | instskip(SKIP_1) | instid1(VALU_DEP_4)
	v_add3_u32 v21, v23, v21, v22
	v_mul_i32_i24_e32 v17, v109, v140
	v_add3_u32 v16, v14, v18, v16
	v_mul_i32_i24_e32 v14, v107, v143
	v_mul_i32_i24_e32 v18, v110, v139
	s_delay_alu instid0(VALU_DEP_1) | instskip(NEXT) | instid1(VALU_DEP_1)
	v_add3_u32 v14, v21, v18, v14
	v_add3_u32 v17, v14, v15, v17
	v_mad_u64_u32 v[14:15], null, v16, v25, v[13:14]
	s_delay_alu instid0(VALU_DEP_1) | instskip(NEXT) | instid1(VALU_DEP_3)
	v_cvt_f32_i32_e32 v13, v14
	v_cvt_f32_i32_e32 v14, v17
	s_delay_alu instid0(VALU_DEP_1) | instskip(NEXT) | instid1(VALU_DEP_1)
	v_mul_f32_e32 v14, v24, v14
	v_fma_mix_f32 v13, v126, v13, -v14 op_sel_hi:[1,0,0]
	s_delay_alu instid0(VALU_DEP_1)
	v_fmac_f32_e32 v33, v19, v13
	ds_load_b128 v[13:16], v124 offset:5120
	s_waitcnt lgkmcnt(0)
	v_bfe_i32 v17, v13, 0, 8
	v_bfe_i32 v18, v13, 8, 8
	v_bfe_i32 v19, v13, 16, 8
	v_ashrrev_i32_e32 v21, 24, v13
	v_bfe_i32 v22, v14, 0, 8
	v_bfe_i32 v23, v14, 8, 8
	v_bfe_i32 v37, v14, 16, 8
	v_ashrrev_i32_e32 v82, 24, v14
	;; [unrolled: 4-line block ×4, first 2 shown]
	ds_load_b128 v[13:16], v124 offset:5136
	v_mul_i32_i24_e32 v114, v37, v10
	v_mul_i32_i24_e32 v115, v82, v12
	s_waitcnt lgkmcnt(0)
	v_ashrrev_i32_e32 v94, 24, v13
	v_ashrrev_i32_e32 v98, 24, v14
	v_bfe_i32 v91, v13, 0, 8
	v_bfe_i32 v92, v13, 8, 8
	;; [unrolled: 1-line block ×4, first 2 shown]
	v_ashrrev_i32_e32 v102, 24, v15
	v_bfe_i32 v103, v16, 0, 8
	v_bfe_i32 v104, v16, 8, 8
	v_bfe_i32 v105, v16, 16, 8
	v_ashrrev_i32_e32 v16, 24, v16
	v_add_nc_u32_e32 v13, v98, v94
	v_bfe_i32 v96, v14, 8, 8
	v_bfe_i32 v101, v15, 16, 8
	;; [unrolled: 1-line block ×4, first 2 shown]
	v_add3_u32 v106, v13, v102, v16
	v_add_nc_u32_e32 v13, v97, v93
	v_bfe_i32 v99, v15, 0, 8
	v_mul_i32_i24_e32 v14, v19, v6
	v_mul_i32_i24_e32 v15, v21, v9
	;; [unrolled: 1-line block ×3, first 2 shown]
	v_add3_u32 v107, v13, v101, v105
	v_add_nc_u32_e32 v13, v96, v92
	s_delay_alu instid0(VALU_DEP_1) | instskip(SKIP_1) | instid1(VALU_DEP_1)
	v_add3_u32 v108, v13, v100, v104
	v_add_nc_u32_e32 v13, v95, v91
	v_add3_u32 v109, v13, v99, v103
	v_add_nc_u32_e32 v13, v82, v21
	s_delay_alu instid0(VALU_DEP_1) | instskip(SKIP_1) | instid1(VALU_DEP_1)
	v_add3_u32 v110, v13, v86, v90
	v_add_nc_u32_e32 v13, v37, v19
	v_add3_u32 v111, v13, v85, v89
	v_add_nc_u32_e32 v13, v23, v18
	s_delay_alu instid0(VALU_DEP_2) | instskip(NEXT) | instid1(VALU_DEP_2)
	v_mul_i32_i24_e32 v117, v111, v54
	v_add3_u32 v112, v13, v84, v88
	v_add_nc_u32_e32 v13, v22, v17
	s_delay_alu instid0(VALU_DEP_2) | instskip(NEXT) | instid1(VALU_DEP_2)
	v_mul_i32_i24_e32 v123, v112, v53
	v_add3_u32 v113, v13, v83, v87
	v_mul_i32_i24_e32 v13, v17, v5
	s_delay_alu instid0(VALU_DEP_2) | instskip(NEXT) | instid1(VALU_DEP_2)
	v_mul_i32_i24_e32 v127, v113, v195
	v_mad_i32_i24 v13, v18, v3, v13
	s_delay_alu instid0(VALU_DEP_2) | instskip(NEXT) | instid1(VALU_DEP_2)
	v_mad_i32_i24 v127, v110, v201, v127
	v_add3_u32 v13, v13, v14, v15
	v_mul_i32_i24_e32 v14, v22, v7
	v_mul_i32_i24_e32 v15, v23, v8
	s_delay_alu instid0(VALU_DEP_4) | instskip(SKIP_2) | instid1(VALU_DEP_4)
	v_add3_u32 v117, v127, v117, v123
	v_mul_i32_i24_e32 v127, v113, v151
	v_mul_i32_i24_e32 v123, v112, v222
	v_add3_u32 v13, v13, v14, v15
	v_mul_i32_i24_e32 v14, v83, v11
	v_mul_i32_i24_e32 v15, v84, v44
	v_mad_i32_i24 v127, v110, v155, v127
	s_delay_alu instid0(VALU_DEP_4) | instskip(SKIP_2) | instid1(VALU_DEP_3)
	v_add3_u32 v13, v13, v114, v115
	v_mul_i32_i24_e32 v114, v85, v56
	v_mul_i32_i24_e32 v115, v86, v58
	v_add3_u32 v13, v13, v14, v15
	v_mul_i32_i24_e32 v14, v87, v57
	v_mul_i32_i24_e32 v15, v88, v59
	s_delay_alu instid0(VALU_DEP_3) | instskip(SKIP_2) | instid1(VALU_DEP_3)
	v_add3_u32 v13, v13, v114, v115
	v_mul_i32_i24_e32 v114, v89, v61
	v_mul_i32_i24_e32 v115, v90, v62
	v_add3_u32 v13, v13, v14, v15
	v_mul_i32_i24_e32 v14, v91, v71
	v_mul_i32_i24_e32 v15, v93, v72
	s_delay_alu instid0(VALU_DEP_3) | instskip(SKIP_1) | instid1(VALU_DEP_4)
	v_add3_u32 v13, v13, v114, v115
	v_mul_i32_i24_e32 v114, v94, v75
	v_mad_i32_i24 v14, v92, v64, v14
	v_mul_i32_i24_e32 v115, v97, v77
	s_delay_alu instid0(VALU_DEP_4) | instskip(NEXT) | instid1(VALU_DEP_3)
	v_mul_lo_u32 v13, v13, v63
	v_add3_u32 v14, v14, v15, v114
	v_mul_i32_i24_e32 v15, v95, v73
	v_mul_i32_i24_e32 v114, v96, v74
	s_delay_alu instid0(VALU_DEP_1) | instskip(SKIP_2) | instid1(VALU_DEP_3)
	v_add3_u32 v14, v14, v15, v114
	v_mul_i32_i24_e32 v15, v99, v78
	v_mul_i32_i24_e32 v114, v100, v80
	v_add3_u32 v14, v14, v115, v116
	v_mul_i32_i24_e32 v115, v101, v81
	v_mul_i32_i24_e32 v116, v102, v119
	s_delay_alu instid0(VALU_DEP_3) | instskip(SKIP_2) | instid1(VALU_DEP_3)
	v_add3_u32 v14, v14, v15, v114
	v_mul_i32_i24_e32 v15, v103, v118
	v_mul_i32_i24_e32 v114, v104, v120
	v_add3_u32 v14, v14, v115, v116
	v_mul_i32_i24_e32 v115, v105, v121
	v_mul_i32_i24_e32 v116, v16, v122
	s_delay_alu instid0(VALU_DEP_3) | instskip(SKIP_1) | instid1(VALU_DEP_2)
	v_add3_u32 v14, v14, v15, v114
	v_mul_i32_i24_e32 v15, v107, v2
	v_add3_u32 v114, v14, v115, v116
	v_mul_i32_i24_e32 v14, v106, v4
	v_mul_i32_i24_e32 v116, v109, v0
	v_mul_i32_i24_e32 v115, v108, v1
	s_delay_alu instid0(VALU_DEP_2) | instskip(SKIP_2) | instid1(VALU_DEP_3)
	v_add3_u32 v14, v117, v116, v14
	v_mul_i32_i24_e32 v116, v98, v248
	v_mul_i32_i24_e32 v117, v111, v223
	v_add3_u32 v115, v14, v15, v115
	v_mad_u64_u32 v[14:15], null, v114, v36, v[13:14]
	v_mul_i32_i24_e32 v15, v21, v228
	v_mul_i32_i24_e32 v114, v37, v229
	v_add3_u32 v117, v127, v117, v123
	v_mul_i32_i24_e32 v127, v113, v132
	v_mul_i32_i24_e32 v123, v112, v31
	v_cvt_f32_i32_e32 v13, v14
	v_cvt_f32_i32_e32 v14, v115
	v_mul_i32_i24_e32 v115, v82, v231
	v_mad_i32_i24 v127, v110, v159, v127
	s_delay_alu instid0(VALU_DEP_3) | instskip(NEXT) | instid1(VALU_DEP_1)
	v_mul_f32_e32 v14, v46, v14
	v_fma_mix_f32 v13, v182, v13, -v14 op_sel_hi:[1,0,0]
	v_mul_i32_i24_e32 v14, v19, v225
	s_delay_alu instid0(VALU_DEP_2) | instskip(SKIP_1) | instid1(VALU_DEP_1)
	v_fmac_f32_e32 v32, v20, v13
	v_mul_i32_i24_e32 v13, v17, v224
	v_mad_i32_i24 v13, v18, v51, v13
	s_delay_alu instid0(VALU_DEP_1) | instskip(SKIP_2) | instid1(VALU_DEP_1)
	v_add3_u32 v13, v13, v14, v15
	v_mul_i32_i24_e32 v14, v22, v226
	v_mul_i32_i24_e32 v15, v23, v227
	v_add3_u32 v13, v13, v14, v15
	v_mul_i32_i24_e32 v14, v83, v230
	v_mul_i32_i24_e32 v15, v84, v232
	s_delay_alu instid0(VALU_DEP_3) | instskip(SKIP_2) | instid1(VALU_DEP_3)
	v_add3_u32 v13, v13, v114, v115
	v_mul_i32_i24_e32 v114, v85, v233
	v_mul_i32_i24_e32 v115, v86, v235
	v_add3_u32 v13, v13, v14, v15
	v_mul_i32_i24_e32 v14, v87, v234
	v_mul_i32_i24_e32 v15, v88, v236
	s_delay_alu instid0(VALU_DEP_3) | instskip(SKIP_2) | instid1(VALU_DEP_3)
	v_add3_u32 v13, v13, v114, v115
	v_mul_i32_i24_e32 v114, v89, v237
	v_mul_i32_i24_e32 v115, v90, v238
	v_add3_u32 v13, v13, v14, v15
	v_mul_i32_i24_e32 v14, v91, v241
	v_mul_i32_i24_e32 v15, v93, v242
	s_delay_alu instid0(VALU_DEP_3) | instskip(SKIP_1) | instid1(VALU_DEP_4)
	v_add3_u32 v13, v13, v114, v115
	v_mul_i32_i24_e32 v114, v94, v245
	v_mad_i32_i24 v14, v92, v240, v14
	v_mul_i32_i24_e32 v115, v97, v246
	s_delay_alu instid0(VALU_DEP_4) | instskip(NEXT) | instid1(VALU_DEP_3)
	v_mul_lo_u32 v13, v13, v239
	v_add3_u32 v14, v14, v15, v114
	v_mul_i32_i24_e32 v15, v95, v243
	v_mul_i32_i24_e32 v114, v96, v244
	s_delay_alu instid0(VALU_DEP_1) | instskip(SKIP_2) | instid1(VALU_DEP_3)
	v_add3_u32 v14, v14, v15, v114
	v_mul_i32_i24_e32 v15, v99, v247
	v_mul_i32_i24_e32 v114, v100, v249
	v_add3_u32 v14, v14, v115, v116
	v_mul_i32_i24_e32 v115, v101, v250
	v_mul_i32_i24_e32 v116, v102, v252
	s_delay_alu instid0(VALU_DEP_3) | instskip(SKIP_2) | instid1(VALU_DEP_3)
	v_add3_u32 v14, v14, v15, v114
	v_mul_i32_i24_e32 v15, v103, v251
	v_mul_i32_i24_e32 v114, v104, v253
	v_add3_u32 v14, v14, v115, v116
	v_mul_i32_i24_e32 v115, v105, v254
	v_mul_i32_i24_e32 v116, v16, v255
	s_delay_alu instid0(VALU_DEP_3) | instskip(SKIP_1) | instid1(VALU_DEP_2)
	v_add3_u32 v14, v14, v15, v114
	v_mul_i32_i24_e32 v15, v107, v49
	v_add3_u32 v114, v14, v115, v116
	v_mul_i32_i24_e32 v14, v106, v52
	v_mul_i32_i24_e32 v116, v109, v47
	;; [unrolled: 1-line block ×3, first 2 shown]
	s_delay_alu instid0(VALU_DEP_2) | instskip(SKIP_2) | instid1(VALU_DEP_3)
	v_add3_u32 v14, v117, v116, v14
	v_mul_i32_i24_e32 v116, v98, v214
	v_mul_i32_i24_e32 v117, v111, v178
	v_add3_u32 v115, v14, v15, v115
	v_mad_u64_u32 v[14:15], null, v114, v34, v[13:14]
	v_mul_i32_i24_e32 v15, v21, v191
	v_mul_i32_i24_e32 v114, v37, v192
	v_add3_u32 v117, v127, v117, v123
	s_delay_alu instid0(VALU_DEP_4) | instskip(SKIP_2) | instid1(VALU_DEP_2)
	v_cvt_f32_i32_e32 v13, v14
	v_cvt_f32_i32_e32 v14, v115
	v_mul_i32_i24_e32 v115, v82, v194
	v_mul_f32_e32 v14, v180, v14
	s_delay_alu instid0(VALU_DEP_1) | instskip(SKIP_1) | instid1(VALU_DEP_2)
	v_fma_mix_f32 v13, v138, v13, -v14 op_sel_hi:[1,0,0]
	v_mul_i32_i24_e32 v14, v19, v189
	v_fmac_f32_e32 v179, v20, v13
	v_mul_i32_i24_e32 v13, v17, v187
	s_delay_alu instid0(VALU_DEP_1) | instskip(NEXT) | instid1(VALU_DEP_1)
	v_mad_i32_i24 v13, v18, v185, v13
	v_add3_u32 v13, v13, v14, v15
	v_mul_i32_i24_e32 v14, v22, v39
	v_mul_i32_i24_e32 v15, v23, v190
	s_delay_alu instid0(VALU_DEP_1) | instskip(SKIP_2) | instid1(VALU_DEP_3)
	v_add3_u32 v13, v13, v14, v15
	v_mul_i32_i24_e32 v14, v83, v193
	v_mul_i32_i24_e32 v15, v84, v196
	v_add3_u32 v13, v13, v114, v115
	v_mul_i32_i24_e32 v114, v85, v197
	v_mul_i32_i24_e32 v115, v86, v199
	s_delay_alu instid0(VALU_DEP_3) | instskip(SKIP_2) | instid1(VALU_DEP_3)
	v_add3_u32 v13, v13, v14, v15
	v_mul_i32_i24_e32 v14, v87, v198
	v_mul_i32_i24_e32 v15, v88, v200
	v_add3_u32 v13, v13, v114, v115
	v_mul_i32_i24_e32 v114, v89, v202
	v_mul_i32_i24_e32 v115, v90, v203
	s_delay_alu instid0(VALU_DEP_3) | instskip(SKIP_2) | instid1(VALU_DEP_3)
	v_add3_u32 v13, v13, v14, v15
	v_mul_i32_i24_e32 v14, v91, v207
	v_mul_i32_i24_e32 v15, v93, v208
	v_add3_u32 v13, v13, v114, v115
	v_mul_i32_i24_e32 v114, v94, v211
	s_delay_alu instid0(VALU_DEP_4) | instskip(SKIP_1) | instid1(VALU_DEP_4)
	v_mad_i32_i24 v14, v92, v206, v14
	v_mul_i32_i24_e32 v115, v97, v212
	v_mul_lo_u32 v13, v13, v205
	s_delay_alu instid0(VALU_DEP_3) | instskip(SKIP_2) | instid1(VALU_DEP_1)
	v_add3_u32 v14, v14, v15, v114
	v_mul_i32_i24_e32 v15, v95, v209
	v_mul_i32_i24_e32 v114, v96, v210
	v_add3_u32 v14, v14, v15, v114
	v_mul_i32_i24_e32 v15, v99, v213
	v_mul_i32_i24_e32 v114, v100, v215
	s_delay_alu instid0(VALU_DEP_3) | instskip(SKIP_2) | instid1(VALU_DEP_3)
	v_add3_u32 v14, v14, v115, v116
	v_mul_i32_i24_e32 v115, v101, v216
	v_mul_i32_i24_e32 v116, v102, v218
	v_add3_u32 v14, v14, v15, v114
	v_mul_i32_i24_e32 v15, v103, v217
	v_mul_i32_i24_e32 v114, v104, v219
	s_delay_alu instid0(VALU_DEP_3) | instskip(SKIP_3) | instid1(VALU_DEP_4)
	v_add3_u32 v14, v14, v115, v116
	v_mul_i32_i24_e32 v115, v105, v220
	v_mul_i32_i24_e32 v116, v16, v221
	;; [unrolled: 1-line block ×3, first 2 shown]
	v_add3_u32 v14, v14, v15, v114
	v_mul_i32_i24_e32 v15, v107, v38
	s_delay_alu instid0(VALU_DEP_2) | instskip(SKIP_3) | instid1(VALU_DEP_2)
	v_add3_u32 v114, v14, v115, v116
	v_mul_i32_i24_e32 v14, v106, v186
	v_mul_i32_i24_e32 v116, v109, v183
	;; [unrolled: 1-line block ×3, first 2 shown]
	v_add3_u32 v14, v117, v116, v14
	s_delay_alu instid0(VALU_DEP_1) | instskip(SKIP_3) | instid1(VALU_DEP_3)
	v_add3_u32 v115, v14, v15, v115
	v_mad_u64_u32 v[14:15], null, v114, v136, v[13:14]
	v_mul_i32_i24_e32 v15, v21, v148
	v_mul_i32_i24_e32 v21, v112, v160
	v_cvt_f32_i32_e32 v13, v14
	v_cvt_f32_i32_e32 v14, v115
	s_delay_alu instid0(VALU_DEP_1) | instskip(NEXT) | instid1(VALU_DEP_1)
	v_mul_f32_e32 v14, v137, v14
	v_fma_mix_f32 v13, v131, v13, -v14 op_sel_hi:[1,0,0]
	v_mul_i32_i24_e32 v14, v19, v145
	v_mul_i32_i24_e32 v19, v98, v168
	s_delay_alu instid0(VALU_DEP_3) | instskip(SKIP_2) | instid1(VALU_DEP_2)
	v_fmac_f32_e32 v30, v20, v13
	v_mul_i32_i24_e32 v13, v17, v144
	v_mul_i32_i24_e32 v17, v37, v149
	v_mad_i32_i24 v13, v18, v142, v13
	v_mul_i32_i24_e32 v18, v82, v152
	s_delay_alu instid0(VALU_DEP_2) | instskip(SKIP_3) | instid1(VALU_DEP_2)
	v_add3_u32 v13, v13, v14, v15
	v_mul_i32_i24_e32 v14, v22, v146
	v_mul_i32_i24_e32 v15, v23, v147
	;; [unrolled: 1-line block ×3, first 2 shown]
	v_add3_u32 v13, v13, v14, v15
	v_mul_i32_i24_e32 v14, v83, v150
	v_mul_i32_i24_e32 v15, v84, v153
	s_delay_alu instid0(VALU_DEP_4) | instskip(NEXT) | instid1(VALU_DEP_4)
	v_mad_i32_i24 v22, v110, v157, v22
	v_add3_u32 v13, v13, v17, v18
	v_mul_i32_i24_e32 v17, v85, v134
	v_mul_i32_i24_e32 v18, v86, v133
	s_delay_alu instid0(VALU_DEP_3) | instskip(SKIP_2) | instid1(VALU_DEP_3)
	v_add3_u32 v13, v13, v14, v15
	v_mul_i32_i24_e32 v14, v87, v135
	v_mul_i32_i24_e32 v15, v88, v156
	v_add3_u32 v13, v13, v17, v18
	v_mul_i32_i24_e32 v17, v89, v158
	v_mul_i32_i24_e32 v18, v90, v129
	s_delay_alu instid0(VALU_DEP_3) | instskip(SKIP_2) | instid1(VALU_DEP_3)
	v_add3_u32 v13, v13, v14, v15
	v_mul_i32_i24_e32 v14, v91, v27
	v_mul_i32_i24_e32 v15, v93, v163
	v_add3_u32 v13, v13, v17, v18
	v_mul_i32_i24_e32 v17, v94, v166
	s_delay_alu instid0(VALU_DEP_4) | instskip(SKIP_1) | instid1(VALU_DEP_4)
	v_mad_i32_i24 v14, v92, v162, v14
	v_mul_i32_i24_e32 v18, v97, v167
	v_mul_lo_u32 v13, v13, v26
	s_delay_alu instid0(VALU_DEP_3) | instskip(SKIP_2) | instid1(VALU_DEP_1)
	v_add3_u32 v14, v14, v15, v17
	v_mul_i32_i24_e32 v15, v95, v165
	v_mul_i32_i24_e32 v17, v96, v164
	v_add3_u32 v14, v14, v15, v17
	v_mul_i32_i24_e32 v15, v99, v169
	v_mul_i32_i24_e32 v17, v100, v170
	s_delay_alu instid0(VALU_DEP_3) | instskip(SKIP_2) | instid1(VALU_DEP_3)
	v_add3_u32 v14, v14, v18, v19
	v_mul_i32_i24_e32 v18, v101, v171
	v_mul_i32_i24_e32 v19, v102, v173
	v_add3_u32 v14, v14, v15, v17
	v_mul_i32_i24_e32 v15, v103, v172
	v_mul_i32_i24_e32 v17, v104, v174
	s_delay_alu instid0(VALU_DEP_3) | instskip(SKIP_2) | instid1(VALU_DEP_3)
	v_add3_u32 v14, v14, v18, v19
	v_mul_i32_i24_e32 v18, v105, v175
	v_mul_i32_i24_e32 v19, v111, v161
	v_add3_u32 v14, v14, v15, v17
	v_mul_i32_i24_e32 v15, v107, v141
	s_delay_alu instid0(VALU_DEP_3) | instskip(SKIP_1) | instid1(VALU_DEP_4)
	v_add3_u32 v19, v22, v19, v21
	v_mul_i32_i24_e32 v17, v108, v140
	v_add3_u32 v16, v14, v18, v16
	v_mul_i32_i24_e32 v14, v106, v143
	v_mul_i32_i24_e32 v18, v109, v139
	s_delay_alu instid0(VALU_DEP_1) | instskip(NEXT) | instid1(VALU_DEP_1)
	v_add3_u32 v14, v19, v18, v14
	v_add3_u32 v17, v14, v15, v17
	v_mad_u64_u32 v[14:15], null, v16, v25, v[13:14]
	s_delay_alu instid0(VALU_DEP_1) | instskip(NEXT) | instid1(VALU_DEP_3)
	v_cvt_f32_i32_e32 v13, v14
	v_cvt_f32_i32_e32 v14, v17
	s_delay_alu instid0(VALU_DEP_1) | instskip(NEXT) | instid1(VALU_DEP_1)
	v_mul_f32_e32 v14, v24, v14
	v_fma_mix_f32 v13, v126, v13, -v14 op_sel_hi:[1,0,0]
	s_delay_alu instid0(VALU_DEP_1)
	v_fmac_f32_e32 v29, v20, v13
	ds_load_2addr_b32 v[19:20], v125 offset0:192 offset1:224
	ds_load_b128 v[13:16], v124 offset:6144
	v_add_nc_u32_e32 v125, 4, v125
	s_waitcnt lgkmcnt(0)
	v_bfe_i32 v17, v13, 0, 8
	v_bfe_i32 v18, v13, 8, 8
	v_bfe_i32 v21, v13, 16, 8
	v_ashrrev_i32_e32 v22, 24, v13
	v_bfe_i32 v23, v14, 0, 8
	v_bfe_i32 v37, v14, 8, 8
	v_bfe_i32 v82, v14, 16, 8
	v_ashrrev_i32_e32 v83, 24, v14
	;; [unrolled: 4-line block ×4, first 2 shown]
	ds_load_b128 v[13:16], v124 offset:6160
	v_mul_i32_i24_e32 v115, v82, v10
	v_mul_i32_i24_e32 v116, v83, v12
	s_waitcnt lgkmcnt(0)
	v_ashrrev_i32_e32 v95, 24, v13
	v_ashrrev_i32_e32 v99, 24, v14
	v_bfe_i32 v92, v13, 0, 8
	v_bfe_i32 v93, v13, 8, 8
	;; [unrolled: 1-line block ×4, first 2 shown]
	v_add_nc_u32_e32 v13, v99, v95
	v_ashrrev_i32_e32 v103, 24, v15
	v_bfe_i32 v104, v16, 0, 8
	v_bfe_i32 v105, v16, 8, 8
	;; [unrolled: 1-line block ×3, first 2 shown]
	v_ashrrev_i32_e32 v16, 24, v16
	v_bfe_i32 v97, v14, 8, 8
	v_bfe_i32 v102, v15, 16, 8
	;; [unrolled: 1-line block ×4, first 2 shown]
	v_add3_u32 v107, v13, v103, v16
	v_add_nc_u32_e32 v13, v98, v94
	v_bfe_i32 v100, v15, 0, 8
	v_mul_i32_i24_e32 v14, v21, v6
	v_mul_i32_i24_e32 v15, v22, v9
	;; [unrolled: 1-line block ×3, first 2 shown]
	v_add3_u32 v108, v13, v102, v106
	v_add_nc_u32_e32 v13, v97, v93
	s_delay_alu instid0(VALU_DEP_1) | instskip(SKIP_1) | instid1(VALU_DEP_1)
	v_add3_u32 v109, v13, v101, v105
	v_add_nc_u32_e32 v13, v96, v92
	v_add3_u32 v110, v13, v100, v104
	v_add_nc_u32_e32 v13, v83, v22
	s_delay_alu instid0(VALU_DEP_1) | instskip(SKIP_1) | instid1(VALU_DEP_1)
	v_add3_u32 v111, v13, v87, v91
	v_add_nc_u32_e32 v13, v82, v21
	v_add3_u32 v112, v13, v86, v90
	v_add_nc_u32_e32 v13, v37, v18
	s_delay_alu instid0(VALU_DEP_2) | instskip(NEXT) | instid1(VALU_DEP_2)
	v_mul_i32_i24_e32 v123, v112, v54
	v_add3_u32 v113, v13, v85, v89
	v_add_nc_u32_e32 v13, v23, v17
	s_delay_alu instid0(VALU_DEP_2) | instskip(NEXT) | instid1(VALU_DEP_2)
	v_mul_i32_i24_e32 v127, v113, v53
	v_add3_u32 v114, v13, v84, v88
	v_mul_i32_i24_e32 v13, v17, v5
	s_delay_alu instid0(VALU_DEP_2) | instskip(NEXT) | instid1(VALU_DEP_2)
	v_mul_i32_i24_e32 v128, v114, v195
	v_mad_i32_i24 v13, v18, v3, v13
	s_delay_alu instid0(VALU_DEP_2) | instskip(NEXT) | instid1(VALU_DEP_2)
	v_mad_i32_i24 v128, v111, v201, v128
	v_add3_u32 v13, v13, v14, v15
	v_mul_i32_i24_e32 v14, v23, v7
	v_mul_i32_i24_e32 v15, v37, v8
	s_delay_alu instid0(VALU_DEP_4) | instskip(SKIP_2) | instid1(VALU_DEP_4)
	v_add3_u32 v123, v128, v123, v127
	v_mul_i32_i24_e32 v128, v114, v151
	v_mul_i32_i24_e32 v127, v113, v222
	v_add3_u32 v13, v13, v14, v15
	v_mul_i32_i24_e32 v14, v84, v11
	v_mul_i32_i24_e32 v15, v85, v44
	v_mad_i32_i24 v128, v111, v155, v128
	s_delay_alu instid0(VALU_DEP_4) | instskip(SKIP_2) | instid1(VALU_DEP_3)
	v_add3_u32 v13, v13, v115, v116
	v_mul_i32_i24_e32 v115, v86, v56
	v_mul_i32_i24_e32 v116, v87, v58
	v_add3_u32 v13, v13, v14, v15
	v_mul_i32_i24_e32 v14, v88, v57
	v_mul_i32_i24_e32 v15, v89, v59
	s_delay_alu instid0(VALU_DEP_3) | instskip(SKIP_2) | instid1(VALU_DEP_3)
	v_add3_u32 v13, v13, v115, v116
	v_mul_i32_i24_e32 v115, v90, v61
	v_mul_i32_i24_e32 v116, v91, v62
	v_add3_u32 v13, v13, v14, v15
	v_mul_i32_i24_e32 v14, v92, v71
	v_mul_i32_i24_e32 v15, v94, v72
	s_delay_alu instid0(VALU_DEP_3) | instskip(SKIP_1) | instid1(VALU_DEP_4)
	v_add3_u32 v13, v13, v115, v116
	v_mul_i32_i24_e32 v115, v95, v75
	v_mad_i32_i24 v14, v93, v64, v14
	v_mul_i32_i24_e32 v116, v98, v77
	s_delay_alu instid0(VALU_DEP_4) | instskip(NEXT) | instid1(VALU_DEP_3)
	v_mul_lo_u32 v13, v13, v63
	v_add3_u32 v14, v14, v15, v115
	v_mul_i32_i24_e32 v15, v96, v73
	v_mul_i32_i24_e32 v115, v97, v74
	s_delay_alu instid0(VALU_DEP_1) | instskip(SKIP_2) | instid1(VALU_DEP_3)
	v_add3_u32 v14, v14, v15, v115
	v_mul_i32_i24_e32 v15, v100, v78
	v_mul_i32_i24_e32 v115, v101, v80
	v_add3_u32 v14, v14, v116, v117
	v_mul_i32_i24_e32 v116, v102, v81
	v_mul_i32_i24_e32 v117, v103, v119
	s_delay_alu instid0(VALU_DEP_3) | instskip(SKIP_2) | instid1(VALU_DEP_3)
	v_add3_u32 v14, v14, v15, v115
	v_mul_i32_i24_e32 v15, v104, v118
	v_mul_i32_i24_e32 v115, v105, v120
	v_add3_u32 v14, v14, v116, v117
	v_mul_i32_i24_e32 v116, v106, v121
	v_mul_i32_i24_e32 v117, v16, v122
	s_delay_alu instid0(VALU_DEP_3) | instskip(SKIP_1) | instid1(VALU_DEP_2)
	v_add3_u32 v14, v14, v15, v115
	v_mul_i32_i24_e32 v15, v108, v2
	v_add3_u32 v115, v14, v116, v117
	v_mul_i32_i24_e32 v14, v107, v4
	v_mul_i32_i24_e32 v117, v110, v0
	;; [unrolled: 1-line block ×3, first 2 shown]
	s_delay_alu instid0(VALU_DEP_2) | instskip(SKIP_2) | instid1(VALU_DEP_3)
	v_add3_u32 v14, v123, v117, v14
	v_mul_i32_i24_e32 v117, v99, v248
	v_mul_i32_i24_e32 v123, v112, v223
	v_add3_u32 v116, v14, v15, v116
	v_mad_u64_u32 v[14:15], null, v115, v36, v[13:14]
	v_mul_i32_i24_e32 v15, v22, v228
	v_mul_i32_i24_e32 v115, v82, v229
	v_add3_u32 v123, v128, v123, v127
	v_mul_i32_i24_e32 v128, v114, v132
	v_mul_i32_i24_e32 v127, v113, v31
	v_cvt_f32_i32_e32 v13, v14
	v_cvt_f32_i32_e32 v14, v116
	v_mul_i32_i24_e32 v116, v83, v231
	v_mad_i32_i24 v128, v111, v159, v128
	s_delay_alu instid0(VALU_DEP_3) | instskip(NEXT) | instid1(VALU_DEP_1)
	v_mul_f32_e32 v14, v46, v14
	v_fma_mix_f32 v13, v182, v13, -v14 op_sel_hi:[1,0,0]
	v_mul_i32_i24_e32 v14, v21, v225
	s_delay_alu instid0(VALU_DEP_2) | instskip(SKIP_1) | instid1(VALU_DEP_1)
	v_fmac_f32_e32 v28, v19, v13
	v_mul_i32_i24_e32 v13, v17, v224
	v_mad_i32_i24 v13, v18, v51, v13
	s_delay_alu instid0(VALU_DEP_1) | instskip(SKIP_2) | instid1(VALU_DEP_1)
	v_add3_u32 v13, v13, v14, v15
	v_mul_i32_i24_e32 v14, v23, v226
	v_mul_i32_i24_e32 v15, v37, v227
	v_add3_u32 v13, v13, v14, v15
	v_mul_i32_i24_e32 v14, v84, v230
	v_mul_i32_i24_e32 v15, v85, v232
	s_delay_alu instid0(VALU_DEP_3) | instskip(SKIP_2) | instid1(VALU_DEP_3)
	v_add3_u32 v13, v13, v115, v116
	v_mul_i32_i24_e32 v115, v86, v233
	v_mul_i32_i24_e32 v116, v87, v235
	v_add3_u32 v13, v13, v14, v15
	v_mul_i32_i24_e32 v14, v88, v234
	v_mul_i32_i24_e32 v15, v89, v236
	s_delay_alu instid0(VALU_DEP_3) | instskip(SKIP_2) | instid1(VALU_DEP_3)
	v_add3_u32 v13, v13, v115, v116
	v_mul_i32_i24_e32 v115, v90, v237
	v_mul_i32_i24_e32 v116, v91, v238
	v_add3_u32 v13, v13, v14, v15
	v_mul_i32_i24_e32 v14, v92, v241
	v_mul_i32_i24_e32 v15, v94, v242
	s_delay_alu instid0(VALU_DEP_3) | instskip(SKIP_1) | instid1(VALU_DEP_4)
	v_add3_u32 v13, v13, v115, v116
	v_mul_i32_i24_e32 v115, v95, v245
	v_mad_i32_i24 v14, v93, v240, v14
	v_mul_i32_i24_e32 v116, v98, v246
	s_delay_alu instid0(VALU_DEP_4) | instskip(NEXT) | instid1(VALU_DEP_3)
	v_mul_lo_u32 v13, v13, v239
	v_add3_u32 v14, v14, v15, v115
	v_mul_i32_i24_e32 v15, v96, v243
	v_mul_i32_i24_e32 v115, v97, v244
	s_delay_alu instid0(VALU_DEP_1) | instskip(SKIP_2) | instid1(VALU_DEP_3)
	v_add3_u32 v14, v14, v15, v115
	v_mul_i32_i24_e32 v15, v100, v247
	v_mul_i32_i24_e32 v115, v101, v249
	v_add3_u32 v14, v14, v116, v117
	v_mul_i32_i24_e32 v116, v102, v250
	v_mul_i32_i24_e32 v117, v103, v252
	s_delay_alu instid0(VALU_DEP_3) | instskip(SKIP_2) | instid1(VALU_DEP_3)
	v_add3_u32 v14, v14, v15, v115
	v_mul_i32_i24_e32 v15, v104, v251
	v_mul_i32_i24_e32 v115, v105, v253
	v_add3_u32 v14, v14, v116, v117
	v_mul_i32_i24_e32 v116, v106, v254
	v_mul_i32_i24_e32 v117, v16, v255
	s_delay_alu instid0(VALU_DEP_3) | instskip(SKIP_1) | instid1(VALU_DEP_2)
	v_add3_u32 v14, v14, v15, v115
	v_mul_i32_i24_e32 v15, v108, v49
	v_add3_u32 v115, v14, v116, v117
	v_mul_i32_i24_e32 v14, v107, v52
	v_mul_i32_i24_e32 v117, v110, v47
	;; [unrolled: 1-line block ×3, first 2 shown]
	s_delay_alu instid0(VALU_DEP_2) | instskip(SKIP_2) | instid1(VALU_DEP_3)
	v_add3_u32 v14, v123, v117, v14
	v_mul_i32_i24_e32 v123, v112, v178
	v_mul_i32_i24_e32 v117, v99, v214
	v_add3_u32 v116, v14, v15, v116
	s_delay_alu instid0(VALU_DEP_3) | instskip(SKIP_4) | instid1(VALU_DEP_3)
	v_add3_u32 v123, v128, v123, v127
	scratch_load_b32 v127, off, off offset:52 ; 4-byte Folded Reload
	v_mad_u64_u32 v[14:15], null, v115, v34, v[13:14]
	v_mul_i32_i24_e32 v15, v22, v191
	v_mul_i32_i24_e32 v115, v82, v192
	v_cvt_f32_i32_e32 v13, v14
	v_cvt_f32_i32_e32 v14, v116
	v_mul_i32_i24_e32 v116, v83, v194
	s_delay_alu instid0(VALU_DEP_2) | instskip(NEXT) | instid1(VALU_DEP_1)
	v_mul_f32_e32 v14, v180, v14
	v_fma_mix_f32 v13, v138, v13, -v14 op_sel_hi:[1,0,0]
	v_mul_i32_i24_e32 v14, v21, v189
	s_delay_alu instid0(VALU_DEP_2) | instskip(SKIP_1) | instid1(VALU_DEP_1)
	v_fmac_f32_e32 v177, v19, v13
	v_mul_i32_i24_e32 v13, v17, v187
	v_mad_i32_i24 v13, v18, v185, v13
	s_delay_alu instid0(VALU_DEP_1) | instskip(SKIP_2) | instid1(VALU_DEP_1)
	v_add3_u32 v13, v13, v14, v15
	v_mul_i32_i24_e32 v14, v23, v39
	v_mul_i32_i24_e32 v15, v37, v190
	v_add3_u32 v13, v13, v14, v15
	v_mul_i32_i24_e32 v14, v84, v193
	v_mul_i32_i24_e32 v15, v85, v196
	s_delay_alu instid0(VALU_DEP_3) | instskip(SKIP_2) | instid1(VALU_DEP_3)
	v_add3_u32 v13, v13, v115, v116
	v_mul_i32_i24_e32 v115, v86, v197
	v_mul_i32_i24_e32 v116, v87, v199
	v_add3_u32 v13, v13, v14, v15
	v_mul_i32_i24_e32 v14, v88, v198
	v_mul_i32_i24_e32 v15, v89, v200
	s_delay_alu instid0(VALU_DEP_3) | instskip(SKIP_2) | instid1(VALU_DEP_3)
	v_add3_u32 v13, v13, v115, v116
	v_mul_i32_i24_e32 v115, v90, v202
	v_mul_i32_i24_e32 v116, v91, v203
	v_add3_u32 v13, v13, v14, v15
	v_mul_i32_i24_e32 v14, v92, v207
	v_mul_i32_i24_e32 v15, v94, v208
	s_delay_alu instid0(VALU_DEP_3) | instskip(SKIP_1) | instid1(VALU_DEP_4)
	v_add3_u32 v13, v13, v115, v116
	v_mul_i32_i24_e32 v115, v95, v211
	v_mad_i32_i24 v14, v93, v206, v14
	v_mul_i32_i24_e32 v116, v98, v212
	s_delay_alu instid0(VALU_DEP_4) | instskip(NEXT) | instid1(VALU_DEP_3)
	v_mul_lo_u32 v13, v13, v205
	v_add3_u32 v14, v14, v15, v115
	v_mul_i32_i24_e32 v15, v96, v209
	v_mul_i32_i24_e32 v115, v97, v210
	s_delay_alu instid0(VALU_DEP_1) | instskip(SKIP_2) | instid1(VALU_DEP_3)
	v_add3_u32 v14, v14, v15, v115
	v_mul_i32_i24_e32 v15, v100, v213
	v_mul_i32_i24_e32 v115, v101, v215
	v_add3_u32 v14, v14, v116, v117
	v_mul_i32_i24_e32 v116, v102, v216
	v_mul_i32_i24_e32 v117, v103, v218
	s_delay_alu instid0(VALU_DEP_3) | instskip(SKIP_2) | instid1(VALU_DEP_3)
	v_add3_u32 v14, v14, v15, v115
	v_mul_i32_i24_e32 v15, v104, v217
	v_mul_i32_i24_e32 v115, v105, v219
	v_add3_u32 v14, v14, v116, v117
	v_mul_i32_i24_e32 v116, v106, v220
	v_mul_i32_i24_e32 v117, v16, v221
	;; [unrolled: 1-line block ×3, first 2 shown]
	s_delay_alu instid0(VALU_DEP_4) | instskip(SKIP_1) | instid1(VALU_DEP_2)
	v_add3_u32 v14, v14, v15, v115
	v_mul_i32_i24_e32 v15, v108, v38
	v_add3_u32 v115, v14, v116, v117
	v_mul_i32_i24_e32 v14, v107, v186
	v_mul_i32_i24_e32 v117, v110, v183
	;; [unrolled: 1-line block ×3, first 2 shown]
	s_delay_alu instid0(VALU_DEP_2) | instskip(NEXT) | instid1(VALU_DEP_1)
	v_add3_u32 v14, v123, v117, v14
	v_add3_u32 v116, v14, v15, v116
	v_mad_u64_u32 v[14:15], null, v115, v136, v[13:14]
	v_mul_i32_i24_e32 v15, v22, v148
	v_mul_i32_i24_e32 v22, v113, v160
	s_delay_alu instid0(VALU_DEP_3) | instskip(SKIP_1) | instid1(VALU_DEP_1)
	v_cvt_f32_i32_e32 v13, v14
	v_cvt_f32_i32_e32 v14, v116
	v_mul_f32_e32 v14, v137, v14
	s_delay_alu instid0(VALU_DEP_1) | instskip(SKIP_3) | instid1(VALU_DEP_3)
	v_fma_mix_f32 v13, v131, v13, -v14 op_sel_hi:[1,0,0]
	v_mul_i32_i24_e32 v14, v21, v145
	v_mul_i32_i24_e32 v21, v99, v168
	s_waitcnt vmcnt(0)
	v_fmac_f32_e32 v127, v19, v13
	v_mul_i32_i24_e32 v13, v17, v144
	v_mul_i32_i24_e32 v17, v82, v149
	s_delay_alu instid0(VALU_DEP_2) | instskip(SKIP_1) | instid1(VALU_DEP_2)
	v_mad_i32_i24 v13, v18, v142, v13
	v_mul_i32_i24_e32 v18, v83, v152
	v_add3_u32 v13, v13, v14, v15
	v_mul_i32_i24_e32 v14, v23, v146
	v_mul_i32_i24_e32 v15, v37, v147
	;; [unrolled: 1-line block ×3, first 2 shown]
	s_delay_alu instid0(VALU_DEP_2) | instskip(SKIP_2) | instid1(VALU_DEP_4)
	v_add3_u32 v13, v13, v14, v15
	v_mul_i32_i24_e32 v14, v84, v150
	v_mul_i32_i24_e32 v15, v85, v153
	v_mad_i32_i24 v23, v111, v157, v23
	s_delay_alu instid0(VALU_DEP_4) | instskip(SKIP_2) | instid1(VALU_DEP_3)
	v_add3_u32 v13, v13, v17, v18
	v_mul_i32_i24_e32 v17, v86, v134
	v_mul_i32_i24_e32 v18, v87, v133
	v_add3_u32 v13, v13, v14, v15
	v_mul_i32_i24_e32 v14, v88, v135
	v_mul_i32_i24_e32 v15, v89, v156
	s_delay_alu instid0(VALU_DEP_3) | instskip(SKIP_2) | instid1(VALU_DEP_3)
	v_add3_u32 v13, v13, v17, v18
	v_mul_i32_i24_e32 v17, v90, v158
	v_mul_i32_i24_e32 v18, v91, v129
	v_add3_u32 v13, v13, v14, v15
	v_mul_i32_i24_e32 v14, v92, v27
	v_mul_i32_i24_e32 v15, v94, v163
	s_delay_alu instid0(VALU_DEP_3) | instskip(SKIP_1) | instid1(VALU_DEP_4)
	v_add3_u32 v13, v13, v17, v18
	v_mul_i32_i24_e32 v17, v95, v166
	v_mad_i32_i24 v14, v93, v162, v14
	v_mul_i32_i24_e32 v18, v98, v167
	s_delay_alu instid0(VALU_DEP_4) | instskip(NEXT) | instid1(VALU_DEP_3)
	v_mul_lo_u32 v13, v13, v26
	v_add3_u32 v14, v14, v15, v17
	v_mul_i32_i24_e32 v15, v96, v165
	v_mul_i32_i24_e32 v17, v97, v164
	s_delay_alu instid0(VALU_DEP_1) | instskip(SKIP_2) | instid1(VALU_DEP_3)
	v_add3_u32 v14, v14, v15, v17
	v_mul_i32_i24_e32 v15, v100, v169
	v_mul_i32_i24_e32 v17, v101, v170
	v_add3_u32 v14, v14, v18, v21
	v_mul_i32_i24_e32 v18, v102, v171
	v_mul_i32_i24_e32 v21, v103, v173
	s_delay_alu instid0(VALU_DEP_3)
	v_add3_u32 v14, v14, v15, v17
	v_mul_i32_i24_e32 v15, v104, v172
	scratch_load_b32 v104, off, off offset:48 ; 4-byte Folded Reload
	v_mul_i32_i24_e32 v17, v105, v174
	v_add3_u32 v14, v14, v18, v21
	v_mul_i32_i24_e32 v21, v112, v161
	v_mul_i32_i24_e32 v18, v106, v175
	s_delay_alu instid0(VALU_DEP_3) | instskip(NEXT) | instid1(VALU_DEP_3)
	v_add3_u32 v14, v14, v15, v17
	v_add3_u32 v21, v23, v21, v22
	s_clause 0x1
	scratch_load_b32 v23, off, off offset:8
	scratch_load_b32 v22, off, off offset:4
	v_mul_i32_i24_e32 v15, v108, v141
	v_mul_i32_i24_e32 v17, v109, v140
	v_add3_u32 v16, v14, v18, v16
	v_mul_i32_i24_e32 v14, v107, v143
	v_mul_i32_i24_e32 v18, v110, v139
	ds_load_b128 v[97:100], v124 offset:7184
	v_add3_u32 v14, v21, v18, v14
	scratch_load_b32 v21, off, off          ; 4-byte Folded Reload
	v_add3_u32 v17, v14, v15, v17
	v_mad_u64_u32 v[14:15], null, v16, v25, v[13:14]
	s_delay_alu instid0(VALU_DEP_1) | instskip(NEXT) | instid1(VALU_DEP_3)
	v_cvt_f32_i32_e32 v13, v14
	v_cvt_f32_i32_e32 v14, v17
	s_waitcnt lgkmcnt(0)
	v_bfe_i32 v111, v97, 0, 8
	v_bfe_i32 v123, v97, 8, 8
	;; [unrolled: 1-line block ×3, first 2 shown]
	v_ashrrev_i32_e32 v115, 24, v97
	v_mul_f32_e32 v14, v24, v14
	v_bfe_i32 v17, v98, 8, 8
	v_bfe_i32 v109, v98, 16, 8
	v_ashrrev_i32_e32 v110, 24, v98
	v_bfe_i32 v37, v99, 0, 8
	v_fma_mix_f32 v13, v126, v13, -v14 op_sel_hi:[1,0,0]
	v_ashrrev_i32_e32 v113, 24, v99
	v_ashrrev_i32_e32 v116, 24, v100
	v_bfe_i32 v108, v99, 16, 8
	v_bfe_i32 v97, v100, 16, 8
	;; [unrolled: 1-line block ×4, first 2 shown]
	s_waitcnt vmcnt(3)
	v_fmac_f32_e32 v104, v19, v13
	ds_load_b128 v[13:16], v124 offset:7168
	v_add_nc_u32_e32 v124, 32, v124
	s_waitcnt lgkmcnt(0)
	v_bfe_i32 v92, v13, 0, 8
	v_bfe_i32 v87, v13, 8, 8
	;; [unrolled: 1-line block ×3, first 2 shown]
	v_ashrrev_i32_e32 v94, 24, v13
	v_bfe_i32 v88, v14, 0, 8
	v_mul_i32_i24_e32 v5, v92, v5
	v_bfe_i32 v89, v14, 8, 8
	v_mul_i32_i24_e32 v6, v93, v6
	v_mul_i32_i24_e32 v9, v94, v9
	v_bfe_i32 v90, v14, 16, 8
	v_mad_i32_i24 v3, v87, v3, v5
	v_ashrrev_i32_e32 v91, 24, v14
	v_mul_i32_i24_e32 v5, v88, v7
	v_bfe_i32 v83, v15, 0, 8
	v_bfe_i32 v84, v15, 8, 8
	v_add3_u32 v3, v3, v6, v9
	v_mul_i32_i24_e32 v6, v89, v8
	v_mul_i32_i24_e32 v7, v90, v10
	;; [unrolled: 1-line block ×3, first 2 shown]
	v_bfe_i32 v85, v15, 16, 8
	v_ashrrev_i32_e32 v86, 24, v15
	v_add3_u32 v3, v3, v5, v6
	v_mul_i32_i24_e32 v5, v83, v11
	v_mul_i32_i24_e32 v6, v84, v44
	v_bfe_i32 v14, v16, 0, 8
	v_bfe_i32 v15, v16, 8, 8
	v_add3_u32 v3, v3, v7, v8
	v_mul_i32_i24_e32 v7, v85, v56
	v_mul_i32_i24_e32 v8, v86, v58
	v_bfe_i32 v18, v16, 16, 8
	v_ashrrev_i32_e32 v82, 24, v16
	v_add3_u32 v3, v3, v5, v6
	v_add_nc_u32_e32 v19, v90, v93
	v_mul_i32_i24_e32 v5, v14, v57
	v_mul_i32_i24_e32 v6, v15, v59
	v_bfe_i32 v16, v98, 0, 8
	v_add3_u32 v3, v3, v7, v8
	v_add3_u32 v101, v19, v85, v18
	v_add_nc_u32_e32 v19, v89, v87
	v_mul_i32_i24_e32 v7, v18, v61
	v_mul_i32_i24_e32 v8, v82, v62
	v_add3_u32 v3, v3, v5, v6
	v_mul_i32_i24_e32 v5, v112, v72
	v_add3_u32 v102, v19, v84, v15
	v_add_nc_u32_e32 v19, v88, v92
	v_mul_i32_i24_e32 v6, v115, v75
	v_add3_u32 v3, v3, v7, v8
	v_bfe_i32 v98, v99, 8, 8
	v_add_nc_u32_e32 v13, v110, v115
	v_add3_u32 v103, v19, v83, v14
	v_mul_i32_i24_e32 v7, v109, v77
	v_mul_lo_u32 v19, v3, v63
	v_mul_i32_i24_e32 v3, v111, v71
	v_mul_i32_i24_e32 v8, v110, v79
	v_add3_u32 v114, v13, v113, v116
	v_add_nc_u32_e32 v13, v109, v112
	s_clause 0x1
	scratch_load_b32 v62, off, off offset:12
	scratch_load_b32 v63, off, off offset:16
	v_mad_i32_i24 v3, v123, v64, v3
	scratch_load_b32 v64, off, off offset:20 ; 4-byte Folded Reload
	v_add3_u32 v117, v13, v108, v97
	v_add_nc_u32_e32 v13, v17, v123
	v_mul_i32_i24_e32 v4, v114, v4
	v_add3_u32 v3, v3, v5, v6
	v_mul_i32_i24_e32 v5, v16, v73
	v_mul_i32_i24_e32 v6, v17, v74
	v_add3_u32 v99, v13, v98, v96
	v_add_nc_u32_e32 v13, v16, v111
	v_mul_i32_i24_e32 v2, v117, v2
	s_delay_alu instid0(VALU_DEP_4)
	v_add3_u32 v3, v3, v5, v6
	v_mul_i32_i24_e32 v5, v37, v78
	v_mul_i32_i24_e32 v6, v98, v80
	v_add3_u32 v100, v13, v37, v95
	v_add_nc_u32_e32 v13, v91, v94
	v_add3_u32 v3, v3, v7, v8
	v_mul_i32_i24_e32 v7, v108, v81
	v_mul_i32_i24_e32 v8, v113, v119
	;; [unrolled: 1-line block ×3, first 2 shown]
	v_add3_u32 v13, v13, v86, v82
	v_add3_u32 v3, v3, v5, v6
	v_mul_i32_i24_e32 v5, v95, v118
	v_mul_i32_i24_e32 v6, v96, v120
	;; [unrolled: 1-line block ×3, first 2 shown]
	s_delay_alu instid0(VALU_DEP_4) | instskip(SKIP_2) | instid1(VALU_DEP_3)
	v_add3_u32 v3, v3, v7, v8
	v_mul_i32_i24_e32 v7, v97, v121
	v_mul_i32_i24_e32 v8, v116, v122
	v_add3_u32 v3, v3, v5, v6
	v_mul_i32_i24_e32 v5, v101, v54
	v_mul_i32_i24_e32 v6, v102, v53
	s_delay_alu instid0(VALU_DEP_3) | instskip(SKIP_2) | instid1(VALU_DEP_2)
	v_add3_u32 v3, v3, v7, v8
	v_mul_i32_i24_e32 v7, v103, v195
	v_mul_i32_i24_e32 v8, v103, v151
	v_mad_i32_i24 v7, v13, v201, v7
	s_delay_alu instid0(VALU_DEP_2) | instskip(NEXT) | instid1(VALU_DEP_2)
	v_mad_i32_i24 v8, v13, v155, v8
	v_add3_u32 v5, v7, v5, v6
	v_mul_i32_i24_e32 v6, v101, v223
	v_mul_i32_i24_e32 v7, v102, v222
	s_delay_alu instid0(VALU_DEP_3) | instskip(SKIP_2) | instid1(VALU_DEP_4)
	v_add3_u32 v0, v5, v0, v4
	v_mul_i32_i24_e32 v4, v91, v231
	v_mul_i32_i24_e32 v5, v110, v248
	v_add3_u32 v6, v8, v6, v7
	v_mul_i32_i24_e32 v8, v103, v132
	v_add3_u32 v2, v0, v2, v1
	v_mad_u64_u32 v[0:1], null, v3, v36, v[19:20]
	v_mul_i32_i24_e32 v3, v90, v229
	v_mul_i32_i24_e32 v7, v102, v31
	s_delay_alu instid0(VALU_DEP_4) | instskip(SKIP_3) | instid1(VALU_DEP_4)
	v_cvt_f32_i32_e32 v1, v2
	v_mul_i32_i24_e32 v2, v94, v228
	v_mad_i32_i24 v8, v13, v159, v8
	v_cvt_f32_i32_e32 v0, v0
	v_mul_f32_e32 v1, v46, v1
	s_delay_alu instid0(VALU_DEP_1) | instskip(SKIP_1) | instid1(VALU_DEP_2)
	v_fma_mix_f32 v0, v182, v0, -v1 op_sel_hi:[1,0,0]
	v_mul_i32_i24_e32 v1, v93, v225
	v_fmac_f32_e32 v154, v20, v0
	v_mul_i32_i24_e32 v0, v92, v224
	s_delay_alu instid0(VALU_DEP_1) | instskip(NEXT) | instid1(VALU_DEP_1)
	v_mad_i32_i24 v0, v87, v51, v0
	v_add3_u32 v0, v0, v1, v2
	v_mul_i32_i24_e32 v1, v88, v226
	v_mul_i32_i24_e32 v2, v89, v227
	s_delay_alu instid0(VALU_DEP_1) | instskip(SKIP_2) | instid1(VALU_DEP_3)
	v_add3_u32 v0, v0, v1, v2
	v_mul_i32_i24_e32 v1, v83, v230
	v_mul_i32_i24_e32 v2, v84, v232
	v_add3_u32 v0, v0, v3, v4
	v_mul_i32_i24_e32 v3, v85, v233
	v_mul_i32_i24_e32 v4, v86, v235
	s_delay_alu instid0(VALU_DEP_3) | instskip(SKIP_2) | instid1(VALU_DEP_3)
	v_add3_u32 v0, v0, v1, v2
	v_mul_i32_i24_e32 v1, v14, v234
	v_mul_i32_i24_e32 v2, v15, v236
	v_add3_u32 v0, v0, v3, v4
	v_mul_i32_i24_e32 v3, v18, v237
	v_mul_i32_i24_e32 v4, v82, v238
	s_delay_alu instid0(VALU_DEP_3) | instskip(SKIP_2) | instid1(VALU_DEP_3)
	v_add3_u32 v0, v0, v1, v2
	v_mul_i32_i24_e32 v1, v111, v241
	v_mul_i32_i24_e32 v2, v112, v242
	v_add3_u32 v0, v0, v3, v4
	v_mul_i32_i24_e32 v3, v115, v245
	s_delay_alu instid0(VALU_DEP_4) | instskip(SKIP_1) | instid1(VALU_DEP_4)
	v_mad_i32_i24 v1, v123, v240, v1
	v_mul_i32_i24_e32 v4, v109, v246
	v_mul_lo_u32 v0, v0, v239
	s_delay_alu instid0(VALU_DEP_3) | instskip(SKIP_2) | instid1(VALU_DEP_1)
	v_add3_u32 v1, v1, v2, v3
	v_mul_i32_i24_e32 v2, v16, v243
	v_mul_i32_i24_e32 v3, v17, v244
	v_add3_u32 v1, v1, v2, v3
	v_mul_i32_i24_e32 v2, v37, v247
	v_mul_i32_i24_e32 v3, v98, v249
	s_delay_alu instid0(VALU_DEP_3) | instskip(SKIP_2) | instid1(VALU_DEP_3)
	v_add3_u32 v1, v1, v4, v5
	v_mul_i32_i24_e32 v4, v108, v250
	v_mul_i32_i24_e32 v5, v113, v252
	v_add3_u32 v1, v1, v2, v3
	v_mul_i32_i24_e32 v2, v95, v251
	v_mul_i32_i24_e32 v3, v96, v253
	s_delay_alu instid0(VALU_DEP_3) | instskip(SKIP_2) | instid1(VALU_DEP_3)
	v_add3_u32 v1, v1, v4, v5
	v_mul_i32_i24_e32 v4, v97, v254
	v_mul_i32_i24_e32 v5, v116, v255
	v_add3_u32 v1, v1, v2, v3
	v_mul_i32_i24_e32 v2, v117, v49
	s_delay_alu instid0(VALU_DEP_2) | instskip(SKIP_3) | instid1(VALU_DEP_2)
	v_add3_u32 v3, v1, v4, v5
	v_mul_i32_i24_e32 v1, v114, v52
	v_mul_i32_i24_e32 v5, v100, v47
	;; [unrolled: 1-line block ×3, first 2 shown]
	v_add3_u32 v1, v6, v5, v1
	v_mul_i32_i24_e32 v5, v110, v214
	v_mul_i32_i24_e32 v6, v101, v178
	s_delay_alu instid0(VALU_DEP_3)
	v_add3_u32 v4, v1, v2, v4
	v_mad_u64_u32 v[1:2], null, v3, v34, v[0:1]
	v_mul_i32_i24_e32 v2, v94, v191
	v_mul_i32_i24_e32 v3, v90, v192
	v_add3_u32 v6, v8, v6, v7
	v_mul_i32_i24_e32 v7, v103, v130
	v_cvt_f32_i32_e32 v0, v1
	v_cvt_f32_i32_e32 v1, v4
	v_mul_i32_i24_e32 v4, v91, v194
	s_delay_alu instid0(VALU_DEP_4) | instskip(NEXT) | instid1(VALU_DEP_3)
	v_mad_i32_i24 v7, v13, v157, v7
	v_mul_f32_e32 v1, v180, v1
	s_delay_alu instid0(VALU_DEP_1) | instskip(SKIP_2) | instid1(VALU_DEP_2)
	v_fma_mix_f32 v0, v138, v0, -v1 op_sel_hi:[1,0,0]
	v_mul_i32_i24_e32 v1, v93, v189
	s_waitcnt vmcnt(5)
	v_fmac_f32_e32 v23, v20, v0
	v_mul_i32_i24_e32 v0, v92, v187
	s_delay_alu instid0(VALU_DEP_1) | instskip(NEXT) | instid1(VALU_DEP_1)
	v_mad_i32_i24 v0, v87, v185, v0
	v_add3_u32 v0, v0, v1, v2
	v_mul_i32_i24_e32 v1, v88, v39
	v_mul_i32_i24_e32 v2, v89, v190
	s_delay_alu instid0(VALU_DEP_1) | instskip(SKIP_2) | instid1(VALU_DEP_3)
	v_add3_u32 v0, v0, v1, v2
	v_mul_i32_i24_e32 v1, v83, v193
	v_mul_i32_i24_e32 v2, v84, v196
	v_add3_u32 v0, v0, v3, v4
	v_mul_i32_i24_e32 v3, v85, v197
	v_mul_i32_i24_e32 v4, v86, v199
	s_delay_alu instid0(VALU_DEP_3) | instskip(SKIP_2) | instid1(VALU_DEP_3)
	v_add3_u32 v0, v0, v1, v2
	v_mul_i32_i24_e32 v1, v14, v198
	v_mul_i32_i24_e32 v2, v15, v200
	v_add3_u32 v0, v0, v3, v4
	v_mul_i32_i24_e32 v3, v18, v202
	v_mul_i32_i24_e32 v4, v82, v203
	s_delay_alu instid0(VALU_DEP_3) | instskip(SKIP_2) | instid1(VALU_DEP_3)
	v_add3_u32 v0, v0, v1, v2
	v_mul_i32_i24_e32 v1, v111, v207
	v_mul_i32_i24_e32 v2, v112, v208
	v_add3_u32 v0, v0, v3, v4
	v_mul_i32_i24_e32 v3, v115, v211
	s_delay_alu instid0(VALU_DEP_4) | instskip(SKIP_1) | instid1(VALU_DEP_4)
	v_mad_i32_i24 v1, v123, v206, v1
	v_mul_i32_i24_e32 v4, v109, v212
	v_mul_lo_u32 v0, v0, v205
	s_delay_alu instid0(VALU_DEP_3) | instskip(SKIP_2) | instid1(VALU_DEP_1)
	v_add3_u32 v1, v1, v2, v3
	v_mul_i32_i24_e32 v2, v16, v209
	v_mul_i32_i24_e32 v3, v17, v210
	v_add3_u32 v1, v1, v2, v3
	v_mul_i32_i24_e32 v2, v37, v213
	v_mul_i32_i24_e32 v3, v98, v215
	s_delay_alu instid0(VALU_DEP_3) | instskip(SKIP_2) | instid1(VALU_DEP_3)
	v_add3_u32 v1, v1, v4, v5
	v_mul_i32_i24_e32 v4, v108, v216
	v_mul_i32_i24_e32 v5, v113, v218
	v_add3_u32 v1, v1, v2, v3
	v_mul_i32_i24_e32 v2, v95, v217
	v_mul_i32_i24_e32 v3, v96, v219
	s_delay_alu instid0(VALU_DEP_3) | instskip(SKIP_2) | instid1(VALU_DEP_3)
	v_add3_u32 v1, v1, v4, v5
	v_mul_i32_i24_e32 v4, v97, v220
	v_mul_i32_i24_e32 v5, v116, v221
	v_add3_u32 v1, v1, v2, v3
	v_mul_i32_i24_e32 v2, v117, v38
	s_delay_alu instid0(VALU_DEP_2) | instskip(SKIP_3) | instid1(VALU_DEP_2)
	v_add3_u32 v3, v1, v4, v5
	v_mul_i32_i24_e32 v1, v114, v186
	v_mul_i32_i24_e32 v5, v100, v183
	;; [unrolled: 1-line block ×3, first 2 shown]
	v_add3_u32 v1, v6, v5, v1
	v_mul_i32_i24_e32 v5, v101, v161
	v_mul_i32_i24_e32 v6, v102, v160
	s_delay_alu instid0(VALU_DEP_3)
	v_add3_u32 v4, v1, v2, v4
	v_mad_u64_u32 v[1:2], null, v3, v136, v[0:1]
	scratch_load_b32 v136, off, off offset:24 ; 4-byte Folded Reload
	v_mul_i32_i24_e32 v2, v94, v148
	v_mul_i32_i24_e32 v3, v90, v149
	v_add3_u32 v5, v7, v5, v6
	v_cvt_f32_i32_e32 v0, v1
	v_cvt_f32_i32_e32 v1, v4
	v_mul_i32_i24_e32 v4, v91, v152
	scratch_load_b32 v152, off, off offset:40 ; 4-byte Folded Reload
	v_mul_f32_e32 v1, v137, v1
	scratch_load_b32 v137, off, off offset:28 ; 4-byte Folded Reload
	v_fma_mix_f32 v0, v131, v0, -v1 op_sel_hi:[1,0,0]
	v_mul_i32_i24_e32 v1, v93, v145
	scratch_load_b32 v145, off, off offset:36 ; 4-byte Folded Reload
	s_waitcnt vmcnt(8)
	v_fmac_f32_e32 v22, v20, v0
	v_mul_i32_i24_e32 v0, v92, v144
	scratch_load_b32 v144, off, off offset:32 ; 4-byte Folded Reload
	v_mad_i32_i24 v0, v87, v142, v0
	s_delay_alu instid0(VALU_DEP_1) | instskip(SKIP_2) | instid1(VALU_DEP_1)
	v_add3_u32 v0, v0, v1, v2
	v_mul_i32_i24_e32 v1, v88, v146
	v_mul_i32_i24_e32 v2, v89, v147
	v_add3_u32 v0, v0, v1, v2
	v_mul_i32_i24_e32 v2, v84, v153
	scratch_load_b32 v153, off, off offset:44 ; 4-byte Folded Reload
	v_mul_i32_i24_e32 v1, v83, v150
	v_add3_u32 v0, v0, v3, v4
	v_mul_i32_i24_e32 v3, v85, v134
	v_mul_i32_i24_e32 v4, v86, v133
	s_delay_alu instid0(VALU_DEP_3) | instskip(SKIP_2) | instid1(VALU_DEP_3)
	v_add3_u32 v0, v0, v1, v2
	v_mul_i32_i24_e32 v1, v14, v135
	v_mul_i32_i24_e32 v2, v15, v156
	v_add3_u32 v0, v0, v3, v4
	v_mul_i32_i24_e32 v3, v18, v158
	v_mul_i32_i24_e32 v4, v82, v129
	s_delay_alu instid0(VALU_DEP_3) | instskip(SKIP_2) | instid1(VALU_DEP_3)
	v_add3_u32 v0, v0, v1, v2
	v_mul_i32_i24_e32 v1, v112, v163
	v_mul_i32_i24_e32 v2, v115, v166
	v_add3_u32 v0, v0, v3, v4
	v_mul_i32_i24_e32 v3, v109, v167
	v_mul_i32_i24_e32 v4, v110, v168
	s_delay_alu instid0(VALU_DEP_3) | instskip(SKIP_1) | instid1(VALU_DEP_1)
	v_mul_lo_u32 v19, v0, v26
	v_mul_i32_i24_e32 v0, v111, v27
	v_mad_i32_i24 v0, v123, v162, v0
	s_delay_alu instid0(VALU_DEP_1) | instskip(SKIP_2) | instid1(VALU_DEP_1)
	v_add3_u32 v0, v0, v1, v2
	v_mul_i32_i24_e32 v1, v16, v165
	v_mul_i32_i24_e32 v2, v17, v164
	v_add3_u32 v0, v0, v1, v2
	v_mul_i32_i24_e32 v1, v37, v169
	v_mul_i32_i24_e32 v2, v98, v170
	s_delay_alu instid0(VALU_DEP_3) | instskip(SKIP_2) | instid1(VALU_DEP_3)
	v_add3_u32 v0, v0, v3, v4
	v_mul_i32_i24_e32 v3, v108, v171
	v_mul_i32_i24_e32 v4, v113, v173
	v_add3_u32 v0, v0, v1, v2
	v_mul_i32_i24_e32 v1, v95, v172
	v_mul_i32_i24_e32 v2, v96, v174
	s_delay_alu instid0(VALU_DEP_3) | instskip(SKIP_2) | instid1(VALU_DEP_3)
	v_add3_u32 v0, v0, v3, v4
	v_mul_i32_i24_e32 v3, v97, v175
	v_mul_i32_i24_e32 v4, v116, v176
	v_add3_u32 v0, v0, v1, v2
	v_mul_i32_i24_e32 v1, v117, v141
	v_mul_i32_i24_e32 v2, v99, v140
	s_delay_alu instid0(VALU_DEP_3) | instskip(SKIP_2) | instid1(VALU_DEP_1)
	v_add3_u32 v0, v0, v3, v4
	v_mul_i32_i24_e32 v3, v114, v143
	v_mul_i32_i24_e32 v4, v100, v139
	v_add3_u32 v3, v5, v4, v3
	s_delay_alu instid0(VALU_DEP_1) | instskip(SKIP_1) | instid1(VALU_DEP_2)
	v_add3_u32 v1, v3, v1, v2
	v_mad_u64_u32 v[2:3], null, v0, v25, v[19:20]
	v_cvt_f32_i32_e32 v1, v1
	s_delay_alu instid0(VALU_DEP_2) | instskip(NEXT) | instid1(VALU_DEP_2)
	v_cvt_f32_i32_e32 v0, v2
	v_mul_f32_e32 v1, v24, v1
	s_delay_alu instid0(VALU_DEP_1) | instskip(SKIP_1) | instid1(VALU_DEP_1)
	v_fma_mix_f32 v0, v126, v0, -v1 op_sel_hi:[1,0,0]
	s_waitcnt vmcnt(9)
	v_fmac_f32_e32 v21, v20, v0
	s_cbranch_scc1 .LBB168_10
; %bb.11:                               ;   in Loop: Header=BB168_8 Depth=2
	scratch_load_b32 v0, off, off offset:96 ; 4-byte Folded Reload
	s_waitcnt vmcnt(0)
	s_waitcnt_vscnt null, 0x0
	s_barrier
	buffer_gl0_inv
	v_dual_mov_b32 v80, v154 :: v_dual_mov_b32 v149, v32
	v_mov_b32_e32 v146, v104
	v_mov_b32_e32 v162, v28
	v_dual_mov_b32 v150, v30 :: v_dual_mov_b32 v189, v188
	v_mov_b32_e32 v154, v33
	v_mov_b32_e32 v148, v181
	;; [unrolled: 1-line block ×3, first 2 shown]
	s_add_i32 s14, s14, 2
	scratch_load_b64 v[19:20], off, off offset:100 ; 8-byte Folded Reload
	v_mov_b32_e32 v147, v127
	s_lshl_b32 s17, s14, 3
	v_mov_b32_e32 v159, v177
	v_mov_b32_e32 v157, v29
	;; [unrolled: 1-line block ×3, first 2 shown]
	v_lshl_add_u32 v0, s16, 5, v0
	s_delay_alu instid0(VALU_DEP_1) | instskip(NEXT) | instid1(VALU_DEP_1)
	v_lshrrev_b32_e32 v0, 3, v0
	v_add_nc_u32_e32 v12, s7, v0
	scratch_load_b32 v0, off, off offset:92 ; 4-byte Folded Reload
	s_waitcnt vmcnt(0)
	v_lshl_add_u32 v13, s16, 2, v0
	scratch_load_b32 v0, off, off offset:112 ; 4-byte Folded Reload
	s_mov_b32 s16, 0
	s_waitcnt vmcnt(0)
	v_add_nc_u32_e32 v2, v12, v0
	scratch_load_b32 v0, off, off offset:120 ; 4-byte Folded Reload
	s_waitcnt vmcnt(0)
	v_add_nc_u32_e32 v4, v12, v0
	scratch_load_b32 v0, off, off offset:128 ; 4-byte Folded Reload
	;; [unrolled: 3-line block ×4, first 2 shown]
	s_waitcnt vmcnt(0)
	v_add_nc_u32_e32 v10, v12, v0
	v_mad_i64_i32 v[0:1], null, v2, 36, v[19:20]
	v_mad_i64_i32 v[2:3], null, v4, 36, v[19:20]
	;; [unrolled: 1-line block ×5, first 2 shown]
	scratch_load_b32 v10, off, off offset:152 ; 4-byte Folded Reload
	s_waitcnt vmcnt(0)
	v_add_nc_u32_e32 v14, v12, v10
	scratch_load_b32 v10, off, off offset:160 ; 4-byte Folded Reload
	s_waitcnt vmcnt(0)
	v_add_nc_u32_e32 v16, v12, v10
	v_mad_u64_u32 v[10:11], null, v13, 36, s[2:3]
	scratch_load_b32 v13, off, off offset:168 ; 4-byte Folded Reload
	s_waitcnt vmcnt(0)
	v_add_nc_u32_e32 v18, v12, v13
	v_mad_i64_i32 v[12:13], null, v14, 36, v[19:20]
	v_mad_i64_i32 v[14:15], null, v16, 36, v[19:20]
	s_delay_alu instid0(VALU_DEP_3)
	v_mad_i64_i32 v[16:17], null, v18, 36, v[19:20]
	s_clause 0x8
	global_load_b32 v10, v[10:11], off
	global_load_b32 v2, v[2:3], off offset:4
	global_load_b32 v3, v[4:5], off offset:4
	;; [unrolled: 1-line block ×8, first 2 shown]
	s_clause 0x2
	scratch_load_b32 v124, off, off offset:180
	scratch_load_b32 v125, off, off offset:176
	;; [unrolled: 1-line block ×3, first 2 shown]
	s_waitcnt vmcnt(11)
	v_cvt_f32_f16_e32 v1, v10
	s_waitcnt vmcnt(0)
	ds_store_b32 v9, v2
	scratch_load_b32 v2, off, off offset:132 ; 4-byte Folded Reload
	s_waitcnt vmcnt(0)
	ds_store_b32 v2, v3
	scratch_load_b32 v2, off, off offset:140 ; 4-byte Folded Reload
	s_waitcnt vmcnt(0)
	ds_store_b32 v2, v4
	scratch_load_b32 v2, off, off offset:148 ; 4-byte Folded Reload
	s_waitcnt vmcnt(0)
	ds_store_b32 v2, v5
	scratch_load_b32 v2, off, off offset:156 ; 4-byte Folded Reload
	s_waitcnt vmcnt(0)
	ds_store_b32 v2, v6
	scratch_load_b32 v2, off, off offset:164 ; 4-byte Folded Reload
	s_waitcnt vmcnt(0)
	ds_store_b32 v2, v7
	scratch_load_b32 v2, off, off offset:172 ; 4-byte Folded Reload
	s_waitcnt vmcnt(0)
	ds_store_b32 v2, v8
	scratch_load_b32 v2, off, off offset:116 ; 4-byte Folded Reload
	s_waitcnt vmcnt(0)
	ds_store_b32 v2, v0
	scratch_load_b32 v0, off, off offset:108 ; 4-byte Folded Reload
	s_waitcnt vmcnt(0)
	ds_store_b32 v0, v1
	s_waitcnt lgkmcnt(0)
	s_barrier
	buffer_gl0_inv
.LBB168_12:                             ;   Parent Loop BB168_6 Depth=1
                                        ;     Parent Loop BB168_8 Depth=2
                                        ; =>    This Inner Loop Header: Depth=3
	s_clause 0x3
	scratch_store_b32 off, v80, off offset:48
	scratch_store_b32 off, v23, off offset:8
	;; [unrolled: 1-line block ×3, first 2 shown]
	scratch_store_b32 off, v21, off
	ds_load_2addr_b32 v[19:20], v125 offset1:32
	ds_load_b128 v[0:3], v124
	ds_load_b128 v[4:7], v124 offset:16
	s_add_i32 s18, s13, s16
	v_add_nc_u32_e32 v115, s16, v63
	s_add_i32 s20, s18, 8
	s_and_b32 s18, s15, -16
	s_and_b32 s19, s20, 0x3ffffff8
	s_lshr_b32 s20, s20, 2
	s_lshl_b32 s19, s19, 2
	s_and_b32 s20, s20, 0x3ffffffc
	s_add_i32 s15, s15, 2
	s_waitcnt lgkmcnt(1)
	v_bfe_i32 v21, v0, 0, 8
	s_waitcnt lgkmcnt(0)
	v_ashrrev_i32_e32 v100, 24, v4
	v_ashrrev_i32_e32 v103, 24, v5
	v_bfe_i32 v22, v0, 8, 8
	v_bfe_i32 v23, v0, 16, 8
	v_ashrrev_i32_e32 v84, 24, v0
	v_bfe_i32 v99, v4, 16, 8
	v_bfe_i32 v102, v5, 16, 8
	v_ashrrev_i32_e32 v107, 24, v6
	v_ashrrev_i32_e32 v111, 24, v7
	v_add_nc_u32_e32 v0, v103, v100
	v_bfe_i32 v98, v4, 8, 8
	v_bfe_i32 v101, v5, 8, 8
	;; [unrolled: 1-line block ×4, first 2 shown]
	v_add3_u32 v15, v0, v107, v111
	v_add_nc_u32_e32 v0, v102, v99
	v_bfe_i32 v97, v4, 0, 8
	v_bfe_i32 v13, v5, 0, 8
	;; [unrolled: 1-line block ×4, first 2 shown]
	v_add3_u32 v16, v0, v106, v110
	v_add_nc_u32_e32 v0, v101, v98
	v_ashrrev_i32_e32 v88, 24, v1
	v_bfe_i32 v104, v6, 0, 8
	v_bfe_i32 v108, v7, 0, 8
	;; [unrolled: 1-line block ×3, first 2 shown]
	v_add3_u32 v17, v0, v105, v109
	v_add_nc_u32_e32 v0, v13, v97
	v_ashrrev_i32_e32 v92, 24, v2
	v_ashrrev_i32_e32 v96, 24, v3
	v_bfe_i32 v86, v1, 8, 8
	v_bfe_i32 v91, v2, 16, 8
	v_add3_u32 v14, v0, v104, v108
	v_add_nc_u32_e32 v0, v88, v84
	v_bfe_i32 v95, v3, 16, 8
	v_bfe_i32 v85, v1, 0, 8
	;; [unrolled: 1-line block ×4, first 2 shown]
	v_add3_u32 v18, v0, v92, v96
	v_add_nc_u32_e32 v0, v87, v23
	v_bfe_i32 v89, v2, 0, 8
	v_bfe_i32 v93, v3, 0, 8
	v_add_nc_u32_e32 v2, s19, v62
	s_delay_alu instid0(VALU_DEP_4) | instskip(SKIP_1) | instid1(VALU_DEP_1)
	v_add3_u32 v112, v0, v91, v95
	v_add_nc_u32_e32 v0, v86, v22
	v_add3_u32 v113, v0, v90, v94
	v_add_nc_u32_e32 v0, v85, v21
	s_delay_alu instid0(VALU_DEP_1)
	v_add3_u32 v114, v0, v89, v93
	ds_load_2addr_b32 v[0:1], v2 offset1:1
	s_waitcnt lgkmcnt(0)
	v_ashrrev_i32_e32 v3, s16, v0
	v_ashrrev_i32_e32 v4, s16, v1
	ds_load_2addr_b32 v[0:1], v2 offset0:2 offset1:3
	v_and_b32_e32 v62, 3, v3
	v_bfe_u32 v59, v3, 8, 2
	v_bfe_u32 v63, v3, 16, 2
	;; [unrolled: 1-line block ×5, first 2 shown]
	v_mul_i32_i24_e32 v10, v59, v22
	v_mul_i32_i24_e32 v11, v63, v23
	;; [unrolled: 1-line block ×4, first 2 shown]
	v_bfe_u32 v77, v4, 24, 2
	v_mul_i32_i24_e32 v37, v74, v87
	s_waitcnt lgkmcnt(0)
	v_ashrrev_i32_e32 v5, s16, v0
	v_ashrrev_i32_e32 v6, s16, v1
	ds_load_2addr_b32 v[0:1], v2 offset0:4 offset1:5
	v_and_b32_e32 v75, 3, v5
	v_and_b32_e32 v80, 3, v6
	v_bfe_u32 v78, v5, 8, 2
	v_bfe_u32 v79, v5, 16, 2
	v_bfe_u32 v81, v5, 24, 2
	v_mul_i32_i24_e32 v44, v75, v89
	v_mul_i32_i24_e32 v48, v80, v93
	;; [unrolled: 1-line block ×4, first 2 shown]
	v_bfe_u32 v118, v6, 8, 2
	v_mul_i32_i24_e32 v5, v81, v92
	v_bfe_u32 v119, v6, 16, 2
	v_bfe_u32 v120, v6, 24, 2
	s_delay_alu instid0(VALU_DEP_4) | instskip(NEXT) | instid1(VALU_DEP_3)
	v_mul_i32_i24_e32 v49, v118, v94
	v_mul_i32_i24_e32 v51, v119, v95
	s_waitcnt lgkmcnt(0)
	v_ashrrev_i32_e32 v7, s16, v0
	v_ashrrev_i32_e32 v8, s16, v1
	ds_load_2addr_b32 v[0:1], v2 offset0:6 offset1:7
	v_mul_i32_i24_e32 v6, v120, v96
	v_bfe_u32 v122, v7, 8, 2
	v_bfe_u32 v72, v7, 16, 2
	s_waitcnt lgkmcnt(0)
	v_ashrrev_i32_e32 v9, s16, v0
	scratch_load_b32 v0, off, off offset:88 ; 4-byte Folded Reload
	v_ashrrev_i32_e32 v12, s16, v1
	v_add_nc_u32_e32 v1, s20, v64
	v_and_b32_e32 v64, 3, v4
	v_mul_i32_i24_e32 v4, v77, v88
	s_waitcnt vmcnt(0)
	v_add3_u32 v0, v0, s18, v115
	ds_load_b32 v182, v1
	ds_load_u16 v0, v0
	s_waitcnt lgkmcnt(0)
	v_bfe_u32 v195, v0, 4, 4
	v_lshrrev_b16 v1, 8, v0
	v_and_b32_e32 v121, 15, v0
	s_delay_alu instid0(VALU_DEP_3) | instskip(NEXT) | instid1(VALU_DEP_1)
	v_mul_lo_u32 v2, 0x1010101, v195
	v_bfe_i32 v53, v2, 8, 8
	v_bfe_i32 v54, v2, 16, 8
	v_lshrrev_b32_e32 v202, 24, v2
	v_mul_i32_i24_e32 v2, v62, v21
	s_delay_alu instid0(VALU_DEP_1) | instskip(NEXT) | instid1(VALU_DEP_1)
	v_mad_i32_i24 v2, v64, v85, v2
	v_add3_u32 v2, v2, v44, v10
	v_and_b32_e32 v44, 3, v7
	v_bfe_u32 v10, v12, 8, 2
	s_delay_alu instid0(VALU_DEP_3) | instskip(SKIP_1) | instid1(VALU_DEP_3)
	v_add3_u32 v2, v2, v11, v3
	v_bfe_u32 v3, v8, 16, 2
	v_mul_i32_i24_e32 v127, v10, v109
	v_bfe_u32 v11, v12, 16, 2
	s_delay_alu instid0(VALU_DEP_4) | instskip(SKIP_2) | instid1(VALU_DEP_4)
	v_add3_u32 v2, v2, v48, v36
	v_mul_i32_i24_e32 v48, v72, v99
	v_mul_i32_i24_e32 v52, v3, v102
	;; [unrolled: 1-line block ×3, first 2 shown]
	s_delay_alu instid0(VALU_DEP_4) | instskip(SKIP_3) | instid1(VALU_DEP_4)
	v_add3_u32 v2, v2, v37, v4
	v_and_b32_e32 v37, 0xffff, v1
	v_and_b32_e32 v4, 3, v9
	v_bfe_u32 v1, v8, 8, 2
	v_add3_u32 v2, v2, v46, v47
	s_delay_alu instid0(VALU_DEP_4)
	v_lshrrev_b32_e32 v56, 4, v37
	v_mul_i32_i24_e32 v46, v44, v97
	v_mul_i32_i24_e32 v47, v122, v98
	;; [unrolled: 1-line block ×3, first 2 shown]
	v_add3_u32 v2, v2, v5, v49
	v_mul_lo_u32 v0, 0x1010101, v56
	v_bfe_u32 v5, v8, 24, 2
	v_and_b32_e32 v224, 15, v37
                                        ; kill: def $vgpr37 killed $sgpr0 killed $exec
	s_delay_alu instid0(VALU_DEP_4) | instskip(SKIP_1) | instid1(VALU_DEP_4)
	v_add3_u32 v2, v2, v51, v6
	v_mul_i32_i24_e32 v51, v1, v101
	v_mul_i32_i24_e32 v82, v5, v103
	v_bfe_u32 v6, v9, 8, 2
	v_bfe_i32 v57, v0, 8, 8
	v_bfe_i32 v58, v0, 16, 8
	v_lshrrev_b32_e32 v61, 24, v0
	v_and_b32_e32 v0, 3, v8
	v_mul_lo_u32 v36, v2, v121
	v_bfe_u32 v2, v7, 24, 2
	v_and_b32_e32 v8, 3, v12
	v_bfe_u32 v7, v9, 16, 2
	v_mad_i32_i24 v46, v0, v13, v46
	v_mul_i32_i24_e32 v116, v6, v105
	v_mul_i32_i24_e32 v49, v2, v100
	;; [unrolled: 1-line block ×4, first 2 shown]
	v_add3_u32 v46, v46, v83, v47
	v_bfe_u32 v9, v9, 24, 2
	v_bfe_u32 v12, v12, 24, 2
	v_mul_i32_i24_e32 v83, v195, v114
	v_mul_i32_i24_e32 v47, v16, v58
	v_add3_u32 v46, v46, v48, v49
	v_mul_i32_i24_e32 v123, v9, v107
	v_mul_i32_i24_e32 v129, v12, v111
	v_mad_i32_i24 v83, v56, v14, v83
	v_mul_i32_i24_e32 v49, v17, v57
	v_add3_u32 v46, v46, v126, v51
	v_mul_i32_i24_e32 v51, v18, v202
	s_delay_alu instid0(VALU_DEP_2) | instskip(SKIP_2) | instid1(VALU_DEP_3)
	v_add3_u32 v46, v46, v52, v82
	v_mul_i32_i24_e32 v52, v112, v54
	v_mul_i32_i24_e32 v82, v113, v53
	v_add3_u32 v46, v46, v116, v117
	s_delay_alu instid0(VALU_DEP_3) | instskip(NEXT) | instid1(VALU_DEP_2)
	v_add3_u32 v51, v83, v51, v52
	v_add3_u32 v46, v46, v123, v127
	s_delay_alu instid0(VALU_DEP_1) | instskip(SKIP_1) | instid1(VALU_DEP_1)
	v_add3_u32 v48, v46, v128, v129
	v_mul_i32_i24_e32 v46, v15, v61
	v_add3_u32 v46, v51, v82, v46
	s_delay_alu instid0(VALU_DEP_1) | instskip(NEXT) | instid1(VALU_DEP_4)
	v_add3_u32 v49, v46, v47, v49
	v_mad_u64_u32 v[46:47], null, v48, v224, v[36:37]
	v_lshrrev_b32_e32 v36, 16, v182
	s_delay_alu instid0(VALU_DEP_3) | instskip(NEXT) | instid1(VALU_DEP_2)
	v_cvt_f32_i32_e32 v37, v49
	v_cvt_f32_f16_e64 v225, v36
	s_delay_alu instid0(VALU_DEP_4) | instskip(NEXT) | instid1(VALU_DEP_2)
	v_cvt_f32_i32_e32 v36, v46
	v_dual_mul_f32 v37, v225, v37 :: v_dual_add_nc_u32 v46, s19, v136
	s_delay_alu instid0(VALU_DEP_1) | instskip(NEXT) | instid1(VALU_DEP_1)
	v_fma_mix_f32 v36, v182, v36, -v37 op_sel_hi:[1,0,0]
	v_fmac_f32_e32 v204, v19, v36
	ds_load_2addr_b32 v[36:37], v46 offset1:1
	scratch_store_b32 off, v204, off offset:52 ; 4-byte Folded Spill
	s_waitcnt lgkmcnt(0)
	v_ashrrev_i32_e32 v47, s16, v36
	v_ashrrev_i32_e32 v48, s16, v37
	ds_load_2addr_b32 v[36:37], v46 offset0:2 offset1:3
	v_and_b32_e32 v231, 3, v47
	v_bfe_u32 v229, v47, 8, 2
	v_and_b32_e32 v233, 3, v48
	v_bfe_u32 v232, v47, 16, 2
	v_bfe_u32 v235, v47, 24, 2
	;; [unrolled: 1-line block ×3, first 2 shown]
	v_mul_i32_i24_e32 v117, v229, v22
	v_bfe_u32 v236, v48, 16, 2
	v_mul_i32_i24_e32 v123, v232, v23
	v_mul_i32_i24_e32 v47, v235, v84
	;; [unrolled: 1-line block ×3, first 2 shown]
	v_bfe_u32 v238, v48, 24, 2
	v_mul_i32_i24_e32 v127, v236, v87
	s_delay_alu instid0(VALU_DEP_2)
	v_mul_i32_i24_e32 v48, v238, v88
	s_waitcnt lgkmcnt(0)
	v_ashrrev_i32_e32 v49, s16, v36
	v_ashrrev_i32_e32 v51, s16, v37
	ds_load_2addr_b32 v[36:37], v46 offset0:4 offset1:5
	v_and_b32_e32 v237, 3, v49
	v_and_b32_e32 v241, 3, v51
	v_bfe_u32 v239, v49, 8, 2
	v_bfe_u32 v240, v49, 16, 2
	;; [unrolled: 1-line block ×3, first 2 shown]
	v_mul_i32_i24_e32 v128, v237, v89
	v_mul_i32_i24_e32 v131, v241, v93
	;; [unrolled: 1-line block ×4, first 2 shown]
	v_bfe_u32 v243, v51, 8, 2
	v_mul_i32_i24_e32 v49, v242, v92
	v_bfe_u32 v244, v51, 16, 2
	v_bfe_u32 v245, v51, 24, 2
	s_delay_alu instid0(VALU_DEP_4) | instskip(NEXT) | instid1(VALU_DEP_3)
	v_mul_i32_i24_e32 v132, v243, v94
	v_mul_i32_i24_e32 v133, v244, v95
	s_waitcnt lgkmcnt(0)
	v_ashrrev_i32_e32 v52, s16, v36
	v_ashrrev_i32_e32 v82, s16, v37
	ds_load_2addr_b32 v[36:37], v46 offset0:6 offset1:7
	v_mul_i32_i24_e32 v51, v245, v96
	v_and_b32_e32 v248, 3, v52
	v_bfe_u32 v247, v52, 8, 2
	v_and_b32_e32 v250, 3, v82
	v_bfe_u32 v249, v52, 16, 2
	v_bfe_u32 v252, v52, 24, 2
	;; [unrolled: 1-line block ×5, first 2 shown]
	s_delay_alu instid0(VALU_DEP_1)
	v_mul_i32_i24_e32 v82, v255, v103
	s_waitcnt lgkmcnt(0)
	v_ashrrev_i32_e32 v46, s16, v36
	scratch_load_b32 v36, off, off offset:84 ; 4-byte Folded Reload
	v_ashrrev_i32_e32 v83, s16, v37
	v_add_nc_u32_e32 v37, s20, v137
	v_and_b32_e32 v254, 3, v46
	s_delay_alu instid0(VALU_DEP_3)
	v_bfe_u32 v52, v83, 24, 2
	s_waitcnt vmcnt(0)
	v_add3_u32 v36, v36, s18, v115
	ds_load_b32 v138, v37
	ds_load_u16 v36, v36
	s_waitcnt lgkmcnt(0)
	v_bfe_u32 v151, v36, 4, 4
	v_lshrrev_b16 v116, 8, v36
	v_and_b32_e32 v246, 15, v36
	s_delay_alu instid0(VALU_DEP_3) | instskip(NEXT) | instid1(VALU_DEP_3)
	v_mul_lo_u32 v37, 0x1010101, v151
	v_and_b32_e32 v116, 0xffff, v116
	s_delay_alu instid0(VALU_DEP_1) | instskip(SKIP_1) | instid1(VALU_DEP_4)
	v_lshrrev_b32_e32 v226, 4, v116
	v_and_b32_e32 v35, 15, v116
	v_bfe_i32 v222, v37, 8, 8
	v_bfe_i32 v223, v37, 16, 8
	v_lshrrev_b32_e32 v176, 24, v37
	v_mul_i32_i24_e32 v37, v231, v21
	v_mul_lo_u32 v36, 0x1010101, v226
	s_delay_alu instid0(VALU_DEP_2) | instskip(NEXT) | instid1(VALU_DEP_2)
	v_mad_i32_i24 v37, v233, v85, v37
	v_bfe_i32 v227, v36, 8, 8
	s_delay_alu instid0(VALU_DEP_2)
	v_add3_u32 v37, v37, v128, v117
	v_mul_i32_i24_e32 v117, v248, v97
	v_bfe_i32 v228, v36, 16, 8
	v_lshrrev_b32_e32 v230, 24, v36
	v_bfe_u32 v36, v46, 8, 2
	v_add3_u32 v37, v37, v123, v47
	v_mul_i32_i24_e32 v123, v247, v98
	v_mad_i32_i24 v117, v250, v13, v117
	v_bfe_u32 v47, v46, 24, 2
	v_mul_i32_i24_e32 v128, v251, v101
	v_add3_u32 v37, v37, v131, v126
	v_mul_i32_i24_e32 v126, v249, v99
	v_mul_i32_i24_e32 v131, v36, v105
	s_delay_alu instid0(VALU_DEP_3) | instskip(SKIP_2) | instid1(VALU_DEP_3)
	v_add3_u32 v37, v37, v127, v48
	v_mul_i32_i24_e32 v127, v252, v100
	v_bfe_u32 v48, v83, 8, 2
	v_add3_u32 v37, v37, v129, v130
	v_mul_i32_i24_e32 v130, v254, v104
	v_mul_i32_i24_e32 v129, v253, v102
	s_delay_alu instid0(VALU_DEP_4) | instskip(NEXT) | instid1(VALU_DEP_4)
	v_mul_i32_i24_e32 v135, v48, v109
	v_add3_u32 v37, v37, v49, v132
	s_delay_alu instid0(VALU_DEP_4) | instskip(SKIP_2) | instid1(VALU_DEP_4)
	v_add3_u32 v117, v117, v130, v123
	v_bfe_u32 v49, v83, 16, 2
	v_mul_i32_i24_e32 v123, v17, v227
	v_add3_u32 v37, v37, v133, v51
	v_bfe_u32 v51, v46, 16, 2
	v_and_b32_e32 v46, 3, v83
	v_add3_u32 v117, v117, v126, v127
	v_mul_i32_i24_e32 v133, v47, v107
	v_mul_i32_i24_e32 v136, v49, v110
	;; [unrolled: 1-line block ×7, first 2 shown]
	v_mul_lo_u32 v37, v37, v246
	v_add3_u32 v117, v117, v134, v128
	v_mul_i32_i24_e32 v128, v113, v222
	s_delay_alu instid0(VALU_DEP_2) | instskip(SKIP_1) | instid1(VALU_DEP_2)
	v_add3_u32 v82, v117, v129, v82
	v_mul_i32_i24_e32 v129, v151, v114
	v_add3_u32 v82, v82, v131, v132
	s_delay_alu instid0(VALU_DEP_2) | instskip(NEXT) | instid1(VALU_DEP_2)
	v_mad_i32_i24 v129, v226, v14, v129
	v_add3_u32 v82, v82, v133, v135
	s_delay_alu instid0(VALU_DEP_2) | instskip(SKIP_1) | instid1(VALU_DEP_3)
	v_add3_u32 v126, v129, v126, v127
	v_add_nc_u32_e32 v129, s20, v145
	v_add3_u32 v117, v82, v136, v83
	v_mul_i32_i24_e32 v82, v15, v230
	v_mul_i32_i24_e32 v83, v16, v228
	s_delay_alu instid0(VALU_DEP_2) | instskip(NEXT) | instid1(VALU_DEP_1)
	v_add3_u32 v82, v126, v128, v82
	v_add3_u32 v123, v82, v83, v123
	v_mad_u64_u32 v[82:83], null, v117, v35, v[37:38]
	v_lshrrev_b32_e32 v37, 16, v138
	s_delay_alu instid0(VALU_DEP_1) | instskip(NEXT) | instid1(VALU_DEP_3)
	v_cvt_f32_f16_e32 v38, v37
	v_cvt_f32_i32_e32 v37, v82
	v_cvt_f32_i32_e32 v82, v123
	s_delay_alu instid0(VALU_DEP_1) | instskip(NEXT) | instid1(VALU_DEP_1)
	v_mul_f32_e32 v82, v38, v82
	v_fma_mix_f32 v37, v138, v37, -v82 op_sel_hi:[1,0,0]
	s_delay_alu instid0(VALU_DEP_1)
	v_dual_fmac_f32 v76, v19, v37 :: v_dual_add_nc_u32 v37, s19, v144
	ds_load_2addr_b32 v[82:83], v37 offset1:1
	s_waitcnt lgkmcnt(0)
	v_ashrrev_i32_e32 v116, s16, v82
	v_ashrrev_i32_e32 v117, s16, v83
	ds_load_2addr_b32 v[82:83], v37 offset0:2 offset1:3
	v_and_b32_e32 v190, 3, v116
	v_bfe_u32 v39, v116, 8, 2
	v_and_b32_e32 v28, 3, v117
	v_bfe_u32 v192, v116, 16, 2
	v_bfe_u32 v196, v116, 24, 2
	;; [unrolled: 1-line block ×3, first 2 shown]
	v_mul_i32_i24_e32 v134, v39, v22
	v_bfe_u32 v197, v117, 16, 2
	v_mul_i32_i24_e32 v135, v192, v23
	v_mul_i32_i24_e32 v116, v196, v84
	;; [unrolled: 1-line block ×3, first 2 shown]
	v_bfe_u32 v198, v117, 24, 2
	v_mul_i32_i24_e32 v137, v197, v87
	s_delay_alu instid0(VALU_DEP_2)
	v_mul_i32_i24_e32 v117, v198, v88
	s_waitcnt lgkmcnt(0)
	v_ashrrev_i32_e32 v123, s16, v82
	v_ashrrev_i32_e32 v126, s16, v83
	ds_load_2addr_b32 v[82:83], v37 offset0:4 offset1:5
	v_and_b32_e32 v194, 3, v123
	v_and_b32_e32 v201, 3, v126
	v_bfe_u32 v199, v123, 8, 2
	v_bfe_u32 v200, v123, 16, 2
	;; [unrolled: 1-line block ×3, first 2 shown]
	v_mul_i32_i24_e32 v139, v194, v89
	v_mul_i32_i24_e32 v142, v201, v93
	;; [unrolled: 1-line block ×4, first 2 shown]
	v_bfe_u32 v204, v126, 8, 2
	v_mul_i32_i24_e32 v123, v203, v92
	v_bfe_u32 v145, v126, 16, 2
	v_bfe_u32 v133, v126, 24, 2
	s_delay_alu instid0(VALU_DEP_4) | instskip(NEXT) | instid1(VALU_DEP_3)
	v_mul_i32_i24_e32 v143, v204, v94
	v_mul_i32_i24_e32 v144, v145, v95
	s_waitcnt lgkmcnt(0)
	v_ashrrev_i32_e32 v127, s16, v82
	v_ashrrev_i32_e32 v128, s16, v83
	ds_load_2addr_b32 v[82:83], v37 offset0:6 offset1:7
	scratch_load_b32 v37, off, off offset:80 ; 4-byte Folded Reload
	v_mul_i32_i24_e32 v126, v133, v96
	v_and_b32_e32 v207, 3, v127
	v_bfe_u32 v206, v127, 8, 2
	v_and_b32_e32 v209, 3, v128
	v_bfe_u32 v208, v127, 16, 2
	v_bfe_u32 v211, v127, 24, 2
	;; [unrolled: 1-line block ×5, first 2 shown]
	s_delay_alu instid0(VALU_DEP_4) | instskip(NEXT) | instid1(VALU_DEP_2)
	v_mul_i32_i24_e32 v127, v211, v100
	v_mul_i32_i24_e32 v128, v214, v103
	s_waitcnt lgkmcnt(0)
	v_ashrrev_i32_e32 v82, s16, v82
	v_ashrrev_i32_e32 v83, s16, v83
	s_delay_alu instid0(VALU_DEP_2) | instskip(NEXT) | instid1(VALU_DEP_2)
	v_and_b32_e32 v213, 3, v82
	v_and_b32_e32 v217, 3, v83
	v_bfe_u32 v215, v82, 8, 2
	v_bfe_u32 v216, v82, 16, 2
	;; [unrolled: 1-line block ×6, first 2 shown]
	s_delay_alu instid0(VALU_DEP_4) | instskip(NEXT) | instid1(VALU_DEP_2)
	v_mul_i32_i24_e32 v82, v218, v107
	v_mul_i32_i24_e32 v83, v221, v111
	s_waitcnt vmcnt(0)
	v_add3_u32 v37, v37, s18, v115
	ds_load_b32 v131, v129
	ds_load_u16 v37, v37
	s_waitcnt lgkmcnt(0)
	v_bfe_u32 v132, v37, 4, 4
	v_lshrrev_b16 v129, 8, v37
	v_and_b32_e32 v205, 15, v37
	s_delay_alu instid0(VALU_DEP_3) | instskip(NEXT) | instid1(VALU_DEP_1)
	v_mul_lo_u32 v130, 0x1010101, v132
	v_bfe_i32 v181, v130, 8, 8
	v_bfe_i32 v188, v130, 16, 8
	v_lshrrev_b32_e32 v158, 24, v130
	v_mul_i32_i24_e32 v130, v190, v21
	s_delay_alu instid0(VALU_DEP_1) | instskip(NEXT) | instid1(VALU_DEP_1)
	v_mad_i32_i24 v130, v28, v85, v130
	v_add3_u32 v130, v130, v139, v134
	v_mul_i32_i24_e32 v134, v213, v104
	v_mul_i32_i24_e32 v139, v219, v109
	s_delay_alu instid0(VALU_DEP_3) | instskip(SKIP_2) | instid1(VALU_DEP_3)
	v_add3_u32 v116, v130, v135, v116
	v_mul_i32_i24_e32 v130, v212, v102
	v_mul_i32_i24_e32 v135, v215, v105
	v_add3_u32 v116, v116, v142, v136
	v_mul_i32_i24_e32 v136, v216, v106
	s_delay_alu instid0(VALU_DEP_2) | instskip(SKIP_1) | instid1(VALU_DEP_2)
	v_add3_u32 v116, v116, v137, v117
	v_mul_i32_i24_e32 v137, v217, v108
	v_add3_u32 v116, v116, v140, v141
	v_mul_i32_i24_e32 v140, v220, v110
	s_delay_alu instid0(VALU_DEP_2) | instskip(SKIP_1) | instid1(VALU_DEP_2)
	v_add3_u32 v116, v116, v123, v143
	v_mul_i32_i24_e32 v123, v206, v98
	v_add3_u32 v116, v116, v144, v126
	v_mul_i32_i24_e32 v126, v208, v99
	s_delay_alu instid0(VALU_DEP_2) | instskip(SKIP_2) | instid1(VALU_DEP_2)
	v_mul_lo_u32 v37, v116, v205
	v_and_b32_e32 v116, 0xffff, v129
	v_mul_i32_i24_e32 v129, v210, v101
	v_lshrrev_b32_e32 v183, 4, v116
	s_delay_alu instid0(VALU_DEP_1) | instskip(NEXT) | instid1(VALU_DEP_1)
	v_mul_lo_u32 v117, 0x1010101, v183
	v_bfe_i32 v143, v117, 8, 8
	v_bfe_i32 v142, v117, 16, 8
	v_lshrrev_b32_e32 v141, 24, v117
	v_mul_i32_i24_e32 v117, v207, v97
	s_delay_alu instid0(VALU_DEP_1) | instskip(NEXT) | instid1(VALU_DEP_1)
	v_mad_i32_i24 v117, v209, v13, v117
	v_add3_u32 v117, v117, v134, v123
	v_mul_i32_i24_e32 v123, v17, v143
	s_delay_alu instid0(VALU_DEP_2) | instskip(SKIP_2) | instid1(VALU_DEP_3)
	v_add3_u32 v117, v117, v126, v127
	v_mul_i32_i24_e32 v126, v18, v158
	v_mul_i32_i24_e32 v127, v112, v188
	v_add3_u32 v117, v117, v137, v129
	v_mul_i32_i24_e32 v129, v132, v114
	s_delay_alu instid0(VALU_DEP_2) | instskip(NEXT) | instid1(VALU_DEP_2)
	v_add3_u32 v117, v117, v130, v128
	v_mad_i32_i24 v129, v183, v14, v129
	v_mul_i32_i24_e32 v128, v113, v181
	s_delay_alu instid0(VALU_DEP_3) | instskip(NEXT) | instid1(VALU_DEP_3)
	v_add3_u32 v117, v117, v135, v136
	v_add3_u32 v126, v129, v126, v127
	v_and_b32_e32 v136, 15, v116
	s_delay_alu instid0(VALU_DEP_3) | instskip(NEXT) | instid1(VALU_DEP_1)
	v_add3_u32 v82, v117, v82, v139
	v_add3_u32 v117, v82, v140, v83
	v_mul_i32_i24_e32 v82, v15, v141
	v_mul_i32_i24_e32 v83, v16, v142
	s_delay_alu instid0(VALU_DEP_2) | instskip(NEXT) | instid1(VALU_DEP_1)
	v_add3_u32 v82, v126, v128, v82
	v_add3_u32 v123, v82, v83, v123
	v_mad_u64_u32 v[82:83], null, v117, v136, v[37:38]
	v_lshrrev_b32_e32 v37, 16, v131
	s_delay_alu instid0(VALU_DEP_1) | instskip(NEXT) | instid1(VALU_DEP_3)
	v_cvt_f32_f16_e64 v137, v37
	v_cvt_f32_i32_e32 v37, v82
	v_cvt_f32_i32_e32 v82, v123
	s_delay_alu instid0(VALU_DEP_1) | instskip(NEXT) | instid1(VALU_DEP_1)
	v_mul_f32_e32 v82, v137, v82
	v_fma_mix_f32 v37, v131, v37, -v82 op_sel_hi:[1,0,0]
	s_delay_alu instid0(VALU_DEP_1)
	v_dual_fmac_f32 v70, v19, v37 :: v_dual_add_nc_u32 v37, s19, v152
	ds_load_2addr_b32 v[82:83], v37 offset1:1
	s_waitcnt lgkmcnt(0)
	v_ashrrev_i32_e32 v116, s16, v82
	v_ashrrev_i32_e32 v117, s16, v83
	ds_load_2addr_b32 v[82:83], v37 offset0:2 offset1:3
	v_and_b32_e32 v144, 3, v116
	v_bfe_u32 v25, v116, 8, 2
	v_and_b32_e32 v164, 3, v117
	v_bfe_u32 v179, v116, 16, 2
	v_bfe_u32 v167, v116, 24, 2
	v_mul_i32_i24_e32 v21, v144, v21
	v_mul_i32_i24_e32 v22, v25, v22
	v_bfe_u32 v166, v117, 8, 2
	v_mul_i32_i24_e32 v23, v179, v23
	v_mul_i32_i24_e32 v84, v167, v84
	v_mad_i32_i24 v21, v164, v85, v21
	v_bfe_u32 v168, v117, 16, 2
	v_mul_i32_i24_e32 v86, v166, v86
	v_bfe_u32 v152, v117, 24, 2
	s_delay_alu instid0(VALU_DEP_3)
	v_mul_i32_i24_e32 v87, v168, v87
	s_waitcnt lgkmcnt(0)
	v_ashrrev_i32_e32 v123, s16, v82
	v_ashrrev_i32_e32 v127, s16, v83
	ds_load_2addr_b32 v[82:83], v37 offset0:4 offset1:5
	v_mul_i32_i24_e32 v88, v152, v88
	v_and_b32_e32 v170, 3, v123
	v_and_b32_e32 v171, 3, v127
	v_bfe_u32 v172, v123, 16, 2
	v_bfe_u32 v174, v123, 24, 2
	;; [unrolled: 1-line block ×3, first 2 shown]
	v_mul_i32_i24_e32 v89, v170, v89
	v_mul_i32_i24_e32 v93, v171, v93
	;; [unrolled: 1-line block ×5, first 2 shown]
	v_add3_u32 v21, v21, v89, v22
	v_bfe_u32 v175, v127, 16, 2
	v_bfe_u32 v177, v127, 24, 2
	s_delay_alu instid0(VALU_DEP_3) | instskip(NEXT) | instid1(VALU_DEP_3)
	v_add3_u32 v21, v21, v23, v84
	v_mul_i32_i24_e32 v95, v175, v95
	s_waitcnt lgkmcnt(0)
	v_ashrrev_i32_e32 v128, s16, v82
	v_ashrrev_i32_e32 v169, s16, v83
	ds_load_2addr_b32 v[82:83], v37 offset0:6 offset1:7
	scratch_load_b32 v37, off, off offset:76 ; 4-byte Folded Reload
	v_add3_u32 v21, v21, v93, v86
	v_mul_i32_i24_e32 v96, v177, v96
	v_and_b32_e32 v30, 3, v128
	v_bfe_u32 v29, v128, 8, 2
	v_bfe_u32 v31, v128, 16, 2
	v_add3_u32 v21, v21, v87, v88
	v_bfe_u32 v34, v128, 24, 2
	v_bfe_u32 v178, v169, 8, 2
	v_mul_i32_i24_e32 v23, v29, v98
	v_mul_i32_i24_e32 v84, v31, v99
	v_bfe_u32 v33, v169, 16, 2
	v_mul_i32_i24_e32 v85, v34, v100
	v_mul_i32_i24_e32 v86, v178, v101
	v_bfe_u32 v186, v169, 24, 2
	s_delay_alu instid0(VALU_DEP_4)
	v_mul_i32_i24_e32 v87, v33, v102
	s_waitcnt lgkmcnt(0)
	v_ashrrev_i32_e32 v82, s16, v82
	v_ashrrev_i32_e32 v83, s16, v83
	v_mul_i32_i24_e32 v88, v186, v103
	s_add_i32 s16, s16, 2
	s_delay_alu instid0(VALU_DEP_3) | instskip(NEXT) | instid1(VALU_DEP_3)
	v_and_b32_e32 v180, 3, v82
	v_and_b32_e32 v187, 3, v83
	v_bfe_u32 v185, v82, 8, 2
	v_bfe_u32 v140, v82, 24, 2
	;; [unrolled: 1-line block ×3, first 2 shown]
	v_mul_i32_i24_e32 v89, v180, v104
	v_bfe_u32 v134, v83, 16, 2
	s_delay_alu instid0(VALU_DEP_3)
	v_mul_i32_i24_e32 v93, v135, v109
	s_waitcnt vmcnt(0)
	v_add3_u32 v37, v37, s18, v115
	v_add_nc_u32_e32 v115, s20, v153
	ds_load_b32 v126, v115
	ds_load_u16 v37, v37
	v_bfe_u32 v153, v123, 8, 2
	s_add_i32 s18, s13, s16
	s_delay_alu instid0(SALU_CYCLE_1) | instskip(NEXT) | instid1(VALU_DEP_1)
	s_add_i32 s18, s18, 8
	v_mul_i32_i24_e32 v90, v153, v90
	s_cmp_lt_u32 s18, s17
	s_delay_alu instid0(VALU_DEP_1) | instskip(SKIP_1) | instid1(VALU_DEP_2)
	v_add3_u32 v21, v21, v90, v91
	v_mul_i32_i24_e32 v90, v185, v105
	v_add3_u32 v21, v21, v92, v94
	v_mul_i32_i24_e32 v92, v187, v108
	v_mul_i32_i24_e32 v94, v134, v110
	s_waitcnt lgkmcnt(0)
	v_lshrrev_b16 v115, 8, v37
	v_add3_u32 v21, v21, v95, v96
	v_and_b32_e32 v193, 15, v37
	v_bfe_u32 v130, v37, 4, 4
	v_and_b32_e32 v96, 3, v169
	v_bfe_u32 v169, v82, 16, 2
	v_mul_i32_i24_e32 v82, v140, v107
	v_mul_lo_u32 v37, v21, v193
	v_and_b32_e32 v21, 0xffff, v115
	v_mul_lo_u32 v129, 0x1010101, v130
	v_mul_i32_i24_e32 v91, v169, v106
	v_mov_b32_e32 v32, v96
	s_delay_alu instid0(VALU_DEP_4) | instskip(NEXT) | instid1(VALU_DEP_4)
	v_lshrrev_b32_e32 v139, 4, v21
	v_bfe_i32 v155, v129, 8, 8
	s_delay_alu instid0(VALU_DEP_2) | instskip(SKIP_3) | instid1(VALU_DEP_3)
	v_mul_lo_u32 v22, 0x1010101, v139
	v_bfe_i32 v160, v129, 16, 8
	v_lshrrev_b32_e32 v156, 24, v129
	v_bfe_u32 v129, v83, 24, 2
	v_mov_b32_e32 v26, v160
	v_bfe_i32 v161, v22, 8, 8
	v_bfe_i32 v95, v22, 16, 8
	v_lshrrev_b32_e32 v163, 24, v22
	v_mul_i32_i24_e32 v22, v30, v97
	v_mul_i32_i24_e32 v83, v129, v111
	s_delay_alu instid0(VALU_DEP_4) | instskip(NEXT) | instid1(VALU_DEP_3)
	v_mov_b32_e32 v27, v95
	v_mad_i32_i24 v13, v96, v13, v22
	s_delay_alu instid0(VALU_DEP_1) | instskip(SKIP_1) | instid1(VALU_DEP_2)
	v_add3_u32 v13, v13, v89, v23
	v_mul_i32_i24_e32 v23, v113, v155
	v_add3_u32 v13, v13, v84, v85
	s_delay_alu instid0(VALU_DEP_1) | instskip(NEXT) | instid1(VALU_DEP_1)
	v_add3_u32 v13, v13, v92, v86
	v_add3_u32 v13, v13, v87, v88
	s_delay_alu instid0(VALU_DEP_1) | instskip(NEXT) | instid1(VALU_DEP_1)
	v_add3_u32 v13, v13, v90, v91
	v_add3_u32 v13, v13, v82, v93
	v_mul_i32_i24_e32 v82, v130, v114
	s_delay_alu instid0(VALU_DEP_2)
	v_add3_u32 v22, v13, v94, v83
	v_mul_i32_i24_e32 v13, v15, v163
	v_mul_i32_i24_e32 v15, v16, v95
	v_mul_i32_i24_e32 v16, v17, v161
	v_mul_i32_i24_e32 v17, v18, v156
	v_mul_i32_i24_e32 v18, v112, v160
	v_mad_i32_i24 v14, v139, v14, v82
	v_dual_mov_b32 v160, v155 :: v_dual_and_b32 v155, 15, v21
	s_delay_alu instid0(VALU_DEP_2) | instskip(NEXT) | instid1(VALU_DEP_1)
	v_add3_u32 v14, v14, v17, v18
	v_add3_u32 v13, v14, v23, v13
	s_delay_alu instid0(VALU_DEP_1) | instskip(NEXT) | instid1(VALU_DEP_4)
	v_add3_u32 v15, v13, v15, v16
	v_mad_u64_u32 v[13:14], null, v22, v155, v[37:38]
	v_lshrrev_b32_e32 v14, 16, v126
	s_delay_alu instid0(VALU_DEP_1) | instskip(NEXT) | instid1(VALU_DEP_4)
	v_cvt_f32_f16_e32 v24, v14
	v_cvt_f32_i32_e32 v14, v15
	s_delay_alu instid0(VALU_DEP_4) | instskip(NEXT) | instid1(VALU_DEP_2)
	v_cvt_f32_i32_e32 v13, v13
	v_mul_f32_e32 v14, v24, v14
	s_delay_alu instid0(VALU_DEP_1) | instskip(NEXT) | instid1(VALU_DEP_1)
	v_fma_mix_f32 v13, v126, v13, -v14 op_sel_hi:[1,0,0]
	v_fmac_f32_e32 v69, v19, v13
	ds_load_b128 v[13:16], v124 offset:1024
	s_waitcnt lgkmcnt(0)
	v_bfe_i32 v17, v13, 0, 8
	v_bfe_i32 v18, v13, 8, 8
	v_bfe_i32 v19, v13, 16, 8
	v_ashrrev_i32_e32 v21, 24, v13
	v_bfe_i32 v22, v14, 0, 8
	v_bfe_i32 v23, v14, 8, 8
	v_bfe_i32 v37, v14, 16, 8
	v_ashrrev_i32_e32 v82, 24, v14
	;; [unrolled: 4-line block ×4, first 2 shown]
	ds_load_b128 v[13:16], v124 offset:1040
	v_mul_i32_i24_e32 v114, v37, v74
	v_mul_i32_i24_e32 v115, v82, v77
	s_waitcnt lgkmcnt(0)
	v_ashrrev_i32_e32 v94, 24, v13
	v_ashrrev_i32_e32 v98, 24, v14
	v_bfe_i32 v91, v13, 0, 8
	v_bfe_i32 v92, v13, 8, 8
	;; [unrolled: 1-line block ×4, first 2 shown]
	v_ashrrev_i32_e32 v102, 24, v15
	v_bfe_i32 v103, v16, 0, 8
	v_bfe_i32 v104, v16, 8, 8
	;; [unrolled: 1-line block ×3, first 2 shown]
	v_ashrrev_i32_e32 v16, 24, v16
	v_add_nc_u32_e32 v13, v98, v94
	v_bfe_i32 v96, v14, 8, 8
	v_bfe_i32 v101, v15, 16, 8
	;; [unrolled: 1-line block ×4, first 2 shown]
	v_add3_u32 v106, v13, v102, v16
	v_add_nc_u32_e32 v13, v97, v93
	v_bfe_i32 v99, v15, 0, 8
	v_mul_i32_i24_e32 v14, v19, v63
	v_mul_i32_i24_e32 v15, v21, v73
	v_mul_i32_i24_e32 v116, v98, v5
	v_add3_u32 v107, v13, v101, v105
	v_add_nc_u32_e32 v13, v96, v92
	s_delay_alu instid0(VALU_DEP_1) | instskip(SKIP_1) | instid1(VALU_DEP_1)
	v_add3_u32 v108, v13, v100, v104
	v_add_nc_u32_e32 v13, v95, v91
	v_add3_u32 v109, v13, v99, v103
	v_add_nc_u32_e32 v13, v82, v21
	s_delay_alu instid0(VALU_DEP_1) | instskip(SKIP_1) | instid1(VALU_DEP_1)
	v_add3_u32 v110, v13, v86, v90
	v_add_nc_u32_e32 v13, v37, v19
	v_add3_u32 v111, v13, v85, v89
	v_add_nc_u32_e32 v13, v23, v18
	s_delay_alu instid0(VALU_DEP_2) | instskip(NEXT) | instid1(VALU_DEP_2)
	v_mul_i32_i24_e32 v117, v111, v54
	v_add3_u32 v112, v13, v84, v88
	v_add_nc_u32_e32 v13, v22, v17
	s_delay_alu instid0(VALU_DEP_2) | instskip(NEXT) | instid1(VALU_DEP_2)
	v_mul_i32_i24_e32 v123, v112, v53
	v_add3_u32 v113, v13, v83, v87
	v_mul_i32_i24_e32 v13, v17, v62
	s_delay_alu instid0(VALU_DEP_2) | instskip(NEXT) | instid1(VALU_DEP_2)
	v_mul_i32_i24_e32 v127, v113, v195
	v_mad_i32_i24 v13, v18, v59, v13
	s_delay_alu instid0(VALU_DEP_2) | instskip(NEXT) | instid1(VALU_DEP_2)
	v_mad_i32_i24 v127, v110, v202, v127
	v_add3_u32 v13, v13, v14, v15
	v_mul_i32_i24_e32 v14, v22, v64
	v_mul_i32_i24_e32 v15, v23, v71
	s_delay_alu instid0(VALU_DEP_4) | instskip(SKIP_2) | instid1(VALU_DEP_4)
	v_add3_u32 v117, v127, v117, v123
	v_mul_i32_i24_e32 v127, v113, v151
	v_mul_i32_i24_e32 v123, v112, v222
	v_add3_u32 v13, v13, v14, v15
	v_mul_i32_i24_e32 v14, v83, v75
	v_mul_i32_i24_e32 v15, v84, v78
	v_mad_i32_i24 v127, v110, v176, v127
	s_delay_alu instid0(VALU_DEP_4) | instskip(SKIP_2) | instid1(VALU_DEP_3)
	v_add3_u32 v13, v13, v114, v115
	v_mul_i32_i24_e32 v114, v85, v79
	v_mul_i32_i24_e32 v115, v86, v81
	v_add3_u32 v13, v13, v14, v15
	v_mul_i32_i24_e32 v14, v87, v80
	v_mul_i32_i24_e32 v15, v88, v118
	s_delay_alu instid0(VALU_DEP_3) | instskip(SKIP_2) | instid1(VALU_DEP_3)
	v_add3_u32 v13, v13, v114, v115
	v_mul_i32_i24_e32 v114, v89, v119
	v_mul_i32_i24_e32 v115, v90, v120
	v_add3_u32 v13, v13, v14, v15
	v_mul_i32_i24_e32 v14, v91, v44
	v_mul_i32_i24_e32 v15, v93, v72
	s_delay_alu instid0(VALU_DEP_3) | instskip(SKIP_1) | instid1(VALU_DEP_4)
	v_add3_u32 v13, v13, v114, v115
	v_mul_i32_i24_e32 v114, v94, v2
	v_mad_i32_i24 v14, v92, v122, v14
	v_mul_i32_i24_e32 v115, v97, v3
	s_delay_alu instid0(VALU_DEP_4) | instskip(NEXT) | instid1(VALU_DEP_3)
	v_mul_lo_u32 v13, v13, v121
	v_add3_u32 v14, v14, v15, v114
	v_mul_i32_i24_e32 v15, v95, v0
	v_mul_i32_i24_e32 v114, v96, v1
	s_delay_alu instid0(VALU_DEP_1) | instskip(SKIP_2) | instid1(VALU_DEP_3)
	v_add3_u32 v14, v14, v15, v114
	v_mul_i32_i24_e32 v15, v99, v4
	v_mul_i32_i24_e32 v114, v100, v6
	v_add3_u32 v14, v14, v115, v116
	v_mul_i32_i24_e32 v115, v101, v7
	v_mul_i32_i24_e32 v116, v102, v9
	s_delay_alu instid0(VALU_DEP_3) | instskip(SKIP_2) | instid1(VALU_DEP_3)
	v_add3_u32 v14, v14, v15, v114
	v_mul_i32_i24_e32 v15, v103, v8
	v_mul_i32_i24_e32 v114, v104, v10
	v_add3_u32 v14, v14, v115, v116
	v_mul_i32_i24_e32 v115, v105, v11
	v_mul_i32_i24_e32 v116, v16, v12
	s_delay_alu instid0(VALU_DEP_3) | instskip(SKIP_1) | instid1(VALU_DEP_2)
	v_add3_u32 v14, v14, v15, v114
	v_mul_i32_i24_e32 v15, v107, v58
	v_add3_u32 v114, v14, v115, v116
	v_mul_i32_i24_e32 v14, v106, v61
	v_mul_i32_i24_e32 v116, v109, v56
	;; [unrolled: 1-line block ×3, first 2 shown]
	s_delay_alu instid0(VALU_DEP_2) | instskip(SKIP_2) | instid1(VALU_DEP_3)
	v_add3_u32 v14, v117, v116, v14
	v_mul_i32_i24_e32 v116, v98, v255
	v_mul_i32_i24_e32 v117, v111, v223
	v_add3_u32 v115, v14, v15, v115
	v_mad_u64_u32 v[14:15], null, v114, v224, v[13:14]
	v_mul_i32_i24_e32 v15, v21, v235
	v_mul_i32_i24_e32 v114, v37, v236
	v_add3_u32 v117, v127, v117, v123
	v_mul_i32_i24_e32 v127, v113, v132
	v_mul_i32_i24_e32 v123, v112, v181
	v_cvt_f32_i32_e32 v13, v14
	v_cvt_f32_i32_e32 v14, v115
	v_mul_i32_i24_e32 v115, v82, v238
	v_mad_i32_i24 v127, v110, v158, v127
	s_delay_alu instid0(VALU_DEP_3) | instskip(NEXT) | instid1(VALU_DEP_1)
	v_mul_f32_e32 v14, v225, v14
	v_fma_mix_f32 v13, v182, v13, -v14 op_sel_hi:[1,0,0]
	v_mul_i32_i24_e32 v14, v19, v232
	s_delay_alu instid0(VALU_DEP_2) | instskip(SKIP_1) | instid1(VALU_DEP_1)
	v_fmac_f32_e32 v68, v20, v13
	v_mul_i32_i24_e32 v13, v17, v231
	v_mad_i32_i24 v13, v18, v229, v13
	s_delay_alu instid0(VALU_DEP_1) | instskip(SKIP_2) | instid1(VALU_DEP_1)
	v_add3_u32 v13, v13, v14, v15
	v_mul_i32_i24_e32 v14, v22, v233
	v_mul_i32_i24_e32 v15, v23, v234
	v_add3_u32 v13, v13, v14, v15
	v_mul_i32_i24_e32 v14, v83, v237
	v_mul_i32_i24_e32 v15, v84, v239
	s_delay_alu instid0(VALU_DEP_3) | instskip(SKIP_2) | instid1(VALU_DEP_3)
	v_add3_u32 v13, v13, v114, v115
	v_mul_i32_i24_e32 v114, v85, v240
	v_mul_i32_i24_e32 v115, v86, v242
	v_add3_u32 v13, v13, v14, v15
	v_mul_i32_i24_e32 v14, v87, v241
	v_mul_i32_i24_e32 v15, v88, v243
	s_delay_alu instid0(VALU_DEP_3) | instskip(SKIP_2) | instid1(VALU_DEP_3)
	v_add3_u32 v13, v13, v114, v115
	v_mul_i32_i24_e32 v114, v89, v244
	v_mul_i32_i24_e32 v115, v90, v245
	v_add3_u32 v13, v13, v14, v15
	v_mul_i32_i24_e32 v14, v91, v248
	v_mul_i32_i24_e32 v15, v93, v249
	s_delay_alu instid0(VALU_DEP_3) | instskip(SKIP_1) | instid1(VALU_DEP_4)
	v_add3_u32 v13, v13, v114, v115
	v_mul_i32_i24_e32 v114, v94, v252
	v_mad_i32_i24 v14, v92, v247, v14
	v_mul_i32_i24_e32 v115, v97, v253
	s_delay_alu instid0(VALU_DEP_4) | instskip(NEXT) | instid1(VALU_DEP_3)
	v_mul_lo_u32 v13, v13, v246
	v_add3_u32 v14, v14, v15, v114
	v_mul_i32_i24_e32 v15, v95, v250
	v_mul_i32_i24_e32 v114, v96, v251
	s_delay_alu instid0(VALU_DEP_1) | instskip(SKIP_2) | instid1(VALU_DEP_3)
	v_add3_u32 v14, v14, v15, v114
	v_mul_i32_i24_e32 v15, v99, v254
	v_mul_i32_i24_e32 v114, v100, v36
	v_add3_u32 v14, v14, v115, v116
	v_mul_i32_i24_e32 v115, v101, v51
	v_mul_i32_i24_e32 v116, v102, v47
	s_delay_alu instid0(VALU_DEP_3) | instskip(SKIP_2) | instid1(VALU_DEP_3)
	v_add3_u32 v14, v14, v15, v114
	v_mul_i32_i24_e32 v15, v103, v46
	v_mul_i32_i24_e32 v114, v104, v48
	v_add3_u32 v14, v14, v115, v116
	v_mul_i32_i24_e32 v115, v105, v49
	v_mul_i32_i24_e32 v116, v16, v52
	s_delay_alu instid0(VALU_DEP_3) | instskip(SKIP_1) | instid1(VALU_DEP_2)
	v_add3_u32 v14, v14, v15, v114
	v_mul_i32_i24_e32 v15, v107, v228
	v_add3_u32 v114, v14, v115, v116
	v_mul_i32_i24_e32 v14, v106, v230
	v_mul_i32_i24_e32 v116, v109, v226
	;; [unrolled: 1-line block ×3, first 2 shown]
	s_delay_alu instid0(VALU_DEP_2) | instskip(SKIP_2) | instid1(VALU_DEP_3)
	v_add3_u32 v14, v117, v116, v14
	v_mul_i32_i24_e32 v116, v98, v214
	v_mul_i32_i24_e32 v117, v111, v188
	v_add3_u32 v115, v14, v15, v115
	v_mad_u64_u32 v[14:15], null, v114, v35, v[13:14]
	v_mul_i32_i24_e32 v15, v21, v196
	v_mul_i32_i24_e32 v114, v37, v197
	v_add3_u32 v117, v127, v117, v123
	s_delay_alu instid0(VALU_DEP_4) | instskip(SKIP_2) | instid1(VALU_DEP_2)
	v_cvt_f32_i32_e32 v13, v14
	v_cvt_f32_i32_e32 v14, v115
	v_mul_i32_i24_e32 v115, v82, v198
	v_mul_f32_e32 v14, v38, v14
	s_delay_alu instid0(VALU_DEP_1) | instskip(SKIP_1) | instid1(VALU_DEP_2)
	v_fma_mix_f32 v13, v138, v13, -v14 op_sel_hi:[1,0,0]
	v_mul_i32_i24_e32 v14, v19, v192
	v_fmac_f32_e32 v67, v20, v13
	v_mul_i32_i24_e32 v13, v17, v190
	s_delay_alu instid0(VALU_DEP_1) | instskip(NEXT) | instid1(VALU_DEP_1)
	v_mad_i32_i24 v13, v18, v39, v13
	v_add3_u32 v13, v13, v14, v15
	v_mul_i32_i24_e32 v14, v22, v28
	v_mul_i32_i24_e32 v15, v23, v191
	s_delay_alu instid0(VALU_DEP_1) | instskip(SKIP_2) | instid1(VALU_DEP_3)
	v_add3_u32 v13, v13, v14, v15
	v_mul_i32_i24_e32 v14, v83, v194
	v_mul_i32_i24_e32 v15, v84, v199
	v_add3_u32 v13, v13, v114, v115
	v_mul_i32_i24_e32 v114, v85, v200
	v_mul_i32_i24_e32 v115, v86, v203
	s_delay_alu instid0(VALU_DEP_3) | instskip(SKIP_2) | instid1(VALU_DEP_3)
	v_add3_u32 v13, v13, v14, v15
	v_mul_i32_i24_e32 v14, v87, v201
	v_mul_i32_i24_e32 v15, v88, v204
	v_add3_u32 v13, v13, v114, v115
	v_mul_i32_i24_e32 v114, v89, v145
	v_mul_i32_i24_e32 v115, v90, v133
	s_delay_alu instid0(VALU_DEP_3) | instskip(SKIP_2) | instid1(VALU_DEP_3)
	v_add3_u32 v13, v13, v14, v15
	v_mul_i32_i24_e32 v14, v91, v207
	v_mul_i32_i24_e32 v15, v93, v208
	v_add3_u32 v13, v13, v114, v115
	v_mul_i32_i24_e32 v114, v94, v211
	s_delay_alu instid0(VALU_DEP_4) | instskip(SKIP_1) | instid1(VALU_DEP_4)
	v_mad_i32_i24 v14, v92, v206, v14
	v_mul_i32_i24_e32 v115, v97, v212
	v_mul_lo_u32 v13, v13, v205
	s_delay_alu instid0(VALU_DEP_3) | instskip(SKIP_2) | instid1(VALU_DEP_1)
	v_add3_u32 v14, v14, v15, v114
	v_mul_i32_i24_e32 v15, v95, v209
	v_mul_i32_i24_e32 v114, v96, v210
	v_add3_u32 v14, v14, v15, v114
	v_mul_i32_i24_e32 v15, v99, v213
	v_mul_i32_i24_e32 v114, v100, v215
	s_delay_alu instid0(VALU_DEP_3) | instskip(SKIP_2) | instid1(VALU_DEP_3)
	v_add3_u32 v14, v14, v115, v116
	v_mul_i32_i24_e32 v115, v101, v216
	v_mul_i32_i24_e32 v116, v102, v218
	v_add3_u32 v14, v14, v15, v114
	v_mul_i32_i24_e32 v15, v103, v217
	v_mul_i32_i24_e32 v114, v104, v219
	s_delay_alu instid0(VALU_DEP_3) | instskip(SKIP_3) | instid1(VALU_DEP_4)
	v_add3_u32 v14, v14, v115, v116
	v_mul_i32_i24_e32 v115, v105, v220
	v_mul_i32_i24_e32 v116, v16, v221
	;; [unrolled: 1-line block ×3, first 2 shown]
	v_add3_u32 v14, v14, v15, v114
	v_mul_i32_i24_e32 v15, v107, v142
	s_delay_alu instid0(VALU_DEP_2) | instskip(SKIP_3) | instid1(VALU_DEP_2)
	v_add3_u32 v114, v14, v115, v116
	v_mul_i32_i24_e32 v14, v106, v141
	v_mul_i32_i24_e32 v116, v109, v183
	;; [unrolled: 1-line block ×3, first 2 shown]
	v_add3_u32 v14, v117, v116, v14
	s_delay_alu instid0(VALU_DEP_1) | instskip(SKIP_3) | instid1(VALU_DEP_3)
	v_add3_u32 v115, v14, v15, v115
	v_mad_u64_u32 v[14:15], null, v114, v136, v[13:14]
	v_mul_i32_i24_e32 v15, v21, v167
	v_mul_i32_i24_e32 v21, v112, v160
	v_cvt_f32_i32_e32 v13, v14
	v_cvt_f32_i32_e32 v14, v115
	s_delay_alu instid0(VALU_DEP_1) | instskip(NEXT) | instid1(VALU_DEP_1)
	v_mul_f32_e32 v14, v137, v14
	v_fma_mix_f32 v13, v131, v13, -v14 op_sel_hi:[1,0,0]
	v_mul_i32_i24_e32 v14, v19, v179
	v_mul_i32_i24_e32 v19, v98, v186
	s_delay_alu instid0(VALU_DEP_3) | instskip(SKIP_2) | instid1(VALU_DEP_2)
	v_fmac_f32_e32 v66, v20, v13
	v_mul_i32_i24_e32 v13, v17, v144
	v_mul_i32_i24_e32 v17, v37, v168
	v_mad_i32_i24 v13, v18, v25, v13
	v_mul_i32_i24_e32 v18, v82, v152
	s_delay_alu instid0(VALU_DEP_2) | instskip(SKIP_3) | instid1(VALU_DEP_2)
	v_add3_u32 v13, v13, v14, v15
	v_mul_i32_i24_e32 v14, v22, v164
	v_mul_i32_i24_e32 v15, v23, v166
	;; [unrolled: 1-line block ×3, first 2 shown]
	v_add3_u32 v13, v13, v14, v15
	v_mul_i32_i24_e32 v14, v83, v170
	v_mul_i32_i24_e32 v15, v84, v153
	s_delay_alu instid0(VALU_DEP_4) | instskip(NEXT) | instid1(VALU_DEP_4)
	v_mad_i32_i24 v22, v110, v156, v22
	v_add3_u32 v13, v13, v17, v18
	v_mul_i32_i24_e32 v17, v85, v172
	v_mul_i32_i24_e32 v18, v86, v174
	s_delay_alu instid0(VALU_DEP_3) | instskip(SKIP_2) | instid1(VALU_DEP_3)
	v_add3_u32 v13, v13, v14, v15
	v_mul_i32_i24_e32 v14, v87, v171
	v_mul_i32_i24_e32 v15, v88, v173
	v_add3_u32 v13, v13, v17, v18
	v_mul_i32_i24_e32 v17, v89, v175
	v_mul_i32_i24_e32 v18, v90, v177
	s_delay_alu instid0(VALU_DEP_3) | instskip(SKIP_2) | instid1(VALU_DEP_3)
	v_add3_u32 v13, v13, v14, v15
	v_mul_i32_i24_e32 v14, v91, v30
	v_mul_i32_i24_e32 v15, v93, v31
	v_add3_u32 v13, v13, v17, v18
	v_mul_i32_i24_e32 v17, v94, v34
	s_delay_alu instid0(VALU_DEP_4) | instskip(SKIP_1) | instid1(VALU_DEP_4)
	v_mad_i32_i24 v14, v92, v29, v14
	v_mul_i32_i24_e32 v18, v97, v33
	v_mul_lo_u32 v13, v13, v193
	s_delay_alu instid0(VALU_DEP_3) | instskip(SKIP_2) | instid1(VALU_DEP_1)
	v_add3_u32 v14, v14, v15, v17
	v_mul_i32_i24_e32 v15, v95, v32
	v_mul_i32_i24_e32 v17, v96, v178
	v_add3_u32 v14, v14, v15, v17
	v_mul_i32_i24_e32 v15, v99, v180
	v_mul_i32_i24_e32 v17, v100, v185
	s_delay_alu instid0(VALU_DEP_3) | instskip(SKIP_2) | instid1(VALU_DEP_3)
	v_add3_u32 v14, v14, v18, v19
	v_mul_i32_i24_e32 v18, v101, v169
	v_mul_i32_i24_e32 v19, v102, v140
	v_add3_u32 v14, v14, v15, v17
	v_mul_i32_i24_e32 v15, v103, v187
	v_mul_i32_i24_e32 v17, v104, v135
	s_delay_alu instid0(VALU_DEP_3) | instskip(SKIP_2) | instid1(VALU_DEP_3)
	v_add3_u32 v14, v14, v18, v19
	v_mul_i32_i24_e32 v18, v105, v134
	v_mul_i32_i24_e32 v19, v111, v26
	v_add3_u32 v14, v14, v15, v17
	v_mul_i32_i24_e32 v15, v107, v27
	s_delay_alu instid0(VALU_DEP_3) | instskip(SKIP_1) | instid1(VALU_DEP_4)
	v_add3_u32 v19, v22, v19, v21
	v_mul_i32_i24_e32 v17, v108, v161
	v_add3_u32 v16, v14, v18, v16
	v_mul_i32_i24_e32 v14, v106, v163
	v_mul_i32_i24_e32 v18, v109, v139
	s_delay_alu instid0(VALU_DEP_1) | instskip(NEXT) | instid1(VALU_DEP_1)
	v_add3_u32 v14, v19, v18, v14
	v_add3_u32 v17, v14, v15, v17
	v_mad_u64_u32 v[14:15], null, v16, v155, v[13:14]
	s_delay_alu instid0(VALU_DEP_1) | instskip(NEXT) | instid1(VALU_DEP_3)
	v_cvt_f32_i32_e32 v13, v14
	v_cvt_f32_i32_e32 v14, v17
	s_delay_alu instid0(VALU_DEP_1) | instskip(NEXT) | instid1(VALU_DEP_1)
	v_mul_f32_e32 v14, v24, v14
	v_fma_mix_f32 v13, v126, v13, -v14 op_sel_hi:[1,0,0]
	s_delay_alu instid0(VALU_DEP_1)
	v_fmac_f32_e32 v65, v20, v13
	ds_load_2addr_b32 v[19:20], v125 offset0:64 offset1:96
	ds_load_b128 v[13:16], v124 offset:2048
	s_waitcnt lgkmcnt(0)
	v_bfe_i32 v17, v13, 0, 8
	v_bfe_i32 v18, v13, 8, 8
	v_bfe_i32 v21, v13, 16, 8
	v_ashrrev_i32_e32 v22, 24, v13
	v_bfe_i32 v23, v14, 0, 8
	v_bfe_i32 v37, v14, 8, 8
	v_bfe_i32 v82, v14, 16, 8
	v_ashrrev_i32_e32 v83, 24, v14
	;; [unrolled: 4-line block ×4, first 2 shown]
	ds_load_b128 v[13:16], v124 offset:2064
	v_mul_i32_i24_e32 v115, v82, v74
	v_mul_i32_i24_e32 v116, v83, v77
	s_waitcnt lgkmcnt(0)
	v_ashrrev_i32_e32 v95, 24, v13
	v_ashrrev_i32_e32 v99, 24, v14
	v_bfe_i32 v92, v13, 0, 8
	v_bfe_i32 v93, v13, 8, 8
	v_bfe_i32 v94, v13, 16, 8
	v_bfe_i32 v98, v14, 16, 8
	v_ashrrev_i32_e32 v103, 24, v15
	v_bfe_i32 v104, v16, 0, 8
	v_bfe_i32 v105, v16, 8, 8
	;; [unrolled: 1-line block ×3, first 2 shown]
	v_ashrrev_i32_e32 v16, 24, v16
	v_add_nc_u32_e32 v13, v99, v95
	v_bfe_i32 v97, v14, 8, 8
	v_bfe_i32 v102, v15, 16, 8
	;; [unrolled: 1-line block ×4, first 2 shown]
	v_add3_u32 v107, v13, v103, v16
	v_add_nc_u32_e32 v13, v98, v94
	v_bfe_i32 v100, v15, 0, 8
	v_mul_i32_i24_e32 v14, v21, v63
	v_mul_i32_i24_e32 v15, v22, v73
	;; [unrolled: 1-line block ×3, first 2 shown]
	v_add3_u32 v108, v13, v102, v106
	v_add_nc_u32_e32 v13, v97, v93
	s_delay_alu instid0(VALU_DEP_1) | instskip(SKIP_1) | instid1(VALU_DEP_1)
	v_add3_u32 v109, v13, v101, v105
	v_add_nc_u32_e32 v13, v96, v92
	v_add3_u32 v110, v13, v100, v104
	v_add_nc_u32_e32 v13, v83, v22
	s_delay_alu instid0(VALU_DEP_1) | instskip(SKIP_1) | instid1(VALU_DEP_1)
	v_add3_u32 v111, v13, v87, v91
	v_add_nc_u32_e32 v13, v82, v21
	v_add3_u32 v112, v13, v86, v90
	v_add_nc_u32_e32 v13, v37, v18
	s_delay_alu instid0(VALU_DEP_2) | instskip(NEXT) | instid1(VALU_DEP_2)
	v_mul_i32_i24_e32 v123, v112, v54
	v_add3_u32 v113, v13, v85, v89
	v_add_nc_u32_e32 v13, v23, v17
	s_delay_alu instid0(VALU_DEP_2) | instskip(NEXT) | instid1(VALU_DEP_2)
	v_mul_i32_i24_e32 v127, v113, v53
	v_add3_u32 v114, v13, v84, v88
	v_mul_i32_i24_e32 v13, v17, v62
	s_delay_alu instid0(VALU_DEP_2) | instskip(NEXT) | instid1(VALU_DEP_2)
	v_mul_i32_i24_e32 v128, v114, v195
	v_mad_i32_i24 v13, v18, v59, v13
	s_delay_alu instid0(VALU_DEP_2) | instskip(NEXT) | instid1(VALU_DEP_2)
	v_mad_i32_i24 v128, v111, v202, v128
	v_add3_u32 v13, v13, v14, v15
	v_mul_i32_i24_e32 v14, v23, v64
	v_mul_i32_i24_e32 v15, v37, v71
	s_delay_alu instid0(VALU_DEP_4) | instskip(SKIP_2) | instid1(VALU_DEP_4)
	v_add3_u32 v123, v128, v123, v127
	v_mul_i32_i24_e32 v128, v114, v151
	v_mul_i32_i24_e32 v127, v113, v222
	v_add3_u32 v13, v13, v14, v15
	v_mul_i32_i24_e32 v14, v84, v75
	v_mul_i32_i24_e32 v15, v85, v78
	v_mad_i32_i24 v128, v111, v176, v128
	s_delay_alu instid0(VALU_DEP_4) | instskip(SKIP_2) | instid1(VALU_DEP_3)
	v_add3_u32 v13, v13, v115, v116
	v_mul_i32_i24_e32 v115, v86, v79
	v_mul_i32_i24_e32 v116, v87, v81
	v_add3_u32 v13, v13, v14, v15
	v_mul_i32_i24_e32 v14, v88, v80
	v_mul_i32_i24_e32 v15, v89, v118
	s_delay_alu instid0(VALU_DEP_3) | instskip(SKIP_2) | instid1(VALU_DEP_3)
	v_add3_u32 v13, v13, v115, v116
	v_mul_i32_i24_e32 v115, v90, v119
	v_mul_i32_i24_e32 v116, v91, v120
	v_add3_u32 v13, v13, v14, v15
	v_mul_i32_i24_e32 v14, v92, v44
	v_mul_i32_i24_e32 v15, v94, v72
	s_delay_alu instid0(VALU_DEP_3) | instskip(SKIP_1) | instid1(VALU_DEP_4)
	v_add3_u32 v13, v13, v115, v116
	v_mul_i32_i24_e32 v115, v95, v2
	v_mad_i32_i24 v14, v93, v122, v14
	v_mul_i32_i24_e32 v116, v98, v3
	s_delay_alu instid0(VALU_DEP_4) | instskip(NEXT) | instid1(VALU_DEP_3)
	v_mul_lo_u32 v13, v13, v121
	v_add3_u32 v14, v14, v15, v115
	v_mul_i32_i24_e32 v15, v96, v0
	v_mul_i32_i24_e32 v115, v97, v1
	s_delay_alu instid0(VALU_DEP_1) | instskip(SKIP_2) | instid1(VALU_DEP_3)
	v_add3_u32 v14, v14, v15, v115
	v_mul_i32_i24_e32 v15, v100, v4
	v_mul_i32_i24_e32 v115, v101, v6
	v_add3_u32 v14, v14, v116, v117
	v_mul_i32_i24_e32 v116, v102, v7
	v_mul_i32_i24_e32 v117, v103, v9
	s_delay_alu instid0(VALU_DEP_3) | instskip(SKIP_2) | instid1(VALU_DEP_3)
	v_add3_u32 v14, v14, v15, v115
	v_mul_i32_i24_e32 v15, v104, v8
	v_mul_i32_i24_e32 v115, v105, v10
	v_add3_u32 v14, v14, v116, v117
	v_mul_i32_i24_e32 v116, v106, v11
	v_mul_i32_i24_e32 v117, v16, v12
	s_delay_alu instid0(VALU_DEP_3) | instskip(SKIP_1) | instid1(VALU_DEP_2)
	v_add3_u32 v14, v14, v15, v115
	v_mul_i32_i24_e32 v15, v108, v58
	v_add3_u32 v115, v14, v116, v117
	v_mul_i32_i24_e32 v14, v107, v61
	v_mul_i32_i24_e32 v117, v110, v56
	;; [unrolled: 1-line block ×3, first 2 shown]
	s_delay_alu instid0(VALU_DEP_2) | instskip(SKIP_2) | instid1(VALU_DEP_3)
	v_add3_u32 v14, v123, v117, v14
	v_mul_i32_i24_e32 v117, v99, v255
	v_mul_i32_i24_e32 v123, v112, v223
	v_add3_u32 v116, v14, v15, v116
	v_mad_u64_u32 v[14:15], null, v115, v224, v[13:14]
	v_mul_i32_i24_e32 v15, v22, v235
	v_mul_i32_i24_e32 v115, v82, v236
	v_add3_u32 v123, v128, v123, v127
	v_mul_i32_i24_e32 v128, v114, v132
	v_mul_i32_i24_e32 v127, v113, v181
	v_cvt_f32_i32_e32 v13, v14
	v_cvt_f32_i32_e32 v14, v116
	v_mul_i32_i24_e32 v116, v83, v238
	v_mad_i32_i24 v128, v111, v158, v128
	s_delay_alu instid0(VALU_DEP_3) | instskip(NEXT) | instid1(VALU_DEP_1)
	v_mul_f32_e32 v14, v225, v14
	v_fma_mix_f32 v13, v182, v13, -v14 op_sel_hi:[1,0,0]
	v_mul_i32_i24_e32 v14, v21, v232
	s_delay_alu instid0(VALU_DEP_2) | instskip(SKIP_1) | instid1(VALU_DEP_1)
	v_fmac_f32_e32 v60, v19, v13
	v_mul_i32_i24_e32 v13, v17, v231
	v_mad_i32_i24 v13, v18, v229, v13
	s_delay_alu instid0(VALU_DEP_1) | instskip(SKIP_2) | instid1(VALU_DEP_1)
	v_add3_u32 v13, v13, v14, v15
	v_mul_i32_i24_e32 v14, v23, v233
	v_mul_i32_i24_e32 v15, v37, v234
	v_add3_u32 v13, v13, v14, v15
	v_mul_i32_i24_e32 v14, v84, v237
	v_mul_i32_i24_e32 v15, v85, v239
	s_delay_alu instid0(VALU_DEP_3) | instskip(SKIP_2) | instid1(VALU_DEP_3)
	v_add3_u32 v13, v13, v115, v116
	v_mul_i32_i24_e32 v115, v86, v240
	v_mul_i32_i24_e32 v116, v87, v242
	v_add3_u32 v13, v13, v14, v15
	v_mul_i32_i24_e32 v14, v88, v241
	v_mul_i32_i24_e32 v15, v89, v243
	s_delay_alu instid0(VALU_DEP_3) | instskip(SKIP_2) | instid1(VALU_DEP_3)
	v_add3_u32 v13, v13, v115, v116
	v_mul_i32_i24_e32 v115, v90, v244
	v_mul_i32_i24_e32 v116, v91, v245
	v_add3_u32 v13, v13, v14, v15
	v_mul_i32_i24_e32 v14, v92, v248
	v_mul_i32_i24_e32 v15, v94, v249
	s_delay_alu instid0(VALU_DEP_3) | instskip(SKIP_1) | instid1(VALU_DEP_4)
	v_add3_u32 v13, v13, v115, v116
	v_mul_i32_i24_e32 v115, v95, v252
	v_mad_i32_i24 v14, v93, v247, v14
	v_mul_i32_i24_e32 v116, v98, v253
	s_delay_alu instid0(VALU_DEP_4) | instskip(NEXT) | instid1(VALU_DEP_3)
	v_mul_lo_u32 v13, v13, v246
	v_add3_u32 v14, v14, v15, v115
	v_mul_i32_i24_e32 v15, v96, v250
	v_mul_i32_i24_e32 v115, v97, v251
	s_delay_alu instid0(VALU_DEP_1) | instskip(SKIP_2) | instid1(VALU_DEP_3)
	v_add3_u32 v14, v14, v15, v115
	v_mul_i32_i24_e32 v15, v100, v254
	v_mul_i32_i24_e32 v115, v101, v36
	v_add3_u32 v14, v14, v116, v117
	v_mul_i32_i24_e32 v116, v102, v51
	v_mul_i32_i24_e32 v117, v103, v47
	s_delay_alu instid0(VALU_DEP_3) | instskip(SKIP_2) | instid1(VALU_DEP_3)
	v_add3_u32 v14, v14, v15, v115
	v_mul_i32_i24_e32 v15, v104, v46
	v_mul_i32_i24_e32 v115, v105, v48
	v_add3_u32 v14, v14, v116, v117
	v_mul_i32_i24_e32 v116, v106, v49
	v_mul_i32_i24_e32 v117, v16, v52
	s_delay_alu instid0(VALU_DEP_3) | instskip(SKIP_1) | instid1(VALU_DEP_2)
	v_add3_u32 v14, v14, v15, v115
	v_mul_i32_i24_e32 v15, v108, v228
	v_add3_u32 v115, v14, v116, v117
	v_mul_i32_i24_e32 v14, v107, v230
	v_mul_i32_i24_e32 v117, v110, v226
	;; [unrolled: 1-line block ×3, first 2 shown]
	s_delay_alu instid0(VALU_DEP_2) | instskip(SKIP_2) | instid1(VALU_DEP_3)
	v_add3_u32 v14, v123, v117, v14
	v_mul_i32_i24_e32 v117, v99, v214
	v_mul_i32_i24_e32 v123, v112, v188
	v_add3_u32 v116, v14, v15, v116
	v_mad_u64_u32 v[14:15], null, v115, v35, v[13:14]
	v_mul_i32_i24_e32 v15, v22, v196
	v_mul_i32_i24_e32 v115, v82, v197
	v_add3_u32 v123, v128, v123, v127
	s_delay_alu instid0(VALU_DEP_4) | instskip(SKIP_2) | instid1(VALU_DEP_2)
	v_cvt_f32_i32_e32 v13, v14
	v_cvt_f32_i32_e32 v14, v116
	v_mul_i32_i24_e32 v116, v83, v198
	v_mul_f32_e32 v14, v38, v14
	s_delay_alu instid0(VALU_DEP_1) | instskip(SKIP_1) | instid1(VALU_DEP_2)
	v_fma_mix_f32 v13, v138, v13, -v14 op_sel_hi:[1,0,0]
	v_mul_i32_i24_e32 v14, v21, v192
	v_fmac_f32_e32 v55, v19, v13
	v_mul_i32_i24_e32 v13, v17, v190
	s_delay_alu instid0(VALU_DEP_1) | instskip(NEXT) | instid1(VALU_DEP_1)
	v_mad_i32_i24 v13, v18, v39, v13
	v_add3_u32 v13, v13, v14, v15
	v_mul_i32_i24_e32 v14, v23, v28
	v_mul_i32_i24_e32 v15, v37, v191
	s_delay_alu instid0(VALU_DEP_1) | instskip(SKIP_2) | instid1(VALU_DEP_3)
	v_add3_u32 v13, v13, v14, v15
	v_mul_i32_i24_e32 v14, v84, v194
	v_mul_i32_i24_e32 v15, v85, v199
	v_add3_u32 v13, v13, v115, v116
	v_mul_i32_i24_e32 v115, v86, v200
	v_mul_i32_i24_e32 v116, v87, v203
	s_delay_alu instid0(VALU_DEP_3) | instskip(SKIP_2) | instid1(VALU_DEP_3)
	v_add3_u32 v13, v13, v14, v15
	v_mul_i32_i24_e32 v14, v88, v201
	v_mul_i32_i24_e32 v15, v89, v204
	v_add3_u32 v13, v13, v115, v116
	v_mul_i32_i24_e32 v115, v90, v145
	v_mul_i32_i24_e32 v116, v91, v133
	s_delay_alu instid0(VALU_DEP_3) | instskip(SKIP_2) | instid1(VALU_DEP_3)
	v_add3_u32 v13, v13, v14, v15
	v_mul_i32_i24_e32 v14, v92, v207
	v_mul_i32_i24_e32 v15, v94, v208
	v_add3_u32 v13, v13, v115, v116
	v_mul_i32_i24_e32 v115, v95, v211
	s_delay_alu instid0(VALU_DEP_4) | instskip(SKIP_1) | instid1(VALU_DEP_4)
	v_mad_i32_i24 v14, v93, v206, v14
	v_mul_i32_i24_e32 v116, v98, v212
	v_mul_lo_u32 v13, v13, v205
	s_delay_alu instid0(VALU_DEP_3) | instskip(SKIP_2) | instid1(VALU_DEP_1)
	v_add3_u32 v14, v14, v15, v115
	v_mul_i32_i24_e32 v15, v96, v209
	v_mul_i32_i24_e32 v115, v97, v210
	v_add3_u32 v14, v14, v15, v115
	v_mul_i32_i24_e32 v15, v100, v213
	v_mul_i32_i24_e32 v115, v101, v215
	s_delay_alu instid0(VALU_DEP_3) | instskip(SKIP_2) | instid1(VALU_DEP_3)
	v_add3_u32 v14, v14, v116, v117
	v_mul_i32_i24_e32 v116, v102, v216
	v_mul_i32_i24_e32 v117, v103, v218
	v_add3_u32 v14, v14, v15, v115
	v_mul_i32_i24_e32 v15, v104, v217
	v_mul_i32_i24_e32 v115, v105, v219
	s_delay_alu instid0(VALU_DEP_3) | instskip(SKIP_3) | instid1(VALU_DEP_4)
	v_add3_u32 v14, v14, v116, v117
	v_mul_i32_i24_e32 v116, v106, v220
	v_mul_i32_i24_e32 v117, v16, v221
	;; [unrolled: 1-line block ×3, first 2 shown]
	v_add3_u32 v14, v14, v15, v115
	v_mul_i32_i24_e32 v15, v108, v142
	s_delay_alu instid0(VALU_DEP_2) | instskip(SKIP_3) | instid1(VALU_DEP_2)
	v_add3_u32 v115, v14, v116, v117
	v_mul_i32_i24_e32 v14, v107, v141
	v_mul_i32_i24_e32 v117, v110, v183
	;; [unrolled: 1-line block ×3, first 2 shown]
	v_add3_u32 v14, v123, v117, v14
	s_delay_alu instid0(VALU_DEP_1) | instskip(SKIP_3) | instid1(VALU_DEP_3)
	v_add3_u32 v116, v14, v15, v116
	v_mad_u64_u32 v[14:15], null, v115, v136, v[13:14]
	v_mul_i32_i24_e32 v15, v22, v167
	v_mul_i32_i24_e32 v22, v113, v160
	v_cvt_f32_i32_e32 v13, v14
	v_cvt_f32_i32_e32 v14, v116
	s_delay_alu instid0(VALU_DEP_1) | instskip(NEXT) | instid1(VALU_DEP_1)
	v_mul_f32_e32 v14, v137, v14
	v_fma_mix_f32 v13, v131, v13, -v14 op_sel_hi:[1,0,0]
	v_mul_i32_i24_e32 v14, v21, v179
	v_mul_i32_i24_e32 v21, v99, v186
	s_delay_alu instid0(VALU_DEP_3) | instskip(SKIP_2) | instid1(VALU_DEP_2)
	v_fmac_f32_e32 v50, v19, v13
	v_mul_i32_i24_e32 v13, v17, v144
	v_mul_i32_i24_e32 v17, v82, v168
	v_mad_i32_i24 v13, v18, v25, v13
	v_mul_i32_i24_e32 v18, v83, v152
	s_delay_alu instid0(VALU_DEP_2) | instskip(SKIP_3) | instid1(VALU_DEP_2)
	v_add3_u32 v13, v13, v14, v15
	v_mul_i32_i24_e32 v14, v23, v164
	v_mul_i32_i24_e32 v15, v37, v166
	;; [unrolled: 1-line block ×3, first 2 shown]
	v_add3_u32 v13, v13, v14, v15
	v_mul_i32_i24_e32 v14, v84, v170
	v_mul_i32_i24_e32 v15, v85, v153
	s_delay_alu instid0(VALU_DEP_4) | instskip(NEXT) | instid1(VALU_DEP_4)
	v_mad_i32_i24 v23, v111, v156, v23
	v_add3_u32 v13, v13, v17, v18
	v_mul_i32_i24_e32 v17, v86, v172
	v_mul_i32_i24_e32 v18, v87, v174
	s_delay_alu instid0(VALU_DEP_3) | instskip(SKIP_2) | instid1(VALU_DEP_3)
	v_add3_u32 v13, v13, v14, v15
	v_mul_i32_i24_e32 v14, v88, v171
	v_mul_i32_i24_e32 v15, v89, v173
	v_add3_u32 v13, v13, v17, v18
	v_mul_i32_i24_e32 v17, v90, v175
	v_mul_i32_i24_e32 v18, v91, v177
	s_delay_alu instid0(VALU_DEP_3) | instskip(SKIP_2) | instid1(VALU_DEP_3)
	v_add3_u32 v13, v13, v14, v15
	v_mul_i32_i24_e32 v14, v92, v30
	v_mul_i32_i24_e32 v15, v94, v31
	v_add3_u32 v13, v13, v17, v18
	v_mul_i32_i24_e32 v17, v95, v34
	s_delay_alu instid0(VALU_DEP_4) | instskip(SKIP_1) | instid1(VALU_DEP_4)
	v_mad_i32_i24 v14, v93, v29, v14
	v_mul_i32_i24_e32 v18, v98, v33
	v_mul_lo_u32 v13, v13, v193
	s_delay_alu instid0(VALU_DEP_3) | instskip(SKIP_2) | instid1(VALU_DEP_1)
	v_add3_u32 v14, v14, v15, v17
	v_mul_i32_i24_e32 v15, v96, v32
	v_mul_i32_i24_e32 v17, v97, v178
	v_add3_u32 v14, v14, v15, v17
	v_mul_i32_i24_e32 v15, v100, v180
	v_mul_i32_i24_e32 v17, v101, v185
	s_delay_alu instid0(VALU_DEP_3) | instskip(SKIP_2) | instid1(VALU_DEP_3)
	v_add3_u32 v14, v14, v18, v21
	v_mul_i32_i24_e32 v18, v102, v169
	v_mul_i32_i24_e32 v21, v103, v140
	v_add3_u32 v14, v14, v15, v17
	v_mul_i32_i24_e32 v15, v104, v187
	v_mul_i32_i24_e32 v17, v105, v135
	s_delay_alu instid0(VALU_DEP_3) | instskip(SKIP_2) | instid1(VALU_DEP_3)
	v_add3_u32 v14, v14, v18, v21
	v_mul_i32_i24_e32 v18, v106, v134
	v_mul_i32_i24_e32 v21, v112, v26
	v_add3_u32 v14, v14, v15, v17
	v_mul_i32_i24_e32 v15, v108, v27
	s_delay_alu instid0(VALU_DEP_3) | instskip(SKIP_1) | instid1(VALU_DEP_4)
	v_add3_u32 v21, v23, v21, v22
	v_mul_i32_i24_e32 v17, v109, v161
	v_add3_u32 v16, v14, v18, v16
	v_mul_i32_i24_e32 v14, v107, v163
	v_mul_i32_i24_e32 v18, v110, v139
	s_delay_alu instid0(VALU_DEP_1) | instskip(NEXT) | instid1(VALU_DEP_1)
	v_add3_u32 v14, v21, v18, v14
	v_add3_u32 v17, v14, v15, v17
	v_mad_u64_u32 v[14:15], null, v16, v155, v[13:14]
	s_delay_alu instid0(VALU_DEP_1) | instskip(NEXT) | instid1(VALU_DEP_3)
	v_cvt_f32_i32_e32 v13, v14
	v_cvt_f32_i32_e32 v14, v17
	s_delay_alu instid0(VALU_DEP_1) | instskip(NEXT) | instid1(VALU_DEP_1)
	v_mul_f32_e32 v14, v24, v14
	v_fma_mix_f32 v13, v126, v13, -v14 op_sel_hi:[1,0,0]
	s_delay_alu instid0(VALU_DEP_1)
	v_fmac_f32_e32 v45, v19, v13
	ds_load_b128 v[13:16], v124 offset:3072
	s_waitcnt lgkmcnt(0)
	v_bfe_i32 v17, v13, 0, 8
	v_bfe_i32 v18, v13, 8, 8
	v_bfe_i32 v19, v13, 16, 8
	v_ashrrev_i32_e32 v21, 24, v13
	v_bfe_i32 v22, v14, 0, 8
	v_bfe_i32 v23, v14, 8, 8
	v_bfe_i32 v37, v14, 16, 8
	v_ashrrev_i32_e32 v82, 24, v14
	;; [unrolled: 4-line block ×4, first 2 shown]
	ds_load_b128 v[13:16], v124 offset:3088
	v_mul_i32_i24_e32 v114, v37, v74
	v_mul_i32_i24_e32 v115, v82, v77
	s_waitcnt lgkmcnt(0)
	v_ashrrev_i32_e32 v94, 24, v13
	v_ashrrev_i32_e32 v98, 24, v14
	v_bfe_i32 v91, v13, 0, 8
	v_bfe_i32 v92, v13, 8, 8
	;; [unrolled: 1-line block ×4, first 2 shown]
	v_ashrrev_i32_e32 v102, 24, v15
	v_bfe_i32 v103, v16, 0, 8
	v_bfe_i32 v104, v16, 8, 8
	;; [unrolled: 1-line block ×3, first 2 shown]
	v_ashrrev_i32_e32 v16, 24, v16
	v_add_nc_u32_e32 v13, v98, v94
	v_bfe_i32 v96, v14, 8, 8
	v_bfe_i32 v101, v15, 16, 8
	;; [unrolled: 1-line block ×4, first 2 shown]
	v_add3_u32 v106, v13, v102, v16
	v_add_nc_u32_e32 v13, v97, v93
	v_bfe_i32 v99, v15, 0, 8
	v_mul_i32_i24_e32 v14, v19, v63
	v_mul_i32_i24_e32 v15, v21, v73
	;; [unrolled: 1-line block ×3, first 2 shown]
	v_add3_u32 v107, v13, v101, v105
	v_add_nc_u32_e32 v13, v96, v92
	s_delay_alu instid0(VALU_DEP_1) | instskip(SKIP_1) | instid1(VALU_DEP_1)
	v_add3_u32 v108, v13, v100, v104
	v_add_nc_u32_e32 v13, v95, v91
	v_add3_u32 v109, v13, v99, v103
	v_add_nc_u32_e32 v13, v82, v21
	s_delay_alu instid0(VALU_DEP_1) | instskip(SKIP_1) | instid1(VALU_DEP_1)
	v_add3_u32 v110, v13, v86, v90
	v_add_nc_u32_e32 v13, v37, v19
	v_add3_u32 v111, v13, v85, v89
	v_add_nc_u32_e32 v13, v23, v18
	s_delay_alu instid0(VALU_DEP_2) | instskip(NEXT) | instid1(VALU_DEP_2)
	v_mul_i32_i24_e32 v117, v111, v54
	v_add3_u32 v112, v13, v84, v88
	v_add_nc_u32_e32 v13, v22, v17
	s_delay_alu instid0(VALU_DEP_2) | instskip(NEXT) | instid1(VALU_DEP_2)
	v_mul_i32_i24_e32 v123, v112, v53
	v_add3_u32 v113, v13, v83, v87
	v_mul_i32_i24_e32 v13, v17, v62
	s_delay_alu instid0(VALU_DEP_2) | instskip(NEXT) | instid1(VALU_DEP_2)
	v_mul_i32_i24_e32 v127, v113, v195
	v_mad_i32_i24 v13, v18, v59, v13
	s_delay_alu instid0(VALU_DEP_2) | instskip(NEXT) | instid1(VALU_DEP_2)
	v_mad_i32_i24 v127, v110, v202, v127
	v_add3_u32 v13, v13, v14, v15
	v_mul_i32_i24_e32 v14, v22, v64
	v_mul_i32_i24_e32 v15, v23, v71
	s_delay_alu instid0(VALU_DEP_4) | instskip(SKIP_2) | instid1(VALU_DEP_4)
	v_add3_u32 v117, v127, v117, v123
	v_mul_i32_i24_e32 v127, v113, v151
	v_mul_i32_i24_e32 v123, v112, v222
	v_add3_u32 v13, v13, v14, v15
	v_mul_i32_i24_e32 v14, v83, v75
	v_mul_i32_i24_e32 v15, v84, v78
	v_mad_i32_i24 v127, v110, v176, v127
	s_delay_alu instid0(VALU_DEP_4) | instskip(SKIP_2) | instid1(VALU_DEP_3)
	v_add3_u32 v13, v13, v114, v115
	v_mul_i32_i24_e32 v114, v85, v79
	v_mul_i32_i24_e32 v115, v86, v81
	v_add3_u32 v13, v13, v14, v15
	v_mul_i32_i24_e32 v14, v87, v80
	v_mul_i32_i24_e32 v15, v88, v118
	s_delay_alu instid0(VALU_DEP_3) | instskip(SKIP_2) | instid1(VALU_DEP_3)
	v_add3_u32 v13, v13, v114, v115
	v_mul_i32_i24_e32 v114, v89, v119
	v_mul_i32_i24_e32 v115, v90, v120
	v_add3_u32 v13, v13, v14, v15
	v_mul_i32_i24_e32 v14, v91, v44
	v_mul_i32_i24_e32 v15, v93, v72
	s_delay_alu instid0(VALU_DEP_3) | instskip(SKIP_1) | instid1(VALU_DEP_4)
	v_add3_u32 v13, v13, v114, v115
	v_mul_i32_i24_e32 v114, v94, v2
	v_mad_i32_i24 v14, v92, v122, v14
	v_mul_i32_i24_e32 v115, v97, v3
	s_delay_alu instid0(VALU_DEP_4) | instskip(NEXT) | instid1(VALU_DEP_3)
	v_mul_lo_u32 v13, v13, v121
	v_add3_u32 v14, v14, v15, v114
	v_mul_i32_i24_e32 v15, v95, v0
	v_mul_i32_i24_e32 v114, v96, v1
	s_delay_alu instid0(VALU_DEP_1) | instskip(SKIP_2) | instid1(VALU_DEP_3)
	v_add3_u32 v14, v14, v15, v114
	v_mul_i32_i24_e32 v15, v99, v4
	v_mul_i32_i24_e32 v114, v100, v6
	v_add3_u32 v14, v14, v115, v116
	v_mul_i32_i24_e32 v115, v101, v7
	v_mul_i32_i24_e32 v116, v102, v9
	s_delay_alu instid0(VALU_DEP_3) | instskip(SKIP_2) | instid1(VALU_DEP_3)
	v_add3_u32 v14, v14, v15, v114
	v_mul_i32_i24_e32 v15, v103, v8
	v_mul_i32_i24_e32 v114, v104, v10
	v_add3_u32 v14, v14, v115, v116
	v_mul_i32_i24_e32 v115, v105, v11
	v_mul_i32_i24_e32 v116, v16, v12
	s_delay_alu instid0(VALU_DEP_3) | instskip(SKIP_1) | instid1(VALU_DEP_2)
	v_add3_u32 v14, v14, v15, v114
	v_mul_i32_i24_e32 v15, v107, v58
	v_add3_u32 v114, v14, v115, v116
	v_mul_i32_i24_e32 v14, v106, v61
	v_mul_i32_i24_e32 v116, v109, v56
	;; [unrolled: 1-line block ×3, first 2 shown]
	s_delay_alu instid0(VALU_DEP_2) | instskip(SKIP_2) | instid1(VALU_DEP_3)
	v_add3_u32 v14, v117, v116, v14
	v_mul_i32_i24_e32 v116, v98, v255
	v_mul_i32_i24_e32 v117, v111, v223
	v_add3_u32 v115, v14, v15, v115
	v_mad_u64_u32 v[14:15], null, v114, v224, v[13:14]
	v_mul_i32_i24_e32 v15, v21, v235
	v_mul_i32_i24_e32 v114, v37, v236
	v_add3_u32 v117, v127, v117, v123
	v_mul_i32_i24_e32 v127, v113, v132
	v_mul_i32_i24_e32 v123, v112, v181
	v_cvt_f32_i32_e32 v13, v14
	v_cvt_f32_i32_e32 v14, v115
	v_mul_i32_i24_e32 v115, v82, v238
	v_mad_i32_i24 v127, v110, v158, v127
	s_delay_alu instid0(VALU_DEP_3) | instskip(NEXT) | instid1(VALU_DEP_1)
	v_mul_f32_e32 v14, v225, v14
	v_fma_mix_f32 v13, v182, v13, -v14 op_sel_hi:[1,0,0]
	v_mul_i32_i24_e32 v14, v19, v232
	s_delay_alu instid0(VALU_DEP_2) | instskip(SKIP_1) | instid1(VALU_DEP_1)
	v_fmac_f32_e32 v43, v20, v13
	v_mul_i32_i24_e32 v13, v17, v231
	v_mad_i32_i24 v13, v18, v229, v13
	s_delay_alu instid0(VALU_DEP_1) | instskip(SKIP_2) | instid1(VALU_DEP_1)
	v_add3_u32 v13, v13, v14, v15
	v_mul_i32_i24_e32 v14, v22, v233
	v_mul_i32_i24_e32 v15, v23, v234
	v_add3_u32 v13, v13, v14, v15
	v_mul_i32_i24_e32 v14, v83, v237
	v_mul_i32_i24_e32 v15, v84, v239
	s_delay_alu instid0(VALU_DEP_3) | instskip(SKIP_2) | instid1(VALU_DEP_3)
	v_add3_u32 v13, v13, v114, v115
	v_mul_i32_i24_e32 v114, v85, v240
	v_mul_i32_i24_e32 v115, v86, v242
	v_add3_u32 v13, v13, v14, v15
	v_mul_i32_i24_e32 v14, v87, v241
	v_mul_i32_i24_e32 v15, v88, v243
	s_delay_alu instid0(VALU_DEP_3) | instskip(SKIP_2) | instid1(VALU_DEP_3)
	v_add3_u32 v13, v13, v114, v115
	v_mul_i32_i24_e32 v114, v89, v244
	v_mul_i32_i24_e32 v115, v90, v245
	v_add3_u32 v13, v13, v14, v15
	v_mul_i32_i24_e32 v14, v91, v248
	v_mul_i32_i24_e32 v15, v93, v249
	s_delay_alu instid0(VALU_DEP_3) | instskip(SKIP_1) | instid1(VALU_DEP_4)
	v_add3_u32 v13, v13, v114, v115
	v_mul_i32_i24_e32 v114, v94, v252
	v_mad_i32_i24 v14, v92, v247, v14
	v_mul_i32_i24_e32 v115, v97, v253
	s_delay_alu instid0(VALU_DEP_4) | instskip(NEXT) | instid1(VALU_DEP_3)
	v_mul_lo_u32 v13, v13, v246
	v_add3_u32 v14, v14, v15, v114
	v_mul_i32_i24_e32 v15, v95, v250
	v_mul_i32_i24_e32 v114, v96, v251
	s_delay_alu instid0(VALU_DEP_1) | instskip(SKIP_2) | instid1(VALU_DEP_3)
	v_add3_u32 v14, v14, v15, v114
	v_mul_i32_i24_e32 v15, v99, v254
	v_mul_i32_i24_e32 v114, v100, v36
	v_add3_u32 v14, v14, v115, v116
	v_mul_i32_i24_e32 v115, v101, v51
	v_mul_i32_i24_e32 v116, v102, v47
	s_delay_alu instid0(VALU_DEP_3) | instskip(SKIP_2) | instid1(VALU_DEP_3)
	v_add3_u32 v14, v14, v15, v114
	v_mul_i32_i24_e32 v15, v103, v46
	v_mul_i32_i24_e32 v114, v104, v48
	v_add3_u32 v14, v14, v115, v116
	v_mul_i32_i24_e32 v115, v105, v49
	v_mul_i32_i24_e32 v116, v16, v52
	s_delay_alu instid0(VALU_DEP_3) | instskip(SKIP_1) | instid1(VALU_DEP_2)
	v_add3_u32 v14, v14, v15, v114
	v_mul_i32_i24_e32 v15, v107, v228
	v_add3_u32 v114, v14, v115, v116
	v_mul_i32_i24_e32 v14, v106, v230
	v_mul_i32_i24_e32 v116, v109, v226
	;; [unrolled: 1-line block ×3, first 2 shown]
	s_delay_alu instid0(VALU_DEP_2) | instskip(SKIP_2) | instid1(VALU_DEP_3)
	v_add3_u32 v14, v117, v116, v14
	v_mul_i32_i24_e32 v116, v98, v214
	v_mul_i32_i24_e32 v117, v111, v188
	v_add3_u32 v115, v14, v15, v115
	v_mad_u64_u32 v[14:15], null, v114, v35, v[13:14]
	v_mul_i32_i24_e32 v15, v21, v196
	v_mul_i32_i24_e32 v114, v37, v197
	v_add3_u32 v117, v127, v117, v123
	s_delay_alu instid0(VALU_DEP_4) | instskip(SKIP_2) | instid1(VALU_DEP_2)
	v_cvt_f32_i32_e32 v13, v14
	v_cvt_f32_i32_e32 v14, v115
	v_mul_i32_i24_e32 v115, v82, v198
	v_mul_f32_e32 v14, v38, v14
	s_delay_alu instid0(VALU_DEP_1) | instskip(SKIP_1) | instid1(VALU_DEP_2)
	v_fma_mix_f32 v13, v138, v13, -v14 op_sel_hi:[1,0,0]
	v_mul_i32_i24_e32 v14, v19, v192
	v_fmac_f32_e32 v42, v20, v13
	v_mul_i32_i24_e32 v13, v17, v190
	s_delay_alu instid0(VALU_DEP_1) | instskip(NEXT) | instid1(VALU_DEP_1)
	v_mad_i32_i24 v13, v18, v39, v13
	v_add3_u32 v13, v13, v14, v15
	v_mul_i32_i24_e32 v14, v22, v28
	v_mul_i32_i24_e32 v15, v23, v191
	s_delay_alu instid0(VALU_DEP_1) | instskip(SKIP_2) | instid1(VALU_DEP_3)
	v_add3_u32 v13, v13, v14, v15
	v_mul_i32_i24_e32 v14, v83, v194
	v_mul_i32_i24_e32 v15, v84, v199
	v_add3_u32 v13, v13, v114, v115
	v_mul_i32_i24_e32 v114, v85, v200
	v_mul_i32_i24_e32 v115, v86, v203
	s_delay_alu instid0(VALU_DEP_3) | instskip(SKIP_2) | instid1(VALU_DEP_3)
	v_add3_u32 v13, v13, v14, v15
	v_mul_i32_i24_e32 v14, v87, v201
	v_mul_i32_i24_e32 v15, v88, v204
	v_add3_u32 v13, v13, v114, v115
	v_mul_i32_i24_e32 v114, v89, v145
	v_mul_i32_i24_e32 v115, v90, v133
	s_delay_alu instid0(VALU_DEP_3) | instskip(SKIP_2) | instid1(VALU_DEP_3)
	v_add3_u32 v13, v13, v14, v15
	v_mul_i32_i24_e32 v14, v91, v207
	v_mul_i32_i24_e32 v15, v93, v208
	v_add3_u32 v13, v13, v114, v115
	v_mul_i32_i24_e32 v114, v94, v211
	s_delay_alu instid0(VALU_DEP_4) | instskip(SKIP_1) | instid1(VALU_DEP_4)
	v_mad_i32_i24 v14, v92, v206, v14
	v_mul_i32_i24_e32 v115, v97, v212
	v_mul_lo_u32 v13, v13, v205
	s_delay_alu instid0(VALU_DEP_3) | instskip(SKIP_2) | instid1(VALU_DEP_1)
	v_add3_u32 v14, v14, v15, v114
	v_mul_i32_i24_e32 v15, v95, v209
	v_mul_i32_i24_e32 v114, v96, v210
	v_add3_u32 v14, v14, v15, v114
	v_mul_i32_i24_e32 v15, v99, v213
	v_mul_i32_i24_e32 v114, v100, v215
	s_delay_alu instid0(VALU_DEP_3) | instskip(SKIP_2) | instid1(VALU_DEP_3)
	v_add3_u32 v14, v14, v115, v116
	v_mul_i32_i24_e32 v115, v101, v216
	v_mul_i32_i24_e32 v116, v102, v218
	v_add3_u32 v14, v14, v15, v114
	v_mul_i32_i24_e32 v15, v103, v217
	v_mul_i32_i24_e32 v114, v104, v219
	s_delay_alu instid0(VALU_DEP_3) | instskip(SKIP_3) | instid1(VALU_DEP_4)
	v_add3_u32 v14, v14, v115, v116
	v_mul_i32_i24_e32 v115, v105, v220
	v_mul_i32_i24_e32 v116, v16, v221
	;; [unrolled: 1-line block ×3, first 2 shown]
	v_add3_u32 v14, v14, v15, v114
	v_mul_i32_i24_e32 v15, v107, v142
	s_delay_alu instid0(VALU_DEP_2) | instskip(SKIP_3) | instid1(VALU_DEP_2)
	v_add3_u32 v114, v14, v115, v116
	v_mul_i32_i24_e32 v14, v106, v141
	v_mul_i32_i24_e32 v116, v109, v183
	;; [unrolled: 1-line block ×3, first 2 shown]
	v_add3_u32 v14, v117, v116, v14
	s_delay_alu instid0(VALU_DEP_1) | instskip(SKIP_3) | instid1(VALU_DEP_3)
	v_add3_u32 v115, v14, v15, v115
	v_mad_u64_u32 v[14:15], null, v114, v136, v[13:14]
	v_mul_i32_i24_e32 v15, v21, v167
	v_mul_i32_i24_e32 v21, v112, v160
	v_cvt_f32_i32_e32 v13, v14
	v_cvt_f32_i32_e32 v14, v115
	s_delay_alu instid0(VALU_DEP_1) | instskip(NEXT) | instid1(VALU_DEP_1)
	v_mul_f32_e32 v14, v137, v14
	v_fma_mix_f32 v13, v131, v13, -v14 op_sel_hi:[1,0,0]
	v_mul_i32_i24_e32 v14, v19, v179
	v_mul_i32_i24_e32 v19, v98, v186
	s_delay_alu instid0(VALU_DEP_3) | instskip(SKIP_2) | instid1(VALU_DEP_2)
	v_fmac_f32_e32 v41, v20, v13
	v_mul_i32_i24_e32 v13, v17, v144
	v_mul_i32_i24_e32 v17, v37, v168
	v_mad_i32_i24 v13, v18, v25, v13
	v_mul_i32_i24_e32 v18, v82, v152
	s_delay_alu instid0(VALU_DEP_2) | instskip(SKIP_3) | instid1(VALU_DEP_2)
	v_add3_u32 v13, v13, v14, v15
	v_mul_i32_i24_e32 v14, v22, v164
	v_mul_i32_i24_e32 v15, v23, v166
	;; [unrolled: 1-line block ×3, first 2 shown]
	v_add3_u32 v13, v13, v14, v15
	v_mul_i32_i24_e32 v14, v83, v170
	v_mul_i32_i24_e32 v15, v84, v153
	s_delay_alu instid0(VALU_DEP_4) | instskip(NEXT) | instid1(VALU_DEP_4)
	v_mad_i32_i24 v22, v110, v156, v22
	v_add3_u32 v13, v13, v17, v18
	v_mul_i32_i24_e32 v17, v85, v172
	v_mul_i32_i24_e32 v18, v86, v174
	s_delay_alu instid0(VALU_DEP_3) | instskip(SKIP_2) | instid1(VALU_DEP_3)
	v_add3_u32 v13, v13, v14, v15
	v_mul_i32_i24_e32 v14, v87, v171
	v_mul_i32_i24_e32 v15, v88, v173
	v_add3_u32 v13, v13, v17, v18
	v_mul_i32_i24_e32 v17, v89, v175
	v_mul_i32_i24_e32 v18, v90, v177
	s_delay_alu instid0(VALU_DEP_3) | instskip(SKIP_2) | instid1(VALU_DEP_3)
	v_add3_u32 v13, v13, v14, v15
	v_mul_i32_i24_e32 v14, v91, v30
	v_mul_i32_i24_e32 v15, v93, v31
	v_add3_u32 v13, v13, v17, v18
	v_mul_i32_i24_e32 v17, v94, v34
	s_delay_alu instid0(VALU_DEP_4) | instskip(SKIP_1) | instid1(VALU_DEP_4)
	v_mad_i32_i24 v14, v92, v29, v14
	v_mul_i32_i24_e32 v18, v97, v33
	v_mul_lo_u32 v13, v13, v193
	s_delay_alu instid0(VALU_DEP_3) | instskip(SKIP_2) | instid1(VALU_DEP_1)
	v_add3_u32 v14, v14, v15, v17
	v_mul_i32_i24_e32 v15, v95, v32
	v_mul_i32_i24_e32 v17, v96, v178
	v_add3_u32 v14, v14, v15, v17
	v_mul_i32_i24_e32 v15, v99, v180
	v_mul_i32_i24_e32 v17, v100, v185
	s_delay_alu instid0(VALU_DEP_3) | instskip(SKIP_2) | instid1(VALU_DEP_3)
	v_add3_u32 v14, v14, v18, v19
	v_mul_i32_i24_e32 v18, v101, v169
	v_mul_i32_i24_e32 v19, v102, v140
	v_add3_u32 v14, v14, v15, v17
	v_mul_i32_i24_e32 v15, v103, v187
	v_mul_i32_i24_e32 v17, v104, v135
	s_delay_alu instid0(VALU_DEP_3) | instskip(SKIP_2) | instid1(VALU_DEP_3)
	v_add3_u32 v14, v14, v18, v19
	v_mul_i32_i24_e32 v18, v105, v134
	v_mul_i32_i24_e32 v19, v111, v26
	v_add3_u32 v14, v14, v15, v17
	v_mul_i32_i24_e32 v15, v107, v27
	s_delay_alu instid0(VALU_DEP_3) | instskip(SKIP_1) | instid1(VALU_DEP_4)
	v_add3_u32 v19, v22, v19, v21
	v_mul_i32_i24_e32 v17, v108, v161
	v_add3_u32 v16, v14, v18, v16
	v_mul_i32_i24_e32 v14, v106, v163
	v_mul_i32_i24_e32 v18, v109, v139
	s_delay_alu instid0(VALU_DEP_1) | instskip(NEXT) | instid1(VALU_DEP_1)
	v_add3_u32 v14, v19, v18, v14
	v_add3_u32 v17, v14, v15, v17
	v_mad_u64_u32 v[14:15], null, v16, v155, v[13:14]
	s_delay_alu instid0(VALU_DEP_1) | instskip(NEXT) | instid1(VALU_DEP_3)
	v_cvt_f32_i32_e32 v13, v14
	v_cvt_f32_i32_e32 v14, v17
	s_delay_alu instid0(VALU_DEP_1) | instskip(NEXT) | instid1(VALU_DEP_1)
	v_mul_f32_e32 v14, v24, v14
	v_fma_mix_f32 v13, v126, v13, -v14 op_sel_hi:[1,0,0]
	s_delay_alu instid0(VALU_DEP_1)
	v_fmac_f32_e32 v40, v20, v13
	scratch_store_b32 off, v40, off offset:56 ; 4-byte Folded Spill
	ds_load_2addr_b32 v[19:20], v125 offset0:128 offset1:160
	ds_load_b128 v[13:16], v124 offset:4096
	s_waitcnt lgkmcnt(0)
	v_bfe_i32 v17, v13, 0, 8
	v_bfe_i32 v18, v13, 8, 8
	v_bfe_i32 v21, v13, 16, 8
	v_ashrrev_i32_e32 v22, 24, v13
	v_bfe_i32 v23, v14, 0, 8
	v_bfe_i32 v37, v14, 8, 8
	v_bfe_i32 v82, v14, 16, 8
	v_ashrrev_i32_e32 v83, 24, v14
	;; [unrolled: 4-line block ×4, first 2 shown]
	ds_load_b128 v[13:16], v124 offset:4112
	v_mul_i32_i24_e32 v115, v82, v74
	v_mul_i32_i24_e32 v116, v83, v77
	s_waitcnt lgkmcnt(0)
	v_ashrrev_i32_e32 v95, 24, v13
	v_ashrrev_i32_e32 v99, 24, v14
	v_bfe_i32 v92, v13, 0, 8
	v_bfe_i32 v93, v13, 8, 8
	;; [unrolled: 1-line block ×4, first 2 shown]
	v_add_nc_u32_e32 v13, v99, v95
	v_ashrrev_i32_e32 v103, 24, v15
	v_bfe_i32 v104, v16, 0, 8
	v_bfe_i32 v105, v16, 8, 8
	;; [unrolled: 1-line block ×3, first 2 shown]
	v_ashrrev_i32_e32 v16, 24, v16
	v_bfe_i32 v97, v14, 8, 8
	v_bfe_i32 v102, v15, 16, 8
	v_bfe_i32 v96, v14, 0, 8
	v_bfe_i32 v101, v15, 8, 8
	v_add3_u32 v107, v13, v103, v16
	v_add_nc_u32_e32 v13, v98, v94
	v_bfe_i32 v100, v15, 0, 8
	v_mul_i32_i24_e32 v14, v21, v63
	v_mul_i32_i24_e32 v15, v22, v73
	;; [unrolled: 1-line block ×3, first 2 shown]
	v_add3_u32 v108, v13, v102, v106
	v_add_nc_u32_e32 v13, v97, v93
	s_delay_alu instid0(VALU_DEP_1) | instskip(SKIP_1) | instid1(VALU_DEP_1)
	v_add3_u32 v109, v13, v101, v105
	v_add_nc_u32_e32 v13, v96, v92
	v_add3_u32 v110, v13, v100, v104
	v_add_nc_u32_e32 v13, v83, v22
	s_delay_alu instid0(VALU_DEP_1) | instskip(SKIP_1) | instid1(VALU_DEP_1)
	v_add3_u32 v111, v13, v87, v91
	v_add_nc_u32_e32 v13, v82, v21
	v_add3_u32 v112, v13, v86, v90
	v_add_nc_u32_e32 v13, v37, v18
	s_delay_alu instid0(VALU_DEP_2) | instskip(NEXT) | instid1(VALU_DEP_2)
	v_mul_i32_i24_e32 v123, v112, v54
	v_add3_u32 v113, v13, v85, v89
	v_add_nc_u32_e32 v13, v23, v17
	s_delay_alu instid0(VALU_DEP_2) | instskip(NEXT) | instid1(VALU_DEP_2)
	v_mul_i32_i24_e32 v127, v113, v53
	v_add3_u32 v114, v13, v84, v88
	v_mul_i32_i24_e32 v13, v17, v62
	s_delay_alu instid0(VALU_DEP_2) | instskip(NEXT) | instid1(VALU_DEP_2)
	v_mul_i32_i24_e32 v128, v114, v195
	v_mad_i32_i24 v13, v18, v59, v13
	s_delay_alu instid0(VALU_DEP_2) | instskip(NEXT) | instid1(VALU_DEP_2)
	v_mad_i32_i24 v128, v111, v202, v128
	v_add3_u32 v13, v13, v14, v15
	v_mul_i32_i24_e32 v14, v23, v64
	v_mul_i32_i24_e32 v15, v37, v71
	s_delay_alu instid0(VALU_DEP_4) | instskip(SKIP_2) | instid1(VALU_DEP_4)
	v_add3_u32 v123, v128, v123, v127
	v_mul_i32_i24_e32 v128, v114, v151
	v_mul_i32_i24_e32 v127, v113, v222
	v_add3_u32 v13, v13, v14, v15
	v_mul_i32_i24_e32 v14, v84, v75
	v_mul_i32_i24_e32 v15, v85, v78
	v_mad_i32_i24 v128, v111, v176, v128
	s_delay_alu instid0(VALU_DEP_4) | instskip(SKIP_2) | instid1(VALU_DEP_3)
	v_add3_u32 v13, v13, v115, v116
	v_mul_i32_i24_e32 v115, v86, v79
	v_mul_i32_i24_e32 v116, v87, v81
	v_add3_u32 v13, v13, v14, v15
	v_mul_i32_i24_e32 v14, v88, v80
	v_mul_i32_i24_e32 v15, v89, v118
	s_delay_alu instid0(VALU_DEP_3) | instskip(SKIP_2) | instid1(VALU_DEP_3)
	v_add3_u32 v13, v13, v115, v116
	v_mul_i32_i24_e32 v115, v90, v119
	v_mul_i32_i24_e32 v116, v91, v120
	v_add3_u32 v13, v13, v14, v15
	v_mul_i32_i24_e32 v14, v92, v44
	v_mul_i32_i24_e32 v15, v94, v72
	s_delay_alu instid0(VALU_DEP_3) | instskip(SKIP_1) | instid1(VALU_DEP_4)
	v_add3_u32 v13, v13, v115, v116
	v_mul_i32_i24_e32 v115, v95, v2
	v_mad_i32_i24 v14, v93, v122, v14
	v_mul_i32_i24_e32 v116, v98, v3
	s_delay_alu instid0(VALU_DEP_4) | instskip(NEXT) | instid1(VALU_DEP_3)
	v_mul_lo_u32 v13, v13, v121
	v_add3_u32 v14, v14, v15, v115
	v_mul_i32_i24_e32 v15, v96, v0
	v_mul_i32_i24_e32 v115, v97, v1
	s_delay_alu instid0(VALU_DEP_1) | instskip(SKIP_2) | instid1(VALU_DEP_3)
	v_add3_u32 v14, v14, v15, v115
	v_mul_i32_i24_e32 v15, v100, v4
	v_mul_i32_i24_e32 v115, v101, v6
	v_add3_u32 v14, v14, v116, v117
	v_mul_i32_i24_e32 v116, v102, v7
	v_mul_i32_i24_e32 v117, v103, v9
	s_delay_alu instid0(VALU_DEP_3) | instskip(SKIP_2) | instid1(VALU_DEP_3)
	v_add3_u32 v14, v14, v15, v115
	v_mul_i32_i24_e32 v15, v104, v8
	v_mul_i32_i24_e32 v115, v105, v10
	v_add3_u32 v14, v14, v116, v117
	v_mul_i32_i24_e32 v116, v106, v11
	v_mul_i32_i24_e32 v117, v16, v12
	s_delay_alu instid0(VALU_DEP_3) | instskip(SKIP_1) | instid1(VALU_DEP_2)
	v_add3_u32 v14, v14, v15, v115
	v_mul_i32_i24_e32 v15, v108, v58
	v_add3_u32 v115, v14, v116, v117
	v_mul_i32_i24_e32 v14, v107, v61
	v_mul_i32_i24_e32 v117, v110, v56
	;; [unrolled: 1-line block ×3, first 2 shown]
	s_delay_alu instid0(VALU_DEP_2) | instskip(SKIP_2) | instid1(VALU_DEP_3)
	v_add3_u32 v14, v123, v117, v14
	v_mul_i32_i24_e32 v117, v99, v255
	v_mul_i32_i24_e32 v123, v112, v223
	v_add3_u32 v116, v14, v15, v116
	v_mad_u64_u32 v[14:15], null, v115, v224, v[13:14]
	v_mul_i32_i24_e32 v15, v22, v235
	v_mul_i32_i24_e32 v115, v82, v236
	v_add3_u32 v123, v128, v123, v127
	v_mul_i32_i24_e32 v128, v114, v132
	v_mul_i32_i24_e32 v127, v113, v181
	v_cvt_f32_i32_e32 v13, v14
	v_cvt_f32_i32_e32 v14, v116
	v_mul_i32_i24_e32 v116, v83, v238
	v_mad_i32_i24 v128, v111, v158, v128
	s_delay_alu instid0(VALU_DEP_3) | instskip(NEXT) | instid1(VALU_DEP_1)
	v_mul_f32_e32 v14, v225, v14
	v_fma_mix_f32 v13, v182, v13, -v14 op_sel_hi:[1,0,0]
	v_mul_i32_i24_e32 v14, v21, v232
	s_delay_alu instid0(VALU_DEP_2) | instskip(SKIP_1) | instid1(VALU_DEP_1)
	v_fmac_f32_e32 v189, v19, v13
	v_mul_i32_i24_e32 v13, v17, v231
	v_mad_i32_i24 v13, v18, v229, v13
	s_delay_alu instid0(VALU_DEP_1) | instskip(SKIP_2) | instid1(VALU_DEP_1)
	v_add3_u32 v13, v13, v14, v15
	v_mul_i32_i24_e32 v14, v23, v233
	v_mul_i32_i24_e32 v15, v37, v234
	v_add3_u32 v13, v13, v14, v15
	v_mul_i32_i24_e32 v14, v84, v237
	v_mul_i32_i24_e32 v15, v85, v239
	s_delay_alu instid0(VALU_DEP_3) | instskip(SKIP_2) | instid1(VALU_DEP_3)
	v_add3_u32 v13, v13, v115, v116
	v_mul_i32_i24_e32 v115, v86, v240
	v_mul_i32_i24_e32 v116, v87, v242
	v_add3_u32 v13, v13, v14, v15
	v_mul_i32_i24_e32 v14, v88, v241
	v_mul_i32_i24_e32 v15, v89, v243
	s_delay_alu instid0(VALU_DEP_3) | instskip(SKIP_2) | instid1(VALU_DEP_3)
	v_add3_u32 v13, v13, v115, v116
	v_mul_i32_i24_e32 v115, v90, v244
	v_mul_i32_i24_e32 v116, v91, v245
	v_add3_u32 v13, v13, v14, v15
	v_mul_i32_i24_e32 v14, v92, v248
	v_mul_i32_i24_e32 v15, v94, v249
	s_delay_alu instid0(VALU_DEP_3) | instskip(SKIP_1) | instid1(VALU_DEP_4)
	v_add3_u32 v13, v13, v115, v116
	v_mul_i32_i24_e32 v115, v95, v252
	v_mad_i32_i24 v14, v93, v247, v14
	v_mul_i32_i24_e32 v116, v98, v253
	s_delay_alu instid0(VALU_DEP_4) | instskip(NEXT) | instid1(VALU_DEP_3)
	v_mul_lo_u32 v13, v13, v246
	v_add3_u32 v14, v14, v15, v115
	v_mul_i32_i24_e32 v15, v96, v250
	v_mul_i32_i24_e32 v115, v97, v251
	s_delay_alu instid0(VALU_DEP_1) | instskip(SKIP_2) | instid1(VALU_DEP_3)
	v_add3_u32 v14, v14, v15, v115
	v_mul_i32_i24_e32 v15, v100, v254
	v_mul_i32_i24_e32 v115, v101, v36
	v_add3_u32 v14, v14, v116, v117
	v_mul_i32_i24_e32 v116, v102, v51
	v_mul_i32_i24_e32 v117, v103, v47
	s_delay_alu instid0(VALU_DEP_3) | instskip(SKIP_2) | instid1(VALU_DEP_3)
	v_add3_u32 v14, v14, v15, v115
	v_mul_i32_i24_e32 v15, v104, v46
	v_mul_i32_i24_e32 v115, v105, v48
	v_add3_u32 v14, v14, v116, v117
	v_mul_i32_i24_e32 v116, v106, v49
	v_mul_i32_i24_e32 v117, v16, v52
	s_delay_alu instid0(VALU_DEP_3) | instskip(SKIP_1) | instid1(VALU_DEP_2)
	v_add3_u32 v14, v14, v15, v115
	v_mul_i32_i24_e32 v15, v108, v228
	v_add3_u32 v115, v14, v116, v117
	v_mul_i32_i24_e32 v14, v107, v230
	v_mul_i32_i24_e32 v117, v110, v226
	;; [unrolled: 1-line block ×3, first 2 shown]
	s_delay_alu instid0(VALU_DEP_2) | instskip(SKIP_2) | instid1(VALU_DEP_3)
	v_add3_u32 v14, v123, v117, v14
	v_mul_i32_i24_e32 v117, v99, v214
	v_mul_i32_i24_e32 v123, v112, v188
	v_add3_u32 v116, v14, v15, v116
	v_mad_u64_u32 v[14:15], null, v115, v35, v[13:14]
	v_mul_i32_i24_e32 v15, v22, v196
	v_mul_i32_i24_e32 v115, v82, v197
	v_add3_u32 v123, v128, v123, v127
	s_delay_alu instid0(VALU_DEP_4) | instskip(SKIP_2) | instid1(VALU_DEP_2)
	v_cvt_f32_i32_e32 v13, v14
	v_cvt_f32_i32_e32 v14, v116
	v_mul_i32_i24_e32 v116, v83, v198
	v_mul_f32_e32 v14, v38, v14
	s_delay_alu instid0(VALU_DEP_1) | instskip(SKIP_1) | instid1(VALU_DEP_2)
	v_fma_mix_f32 v13, v138, v13, -v14 op_sel_hi:[1,0,0]
	v_mul_i32_i24_e32 v14, v21, v192
	v_fmac_f32_e32 v184, v19, v13
	v_mul_i32_i24_e32 v13, v17, v190
	s_delay_alu instid0(VALU_DEP_1) | instskip(NEXT) | instid1(VALU_DEP_1)
	v_mad_i32_i24 v13, v18, v39, v13
	v_add3_u32 v13, v13, v14, v15
	v_mul_i32_i24_e32 v14, v23, v28
	v_mul_i32_i24_e32 v15, v37, v191
	s_delay_alu instid0(VALU_DEP_1) | instskip(SKIP_2) | instid1(VALU_DEP_3)
	v_add3_u32 v13, v13, v14, v15
	v_mul_i32_i24_e32 v14, v84, v194
	v_mul_i32_i24_e32 v15, v85, v199
	v_add3_u32 v13, v13, v115, v116
	v_mul_i32_i24_e32 v115, v86, v200
	v_mul_i32_i24_e32 v116, v87, v203
	s_delay_alu instid0(VALU_DEP_3) | instskip(SKIP_2) | instid1(VALU_DEP_3)
	v_add3_u32 v13, v13, v14, v15
	v_mul_i32_i24_e32 v14, v88, v201
	v_mul_i32_i24_e32 v15, v89, v204
	v_add3_u32 v13, v13, v115, v116
	v_mul_i32_i24_e32 v115, v90, v145
	v_mul_i32_i24_e32 v116, v91, v133
	s_delay_alu instid0(VALU_DEP_3) | instskip(SKIP_2) | instid1(VALU_DEP_3)
	v_add3_u32 v13, v13, v14, v15
	v_mul_i32_i24_e32 v14, v92, v207
	v_mul_i32_i24_e32 v15, v94, v208
	v_add3_u32 v13, v13, v115, v116
	v_mul_i32_i24_e32 v115, v95, v211
	s_delay_alu instid0(VALU_DEP_4) | instskip(SKIP_1) | instid1(VALU_DEP_4)
	v_mad_i32_i24 v14, v93, v206, v14
	v_mul_i32_i24_e32 v116, v98, v212
	v_mul_lo_u32 v13, v13, v205
	s_delay_alu instid0(VALU_DEP_3) | instskip(SKIP_2) | instid1(VALU_DEP_1)
	v_add3_u32 v14, v14, v15, v115
	v_mul_i32_i24_e32 v15, v96, v209
	v_mul_i32_i24_e32 v115, v97, v210
	v_add3_u32 v14, v14, v15, v115
	v_mul_i32_i24_e32 v15, v100, v213
	v_mul_i32_i24_e32 v115, v101, v215
	s_delay_alu instid0(VALU_DEP_3) | instskip(SKIP_2) | instid1(VALU_DEP_3)
	v_add3_u32 v14, v14, v116, v117
	v_mul_i32_i24_e32 v116, v102, v216
	v_mul_i32_i24_e32 v117, v103, v218
	v_add3_u32 v14, v14, v15, v115
	v_mul_i32_i24_e32 v15, v104, v217
	v_mul_i32_i24_e32 v115, v105, v219
	s_delay_alu instid0(VALU_DEP_3) | instskip(SKIP_3) | instid1(VALU_DEP_4)
	v_add3_u32 v14, v14, v116, v117
	v_mul_i32_i24_e32 v116, v106, v220
	v_mul_i32_i24_e32 v117, v16, v221
	;; [unrolled: 1-line block ×3, first 2 shown]
	v_add3_u32 v14, v14, v15, v115
	v_mul_i32_i24_e32 v15, v108, v142
	s_delay_alu instid0(VALU_DEP_2) | instskip(SKIP_3) | instid1(VALU_DEP_2)
	v_add3_u32 v115, v14, v116, v117
	v_mul_i32_i24_e32 v14, v107, v141
	v_mul_i32_i24_e32 v117, v110, v183
	;; [unrolled: 1-line block ×3, first 2 shown]
	v_add3_u32 v14, v123, v117, v14
	s_delay_alu instid0(VALU_DEP_1) | instskip(SKIP_3) | instid1(VALU_DEP_3)
	v_add3_u32 v116, v14, v15, v116
	v_mad_u64_u32 v[14:15], null, v115, v136, v[13:14]
	v_mul_i32_i24_e32 v15, v22, v167
	v_mul_i32_i24_e32 v22, v113, v160
	v_cvt_f32_i32_e32 v13, v14
	v_cvt_f32_i32_e32 v14, v116
	s_delay_alu instid0(VALU_DEP_1) | instskip(NEXT) | instid1(VALU_DEP_1)
	v_mul_f32_e32 v14, v137, v14
	v_fma_mix_f32 v13, v131, v13, -v14 op_sel_hi:[1,0,0]
	v_mul_i32_i24_e32 v14, v21, v179
	v_mul_i32_i24_e32 v21, v99, v186
	s_delay_alu instid0(VALU_DEP_3) | instskip(SKIP_2) | instid1(VALU_DEP_2)
	v_fmac_f32_e32 v148, v19, v13
	v_mul_i32_i24_e32 v13, v17, v144
	v_mul_i32_i24_e32 v17, v82, v168
	v_mad_i32_i24 v13, v18, v25, v13
	v_mul_i32_i24_e32 v18, v83, v152
	s_delay_alu instid0(VALU_DEP_2) | instskip(SKIP_3) | instid1(VALU_DEP_2)
	v_add3_u32 v13, v13, v14, v15
	v_mul_i32_i24_e32 v14, v23, v164
	v_mul_i32_i24_e32 v15, v37, v166
	;; [unrolled: 1-line block ×3, first 2 shown]
	v_add3_u32 v13, v13, v14, v15
	v_mul_i32_i24_e32 v14, v84, v170
	v_mul_i32_i24_e32 v15, v85, v153
	s_delay_alu instid0(VALU_DEP_4) | instskip(NEXT) | instid1(VALU_DEP_4)
	v_mad_i32_i24 v23, v111, v156, v23
	v_add3_u32 v13, v13, v17, v18
	v_mul_i32_i24_e32 v17, v86, v172
	v_mul_i32_i24_e32 v18, v87, v174
	s_delay_alu instid0(VALU_DEP_3) | instskip(SKIP_2) | instid1(VALU_DEP_3)
	v_add3_u32 v13, v13, v14, v15
	v_mul_i32_i24_e32 v14, v88, v171
	v_mul_i32_i24_e32 v15, v89, v173
	v_add3_u32 v13, v13, v17, v18
	v_mul_i32_i24_e32 v17, v90, v175
	v_mul_i32_i24_e32 v18, v91, v177
	s_delay_alu instid0(VALU_DEP_3) | instskip(SKIP_2) | instid1(VALU_DEP_3)
	v_add3_u32 v13, v13, v14, v15
	v_mul_i32_i24_e32 v14, v92, v30
	v_mul_i32_i24_e32 v15, v94, v31
	v_add3_u32 v13, v13, v17, v18
	v_mul_i32_i24_e32 v17, v95, v34
	s_delay_alu instid0(VALU_DEP_4) | instskip(SKIP_1) | instid1(VALU_DEP_4)
	v_mad_i32_i24 v14, v93, v29, v14
	v_mul_i32_i24_e32 v18, v98, v33
	v_mul_lo_u32 v13, v13, v193
	s_delay_alu instid0(VALU_DEP_3) | instskip(SKIP_2) | instid1(VALU_DEP_1)
	v_add3_u32 v14, v14, v15, v17
	v_mul_i32_i24_e32 v15, v96, v32
	v_mul_i32_i24_e32 v17, v97, v178
	v_add3_u32 v14, v14, v15, v17
	v_mul_i32_i24_e32 v15, v100, v180
	v_mul_i32_i24_e32 v17, v101, v185
	s_delay_alu instid0(VALU_DEP_3) | instskip(SKIP_2) | instid1(VALU_DEP_3)
	v_add3_u32 v14, v14, v18, v21
	v_mul_i32_i24_e32 v18, v102, v169
	v_mul_i32_i24_e32 v21, v103, v140
	v_add3_u32 v14, v14, v15, v17
	v_mul_i32_i24_e32 v15, v104, v187
	v_mul_i32_i24_e32 v17, v105, v135
	s_delay_alu instid0(VALU_DEP_3) | instskip(SKIP_2) | instid1(VALU_DEP_3)
	v_add3_u32 v14, v14, v18, v21
	v_mul_i32_i24_e32 v18, v106, v134
	v_mul_i32_i24_e32 v21, v112, v26
	v_add3_u32 v14, v14, v15, v17
	v_mul_i32_i24_e32 v15, v108, v27
	s_delay_alu instid0(VALU_DEP_3) | instskip(SKIP_1) | instid1(VALU_DEP_4)
	v_add3_u32 v21, v23, v21, v22
	v_mul_i32_i24_e32 v17, v109, v161
	v_add3_u32 v16, v14, v18, v16
	v_mul_i32_i24_e32 v14, v107, v163
	v_mul_i32_i24_e32 v18, v110, v139
	s_delay_alu instid0(VALU_DEP_1) | instskip(NEXT) | instid1(VALU_DEP_1)
	v_add3_u32 v14, v21, v18, v14
	v_add3_u32 v17, v14, v15, v17
	v_mad_u64_u32 v[14:15], null, v16, v155, v[13:14]
	s_delay_alu instid0(VALU_DEP_1) | instskip(NEXT) | instid1(VALU_DEP_3)
	v_cvt_f32_i32_e32 v13, v14
	v_cvt_f32_i32_e32 v14, v17
	s_delay_alu instid0(VALU_DEP_1) | instskip(NEXT) | instid1(VALU_DEP_1)
	v_mul_f32_e32 v14, v24, v14
	v_fma_mix_f32 v13, v126, v13, -v14 op_sel_hi:[1,0,0]
	s_delay_alu instid0(VALU_DEP_1)
	v_fmac_f32_e32 v154, v19, v13
	ds_load_b128 v[13:16], v124 offset:5120
	s_waitcnt lgkmcnt(0)
	v_bfe_i32 v17, v13, 0, 8
	v_bfe_i32 v18, v13, 8, 8
	v_bfe_i32 v19, v13, 16, 8
	v_ashrrev_i32_e32 v21, 24, v13
	v_bfe_i32 v22, v14, 0, 8
	v_bfe_i32 v23, v14, 8, 8
	v_bfe_i32 v37, v14, 16, 8
	v_ashrrev_i32_e32 v82, 24, v14
	;; [unrolled: 4-line block ×4, first 2 shown]
	ds_load_b128 v[13:16], v124 offset:5136
	v_mul_i32_i24_e32 v114, v37, v74
	v_mul_i32_i24_e32 v115, v82, v77
	s_waitcnt lgkmcnt(0)
	v_ashrrev_i32_e32 v94, 24, v13
	v_ashrrev_i32_e32 v98, 24, v14
	v_bfe_i32 v91, v13, 0, 8
	v_bfe_i32 v92, v13, 8, 8
	;; [unrolled: 1-line block ×4, first 2 shown]
	v_ashrrev_i32_e32 v102, 24, v15
	v_bfe_i32 v103, v16, 0, 8
	v_bfe_i32 v104, v16, 8, 8
	v_bfe_i32 v105, v16, 16, 8
	v_ashrrev_i32_e32 v16, 24, v16
	v_add_nc_u32_e32 v13, v98, v94
	v_bfe_i32 v96, v14, 8, 8
	v_bfe_i32 v101, v15, 16, 8
	;; [unrolled: 1-line block ×4, first 2 shown]
	v_add3_u32 v106, v13, v102, v16
	v_add_nc_u32_e32 v13, v97, v93
	v_bfe_i32 v99, v15, 0, 8
	v_mul_i32_i24_e32 v14, v19, v63
	v_mul_i32_i24_e32 v15, v21, v73
	;; [unrolled: 1-line block ×3, first 2 shown]
	v_add3_u32 v107, v13, v101, v105
	v_add_nc_u32_e32 v13, v96, v92
	s_delay_alu instid0(VALU_DEP_1) | instskip(SKIP_1) | instid1(VALU_DEP_1)
	v_add3_u32 v108, v13, v100, v104
	v_add_nc_u32_e32 v13, v95, v91
	v_add3_u32 v109, v13, v99, v103
	v_add_nc_u32_e32 v13, v82, v21
	s_delay_alu instid0(VALU_DEP_1) | instskip(SKIP_1) | instid1(VALU_DEP_1)
	v_add3_u32 v110, v13, v86, v90
	v_add_nc_u32_e32 v13, v37, v19
	v_add3_u32 v111, v13, v85, v89
	v_add_nc_u32_e32 v13, v23, v18
	s_delay_alu instid0(VALU_DEP_2) | instskip(NEXT) | instid1(VALU_DEP_2)
	v_mul_i32_i24_e32 v117, v111, v54
	v_add3_u32 v112, v13, v84, v88
	v_add_nc_u32_e32 v13, v22, v17
	s_delay_alu instid0(VALU_DEP_2) | instskip(NEXT) | instid1(VALU_DEP_2)
	v_mul_i32_i24_e32 v123, v112, v53
	v_add3_u32 v113, v13, v83, v87
	v_mul_i32_i24_e32 v13, v17, v62
	s_delay_alu instid0(VALU_DEP_2) | instskip(NEXT) | instid1(VALU_DEP_2)
	v_mul_i32_i24_e32 v127, v113, v195
	v_mad_i32_i24 v13, v18, v59, v13
	s_delay_alu instid0(VALU_DEP_2) | instskip(NEXT) | instid1(VALU_DEP_2)
	v_mad_i32_i24 v127, v110, v202, v127
	v_add3_u32 v13, v13, v14, v15
	v_mul_i32_i24_e32 v14, v22, v64
	v_mul_i32_i24_e32 v15, v23, v71
	s_delay_alu instid0(VALU_DEP_4) | instskip(SKIP_2) | instid1(VALU_DEP_4)
	v_add3_u32 v117, v127, v117, v123
	v_mul_i32_i24_e32 v127, v113, v151
	v_mul_i32_i24_e32 v123, v112, v222
	v_add3_u32 v13, v13, v14, v15
	v_mul_i32_i24_e32 v14, v83, v75
	v_mul_i32_i24_e32 v15, v84, v78
	v_mad_i32_i24 v127, v110, v176, v127
	s_delay_alu instid0(VALU_DEP_4) | instskip(SKIP_2) | instid1(VALU_DEP_3)
	v_add3_u32 v13, v13, v114, v115
	v_mul_i32_i24_e32 v114, v85, v79
	v_mul_i32_i24_e32 v115, v86, v81
	v_add3_u32 v13, v13, v14, v15
	v_mul_i32_i24_e32 v14, v87, v80
	v_mul_i32_i24_e32 v15, v88, v118
	s_delay_alu instid0(VALU_DEP_3) | instskip(SKIP_2) | instid1(VALU_DEP_3)
	v_add3_u32 v13, v13, v114, v115
	v_mul_i32_i24_e32 v114, v89, v119
	v_mul_i32_i24_e32 v115, v90, v120
	v_add3_u32 v13, v13, v14, v15
	v_mul_i32_i24_e32 v14, v91, v44
	v_mul_i32_i24_e32 v15, v93, v72
	s_delay_alu instid0(VALU_DEP_3) | instskip(SKIP_1) | instid1(VALU_DEP_4)
	v_add3_u32 v13, v13, v114, v115
	v_mul_i32_i24_e32 v114, v94, v2
	v_mad_i32_i24 v14, v92, v122, v14
	v_mul_i32_i24_e32 v115, v97, v3
	s_delay_alu instid0(VALU_DEP_4) | instskip(NEXT) | instid1(VALU_DEP_3)
	v_mul_lo_u32 v13, v13, v121
	v_add3_u32 v14, v14, v15, v114
	v_mul_i32_i24_e32 v15, v95, v0
	v_mul_i32_i24_e32 v114, v96, v1
	s_delay_alu instid0(VALU_DEP_1) | instskip(SKIP_2) | instid1(VALU_DEP_3)
	v_add3_u32 v14, v14, v15, v114
	v_mul_i32_i24_e32 v15, v99, v4
	v_mul_i32_i24_e32 v114, v100, v6
	v_add3_u32 v14, v14, v115, v116
	v_mul_i32_i24_e32 v115, v101, v7
	v_mul_i32_i24_e32 v116, v102, v9
	s_delay_alu instid0(VALU_DEP_3) | instskip(SKIP_2) | instid1(VALU_DEP_3)
	v_add3_u32 v14, v14, v15, v114
	v_mul_i32_i24_e32 v15, v103, v8
	v_mul_i32_i24_e32 v114, v104, v10
	v_add3_u32 v14, v14, v115, v116
	v_mul_i32_i24_e32 v115, v105, v11
	v_mul_i32_i24_e32 v116, v16, v12
	s_delay_alu instid0(VALU_DEP_3) | instskip(SKIP_1) | instid1(VALU_DEP_2)
	v_add3_u32 v14, v14, v15, v114
	v_mul_i32_i24_e32 v15, v107, v58
	v_add3_u32 v114, v14, v115, v116
	v_mul_i32_i24_e32 v14, v106, v61
	v_mul_i32_i24_e32 v116, v109, v56
	;; [unrolled: 1-line block ×3, first 2 shown]
	s_delay_alu instid0(VALU_DEP_2) | instskip(SKIP_2) | instid1(VALU_DEP_3)
	v_add3_u32 v14, v117, v116, v14
	v_mul_i32_i24_e32 v116, v98, v255
	v_mul_i32_i24_e32 v117, v111, v223
	v_add3_u32 v115, v14, v15, v115
	v_mad_u64_u32 v[14:15], null, v114, v224, v[13:14]
	v_mul_i32_i24_e32 v15, v21, v235
	v_mul_i32_i24_e32 v114, v37, v236
	v_add3_u32 v117, v127, v117, v123
	v_mul_i32_i24_e32 v127, v113, v132
	v_mul_i32_i24_e32 v123, v112, v181
	v_cvt_f32_i32_e32 v13, v14
	v_cvt_f32_i32_e32 v14, v115
	v_mul_i32_i24_e32 v115, v82, v238
	v_mad_i32_i24 v127, v110, v158, v127
	s_delay_alu instid0(VALU_DEP_3) | instskip(NEXT) | instid1(VALU_DEP_1)
	v_mul_f32_e32 v14, v225, v14
	v_fma_mix_f32 v13, v182, v13, -v14 op_sel_hi:[1,0,0]
	v_mul_i32_i24_e32 v14, v19, v232
	s_delay_alu instid0(VALU_DEP_2) | instskip(SKIP_1) | instid1(VALU_DEP_1)
	v_fmac_f32_e32 v149, v20, v13
	v_mul_i32_i24_e32 v13, v17, v231
	v_mad_i32_i24 v13, v18, v229, v13
	s_delay_alu instid0(VALU_DEP_1) | instskip(SKIP_2) | instid1(VALU_DEP_1)
	v_add3_u32 v13, v13, v14, v15
	v_mul_i32_i24_e32 v14, v22, v233
	v_mul_i32_i24_e32 v15, v23, v234
	v_add3_u32 v13, v13, v14, v15
	v_mul_i32_i24_e32 v14, v83, v237
	v_mul_i32_i24_e32 v15, v84, v239
	s_delay_alu instid0(VALU_DEP_3) | instskip(SKIP_2) | instid1(VALU_DEP_3)
	v_add3_u32 v13, v13, v114, v115
	v_mul_i32_i24_e32 v114, v85, v240
	v_mul_i32_i24_e32 v115, v86, v242
	v_add3_u32 v13, v13, v14, v15
	v_mul_i32_i24_e32 v14, v87, v241
	v_mul_i32_i24_e32 v15, v88, v243
	s_delay_alu instid0(VALU_DEP_3) | instskip(SKIP_2) | instid1(VALU_DEP_3)
	v_add3_u32 v13, v13, v114, v115
	v_mul_i32_i24_e32 v114, v89, v244
	v_mul_i32_i24_e32 v115, v90, v245
	v_add3_u32 v13, v13, v14, v15
	v_mul_i32_i24_e32 v14, v91, v248
	v_mul_i32_i24_e32 v15, v93, v249
	s_delay_alu instid0(VALU_DEP_3) | instskip(SKIP_1) | instid1(VALU_DEP_4)
	v_add3_u32 v13, v13, v114, v115
	v_mul_i32_i24_e32 v114, v94, v252
	v_mad_i32_i24 v14, v92, v247, v14
	v_mul_i32_i24_e32 v115, v97, v253
	s_delay_alu instid0(VALU_DEP_4) | instskip(NEXT) | instid1(VALU_DEP_3)
	v_mul_lo_u32 v13, v13, v246
	v_add3_u32 v14, v14, v15, v114
	v_mul_i32_i24_e32 v15, v95, v250
	v_mul_i32_i24_e32 v114, v96, v251
	s_delay_alu instid0(VALU_DEP_1) | instskip(SKIP_2) | instid1(VALU_DEP_3)
	v_add3_u32 v14, v14, v15, v114
	v_mul_i32_i24_e32 v15, v99, v254
	v_mul_i32_i24_e32 v114, v100, v36
	v_add3_u32 v14, v14, v115, v116
	v_mul_i32_i24_e32 v115, v101, v51
	v_mul_i32_i24_e32 v116, v102, v47
	s_delay_alu instid0(VALU_DEP_3) | instskip(SKIP_2) | instid1(VALU_DEP_3)
	v_add3_u32 v14, v14, v15, v114
	v_mul_i32_i24_e32 v15, v103, v46
	v_mul_i32_i24_e32 v114, v104, v48
	v_add3_u32 v14, v14, v115, v116
	v_mul_i32_i24_e32 v115, v105, v49
	v_mul_i32_i24_e32 v116, v16, v52
	s_delay_alu instid0(VALU_DEP_3) | instskip(SKIP_1) | instid1(VALU_DEP_2)
	v_add3_u32 v14, v14, v15, v114
	v_mul_i32_i24_e32 v15, v107, v228
	v_add3_u32 v114, v14, v115, v116
	v_mul_i32_i24_e32 v14, v106, v230
	v_mul_i32_i24_e32 v116, v109, v226
	;; [unrolled: 1-line block ×3, first 2 shown]
	s_delay_alu instid0(VALU_DEP_2) | instskip(SKIP_2) | instid1(VALU_DEP_3)
	v_add3_u32 v14, v117, v116, v14
	v_mul_i32_i24_e32 v116, v98, v214
	v_mul_i32_i24_e32 v117, v111, v188
	v_add3_u32 v115, v14, v15, v115
	v_mad_u64_u32 v[14:15], null, v114, v35, v[13:14]
	v_mul_i32_i24_e32 v15, v21, v196
	v_mul_i32_i24_e32 v114, v37, v197
	v_add3_u32 v117, v127, v117, v123
	s_delay_alu instid0(VALU_DEP_4) | instskip(SKIP_2) | instid1(VALU_DEP_2)
	v_cvt_f32_i32_e32 v13, v14
	v_cvt_f32_i32_e32 v14, v115
	v_mul_i32_i24_e32 v115, v82, v198
	v_mul_f32_e32 v14, v38, v14
	s_delay_alu instid0(VALU_DEP_1) | instskip(SKIP_1) | instid1(VALU_DEP_2)
	v_fma_mix_f32 v13, v138, v13, -v14 op_sel_hi:[1,0,0]
	v_mul_i32_i24_e32 v14, v19, v192
	v_fmac_f32_e32 v165, v20, v13
	v_mul_i32_i24_e32 v13, v17, v190
	s_delay_alu instid0(VALU_DEP_1) | instskip(NEXT) | instid1(VALU_DEP_1)
	v_mad_i32_i24 v13, v18, v39, v13
	v_add3_u32 v13, v13, v14, v15
	v_mul_i32_i24_e32 v14, v22, v28
	v_mul_i32_i24_e32 v15, v23, v191
	s_delay_alu instid0(VALU_DEP_1) | instskip(SKIP_2) | instid1(VALU_DEP_3)
	v_add3_u32 v13, v13, v14, v15
	v_mul_i32_i24_e32 v14, v83, v194
	v_mul_i32_i24_e32 v15, v84, v199
	v_add3_u32 v13, v13, v114, v115
	v_mul_i32_i24_e32 v114, v85, v200
	v_mul_i32_i24_e32 v115, v86, v203
	s_delay_alu instid0(VALU_DEP_3) | instskip(SKIP_2) | instid1(VALU_DEP_3)
	v_add3_u32 v13, v13, v14, v15
	v_mul_i32_i24_e32 v14, v87, v201
	v_mul_i32_i24_e32 v15, v88, v204
	v_add3_u32 v13, v13, v114, v115
	v_mul_i32_i24_e32 v114, v89, v145
	v_mul_i32_i24_e32 v115, v90, v133
	s_delay_alu instid0(VALU_DEP_3) | instskip(SKIP_2) | instid1(VALU_DEP_3)
	v_add3_u32 v13, v13, v14, v15
	v_mul_i32_i24_e32 v14, v91, v207
	v_mul_i32_i24_e32 v15, v93, v208
	v_add3_u32 v13, v13, v114, v115
	v_mul_i32_i24_e32 v114, v94, v211
	s_delay_alu instid0(VALU_DEP_4) | instskip(SKIP_1) | instid1(VALU_DEP_4)
	v_mad_i32_i24 v14, v92, v206, v14
	v_mul_i32_i24_e32 v115, v97, v212
	v_mul_lo_u32 v13, v13, v205
	s_delay_alu instid0(VALU_DEP_3) | instskip(SKIP_2) | instid1(VALU_DEP_1)
	v_add3_u32 v14, v14, v15, v114
	v_mul_i32_i24_e32 v15, v95, v209
	v_mul_i32_i24_e32 v114, v96, v210
	v_add3_u32 v14, v14, v15, v114
	v_mul_i32_i24_e32 v15, v99, v213
	v_mul_i32_i24_e32 v114, v100, v215
	s_delay_alu instid0(VALU_DEP_3) | instskip(SKIP_2) | instid1(VALU_DEP_3)
	v_add3_u32 v14, v14, v115, v116
	v_mul_i32_i24_e32 v115, v101, v216
	v_mul_i32_i24_e32 v116, v102, v218
	v_add3_u32 v14, v14, v15, v114
	v_mul_i32_i24_e32 v15, v103, v217
	v_mul_i32_i24_e32 v114, v104, v219
	s_delay_alu instid0(VALU_DEP_3) | instskip(SKIP_3) | instid1(VALU_DEP_4)
	v_add3_u32 v14, v14, v115, v116
	v_mul_i32_i24_e32 v115, v105, v220
	v_mul_i32_i24_e32 v116, v16, v221
	;; [unrolled: 1-line block ×3, first 2 shown]
	v_add3_u32 v14, v14, v15, v114
	v_mul_i32_i24_e32 v15, v107, v142
	s_delay_alu instid0(VALU_DEP_2) | instskip(SKIP_3) | instid1(VALU_DEP_2)
	v_add3_u32 v114, v14, v115, v116
	v_mul_i32_i24_e32 v14, v106, v141
	v_mul_i32_i24_e32 v116, v109, v183
	;; [unrolled: 1-line block ×3, first 2 shown]
	v_add3_u32 v14, v117, v116, v14
	s_delay_alu instid0(VALU_DEP_1) | instskip(SKIP_3) | instid1(VALU_DEP_3)
	v_add3_u32 v115, v14, v15, v115
	v_mad_u64_u32 v[14:15], null, v114, v136, v[13:14]
	v_mul_i32_i24_e32 v15, v21, v167
	v_mul_i32_i24_e32 v21, v112, v160
	v_cvt_f32_i32_e32 v13, v14
	v_cvt_f32_i32_e32 v14, v115
	s_delay_alu instid0(VALU_DEP_1) | instskip(NEXT) | instid1(VALU_DEP_1)
	v_mul_f32_e32 v14, v137, v14
	v_fma_mix_f32 v13, v131, v13, -v14 op_sel_hi:[1,0,0]
	v_mul_i32_i24_e32 v14, v19, v179
	v_mul_i32_i24_e32 v19, v98, v186
	s_delay_alu instid0(VALU_DEP_3) | instskip(SKIP_2) | instid1(VALU_DEP_2)
	v_fmac_f32_e32 v150, v20, v13
	v_mul_i32_i24_e32 v13, v17, v144
	v_mul_i32_i24_e32 v17, v37, v168
	v_mad_i32_i24 v13, v18, v25, v13
	v_mul_i32_i24_e32 v18, v82, v152
	s_delay_alu instid0(VALU_DEP_2) | instskip(SKIP_3) | instid1(VALU_DEP_2)
	v_add3_u32 v13, v13, v14, v15
	v_mul_i32_i24_e32 v14, v22, v164
	v_mul_i32_i24_e32 v15, v23, v166
	;; [unrolled: 1-line block ×3, first 2 shown]
	v_add3_u32 v13, v13, v14, v15
	v_mul_i32_i24_e32 v14, v83, v170
	v_mul_i32_i24_e32 v15, v84, v153
	s_delay_alu instid0(VALU_DEP_4) | instskip(NEXT) | instid1(VALU_DEP_4)
	v_mad_i32_i24 v22, v110, v156, v22
	v_add3_u32 v13, v13, v17, v18
	v_mul_i32_i24_e32 v17, v85, v172
	v_mul_i32_i24_e32 v18, v86, v174
	s_delay_alu instid0(VALU_DEP_3) | instskip(SKIP_2) | instid1(VALU_DEP_3)
	v_add3_u32 v13, v13, v14, v15
	v_mul_i32_i24_e32 v14, v87, v171
	v_mul_i32_i24_e32 v15, v88, v173
	v_add3_u32 v13, v13, v17, v18
	v_mul_i32_i24_e32 v17, v89, v175
	v_mul_i32_i24_e32 v18, v90, v177
	s_delay_alu instid0(VALU_DEP_3) | instskip(SKIP_2) | instid1(VALU_DEP_3)
	v_add3_u32 v13, v13, v14, v15
	v_mul_i32_i24_e32 v14, v91, v30
	v_mul_i32_i24_e32 v15, v93, v31
	v_add3_u32 v13, v13, v17, v18
	v_mul_i32_i24_e32 v17, v94, v34
	s_delay_alu instid0(VALU_DEP_4) | instskip(SKIP_1) | instid1(VALU_DEP_4)
	v_mad_i32_i24 v14, v92, v29, v14
	v_mul_i32_i24_e32 v18, v97, v33
	v_mul_lo_u32 v13, v13, v193
	s_delay_alu instid0(VALU_DEP_3) | instskip(SKIP_2) | instid1(VALU_DEP_1)
	v_add3_u32 v14, v14, v15, v17
	v_mul_i32_i24_e32 v15, v95, v32
	v_mul_i32_i24_e32 v17, v96, v178
	v_add3_u32 v14, v14, v15, v17
	v_mul_i32_i24_e32 v15, v99, v180
	v_mul_i32_i24_e32 v17, v100, v185
	s_delay_alu instid0(VALU_DEP_3) | instskip(SKIP_2) | instid1(VALU_DEP_3)
	v_add3_u32 v14, v14, v18, v19
	v_mul_i32_i24_e32 v18, v101, v169
	v_mul_i32_i24_e32 v19, v102, v140
	v_add3_u32 v14, v14, v15, v17
	v_mul_i32_i24_e32 v15, v103, v187
	v_mul_i32_i24_e32 v17, v104, v135
	s_delay_alu instid0(VALU_DEP_3) | instskip(SKIP_2) | instid1(VALU_DEP_3)
	v_add3_u32 v14, v14, v18, v19
	v_mul_i32_i24_e32 v18, v105, v134
	v_mul_i32_i24_e32 v19, v111, v26
	v_add3_u32 v14, v14, v15, v17
	v_mul_i32_i24_e32 v15, v107, v27
	s_delay_alu instid0(VALU_DEP_3) | instskip(SKIP_1) | instid1(VALU_DEP_4)
	v_add3_u32 v19, v22, v19, v21
	v_mul_i32_i24_e32 v17, v108, v161
	v_add3_u32 v16, v14, v18, v16
	v_mul_i32_i24_e32 v14, v106, v163
	v_mul_i32_i24_e32 v18, v109, v139
	s_delay_alu instid0(VALU_DEP_1) | instskip(NEXT) | instid1(VALU_DEP_1)
	v_add3_u32 v14, v19, v18, v14
	v_add3_u32 v17, v14, v15, v17
	v_mad_u64_u32 v[14:15], null, v16, v155, v[13:14]
	s_delay_alu instid0(VALU_DEP_1) | instskip(NEXT) | instid1(VALU_DEP_3)
	v_cvt_f32_i32_e32 v13, v14
	v_cvt_f32_i32_e32 v14, v17
	s_delay_alu instid0(VALU_DEP_1) | instskip(NEXT) | instid1(VALU_DEP_1)
	v_mul_f32_e32 v14, v24, v14
	v_fma_mix_f32 v13, v126, v13, -v14 op_sel_hi:[1,0,0]
	s_delay_alu instid0(VALU_DEP_1)
	v_fmac_f32_e32 v157, v20, v13
	ds_load_2addr_b32 v[19:20], v125 offset0:192 offset1:224
	ds_load_b128 v[13:16], v124 offset:6144
	v_add_nc_u32_e32 v125, 4, v125
	s_waitcnt lgkmcnt(0)
	v_bfe_i32 v17, v13, 0, 8
	v_bfe_i32 v18, v13, 8, 8
	v_bfe_i32 v21, v13, 16, 8
	v_ashrrev_i32_e32 v22, 24, v13
	v_bfe_i32 v23, v14, 0, 8
	v_bfe_i32 v37, v14, 8, 8
	v_bfe_i32 v82, v14, 16, 8
	v_ashrrev_i32_e32 v83, 24, v14
	;; [unrolled: 4-line block ×4, first 2 shown]
	ds_load_b128 v[13:16], v124 offset:6160
	v_mul_i32_i24_e32 v115, v82, v74
	v_mul_i32_i24_e32 v116, v83, v77
	s_waitcnt lgkmcnt(0)
	v_ashrrev_i32_e32 v95, 24, v13
	v_ashrrev_i32_e32 v99, 24, v14
	v_bfe_i32 v92, v13, 0, 8
	v_bfe_i32 v93, v13, 8, 8
	;; [unrolled: 1-line block ×4, first 2 shown]
	v_add_nc_u32_e32 v13, v99, v95
	v_ashrrev_i32_e32 v103, 24, v15
	v_bfe_i32 v104, v16, 0, 8
	v_bfe_i32 v105, v16, 8, 8
	;; [unrolled: 1-line block ×3, first 2 shown]
	v_ashrrev_i32_e32 v16, 24, v16
	v_bfe_i32 v97, v14, 8, 8
	v_bfe_i32 v102, v15, 16, 8
	;; [unrolled: 1-line block ×4, first 2 shown]
	v_add3_u32 v107, v13, v103, v16
	v_add_nc_u32_e32 v13, v98, v94
	v_bfe_i32 v100, v15, 0, 8
	v_mul_i32_i24_e32 v14, v21, v63
	v_mul_i32_i24_e32 v15, v22, v73
	;; [unrolled: 1-line block ×3, first 2 shown]
	v_add3_u32 v108, v13, v102, v106
	v_add_nc_u32_e32 v13, v97, v93
	s_delay_alu instid0(VALU_DEP_1) | instskip(SKIP_1) | instid1(VALU_DEP_1)
	v_add3_u32 v109, v13, v101, v105
	v_add_nc_u32_e32 v13, v96, v92
	v_add3_u32 v110, v13, v100, v104
	v_add_nc_u32_e32 v13, v83, v22
	s_delay_alu instid0(VALU_DEP_1) | instskip(SKIP_1) | instid1(VALU_DEP_1)
	v_add3_u32 v111, v13, v87, v91
	v_add_nc_u32_e32 v13, v82, v21
	v_add3_u32 v112, v13, v86, v90
	v_add_nc_u32_e32 v13, v37, v18
	s_delay_alu instid0(VALU_DEP_2) | instskip(NEXT) | instid1(VALU_DEP_2)
	v_mul_i32_i24_e32 v123, v112, v54
	v_add3_u32 v113, v13, v85, v89
	v_add_nc_u32_e32 v13, v23, v17
	s_delay_alu instid0(VALU_DEP_2) | instskip(NEXT) | instid1(VALU_DEP_2)
	v_mul_i32_i24_e32 v127, v113, v53
	v_add3_u32 v114, v13, v84, v88
	v_mul_i32_i24_e32 v13, v17, v62
	s_delay_alu instid0(VALU_DEP_2) | instskip(NEXT) | instid1(VALU_DEP_2)
	v_mul_i32_i24_e32 v128, v114, v195
	v_mad_i32_i24 v13, v18, v59, v13
	s_delay_alu instid0(VALU_DEP_2) | instskip(NEXT) | instid1(VALU_DEP_2)
	v_mad_i32_i24 v128, v111, v202, v128
	v_add3_u32 v13, v13, v14, v15
	v_mul_i32_i24_e32 v14, v23, v64
	v_mul_i32_i24_e32 v15, v37, v71
	s_delay_alu instid0(VALU_DEP_4) | instskip(SKIP_2) | instid1(VALU_DEP_4)
	v_add3_u32 v123, v128, v123, v127
	v_mul_i32_i24_e32 v128, v114, v151
	v_mul_i32_i24_e32 v127, v113, v222
	v_add3_u32 v13, v13, v14, v15
	v_mul_i32_i24_e32 v14, v84, v75
	v_mul_i32_i24_e32 v15, v85, v78
	v_mad_i32_i24 v128, v111, v176, v128
	s_delay_alu instid0(VALU_DEP_4) | instskip(SKIP_2) | instid1(VALU_DEP_3)
	v_add3_u32 v13, v13, v115, v116
	v_mul_i32_i24_e32 v115, v86, v79
	v_mul_i32_i24_e32 v116, v87, v81
	v_add3_u32 v13, v13, v14, v15
	v_mul_i32_i24_e32 v14, v88, v80
	v_mul_i32_i24_e32 v15, v89, v118
	s_delay_alu instid0(VALU_DEP_3) | instskip(SKIP_2) | instid1(VALU_DEP_3)
	v_add3_u32 v13, v13, v115, v116
	v_mul_i32_i24_e32 v115, v90, v119
	v_mul_i32_i24_e32 v116, v91, v120
	v_add3_u32 v13, v13, v14, v15
	v_mul_i32_i24_e32 v14, v92, v44
	v_mul_i32_i24_e32 v15, v94, v72
	s_delay_alu instid0(VALU_DEP_3) | instskip(SKIP_1) | instid1(VALU_DEP_4)
	v_add3_u32 v13, v13, v115, v116
	v_mul_i32_i24_e32 v115, v95, v2
	v_mad_i32_i24 v14, v93, v122, v14
	v_mul_i32_i24_e32 v116, v98, v3
	s_delay_alu instid0(VALU_DEP_4) | instskip(NEXT) | instid1(VALU_DEP_3)
	v_mul_lo_u32 v13, v13, v121
	v_add3_u32 v14, v14, v15, v115
	v_mul_i32_i24_e32 v15, v96, v0
	v_mul_i32_i24_e32 v115, v97, v1
	s_delay_alu instid0(VALU_DEP_1) | instskip(SKIP_2) | instid1(VALU_DEP_3)
	v_add3_u32 v14, v14, v15, v115
	v_mul_i32_i24_e32 v15, v100, v4
	v_mul_i32_i24_e32 v115, v101, v6
	v_add3_u32 v14, v14, v116, v117
	v_mul_i32_i24_e32 v116, v102, v7
	v_mul_i32_i24_e32 v117, v103, v9
	s_delay_alu instid0(VALU_DEP_3) | instskip(SKIP_2) | instid1(VALU_DEP_3)
	v_add3_u32 v14, v14, v15, v115
	v_mul_i32_i24_e32 v15, v104, v8
	v_mul_i32_i24_e32 v115, v105, v10
	v_add3_u32 v14, v14, v116, v117
	v_mul_i32_i24_e32 v116, v106, v11
	v_mul_i32_i24_e32 v117, v16, v12
	s_delay_alu instid0(VALU_DEP_3) | instskip(SKIP_1) | instid1(VALU_DEP_2)
	v_add3_u32 v14, v14, v15, v115
	v_mul_i32_i24_e32 v15, v108, v58
	v_add3_u32 v115, v14, v116, v117
	v_mul_i32_i24_e32 v14, v107, v61
	v_mul_i32_i24_e32 v117, v110, v56
	;; [unrolled: 1-line block ×3, first 2 shown]
	s_delay_alu instid0(VALU_DEP_2) | instskip(SKIP_2) | instid1(VALU_DEP_3)
	v_add3_u32 v14, v123, v117, v14
	v_mul_i32_i24_e32 v117, v99, v255
	v_mul_i32_i24_e32 v123, v112, v223
	v_add3_u32 v116, v14, v15, v116
	v_mad_u64_u32 v[14:15], null, v115, v224, v[13:14]
	v_mul_i32_i24_e32 v15, v22, v235
	v_mul_i32_i24_e32 v115, v82, v236
	v_add3_u32 v123, v128, v123, v127
	v_mul_i32_i24_e32 v128, v114, v132
	v_mul_i32_i24_e32 v127, v113, v181
	v_cvt_f32_i32_e32 v13, v14
	v_cvt_f32_i32_e32 v14, v116
	v_mul_i32_i24_e32 v116, v83, v238
	v_mad_i32_i24 v128, v111, v158, v128
	s_delay_alu instid0(VALU_DEP_3) | instskip(NEXT) | instid1(VALU_DEP_1)
	v_mul_f32_e32 v14, v225, v14
	v_fma_mix_f32 v13, v182, v13, -v14 op_sel_hi:[1,0,0]
	v_mul_i32_i24_e32 v14, v21, v232
	s_delay_alu instid0(VALU_DEP_2) | instskip(SKIP_1) | instid1(VALU_DEP_1)
	v_fmac_f32_e32 v162, v19, v13
	v_mul_i32_i24_e32 v13, v17, v231
	v_mad_i32_i24 v13, v18, v229, v13
	s_delay_alu instid0(VALU_DEP_1) | instskip(SKIP_2) | instid1(VALU_DEP_1)
	v_add3_u32 v13, v13, v14, v15
	v_mul_i32_i24_e32 v14, v23, v233
	v_mul_i32_i24_e32 v15, v37, v234
	v_add3_u32 v13, v13, v14, v15
	v_mul_i32_i24_e32 v14, v84, v237
	v_mul_i32_i24_e32 v15, v85, v239
	s_delay_alu instid0(VALU_DEP_3) | instskip(SKIP_2) | instid1(VALU_DEP_3)
	v_add3_u32 v13, v13, v115, v116
	v_mul_i32_i24_e32 v115, v86, v240
	v_mul_i32_i24_e32 v116, v87, v242
	v_add3_u32 v13, v13, v14, v15
	v_mul_i32_i24_e32 v14, v88, v241
	v_mul_i32_i24_e32 v15, v89, v243
	s_delay_alu instid0(VALU_DEP_3) | instskip(SKIP_2) | instid1(VALU_DEP_3)
	v_add3_u32 v13, v13, v115, v116
	v_mul_i32_i24_e32 v115, v90, v244
	v_mul_i32_i24_e32 v116, v91, v245
	v_add3_u32 v13, v13, v14, v15
	v_mul_i32_i24_e32 v14, v92, v248
	v_mul_i32_i24_e32 v15, v94, v249
	s_delay_alu instid0(VALU_DEP_3) | instskip(SKIP_1) | instid1(VALU_DEP_4)
	v_add3_u32 v13, v13, v115, v116
	v_mul_i32_i24_e32 v115, v95, v252
	v_mad_i32_i24 v14, v93, v247, v14
	v_mul_i32_i24_e32 v116, v98, v253
	s_delay_alu instid0(VALU_DEP_4) | instskip(NEXT) | instid1(VALU_DEP_3)
	v_mul_lo_u32 v13, v13, v246
	v_add3_u32 v14, v14, v15, v115
	v_mul_i32_i24_e32 v15, v96, v250
	v_mul_i32_i24_e32 v115, v97, v251
	s_delay_alu instid0(VALU_DEP_1) | instskip(SKIP_2) | instid1(VALU_DEP_3)
	v_add3_u32 v14, v14, v15, v115
	v_mul_i32_i24_e32 v15, v100, v254
	v_mul_i32_i24_e32 v115, v101, v36
	v_add3_u32 v14, v14, v116, v117
	v_mul_i32_i24_e32 v116, v102, v51
	v_mul_i32_i24_e32 v117, v103, v47
	s_delay_alu instid0(VALU_DEP_3) | instskip(SKIP_2) | instid1(VALU_DEP_3)
	v_add3_u32 v14, v14, v15, v115
	v_mul_i32_i24_e32 v15, v104, v46
	v_mul_i32_i24_e32 v115, v105, v48
	v_add3_u32 v14, v14, v116, v117
	v_mul_i32_i24_e32 v116, v106, v49
	v_mul_i32_i24_e32 v117, v16, v52
	s_delay_alu instid0(VALU_DEP_3) | instskip(SKIP_1) | instid1(VALU_DEP_2)
	v_add3_u32 v14, v14, v15, v115
	v_mul_i32_i24_e32 v15, v108, v228
	v_add3_u32 v115, v14, v116, v117
	v_mul_i32_i24_e32 v14, v107, v230
	v_mul_i32_i24_e32 v117, v110, v226
	;; [unrolled: 1-line block ×3, first 2 shown]
	s_delay_alu instid0(VALU_DEP_2) | instskip(SKIP_2) | instid1(VALU_DEP_3)
	v_add3_u32 v14, v123, v117, v14
	v_mul_i32_i24_e32 v117, v99, v214
	v_mul_i32_i24_e32 v123, v112, v188
	v_add3_u32 v116, v14, v15, v116
	v_mad_u64_u32 v[14:15], null, v115, v35, v[13:14]
	v_mul_i32_i24_e32 v15, v22, v196
	v_mul_i32_i24_e32 v115, v82, v197
	v_add3_u32 v123, v128, v123, v127
	s_delay_alu instid0(VALU_DEP_4) | instskip(SKIP_2) | instid1(VALU_DEP_2)
	v_cvt_f32_i32_e32 v13, v14
	v_cvt_f32_i32_e32 v14, v116
	v_mul_i32_i24_e32 v116, v83, v198
	v_mul_f32_e32 v14, v38, v14
	s_delay_alu instid0(VALU_DEP_1) | instskip(SKIP_1) | instid1(VALU_DEP_2)
	v_fma_mix_f32 v13, v138, v13, -v14 op_sel_hi:[1,0,0]
	v_mul_i32_i24_e32 v14, v21, v192
	v_fmac_f32_e32 v159, v19, v13
	v_mul_i32_i24_e32 v13, v17, v190
	s_delay_alu instid0(VALU_DEP_1) | instskip(NEXT) | instid1(VALU_DEP_1)
	v_mad_i32_i24 v13, v18, v39, v13
	v_add3_u32 v13, v13, v14, v15
	v_mul_i32_i24_e32 v14, v23, v28
	v_mul_i32_i24_e32 v15, v37, v191
	s_delay_alu instid0(VALU_DEP_1) | instskip(SKIP_2) | instid1(VALU_DEP_3)
	v_add3_u32 v13, v13, v14, v15
	v_mul_i32_i24_e32 v14, v84, v194
	v_mul_i32_i24_e32 v15, v85, v199
	v_add3_u32 v13, v13, v115, v116
	v_mul_i32_i24_e32 v115, v86, v200
	v_mul_i32_i24_e32 v116, v87, v203
	s_delay_alu instid0(VALU_DEP_3) | instskip(SKIP_2) | instid1(VALU_DEP_3)
	v_add3_u32 v13, v13, v14, v15
	v_mul_i32_i24_e32 v14, v88, v201
	v_mul_i32_i24_e32 v15, v89, v204
	v_add3_u32 v13, v13, v115, v116
	v_mul_i32_i24_e32 v115, v90, v145
	v_mul_i32_i24_e32 v116, v91, v133
	s_delay_alu instid0(VALU_DEP_3) | instskip(SKIP_2) | instid1(VALU_DEP_3)
	v_add3_u32 v13, v13, v14, v15
	v_mul_i32_i24_e32 v14, v92, v207
	v_mul_i32_i24_e32 v15, v94, v208
	v_add3_u32 v13, v13, v115, v116
	v_mul_i32_i24_e32 v115, v95, v211
	s_delay_alu instid0(VALU_DEP_4) | instskip(SKIP_1) | instid1(VALU_DEP_4)
	v_mad_i32_i24 v14, v93, v206, v14
	v_mul_i32_i24_e32 v116, v98, v212
	v_mul_lo_u32 v13, v13, v205
	s_delay_alu instid0(VALU_DEP_3) | instskip(SKIP_2) | instid1(VALU_DEP_1)
	v_add3_u32 v14, v14, v15, v115
	v_mul_i32_i24_e32 v15, v96, v209
	v_mul_i32_i24_e32 v115, v97, v210
	v_add3_u32 v14, v14, v15, v115
	v_mul_i32_i24_e32 v15, v100, v213
	v_mul_i32_i24_e32 v115, v101, v215
	s_delay_alu instid0(VALU_DEP_3) | instskip(SKIP_2) | instid1(VALU_DEP_3)
	v_add3_u32 v14, v14, v116, v117
	v_mul_i32_i24_e32 v116, v102, v216
	v_mul_i32_i24_e32 v117, v103, v218
	v_add3_u32 v14, v14, v15, v115
	v_mul_i32_i24_e32 v15, v104, v217
	v_mul_i32_i24_e32 v115, v105, v219
	s_delay_alu instid0(VALU_DEP_3) | instskip(SKIP_3) | instid1(VALU_DEP_4)
	v_add3_u32 v14, v14, v116, v117
	v_mul_i32_i24_e32 v116, v106, v220
	v_mul_i32_i24_e32 v117, v16, v221
	;; [unrolled: 1-line block ×3, first 2 shown]
	v_add3_u32 v14, v14, v15, v115
	v_mul_i32_i24_e32 v15, v108, v142
	s_delay_alu instid0(VALU_DEP_2) | instskip(SKIP_3) | instid1(VALU_DEP_2)
	v_add3_u32 v115, v14, v116, v117
	v_mul_i32_i24_e32 v14, v107, v141
	v_mul_i32_i24_e32 v117, v110, v183
	;; [unrolled: 1-line block ×3, first 2 shown]
	v_add3_u32 v14, v123, v117, v14
	s_delay_alu instid0(VALU_DEP_1) | instskip(SKIP_3) | instid1(VALU_DEP_3)
	v_add3_u32 v116, v14, v15, v116
	v_mad_u64_u32 v[14:15], null, v115, v136, v[13:14]
	v_mul_i32_i24_e32 v15, v22, v167
	v_mul_i32_i24_e32 v22, v113, v160
	v_cvt_f32_i32_e32 v13, v14
	v_cvt_f32_i32_e32 v14, v116
	s_delay_alu instid0(VALU_DEP_1) | instskip(NEXT) | instid1(VALU_DEP_1)
	v_mul_f32_e32 v14, v137, v14
	v_fma_mix_f32 v13, v131, v13, -v14 op_sel_hi:[1,0,0]
	v_mul_i32_i24_e32 v14, v21, v179
	v_mul_i32_i24_e32 v21, v99, v186
	s_delay_alu instid0(VALU_DEP_3) | instskip(SKIP_2) | instid1(VALU_DEP_2)
	v_fmac_f32_e32 v147, v19, v13
	v_mul_i32_i24_e32 v13, v17, v144
	v_mul_i32_i24_e32 v17, v82, v168
	v_mad_i32_i24 v13, v18, v25, v13
	v_mul_i32_i24_e32 v18, v83, v152
	s_delay_alu instid0(VALU_DEP_2) | instskip(SKIP_3) | instid1(VALU_DEP_2)
	v_add3_u32 v13, v13, v14, v15
	v_mul_i32_i24_e32 v14, v23, v164
	v_mul_i32_i24_e32 v15, v37, v166
	;; [unrolled: 1-line block ×3, first 2 shown]
	v_add3_u32 v13, v13, v14, v15
	v_mul_i32_i24_e32 v14, v84, v170
	v_mul_i32_i24_e32 v15, v85, v153
	s_delay_alu instid0(VALU_DEP_4) | instskip(NEXT) | instid1(VALU_DEP_4)
	v_mad_i32_i24 v23, v111, v156, v23
	v_add3_u32 v13, v13, v17, v18
	v_mul_i32_i24_e32 v17, v86, v172
	v_mul_i32_i24_e32 v18, v87, v174
	s_delay_alu instid0(VALU_DEP_3) | instskip(SKIP_2) | instid1(VALU_DEP_3)
	v_add3_u32 v13, v13, v14, v15
	v_mul_i32_i24_e32 v14, v88, v171
	v_mul_i32_i24_e32 v15, v89, v173
	v_add3_u32 v13, v13, v17, v18
	v_mul_i32_i24_e32 v17, v90, v175
	v_mul_i32_i24_e32 v18, v91, v177
	s_delay_alu instid0(VALU_DEP_3) | instskip(SKIP_2) | instid1(VALU_DEP_3)
	v_add3_u32 v13, v13, v14, v15
	v_mul_i32_i24_e32 v14, v92, v30
	v_mul_i32_i24_e32 v15, v94, v31
	v_add3_u32 v13, v13, v17, v18
	v_mul_i32_i24_e32 v17, v95, v34
	s_delay_alu instid0(VALU_DEP_4) | instskip(SKIP_1) | instid1(VALU_DEP_4)
	v_mad_i32_i24 v14, v93, v29, v14
	v_mul_i32_i24_e32 v18, v98, v33
	v_mul_lo_u32 v13, v13, v193
	s_delay_alu instid0(VALU_DEP_3) | instskip(SKIP_2) | instid1(VALU_DEP_1)
	v_add3_u32 v14, v14, v15, v17
	v_mul_i32_i24_e32 v15, v96, v32
	v_mul_i32_i24_e32 v17, v97, v178
	v_add3_u32 v14, v14, v15, v17
	v_mul_i32_i24_e32 v15, v100, v180
	v_mul_i32_i24_e32 v17, v101, v185
	ds_load_b128 v[97:100], v124 offset:7184
	v_add3_u32 v14, v14, v18, v21
	v_mul_i32_i24_e32 v18, v102, v169
	v_mul_i32_i24_e32 v21, v103, v140
	s_delay_alu instid0(VALU_DEP_3) | instskip(SKIP_2) | instid1(VALU_DEP_3)
	v_add3_u32 v14, v14, v15, v17
	v_mul_i32_i24_e32 v15, v104, v187
	v_mul_i32_i24_e32 v17, v105, v135
	v_add3_u32 v14, v14, v18, v21
	v_mul_i32_i24_e32 v18, v106, v134
	v_mul_i32_i24_e32 v21, v112, v26
	s_delay_alu instid0(VALU_DEP_3) | instskip(SKIP_1) | instid1(VALU_DEP_3)
	v_add3_u32 v14, v14, v15, v17
	v_mul_i32_i24_e32 v15, v108, v27
	v_add3_u32 v21, v23, v21, v22
	v_mul_i32_i24_e32 v17, v109, v161
	s_waitcnt lgkmcnt(0)
	v_bfe_i32 v111, v97, 0, 8
	v_add3_u32 v16, v14, v18, v16
	v_mul_i32_i24_e32 v14, v107, v163
	v_mul_i32_i24_e32 v18, v110, v139
	v_bfe_i32 v123, v97, 8, 8
	v_bfe_i32 v112, v97, 16, 8
	v_ashrrev_i32_e32 v115, 24, v97
	v_ashrrev_i32_e32 v110, 24, v98
	v_add3_u32 v14, v21, v18, v14
	v_bfe_i32 v109, v98, 16, 8
	v_ashrrev_i32_e32 v37, 24, v99
	v_mul_i32_i24_e32 v2, v115, v2
	v_ashrrev_i32_e32 v116, 24, v100
	v_add3_u32 v17, v14, v15, v17
	v_mad_u64_u32 v[14:15], null, v16, v155, v[13:14]
	v_bfe_i32 v113, v99, 16, 8
	v_bfe_i32 v97, v100, 16, 8
	;; [unrolled: 1-line block ×4, first 2 shown]
	v_mul_i32_i24_e32 v3, v109, v3
	v_mul_i32_i24_e32 v5, v110, v5
	v_cvt_f32_i32_e32 v13, v14
	v_cvt_f32_i32_e32 v14, v17
	v_bfe_i32 v17, v98, 8, 8
	v_bfe_i32 v95, v100, 0, 8
	s_delay_alu instid0(VALU_DEP_3) | instskip(NEXT) | instid1(VALU_DEP_3)
	v_mul_f32_e32 v14, v24, v14
	v_mul_i32_i24_e32 v1, v17, v1
	s_delay_alu instid0(VALU_DEP_2) | instskip(NEXT) | instid1(VALU_DEP_1)
	v_fma_mix_f32 v13, v126, v13, -v14 op_sel_hi:[1,0,0]
	v_fmac_f32_e32 v146, v19, v13
	ds_load_b128 v[13:16], v124 offset:7168
	v_add_nc_u32_e32 v124, 32, v124
	s_waitcnt lgkmcnt(0)
	v_bfe_i32 v93, v13, 16, 8
	v_bfe_i32 v90, v14, 16, 8
	;; [unrolled: 1-line block ×6, first 2 shown]
	v_add_nc_u32_e32 v19, v90, v93
	v_bfe_i32 v92, v13, 0, 8
	v_bfe_i32 v88, v14, 0, 8
	;; [unrolled: 1-line block ×4, first 2 shown]
	v_ashrrev_i32_e32 v86, 24, v15
	v_bfe_i32 v15, v16, 8, 8
	v_add3_u32 v101, v19, v85, v18
	v_add_nc_u32_e32 v19, v89, v87
	v_ashrrev_i32_e32 v91, 24, v14
	v_bfe_i32 v14, v16, 0, 8
	v_ashrrev_i32_e32 v94, 24, v13
	v_mul_i32_i24_e32 v21, v93, v63
	v_add3_u32 v102, v19, v84, v15
	v_add_nc_u32_e32 v19, v88, v92
	v_mul_i32_i24_e32 v23, v90, v74
	v_mul_i32_i24_e32 v22, v94, v73
	scratch_load_b32 v63, off, off offset:16 ; 4-byte Folded Reload
	v_ashrrev_i32_e32 v82, 24, v16
	v_add3_u32 v103, v19, v83, v14
	v_mul_i32_i24_e32 v19, v92, v62
	scratch_load_b32 v62, off, off offset:12 ; 4-byte Folded Reload
	v_bfe_i32 v16, v98, 0, 8
	v_add_nc_u32_e32 v13, v110, v115
	v_bfe_i32 v98, v99, 0, 8
	v_mad_i32_i24 v19, v87, v59, v19
	v_mul_i32_i24_e32 v59, v91, v77
	v_mul_i32_i24_e32 v0, v16, v0
	v_add3_u32 v114, v13, v37, v116
	v_add_nc_u32_e32 v13, v109, v112
	v_add3_u32 v19, v19, v21, v22
	v_mul_i32_i24_e32 v21, v88, v64
	v_mul_i32_i24_e32 v22, v89, v71
	scratch_load_b32 v64, off, off offset:20 ; 4-byte Folded Reload
	v_add3_u32 v117, v13, v113, v97
	v_add_nc_u32_e32 v13, v17, v123
	v_add3_u32 v19, v19, v21, v22
	v_mul_i32_i24_e32 v21, v83, v75
	v_mul_i32_i24_e32 v22, v84, v78
	s_delay_alu instid0(VALU_DEP_4) | instskip(SKIP_4) | instid1(VALU_DEP_4)
	v_add3_u32 v99, v13, v108, v96
	v_add_nc_u32_e32 v13, v16, v111
	v_add3_u32 v19, v19, v23, v59
	v_mul_i32_i24_e32 v23, v85, v79
	v_mul_i32_i24_e32 v59, v86, v81
	v_add3_u32 v100, v13, v98, v95
	s_delay_alu instid0(VALU_DEP_4)
	v_add3_u32 v19, v19, v21, v22
	v_mul_i32_i24_e32 v21, v14, v80
	scratch_load_b32 v80, off, off offset:48 ; 4-byte Folded Reload
	v_mul_i32_i24_e32 v22, v15, v118
	v_add_nc_u32_e32 v13, v91, v94
	v_add3_u32 v19, v19, v23, v59
	v_mul_i32_i24_e32 v23, v18, v119
	v_mul_i32_i24_e32 v59, v82, v120
	s_delay_alu instid0(VALU_DEP_4) | instskip(NEXT) | instid1(VALU_DEP_4)
	v_add3_u32 v13, v13, v86, v82
	v_add3_u32 v19, v19, v21, v22
	v_mul_i32_i24_e32 v21, v111, v44
	v_mul_i32_i24_e32 v22, v112, v72
	s_delay_alu instid0(VALU_DEP_3) | instskip(SKIP_3) | instid1(VALU_DEP_2)
	v_add3_u32 v19, v19, v23, v59
	scratch_load_b32 v23, off, off offset:8 ; 4-byte Folded Reload
	v_mad_i32_i24 v21, v123, v122, v21
	v_mul_lo_u32 v19, v19, v121
	v_add3_u32 v2, v21, v22, v2
	s_clause 0x2
	scratch_load_b32 v22, off, off offset:4
	scratch_load_b32 v21, off, off
	scratch_load_b32 v40, off, off offset:56
	v_add3_u32 v0, v2, v0, v1
	v_mul_i32_i24_e32 v1, v98, v4
	v_mul_i32_i24_e32 v2, v108, v6
	;; [unrolled: 1-line block ×4, first 2 shown]
	v_add3_u32 v0, v0, v3, v5
	v_mul_i32_i24_e32 v3, v113, v7
	v_mul_i32_i24_e32 v7, v103, v195
	;; [unrolled: 1-line block ×3, first 2 shown]
	s_delay_alu instid0(VALU_DEP_4)
	v_add3_u32 v0, v0, v1, v2
	v_mul_i32_i24_e32 v1, v95, v8
	v_mul_i32_i24_e32 v2, v96, v10
	v_mad_i32_i24 v7, v13, v202, v7
	v_mul_i32_i24_e32 v8, v103, v151
	v_add3_u32 v0, v0, v3, v4
	v_mul_i32_i24_e32 v3, v97, v11
	v_mul_i32_i24_e32 v4, v116, v12
	v_add3_u32 v5, v7, v5, v6
	v_mul_i32_i24_e32 v6, v101, v223
	v_add3_u32 v0, v0, v1, v2
	v_mul_i32_i24_e32 v1, v114, v61
	v_mul_i32_i24_e32 v2, v117, v58
	;; [unrolled: 1-line block ×3, first 2 shown]
	v_mad_i32_i24 v8, v13, v176, v8
	v_add3_u32 v0, v0, v3, v4
	v_mul_i32_i24_e32 v4, v100, v56
	v_mul_i32_i24_e32 v3, v99, v57
	s_delay_alu instid0(VALU_DEP_4) | instskip(SKIP_1) | instid1(VALU_DEP_4)
	v_add3_u32 v6, v8, v6, v7
	v_mul_i32_i24_e32 v8, v103, v132
	v_add3_u32 v1, v5, v4, v1
	v_mul_i32_i24_e32 v4, v91, v238
	v_mul_i32_i24_e32 v5, v110, v255
	;; [unrolled: 1-line block ×3, first 2 shown]
	v_mad_i32_i24 v8, v13, v158, v8
	v_add3_u32 v3, v1, v2, v3
	v_mad_u64_u32 v[1:2], null, v0, v224, v[19:20]
	v_mul_i32_i24_e32 v2, v94, v235
	s_delay_alu instid0(VALU_DEP_2) | instskip(NEXT) | instid1(VALU_DEP_4)
	v_cvt_f32_i32_e32 v0, v1
	v_cvt_f32_i32_e32 v1, v3
	v_mul_i32_i24_e32 v3, v90, v236
	s_delay_alu instid0(VALU_DEP_2) | instskip(NEXT) | instid1(VALU_DEP_1)
	v_mul_f32_e32 v1, v225, v1
	v_fma_mix_f32 v0, v182, v0, -v1 op_sel_hi:[1,0,0]
	v_mul_i32_i24_e32 v1, v93, v232
	s_waitcnt vmcnt(4)
	s_delay_alu instid0(VALU_DEP_2) | instskip(SKIP_1) | instid1(VALU_DEP_1)
	v_fmac_f32_e32 v80, v20, v0
	v_mul_i32_i24_e32 v0, v92, v231
	v_mad_i32_i24 v0, v87, v229, v0
	s_delay_alu instid0(VALU_DEP_1) | instskip(SKIP_2) | instid1(VALU_DEP_1)
	v_add3_u32 v0, v0, v1, v2
	v_mul_i32_i24_e32 v1, v88, v233
	v_mul_i32_i24_e32 v2, v89, v234
	v_add3_u32 v0, v0, v1, v2
	v_mul_i32_i24_e32 v1, v83, v237
	v_mul_i32_i24_e32 v2, v84, v239
	s_delay_alu instid0(VALU_DEP_3) | instskip(SKIP_2) | instid1(VALU_DEP_3)
	v_add3_u32 v0, v0, v3, v4
	v_mul_i32_i24_e32 v3, v85, v240
	v_mul_i32_i24_e32 v4, v86, v242
	v_add3_u32 v0, v0, v1, v2
	v_mul_i32_i24_e32 v1, v14, v241
	v_mul_i32_i24_e32 v2, v15, v243
	s_delay_alu instid0(VALU_DEP_3) | instskip(SKIP_2) | instid1(VALU_DEP_3)
	v_add3_u32 v0, v0, v3, v4
	v_mul_i32_i24_e32 v3, v18, v244
	v_mul_i32_i24_e32 v4, v82, v245
	v_add3_u32 v0, v0, v1, v2
	v_mul_i32_i24_e32 v1, v111, v248
	v_mul_i32_i24_e32 v2, v112, v249
	s_delay_alu instid0(VALU_DEP_3) | instskip(SKIP_1) | instid1(VALU_DEP_4)
	v_add3_u32 v0, v0, v3, v4
	v_mul_i32_i24_e32 v3, v115, v252
	v_mad_i32_i24 v1, v123, v247, v1
	v_mul_i32_i24_e32 v4, v109, v253
	s_delay_alu instid0(VALU_DEP_4) | instskip(NEXT) | instid1(VALU_DEP_3)
	v_mul_lo_u32 v0, v0, v246
	v_add3_u32 v1, v1, v2, v3
	v_mul_i32_i24_e32 v2, v16, v250
	v_mul_i32_i24_e32 v3, v17, v251
	s_delay_alu instid0(VALU_DEP_1) | instskip(SKIP_2) | instid1(VALU_DEP_3)
	v_add3_u32 v1, v1, v2, v3
	v_mul_i32_i24_e32 v2, v98, v254
	v_mul_i32_i24_e32 v3, v108, v36
	v_add3_u32 v1, v1, v4, v5
	v_mul_i32_i24_e32 v4, v113, v51
	v_mul_i32_i24_e32 v5, v37, v47
	s_delay_alu instid0(VALU_DEP_3) | instskip(SKIP_2) | instid1(VALU_DEP_3)
	v_add3_u32 v1, v1, v2, v3
	v_mul_i32_i24_e32 v2, v95, v46
	v_mul_i32_i24_e32 v3, v96, v48
	v_add3_u32 v1, v1, v4, v5
	v_mul_i32_i24_e32 v4, v97, v49
	v_mul_i32_i24_e32 v5, v116, v52
	s_delay_alu instid0(VALU_DEP_3) | instskip(SKIP_1) | instid1(VALU_DEP_2)
	v_add3_u32 v1, v1, v2, v3
	v_mul_i32_i24_e32 v2, v117, v228
	v_add3_u32 v3, v1, v4, v5
	v_mul_i32_i24_e32 v1, v114, v230
	v_mul_i32_i24_e32 v5, v100, v226
	;; [unrolled: 1-line block ×3, first 2 shown]
	s_delay_alu instid0(VALU_DEP_2) | instskip(SKIP_2) | instid1(VALU_DEP_3)
	v_add3_u32 v1, v6, v5, v1
	v_mul_i32_i24_e32 v5, v110, v214
	v_mul_i32_i24_e32 v6, v101, v188
	v_add3_u32 v4, v1, v2, v4
	v_mad_u64_u32 v[1:2], null, v3, v35, v[0:1]
	v_mul_i32_i24_e32 v2, v94, v196
	v_mul_i32_i24_e32 v3, v90, v197
	v_add3_u32 v6, v8, v6, v7
	v_mul_i32_i24_e32 v7, v103, v130
	v_cvt_f32_i32_e32 v0, v1
	v_cvt_f32_i32_e32 v1, v4
	v_mul_i32_i24_e32 v4, v91, v198
	s_delay_alu instid0(VALU_DEP_4) | instskip(NEXT) | instid1(VALU_DEP_3)
	v_mad_i32_i24 v7, v13, v156, v7
	v_mul_f32_e32 v1, v38, v1
	s_delay_alu instid0(VALU_DEP_1) | instskip(SKIP_2) | instid1(VALU_DEP_2)
	v_fma_mix_f32 v0, v138, v0, -v1 op_sel_hi:[1,0,0]
	v_mul_i32_i24_e32 v1, v93, v192
	s_waitcnt vmcnt(3)
	v_fmac_f32_e32 v23, v20, v0
	v_mul_i32_i24_e32 v0, v92, v190
	s_delay_alu instid0(VALU_DEP_1) | instskip(NEXT) | instid1(VALU_DEP_1)
	v_mad_i32_i24 v0, v87, v39, v0
	v_add3_u32 v0, v0, v1, v2
	v_mul_i32_i24_e32 v1, v88, v28
	v_mul_i32_i24_e32 v2, v89, v191
	s_delay_alu instid0(VALU_DEP_1) | instskip(SKIP_2) | instid1(VALU_DEP_3)
	v_add3_u32 v0, v0, v1, v2
	v_mul_i32_i24_e32 v1, v83, v194
	v_mul_i32_i24_e32 v2, v84, v199
	v_add3_u32 v0, v0, v3, v4
	v_mul_i32_i24_e32 v3, v85, v200
	v_mul_i32_i24_e32 v4, v86, v203
	s_delay_alu instid0(VALU_DEP_3)
	v_add3_u32 v0, v0, v1, v2
	v_mul_i32_i24_e32 v1, v14, v201
	v_mul_i32_i24_e32 v2, v15, v204
	scratch_load_b32 v204, off, off offset:52 ; 4-byte Folded Reload
	v_add3_u32 v0, v0, v3, v4
	v_mul_i32_i24_e32 v3, v18, v145
	v_mul_i32_i24_e32 v4, v82, v133
	scratch_load_b32 v145, off, off offset:36 ; 4-byte Folded Reload
	v_add3_u32 v0, v0, v1, v2
	v_mul_i32_i24_e32 v1, v111, v207
	v_mul_i32_i24_e32 v2, v112, v208
	s_delay_alu instid0(VALU_DEP_3) | instskip(SKIP_1) | instid1(VALU_DEP_4)
	v_add3_u32 v0, v0, v3, v4
	v_mul_i32_i24_e32 v3, v115, v211
	v_mad_i32_i24 v1, v123, v206, v1
	v_mul_i32_i24_e32 v4, v109, v212
	s_delay_alu instid0(VALU_DEP_4) | instskip(NEXT) | instid1(VALU_DEP_3)
	v_mul_lo_u32 v0, v0, v205
	v_add3_u32 v1, v1, v2, v3
	v_mul_i32_i24_e32 v2, v16, v209
	v_mul_i32_i24_e32 v3, v17, v210
	s_delay_alu instid0(VALU_DEP_1) | instskip(SKIP_2) | instid1(VALU_DEP_3)
	v_add3_u32 v1, v1, v2, v3
	v_mul_i32_i24_e32 v2, v98, v213
	v_mul_i32_i24_e32 v3, v108, v215
	v_add3_u32 v1, v1, v4, v5
	v_mul_i32_i24_e32 v4, v113, v216
	v_mul_i32_i24_e32 v5, v37, v218
	s_delay_alu instid0(VALU_DEP_3) | instskip(SKIP_2) | instid1(VALU_DEP_3)
	v_add3_u32 v1, v1, v2, v3
	v_mul_i32_i24_e32 v2, v95, v217
	v_mul_i32_i24_e32 v3, v96, v219
	v_add3_u32 v1, v1, v4, v5
	v_mul_i32_i24_e32 v4, v97, v220
	v_mul_i32_i24_e32 v5, v116, v221
	s_delay_alu instid0(VALU_DEP_3) | instskip(SKIP_1) | instid1(VALU_DEP_2)
	v_add3_u32 v1, v1, v2, v3
	v_mul_i32_i24_e32 v2, v117, v142
	v_add3_u32 v3, v1, v4, v5
	v_mul_i32_i24_e32 v1, v114, v141
	v_mul_i32_i24_e32 v5, v100, v183
	;; [unrolled: 1-line block ×3, first 2 shown]
	s_delay_alu instid0(VALU_DEP_2) | instskip(SKIP_2) | instid1(VALU_DEP_3)
	v_add3_u32 v1, v6, v5, v1
	v_mul_i32_i24_e32 v5, v101, v26
	v_mul_i32_i24_e32 v6, v102, v160
	v_add3_u32 v4, v1, v2, v4
	v_mad_u64_u32 v[1:2], null, v3, v136, v[0:1]
	v_mul_i32_i24_e32 v2, v94, v167
	scratch_load_b32 v136, off, off offset:24 ; 4-byte Folded Reload
	v_mul_i32_i24_e32 v3, v90, v168
	v_add3_u32 v5, v7, v5, v6
	v_cvt_f32_i32_e32 v0, v1
	v_cvt_f32_i32_e32 v1, v4
	v_mul_i32_i24_e32 v4, v91, v152
	scratch_load_b32 v152, off, off offset:40 ; 4-byte Folded Reload
	v_mul_f32_e32 v1, v137, v1
	scratch_load_b32 v137, off, off offset:28 ; 4-byte Folded Reload
	v_fma_mix_f32 v0, v131, v0, -v1 op_sel_hi:[1,0,0]
	v_mul_i32_i24_e32 v1, v93, v179
	s_waitcnt vmcnt(7)
	s_delay_alu instid0(VALU_DEP_2) | instskip(SKIP_3) | instid1(VALU_DEP_1)
	v_fmac_f32_e32 v22, v20, v0
	v_mul_i32_i24_e32 v0, v92, v144
	scratch_load_b32 v144, off, off offset:32 ; 4-byte Folded Reload
	v_mad_i32_i24 v0, v87, v25, v0
	v_add3_u32 v0, v0, v1, v2
	v_mul_i32_i24_e32 v1, v88, v164
	v_mul_i32_i24_e32 v2, v89, v166
	s_delay_alu instid0(VALU_DEP_1)
	v_add3_u32 v0, v0, v1, v2
	v_mul_i32_i24_e32 v2, v84, v153
	scratch_load_b32 v153, off, off offset:44 ; 4-byte Folded Reload
	v_mul_i32_i24_e32 v1, v83, v170
	v_add3_u32 v0, v0, v3, v4
	v_mul_i32_i24_e32 v3, v85, v172
	v_mul_i32_i24_e32 v4, v86, v174
	s_delay_alu instid0(VALU_DEP_3) | instskip(SKIP_2) | instid1(VALU_DEP_3)
	v_add3_u32 v0, v0, v1, v2
	v_mul_i32_i24_e32 v1, v14, v171
	v_mul_i32_i24_e32 v2, v15, v173
	v_add3_u32 v0, v0, v3, v4
	v_mul_i32_i24_e32 v3, v18, v175
	v_mul_i32_i24_e32 v4, v82, v177
	s_delay_alu instid0(VALU_DEP_3) | instskip(SKIP_2) | instid1(VALU_DEP_3)
	v_add3_u32 v0, v0, v1, v2
	v_mul_i32_i24_e32 v1, v112, v31
	v_mul_i32_i24_e32 v2, v115, v34
	v_add3_u32 v0, v0, v3, v4
	v_mul_i32_i24_e32 v3, v109, v33
	v_mul_i32_i24_e32 v4, v110, v186
	s_delay_alu instid0(VALU_DEP_3) | instskip(SKIP_1) | instid1(VALU_DEP_1)
	v_mul_lo_u32 v19, v0, v193
	v_mul_i32_i24_e32 v0, v111, v30
	v_mad_i32_i24 v0, v123, v29, v0
	s_delay_alu instid0(VALU_DEP_1) | instskip(SKIP_2) | instid1(VALU_DEP_1)
	v_add3_u32 v0, v0, v1, v2
	v_mul_i32_i24_e32 v1, v16, v32
	v_mul_i32_i24_e32 v2, v17, v178
	v_add3_u32 v0, v0, v1, v2
	v_mul_i32_i24_e32 v1, v98, v180
	v_mul_i32_i24_e32 v2, v108, v185
	s_delay_alu instid0(VALU_DEP_3) | instskip(SKIP_2) | instid1(VALU_DEP_3)
	v_add3_u32 v0, v0, v3, v4
	v_mul_i32_i24_e32 v3, v113, v169
	v_mul_i32_i24_e32 v4, v37, v140
	v_add3_u32 v0, v0, v1, v2
	v_mul_i32_i24_e32 v1, v95, v187
	v_mul_i32_i24_e32 v2, v96, v135
	s_delay_alu instid0(VALU_DEP_3) | instskip(SKIP_2) | instid1(VALU_DEP_3)
	v_add3_u32 v0, v0, v3, v4
	v_mul_i32_i24_e32 v3, v97, v134
	v_mul_i32_i24_e32 v4, v116, v129
	v_add3_u32 v0, v0, v1, v2
	v_mul_i32_i24_e32 v1, v117, v27
	v_mul_i32_i24_e32 v2, v99, v161
	s_delay_alu instid0(VALU_DEP_3) | instskip(SKIP_2) | instid1(VALU_DEP_1)
	v_add3_u32 v0, v0, v3, v4
	v_mul_i32_i24_e32 v3, v114, v163
	v_mul_i32_i24_e32 v4, v100, v139
	v_add3_u32 v3, v5, v4, v3
	s_delay_alu instid0(VALU_DEP_1) | instskip(SKIP_1) | instid1(VALU_DEP_2)
	v_add3_u32 v1, v3, v1, v2
	v_mad_u64_u32 v[2:3], null, v0, v155, v[19:20]
	v_cvt_f32_i32_e32 v1, v1
	s_delay_alu instid0(VALU_DEP_2) | instskip(NEXT) | instid1(VALU_DEP_2)
	v_cvt_f32_i32_e32 v0, v2
	v_mul_f32_e32 v1, v24, v1
	s_delay_alu instid0(VALU_DEP_1) | instskip(SKIP_1) | instid1(VALU_DEP_1)
	v_fma_mix_f32 v0, v126, v0, -v1 op_sel_hi:[1,0,0]
	s_waitcnt vmcnt(8)
	v_fmac_f32_e32 v21, v20, v0
	s_cbranch_scc1 .LBB168_12
; %bb.13:                               ;   in Loop: Header=BB168_8 Depth=2
	s_waitcnt vmcnt(0)
	s_waitcnt_vscnt null, 0x0
	s_barrier
	buffer_gl0_inv
	s_clause 0x7
	scratch_load_b32 v71, off, off offset:60
	scratch_load_b32 v72, off, off offset:64
	;; [unrolled: 1-line block ×8, first 2 shown]
	s_add_i32 s13, s13, 16
	v_dual_mov_b32 v104, v146 :: v_dual_mov_b32 v127, v147
	v_dual_mov_b32 v177, v159 :: v_dual_mov_b32 v28, v162
	;; [unrolled: 1-line block ×3, first 2 shown]
	v_mov_b32_e32 v179, v165
	v_dual_mov_b32 v32, v149 :: v_dual_mov_b32 v33, v154
	v_dual_mov_b32 v181, v148 :: v_dual_mov_b32 v188, v189
	v_mov_b32_e32 v35, v184
	s_cmp_eq_u32 s14, 4
	s_cselect_b32 s15, -1, 0
	s_delay_alu instid0(SALU_CYCLE_1)
	s_and_b32 vcc_lo, exec_lo, s15
	s_cbranch_vccz .LBB168_8
	s_branch .LBB168_5
.LBB168_14:
	s_clause 0x2
	scratch_load_b32 v1, off, off offset:444
	scratch_load_b32 v0, off, off offset:96
	;; [unrolled: 1-line block ×3, first 2 shown]
.LBB168_15:
	s_mov_b32 s0, exec_lo
	s_waitcnt vmcnt(0)
	v_cmpx_gt_u32_e64 s6, v2
	s_cbranch_execz .LBB168_66
; %bb.16:
	v_add_nc_u32_e32 v0, s12, v0
	v_mul_lo_u32 v5, v2, s10
	s_delay_alu instid0(VALU_DEP_2)
	v_cmp_gt_u32_e32 vcc_lo, s10, v0
	s_and_saveexec_b32 s1, vcc_lo
	s_cbranch_execz .LBB168_18
; %bb.17:
	v_bfe_u32 v3, v204, 16, 1
	s_delay_alu instid0(VALU_DEP_3) | instskip(SKIP_1) | instid1(VALU_DEP_3)
	v_add_nc_u32_e32 v2, v0, v5
	v_cmp_o_f32_e64 s0, v204, v204
	v_add3_u32 v4, v204, v3, 0x7fff
	v_mov_b32_e32 v3, 0
	s_delay_alu instid0(VALU_DEP_2) | instskip(NEXT) | instid1(VALU_DEP_2)
	v_lshrrev_b32_e32 v4, 16, v4
	v_lshlrev_b64 v[2:3], 1, v[2:3]
	s_delay_alu instid0(VALU_DEP_2) | instskip(SKIP_1) | instid1(VALU_DEP_2)
	v_cndmask_b32_e64 v4, 0x7fc0, v4, s0
	s_waitcnt lgkmcnt(0)
	v_add_co_u32 v2, s0, s8, v2
	s_delay_alu instid0(VALU_DEP_1)
	v_add_co_ci_u32_e64 v3, s0, s9, v3, s0
	global_store_b16 v[2:3], v4, off
.LBB168_18:
	s_or_b32 exec_lo, exec_lo, s1
	v_add_nc_u32_e32 v2, 32, v0
	s_delay_alu instid0(VALU_DEP_1) | instskip(NEXT) | instid1(VALU_DEP_1)
	v_cmp_gt_u32_e64 s0, s10, v2
	s_and_saveexec_b32 s2, s0
	s_cbranch_execz .LBB168_20
; %bb.19:
	v_bfe_u32 v4, v76, 16, 1
	v_add_nc_u32_e32 v3, v2, v5
	v_cmp_o_f32_e64 s1, v76, v76
	s_delay_alu instid0(VALU_DEP_3) | instskip(SKIP_1) | instid1(VALU_DEP_2)
	v_add3_u32 v6, v76, v4, 0x7fff
	v_mov_b32_e32 v4, 0
	v_lshrrev_b32_e32 v6, 16, v6
	s_delay_alu instid0(VALU_DEP_2) | instskip(NEXT) | instid1(VALU_DEP_2)
	v_lshlrev_b64 v[3:4], 1, v[3:4]
	v_cndmask_b32_e64 v6, 0x7fc0, v6, s1
	s_waitcnt lgkmcnt(0)
	s_delay_alu instid0(VALU_DEP_2) | instskip(NEXT) | instid1(VALU_DEP_1)
	v_add_co_u32 v3, s1, s8, v3
	v_add_co_ci_u32_e64 v4, s1, s9, v4, s1
	global_store_b16 v[3:4], v6, off
.LBB168_20:
	s_or_b32 exec_lo, exec_lo, s2
	v_add_nc_u32_e32 v3, 64, v0
	s_delay_alu instid0(VALU_DEP_1) | instskip(NEXT) | instid1(VALU_DEP_1)
	v_cmp_gt_u32_e64 s1, s10, v3
	s_and_saveexec_b32 s3, s1
	s_cbranch_execz .LBB168_22
; %bb.21:
	v_bfe_u32 v4, v70, 16, 1
	v_dual_mov_b32 v7, 0 :: v_dual_add_nc_u32 v6, v3, v5
	v_cmp_o_f32_e64 s2, v70, v70
	s_delay_alu instid0(VALU_DEP_3) | instskip(NEXT) | instid1(VALU_DEP_3)
	v_add3_u32 v4, v70, v4, 0x7fff
	v_lshlrev_b64 v[6:7], 1, v[6:7]
	s_delay_alu instid0(VALU_DEP_2) | instskip(NEXT) | instid1(VALU_DEP_1)
	v_lshrrev_b32_e32 v4, 16, v4
	v_cndmask_b32_e64 v4, 0x7fc0, v4, s2
	s_waitcnt lgkmcnt(0)
	s_delay_alu instid0(VALU_DEP_3) | instskip(NEXT) | instid1(VALU_DEP_1)
	v_add_co_u32 v6, s2, s8, v6
	v_add_co_ci_u32_e64 v7, s2, s9, v7, s2
	global_store_b16 v[6:7], v4, off
.LBB168_22:
	s_or_b32 exec_lo, exec_lo, s3
	v_add_nc_u32_e32 v4, 0x60, v0
	s_delay_alu instid0(VALU_DEP_1) | instskip(NEXT) | instid1(VALU_DEP_1)
	v_cmp_gt_u32_e64 s2, s10, v4
	s_and_saveexec_b32 s4, s2
	s_cbranch_execz .LBB168_24
; %bb.23:
	v_bfe_u32 v6, v69, 16, 1
	v_add_nc_u32_e32 v5, v4, v5
	v_cmp_o_f32_e64 s3, v69, v69
	s_delay_alu instid0(VALU_DEP_3) | instskip(SKIP_1) | instid1(VALU_DEP_2)
	v_add3_u32 v7, v69, v6, 0x7fff
	v_mov_b32_e32 v6, 0
	v_lshrrev_b32_e32 v7, 16, v7
	s_delay_alu instid0(VALU_DEP_2) | instskip(NEXT) | instid1(VALU_DEP_2)
	v_lshlrev_b64 v[5:6], 1, v[5:6]
	v_cndmask_b32_e64 v7, 0x7fc0, v7, s3
	s_waitcnt lgkmcnt(0)
	s_delay_alu instid0(VALU_DEP_2) | instskip(NEXT) | instid1(VALU_DEP_1)
	v_add_co_u32 v5, s3, s8, v5
	v_add_co_ci_u32_e64 v6, s3, s9, v6, s3
	global_store_b16 v[5:6], v7, off
.LBB168_24:
	s_or_b32 exec_lo, exec_lo, s4
	v_add3_u32 v5, v1, s11, 8
	s_delay_alu instid0(VALU_DEP_1) | instskip(NEXT) | instid1(VALU_DEP_1)
	v_cmp_gt_u32_e64 s3, s6, v5
	s_and_b32 exec_lo, exec_lo, s3
	s_cbranch_execz .LBB168_66
; %bb.25:
	v_mul_lo_u32 v5, v5, s10
	s_and_saveexec_b32 s4, vcc_lo
	s_cbranch_execnz .LBB168_67
; %bb.26:
	s_or_b32 exec_lo, exec_lo, s4
	s_and_saveexec_b32 s4, s0
	s_cbranch_execnz .LBB168_68
.LBB168_27:
	s_or_b32 exec_lo, exec_lo, s4
	s_and_saveexec_b32 s4, s1
	s_cbranch_execnz .LBB168_69
.LBB168_28:
	s_or_b32 exec_lo, exec_lo, s4
	s_and_saveexec_b32 s4, s2
	s_cbranch_execz .LBB168_30
.LBB168_29:
	v_bfe_u32 v6, v65, 16, 1
	v_add_nc_u32_e32 v5, v5, v4
	v_cmp_o_f32_e64 s3, v65, v65
	s_delay_alu instid0(VALU_DEP_3) | instskip(SKIP_1) | instid1(VALU_DEP_2)
	v_add3_u32 v7, v65, v6, 0x7fff
	v_mov_b32_e32 v6, 0
	v_lshrrev_b32_e32 v7, 16, v7
	s_delay_alu instid0(VALU_DEP_2) | instskip(NEXT) | instid1(VALU_DEP_2)
	v_lshlrev_b64 v[5:6], 1, v[5:6]
	v_cndmask_b32_e64 v7, 0x7fc0, v7, s3
	s_waitcnt lgkmcnt(0)
	s_delay_alu instid0(VALU_DEP_2) | instskip(NEXT) | instid1(VALU_DEP_1)
	v_add_co_u32 v5, s3, s8, v5
	v_add_co_ci_u32_e64 v6, s3, s9, v6, s3
	global_store_b16 v[5:6], v7, off
.LBB168_30:
	s_or_b32 exec_lo, exec_lo, s4
	v_add3_u32 v5, v1, s11, 16
	s_delay_alu instid0(VALU_DEP_1) | instskip(NEXT) | instid1(VALU_DEP_1)
	v_cmp_gt_u32_e64 s3, s6, v5
	s_and_b32 exec_lo, exec_lo, s3
	s_cbranch_execz .LBB168_66
; %bb.31:
	v_mul_lo_u32 v5, v5, s10
	s_and_saveexec_b32 s4, vcc_lo
	s_cbranch_execnz .LBB168_70
; %bb.32:
	s_or_b32 exec_lo, exec_lo, s4
	s_and_saveexec_b32 s4, s0
	s_cbranch_execnz .LBB168_71
.LBB168_33:
	s_or_b32 exec_lo, exec_lo, s4
	s_and_saveexec_b32 s4, s1
	s_cbranch_execnz .LBB168_72
.LBB168_34:
	s_or_b32 exec_lo, exec_lo, s4
	s_and_saveexec_b32 s4, s2
	s_cbranch_execz .LBB168_36
.LBB168_35:
	v_bfe_u32 v6, v45, 16, 1
	v_add_nc_u32_e32 v5, v5, v4
	v_cmp_o_f32_e64 s3, v45, v45
	s_delay_alu instid0(VALU_DEP_3) | instskip(SKIP_1) | instid1(VALU_DEP_2)
	v_add3_u32 v7, v45, v6, 0x7fff
	v_mov_b32_e32 v6, 0
	v_lshrrev_b32_e32 v7, 16, v7
	s_delay_alu instid0(VALU_DEP_2) | instskip(NEXT) | instid1(VALU_DEP_2)
	v_lshlrev_b64 v[5:6], 1, v[5:6]
	v_cndmask_b32_e64 v7, 0x7fc0, v7, s3
	s_waitcnt lgkmcnt(0)
	s_delay_alu instid0(VALU_DEP_2) | instskip(NEXT) | instid1(VALU_DEP_1)
	v_add_co_u32 v5, s3, s8, v5
	v_add_co_ci_u32_e64 v6, s3, s9, v6, s3
	global_store_b16 v[5:6], v7, off
.LBB168_36:
	s_or_b32 exec_lo, exec_lo, s4
	v_add3_u32 v5, v1, s11, 24
	s_delay_alu instid0(VALU_DEP_1) | instskip(NEXT) | instid1(VALU_DEP_1)
	v_cmp_gt_u32_e64 s3, s6, v5
	s_and_b32 exec_lo, exec_lo, s3
	s_cbranch_execz .LBB168_66
; %bb.37:
	v_mul_lo_u32 v5, v5, s10
	s_and_saveexec_b32 s4, vcc_lo
	s_cbranch_execnz .LBB168_73
; %bb.38:
	s_or_b32 exec_lo, exec_lo, s4
	s_and_saveexec_b32 s4, s0
	s_cbranch_execnz .LBB168_74
.LBB168_39:
	s_or_b32 exec_lo, exec_lo, s4
	s_and_saveexec_b32 s4, s1
	s_cbranch_execnz .LBB168_75
.LBB168_40:
	s_or_b32 exec_lo, exec_lo, s4
	s_and_saveexec_b32 s4, s2
	s_cbranch_execz .LBB168_42
.LBB168_41:
	v_bfe_u32 v6, v40, 16, 1
	v_add_nc_u32_e32 v5, v5, v4
	v_cmp_o_f32_e64 s3, v40, v40
	s_delay_alu instid0(VALU_DEP_3) | instskip(SKIP_1) | instid1(VALU_DEP_2)
	v_add3_u32 v7, v40, v6, 0x7fff
	v_mov_b32_e32 v6, 0
	v_lshrrev_b32_e32 v7, 16, v7
	s_delay_alu instid0(VALU_DEP_2) | instskip(NEXT) | instid1(VALU_DEP_2)
	v_lshlrev_b64 v[5:6], 1, v[5:6]
	v_cndmask_b32_e64 v7, 0x7fc0, v7, s3
	s_waitcnt lgkmcnt(0)
	s_delay_alu instid0(VALU_DEP_2) | instskip(NEXT) | instid1(VALU_DEP_1)
	v_add_co_u32 v5, s3, s8, v5
	v_add_co_ci_u32_e64 v6, s3, s9, v6, s3
	global_store_b16 v[5:6], v7, off
.LBB168_42:
	s_or_b32 exec_lo, exec_lo, s4
	v_add3_u32 v5, v1, s11, 32
	s_delay_alu instid0(VALU_DEP_1) | instskip(NEXT) | instid1(VALU_DEP_1)
	v_cmp_gt_u32_e64 s3, s6, v5
	s_and_b32 exec_lo, exec_lo, s3
	s_cbranch_execz .LBB168_66
; %bb.43:
	v_mul_lo_u32 v5, v5, s10
	s_and_saveexec_b32 s4, vcc_lo
	s_cbranch_execnz .LBB168_76
; %bb.44:
	s_or_b32 exec_lo, exec_lo, s4
	s_and_saveexec_b32 s4, s0
	s_cbranch_execnz .LBB168_77
.LBB168_45:
	s_or_b32 exec_lo, exec_lo, s4
	s_and_saveexec_b32 s4, s1
	s_cbranch_execnz .LBB168_78
.LBB168_46:
	s_or_b32 exec_lo, exec_lo, s4
	s_and_saveexec_b32 s4, s2
	s_cbranch_execz .LBB168_48
.LBB168_47:
	v_bfe_u32 v6, v33, 16, 1
	v_add_nc_u32_e32 v5, v5, v4
	v_cmp_o_f32_e64 s3, v33, v33
	s_delay_alu instid0(VALU_DEP_3) | instskip(SKIP_1) | instid1(VALU_DEP_2)
	v_add3_u32 v7, v33, v6, 0x7fff
	v_mov_b32_e32 v6, 0
	v_lshrrev_b32_e32 v7, 16, v7
	s_delay_alu instid0(VALU_DEP_2) | instskip(NEXT) | instid1(VALU_DEP_2)
	v_lshlrev_b64 v[5:6], 1, v[5:6]
	v_cndmask_b32_e64 v7, 0x7fc0, v7, s3
	s_waitcnt lgkmcnt(0)
	s_delay_alu instid0(VALU_DEP_2) | instskip(NEXT) | instid1(VALU_DEP_1)
	v_add_co_u32 v5, s3, s8, v5
	v_add_co_ci_u32_e64 v6, s3, s9, v6, s3
	global_store_b16 v[5:6], v7, off
.LBB168_48:
	s_or_b32 exec_lo, exec_lo, s4
	v_add3_u32 v5, v1, s11, 40
	s_delay_alu instid0(VALU_DEP_1) | instskip(NEXT) | instid1(VALU_DEP_1)
	v_cmp_gt_u32_e64 s3, s6, v5
	s_and_b32 exec_lo, exec_lo, s3
	s_cbranch_execz .LBB168_66
; %bb.49:
	v_mul_lo_u32 v5, v5, s10
	s_and_saveexec_b32 s4, vcc_lo
	s_cbranch_execnz .LBB168_79
; %bb.50:
	s_or_b32 exec_lo, exec_lo, s4
	s_and_saveexec_b32 s4, s0
	s_cbranch_execnz .LBB168_80
.LBB168_51:
	s_or_b32 exec_lo, exec_lo, s4
	s_and_saveexec_b32 s4, s1
	s_cbranch_execnz .LBB168_81
.LBB168_52:
	s_or_b32 exec_lo, exec_lo, s4
	s_and_saveexec_b32 s4, s2
	s_cbranch_execz .LBB168_54
.LBB168_53:
	v_bfe_u32 v6, v29, 16, 1
	v_add_nc_u32_e32 v5, v5, v4
	v_cmp_o_f32_e64 s3, v29, v29
	s_delay_alu instid0(VALU_DEP_3) | instskip(SKIP_1) | instid1(VALU_DEP_2)
	v_add3_u32 v7, v29, v6, 0x7fff
	v_mov_b32_e32 v6, 0
	v_lshrrev_b32_e32 v7, 16, v7
	s_delay_alu instid0(VALU_DEP_2) | instskip(NEXT) | instid1(VALU_DEP_2)
	v_lshlrev_b64 v[5:6], 1, v[5:6]
	v_cndmask_b32_e64 v7, 0x7fc0, v7, s3
	s_waitcnt lgkmcnt(0)
	s_delay_alu instid0(VALU_DEP_2) | instskip(NEXT) | instid1(VALU_DEP_1)
	v_add_co_u32 v5, s3, s8, v5
	v_add_co_ci_u32_e64 v6, s3, s9, v6, s3
	global_store_b16 v[5:6], v7, off
.LBB168_54:
	s_or_b32 exec_lo, exec_lo, s4
	v_add3_u32 v5, v1, s11, 48
	s_delay_alu instid0(VALU_DEP_1) | instskip(NEXT) | instid1(VALU_DEP_1)
	v_cmp_gt_u32_e64 s3, s6, v5
	s_and_b32 exec_lo, exec_lo, s3
	s_cbranch_execz .LBB168_66
; %bb.55:
	v_mul_lo_u32 v5, v5, s10
	s_and_saveexec_b32 s4, vcc_lo
	s_cbranch_execnz .LBB168_82
; %bb.56:
	s_or_b32 exec_lo, exec_lo, s4
	s_and_saveexec_b32 s4, s0
	s_cbranch_execnz .LBB168_83
.LBB168_57:
	s_or_b32 exec_lo, exec_lo, s4
	s_and_saveexec_b32 s4, s1
	s_cbranch_execnz .LBB168_84
.LBB168_58:
	s_or_b32 exec_lo, exec_lo, s4
	s_and_saveexec_b32 s4, s2
	s_cbranch_execz .LBB168_60
.LBB168_59:
	v_bfe_u32 v6, v104, 16, 1
	v_add_nc_u32_e32 v5, v5, v4
	v_cmp_o_f32_e64 s3, v104, v104
	s_delay_alu instid0(VALU_DEP_3) | instskip(SKIP_1) | instid1(VALU_DEP_2)
	v_add3_u32 v7, v104, v6, 0x7fff
	v_mov_b32_e32 v6, 0
	v_lshrrev_b32_e32 v7, 16, v7
	s_delay_alu instid0(VALU_DEP_2) | instskip(NEXT) | instid1(VALU_DEP_2)
	v_lshlrev_b64 v[5:6], 1, v[5:6]
	v_cndmask_b32_e64 v7, 0x7fc0, v7, s3
	s_waitcnt lgkmcnt(0)
	s_delay_alu instid0(VALU_DEP_2) | instskip(NEXT) | instid1(VALU_DEP_1)
	v_add_co_u32 v5, s3, s8, v5
	v_add_co_ci_u32_e64 v6, s3, s9, v6, s3
	global_store_b16 v[5:6], v7, off
.LBB168_60:
	s_or_b32 exec_lo, exec_lo, s4
	v_add3_u32 v1, v1, s11, 56
	s_delay_alu instid0(VALU_DEP_1) | instskip(NEXT) | instid1(VALU_DEP_1)
	v_cmp_gt_u32_e64 s3, s6, v1
	s_and_b32 exec_lo, exec_lo, s3
	s_cbranch_execz .LBB168_66
; %bb.61:
	v_mul_lo_u32 v1, v1, s10
	s_and_saveexec_b32 s3, vcc_lo
	s_cbranch_execnz .LBB168_85
; %bb.62:
	s_or_b32 exec_lo, exec_lo, s3
	s_and_saveexec_b32 s3, s0
	s_cbranch_execnz .LBB168_86
.LBB168_63:
	s_or_b32 exec_lo, exec_lo, s3
	s_and_saveexec_b32 s0, s1
	s_cbranch_execnz .LBB168_87
.LBB168_64:
	s_or_b32 exec_lo, exec_lo, s0
	s_delay_alu instid0(SALU_CYCLE_1)
	s_and_b32 exec_lo, exec_lo, s2
	s_cbranch_execz .LBB168_66
.LBB168_65:
	v_bfe_u32 v2, v21, 16, 1
	v_dual_mov_b32 v1, 0 :: v_dual_add_nc_u32 v0, v1, v4
	v_cmp_o_f32_e32 vcc_lo, v21, v21
	s_delay_alu instid0(VALU_DEP_3) | instskip(NEXT) | instid1(VALU_DEP_3)
	v_add3_u32 v2, v21, v2, 0x7fff
	v_lshlrev_b64 v[0:1], 1, v[0:1]
	s_delay_alu instid0(VALU_DEP_2) | instskip(NEXT) | instid1(VALU_DEP_1)
	v_lshrrev_b32_e32 v2, 16, v2
	v_cndmask_b32_e32 v2, 0x7fc0, v2, vcc_lo
	s_waitcnt lgkmcnt(0)
	s_delay_alu instid0(VALU_DEP_3) | instskip(NEXT) | instid1(VALU_DEP_4)
	v_add_co_u32 v0, vcc_lo, s8, v0
	v_add_co_ci_u32_e32 v1, vcc_lo, s9, v1, vcc_lo
	global_store_b16 v[0:1], v2, off
.LBB168_66:
	s_endpgm
.LBB168_67:
	v_bfe_u32 v7, v68, 16, 1
	s_delay_alu instid0(VALU_DEP_2) | instskip(SKIP_1) | instid1(VALU_DEP_3)
	v_add_nc_u32_e32 v6, v5, v0
	v_cmp_o_f32_e64 s3, v68, v68
	v_add3_u32 v8, v68, v7, 0x7fff
	v_mov_b32_e32 v7, 0
	s_delay_alu instid0(VALU_DEP_2) | instskip(NEXT) | instid1(VALU_DEP_2)
	v_lshrrev_b32_e32 v8, 16, v8
	v_lshlrev_b64 v[6:7], 1, v[6:7]
	s_delay_alu instid0(VALU_DEP_2) | instskip(SKIP_1) | instid1(VALU_DEP_2)
	v_cndmask_b32_e64 v8, 0x7fc0, v8, s3
	s_waitcnt lgkmcnt(0)
	v_add_co_u32 v6, s3, s8, v6
	s_delay_alu instid0(VALU_DEP_1)
	v_add_co_ci_u32_e64 v7, s3, s9, v7, s3
	global_store_b16 v[6:7], v8, off
	s_or_b32 exec_lo, exec_lo, s4
	s_and_saveexec_b32 s4, s0
	s_cbranch_execz .LBB168_27
.LBB168_68:
	v_bfe_u32 v7, v67, 16, 1
	s_delay_alu instid0(VALU_DEP_2) | instskip(SKIP_1) | instid1(VALU_DEP_3)
	v_add_nc_u32_e32 v6, v5, v2
	v_cmp_o_f32_e64 s3, v67, v67
	v_add3_u32 v8, v67, v7, 0x7fff
	v_mov_b32_e32 v7, 0
	s_delay_alu instid0(VALU_DEP_2) | instskip(NEXT) | instid1(VALU_DEP_2)
	v_lshrrev_b32_e32 v8, 16, v8
	v_lshlrev_b64 v[6:7], 1, v[6:7]
	s_delay_alu instid0(VALU_DEP_2) | instskip(SKIP_1) | instid1(VALU_DEP_2)
	v_cndmask_b32_e64 v8, 0x7fc0, v8, s3
	s_waitcnt lgkmcnt(0)
	v_add_co_u32 v6, s3, s8, v6
	s_delay_alu instid0(VALU_DEP_1)
	v_add_co_ci_u32_e64 v7, s3, s9, v7, s3
	global_store_b16 v[6:7], v8, off
	s_or_b32 exec_lo, exec_lo, s4
	s_and_saveexec_b32 s4, s1
	s_cbranch_execz .LBB168_28
.LBB168_69:
	v_bfe_u32 v7, v66, 16, 1
	v_add_nc_u32_e32 v6, v5, v3
	v_cmp_o_f32_e64 s3, v66, v66
	s_delay_alu instid0(VALU_DEP_3) | instskip(SKIP_1) | instid1(VALU_DEP_2)
	v_add3_u32 v8, v66, v7, 0x7fff
	v_mov_b32_e32 v7, 0
	v_lshrrev_b32_e32 v8, 16, v8
	s_delay_alu instid0(VALU_DEP_2) | instskip(NEXT) | instid1(VALU_DEP_2)
	v_lshlrev_b64 v[6:7], 1, v[6:7]
	v_cndmask_b32_e64 v8, 0x7fc0, v8, s3
	s_waitcnt lgkmcnt(0)
	s_delay_alu instid0(VALU_DEP_2) | instskip(NEXT) | instid1(VALU_DEP_1)
	v_add_co_u32 v6, s3, s8, v6
	v_add_co_ci_u32_e64 v7, s3, s9, v7, s3
	global_store_b16 v[6:7], v8, off
	s_or_b32 exec_lo, exec_lo, s4
	s_and_saveexec_b32 s4, s2
	s_cbranch_execnz .LBB168_29
	s_branch .LBB168_30
.LBB168_70:
	v_bfe_u32 v7, v60, 16, 1
	s_delay_alu instid0(VALU_DEP_2) | instskip(SKIP_1) | instid1(VALU_DEP_3)
	v_add_nc_u32_e32 v6, v5, v0
	v_cmp_o_f32_e64 s3, v60, v60
	v_add3_u32 v8, v60, v7, 0x7fff
	v_mov_b32_e32 v7, 0
	s_delay_alu instid0(VALU_DEP_2) | instskip(NEXT) | instid1(VALU_DEP_2)
	v_lshrrev_b32_e32 v8, 16, v8
	v_lshlrev_b64 v[6:7], 1, v[6:7]
	s_delay_alu instid0(VALU_DEP_2) | instskip(SKIP_1) | instid1(VALU_DEP_2)
	v_cndmask_b32_e64 v8, 0x7fc0, v8, s3
	s_waitcnt lgkmcnt(0)
	v_add_co_u32 v6, s3, s8, v6
	s_delay_alu instid0(VALU_DEP_1)
	v_add_co_ci_u32_e64 v7, s3, s9, v7, s3
	global_store_b16 v[6:7], v8, off
	s_or_b32 exec_lo, exec_lo, s4
	s_and_saveexec_b32 s4, s0
	s_cbranch_execz .LBB168_33
.LBB168_71:
	v_bfe_u32 v7, v55, 16, 1
	s_delay_alu instid0(VALU_DEP_2) | instskip(SKIP_1) | instid1(VALU_DEP_3)
	v_add_nc_u32_e32 v6, v5, v2
	v_cmp_o_f32_e64 s3, v55, v55
	v_add3_u32 v8, v55, v7, 0x7fff
	v_mov_b32_e32 v7, 0
	s_delay_alu instid0(VALU_DEP_2) | instskip(NEXT) | instid1(VALU_DEP_2)
	v_lshrrev_b32_e32 v8, 16, v8
	v_lshlrev_b64 v[6:7], 1, v[6:7]
	s_delay_alu instid0(VALU_DEP_2) | instskip(SKIP_1) | instid1(VALU_DEP_2)
	v_cndmask_b32_e64 v8, 0x7fc0, v8, s3
	s_waitcnt lgkmcnt(0)
	v_add_co_u32 v6, s3, s8, v6
	s_delay_alu instid0(VALU_DEP_1)
	v_add_co_ci_u32_e64 v7, s3, s9, v7, s3
	global_store_b16 v[6:7], v8, off
	s_or_b32 exec_lo, exec_lo, s4
	s_and_saveexec_b32 s4, s1
	s_cbranch_execz .LBB168_34
.LBB168_72:
	v_bfe_u32 v7, v50, 16, 1
	v_add_nc_u32_e32 v6, v5, v3
	v_cmp_o_f32_e64 s3, v50, v50
	s_delay_alu instid0(VALU_DEP_3) | instskip(SKIP_1) | instid1(VALU_DEP_2)
	v_add3_u32 v8, v50, v7, 0x7fff
	v_mov_b32_e32 v7, 0
	v_lshrrev_b32_e32 v8, 16, v8
	s_delay_alu instid0(VALU_DEP_2) | instskip(NEXT) | instid1(VALU_DEP_2)
	v_lshlrev_b64 v[6:7], 1, v[6:7]
	v_cndmask_b32_e64 v8, 0x7fc0, v8, s3
	s_waitcnt lgkmcnt(0)
	s_delay_alu instid0(VALU_DEP_2) | instskip(NEXT) | instid1(VALU_DEP_1)
	v_add_co_u32 v6, s3, s8, v6
	v_add_co_ci_u32_e64 v7, s3, s9, v7, s3
	global_store_b16 v[6:7], v8, off
	s_or_b32 exec_lo, exec_lo, s4
	s_and_saveexec_b32 s4, s2
	s_cbranch_execnz .LBB168_35
	s_branch .LBB168_36
.LBB168_73:
	v_bfe_u32 v7, v43, 16, 1
	s_delay_alu instid0(VALU_DEP_2) | instskip(SKIP_1) | instid1(VALU_DEP_3)
	v_add_nc_u32_e32 v6, v5, v0
	v_cmp_o_f32_e64 s3, v43, v43
	v_add3_u32 v8, v43, v7, 0x7fff
	v_mov_b32_e32 v7, 0
	s_delay_alu instid0(VALU_DEP_2) | instskip(NEXT) | instid1(VALU_DEP_2)
	v_lshrrev_b32_e32 v8, 16, v8
	v_lshlrev_b64 v[6:7], 1, v[6:7]
	s_delay_alu instid0(VALU_DEP_2) | instskip(SKIP_1) | instid1(VALU_DEP_2)
	v_cndmask_b32_e64 v8, 0x7fc0, v8, s3
	s_waitcnt lgkmcnt(0)
	v_add_co_u32 v6, s3, s8, v6
	s_delay_alu instid0(VALU_DEP_1)
	v_add_co_ci_u32_e64 v7, s3, s9, v7, s3
	global_store_b16 v[6:7], v8, off
	s_or_b32 exec_lo, exec_lo, s4
	s_and_saveexec_b32 s4, s0
	s_cbranch_execz .LBB168_39
.LBB168_74:
	v_bfe_u32 v7, v42, 16, 1
	s_delay_alu instid0(VALU_DEP_2) | instskip(SKIP_1) | instid1(VALU_DEP_3)
	v_add_nc_u32_e32 v6, v5, v2
	v_cmp_o_f32_e64 s3, v42, v42
	v_add3_u32 v8, v42, v7, 0x7fff
	v_mov_b32_e32 v7, 0
	s_delay_alu instid0(VALU_DEP_2) | instskip(NEXT) | instid1(VALU_DEP_2)
	v_lshrrev_b32_e32 v8, 16, v8
	v_lshlrev_b64 v[6:7], 1, v[6:7]
	s_delay_alu instid0(VALU_DEP_2) | instskip(SKIP_1) | instid1(VALU_DEP_2)
	v_cndmask_b32_e64 v8, 0x7fc0, v8, s3
	s_waitcnt lgkmcnt(0)
	v_add_co_u32 v6, s3, s8, v6
	s_delay_alu instid0(VALU_DEP_1)
	v_add_co_ci_u32_e64 v7, s3, s9, v7, s3
	global_store_b16 v[6:7], v8, off
	s_or_b32 exec_lo, exec_lo, s4
	s_and_saveexec_b32 s4, s1
	s_cbranch_execz .LBB168_40
.LBB168_75:
	v_bfe_u32 v7, v41, 16, 1
	v_add_nc_u32_e32 v6, v5, v3
	v_cmp_o_f32_e64 s3, v41, v41
	s_delay_alu instid0(VALU_DEP_3) | instskip(SKIP_1) | instid1(VALU_DEP_2)
	v_add3_u32 v8, v41, v7, 0x7fff
	v_mov_b32_e32 v7, 0
	v_lshrrev_b32_e32 v8, 16, v8
	s_delay_alu instid0(VALU_DEP_2) | instskip(NEXT) | instid1(VALU_DEP_2)
	v_lshlrev_b64 v[6:7], 1, v[6:7]
	v_cndmask_b32_e64 v8, 0x7fc0, v8, s3
	s_waitcnt lgkmcnt(0)
	s_delay_alu instid0(VALU_DEP_2) | instskip(NEXT) | instid1(VALU_DEP_1)
	v_add_co_u32 v6, s3, s8, v6
	v_add_co_ci_u32_e64 v7, s3, s9, v7, s3
	global_store_b16 v[6:7], v8, off
	s_or_b32 exec_lo, exec_lo, s4
	s_and_saveexec_b32 s4, s2
	s_cbranch_execnz .LBB168_41
	s_branch .LBB168_42
.LBB168_76:
	v_bfe_u32 v7, v188, 16, 1
	s_delay_alu instid0(VALU_DEP_2) | instskip(SKIP_1) | instid1(VALU_DEP_3)
	v_add_nc_u32_e32 v6, v5, v0
	v_cmp_o_f32_e64 s3, v188, v188
	v_add3_u32 v8, v188, v7, 0x7fff
	v_mov_b32_e32 v7, 0
	s_delay_alu instid0(VALU_DEP_2) | instskip(NEXT) | instid1(VALU_DEP_2)
	v_lshrrev_b32_e32 v8, 16, v8
	v_lshlrev_b64 v[6:7], 1, v[6:7]
	s_delay_alu instid0(VALU_DEP_2) | instskip(SKIP_1) | instid1(VALU_DEP_2)
	v_cndmask_b32_e64 v8, 0x7fc0, v8, s3
	s_waitcnt lgkmcnt(0)
	v_add_co_u32 v6, s3, s8, v6
	s_delay_alu instid0(VALU_DEP_1)
	v_add_co_ci_u32_e64 v7, s3, s9, v7, s3
	global_store_b16 v[6:7], v8, off
	s_or_b32 exec_lo, exec_lo, s4
	s_and_saveexec_b32 s4, s0
	s_cbranch_execz .LBB168_45
.LBB168_77:
	v_bfe_u32 v7, v35, 16, 1
	s_delay_alu instid0(VALU_DEP_2) | instskip(SKIP_1) | instid1(VALU_DEP_3)
	v_add_nc_u32_e32 v6, v5, v2
	v_cmp_o_f32_e64 s3, v35, v35
	v_add3_u32 v8, v35, v7, 0x7fff
	v_mov_b32_e32 v7, 0
	s_delay_alu instid0(VALU_DEP_2) | instskip(NEXT) | instid1(VALU_DEP_2)
	v_lshrrev_b32_e32 v8, 16, v8
	v_lshlrev_b64 v[6:7], 1, v[6:7]
	s_delay_alu instid0(VALU_DEP_2) | instskip(SKIP_1) | instid1(VALU_DEP_2)
	v_cndmask_b32_e64 v8, 0x7fc0, v8, s3
	s_waitcnt lgkmcnt(0)
	v_add_co_u32 v6, s3, s8, v6
	s_delay_alu instid0(VALU_DEP_1)
	v_add_co_ci_u32_e64 v7, s3, s9, v7, s3
	global_store_b16 v[6:7], v8, off
	s_or_b32 exec_lo, exec_lo, s4
	s_and_saveexec_b32 s4, s1
	s_cbranch_execz .LBB168_46
.LBB168_78:
	v_bfe_u32 v7, v181, 16, 1
	v_add_nc_u32_e32 v6, v5, v3
	v_cmp_o_f32_e64 s3, v181, v181
	s_delay_alu instid0(VALU_DEP_3) | instskip(SKIP_1) | instid1(VALU_DEP_2)
	v_add3_u32 v8, v181, v7, 0x7fff
	v_mov_b32_e32 v7, 0
	v_lshrrev_b32_e32 v8, 16, v8
	s_delay_alu instid0(VALU_DEP_2) | instskip(NEXT) | instid1(VALU_DEP_2)
	v_lshlrev_b64 v[6:7], 1, v[6:7]
	v_cndmask_b32_e64 v8, 0x7fc0, v8, s3
	s_waitcnt lgkmcnt(0)
	s_delay_alu instid0(VALU_DEP_2) | instskip(NEXT) | instid1(VALU_DEP_1)
	v_add_co_u32 v6, s3, s8, v6
	v_add_co_ci_u32_e64 v7, s3, s9, v7, s3
	global_store_b16 v[6:7], v8, off
	s_or_b32 exec_lo, exec_lo, s4
	s_and_saveexec_b32 s4, s2
	s_cbranch_execnz .LBB168_47
	s_branch .LBB168_48
.LBB168_79:
	v_bfe_u32 v7, v32, 16, 1
	s_delay_alu instid0(VALU_DEP_2) | instskip(SKIP_1) | instid1(VALU_DEP_3)
	v_add_nc_u32_e32 v6, v5, v0
	v_cmp_o_f32_e64 s3, v32, v32
	v_add3_u32 v8, v32, v7, 0x7fff
	v_mov_b32_e32 v7, 0
	s_delay_alu instid0(VALU_DEP_2) | instskip(NEXT) | instid1(VALU_DEP_2)
	v_lshrrev_b32_e32 v8, 16, v8
	v_lshlrev_b64 v[6:7], 1, v[6:7]
	s_delay_alu instid0(VALU_DEP_2) | instskip(SKIP_1) | instid1(VALU_DEP_2)
	v_cndmask_b32_e64 v8, 0x7fc0, v8, s3
	s_waitcnt lgkmcnt(0)
	v_add_co_u32 v6, s3, s8, v6
	s_delay_alu instid0(VALU_DEP_1)
	v_add_co_ci_u32_e64 v7, s3, s9, v7, s3
	global_store_b16 v[6:7], v8, off
	s_or_b32 exec_lo, exec_lo, s4
	s_and_saveexec_b32 s4, s0
	s_cbranch_execz .LBB168_51
.LBB168_80:
	v_bfe_u32 v7, v179, 16, 1
	s_delay_alu instid0(VALU_DEP_2) | instskip(SKIP_1) | instid1(VALU_DEP_3)
	v_add_nc_u32_e32 v6, v5, v2
	v_cmp_o_f32_e64 s3, v179, v179
	v_add3_u32 v8, v179, v7, 0x7fff
	v_mov_b32_e32 v7, 0
	s_delay_alu instid0(VALU_DEP_2) | instskip(NEXT) | instid1(VALU_DEP_2)
	v_lshrrev_b32_e32 v8, 16, v8
	v_lshlrev_b64 v[6:7], 1, v[6:7]
	s_delay_alu instid0(VALU_DEP_2) | instskip(SKIP_1) | instid1(VALU_DEP_2)
	v_cndmask_b32_e64 v8, 0x7fc0, v8, s3
	s_waitcnt lgkmcnt(0)
	v_add_co_u32 v6, s3, s8, v6
	s_delay_alu instid0(VALU_DEP_1)
	v_add_co_ci_u32_e64 v7, s3, s9, v7, s3
	global_store_b16 v[6:7], v8, off
	s_or_b32 exec_lo, exec_lo, s4
	s_and_saveexec_b32 s4, s1
	s_cbranch_execz .LBB168_52
.LBB168_81:
	v_bfe_u32 v7, v30, 16, 1
	v_add_nc_u32_e32 v6, v5, v3
	v_cmp_o_f32_e64 s3, v30, v30
	s_delay_alu instid0(VALU_DEP_3) | instskip(SKIP_1) | instid1(VALU_DEP_2)
	v_add3_u32 v8, v30, v7, 0x7fff
	v_mov_b32_e32 v7, 0
	v_lshrrev_b32_e32 v8, 16, v8
	s_delay_alu instid0(VALU_DEP_2) | instskip(NEXT) | instid1(VALU_DEP_2)
	v_lshlrev_b64 v[6:7], 1, v[6:7]
	v_cndmask_b32_e64 v8, 0x7fc0, v8, s3
	s_waitcnt lgkmcnt(0)
	s_delay_alu instid0(VALU_DEP_2) | instskip(NEXT) | instid1(VALU_DEP_1)
	v_add_co_u32 v6, s3, s8, v6
	v_add_co_ci_u32_e64 v7, s3, s9, v7, s3
	global_store_b16 v[6:7], v8, off
	s_or_b32 exec_lo, exec_lo, s4
	s_and_saveexec_b32 s4, s2
	s_cbranch_execnz .LBB168_53
	s_branch .LBB168_54
.LBB168_82:
	v_bfe_u32 v7, v28, 16, 1
	s_delay_alu instid0(VALU_DEP_2) | instskip(SKIP_1) | instid1(VALU_DEP_3)
	v_add_nc_u32_e32 v6, v5, v0
	v_cmp_o_f32_e64 s3, v28, v28
	v_add3_u32 v8, v28, v7, 0x7fff
	v_mov_b32_e32 v7, 0
	s_delay_alu instid0(VALU_DEP_2) | instskip(NEXT) | instid1(VALU_DEP_2)
	v_lshrrev_b32_e32 v8, 16, v8
	v_lshlrev_b64 v[6:7], 1, v[6:7]
	s_delay_alu instid0(VALU_DEP_2) | instskip(SKIP_1) | instid1(VALU_DEP_2)
	v_cndmask_b32_e64 v8, 0x7fc0, v8, s3
	s_waitcnt lgkmcnt(0)
	v_add_co_u32 v6, s3, s8, v6
	s_delay_alu instid0(VALU_DEP_1)
	v_add_co_ci_u32_e64 v7, s3, s9, v7, s3
	global_store_b16 v[6:7], v8, off
	s_or_b32 exec_lo, exec_lo, s4
	s_and_saveexec_b32 s4, s0
	s_cbranch_execz .LBB168_57
.LBB168_83:
	v_bfe_u32 v7, v177, 16, 1
	s_delay_alu instid0(VALU_DEP_2) | instskip(SKIP_1) | instid1(VALU_DEP_3)
	v_add_nc_u32_e32 v6, v5, v2
	v_cmp_o_f32_e64 s3, v177, v177
	v_add3_u32 v8, v177, v7, 0x7fff
	v_mov_b32_e32 v7, 0
	s_delay_alu instid0(VALU_DEP_2) | instskip(NEXT) | instid1(VALU_DEP_2)
	v_lshrrev_b32_e32 v8, 16, v8
	v_lshlrev_b64 v[6:7], 1, v[6:7]
	s_delay_alu instid0(VALU_DEP_2) | instskip(SKIP_1) | instid1(VALU_DEP_2)
	v_cndmask_b32_e64 v8, 0x7fc0, v8, s3
	s_waitcnt lgkmcnt(0)
	v_add_co_u32 v6, s3, s8, v6
	s_delay_alu instid0(VALU_DEP_1)
	v_add_co_ci_u32_e64 v7, s3, s9, v7, s3
	global_store_b16 v[6:7], v8, off
	s_or_b32 exec_lo, exec_lo, s4
	s_and_saveexec_b32 s4, s1
	s_cbranch_execz .LBB168_58
.LBB168_84:
	v_bfe_u32 v7, v127, 16, 1
	v_add_nc_u32_e32 v6, v5, v3
	v_cmp_o_f32_e64 s3, v127, v127
	s_delay_alu instid0(VALU_DEP_3) | instskip(SKIP_1) | instid1(VALU_DEP_2)
	v_add3_u32 v8, v127, v7, 0x7fff
	v_mov_b32_e32 v7, 0
	v_lshrrev_b32_e32 v8, 16, v8
	s_delay_alu instid0(VALU_DEP_2) | instskip(NEXT) | instid1(VALU_DEP_2)
	v_lshlrev_b64 v[6:7], 1, v[6:7]
	v_cndmask_b32_e64 v8, 0x7fc0, v8, s3
	s_waitcnt lgkmcnt(0)
	s_delay_alu instid0(VALU_DEP_2) | instskip(NEXT) | instid1(VALU_DEP_1)
	v_add_co_u32 v6, s3, s8, v6
	v_add_co_ci_u32_e64 v7, s3, s9, v7, s3
	global_store_b16 v[6:7], v8, off
	s_or_b32 exec_lo, exec_lo, s4
	s_and_saveexec_b32 s4, s2
	s_cbranch_execnz .LBB168_59
	s_branch .LBB168_60
.LBB168_85:
	v_bfe_u32 v6, v80, 16, 1
	s_delay_alu instid0(VALU_DEP_2) | instskip(SKIP_1) | instid1(VALU_DEP_3)
	v_add_nc_u32_e32 v5, v1, v0
	v_cmp_o_f32_e32 vcc_lo, v80, v80
	v_add3_u32 v0, v80, v6, 0x7fff
	v_mov_b32_e32 v6, 0
	s_delay_alu instid0(VALU_DEP_2) | instskip(NEXT) | instid1(VALU_DEP_2)
	v_lshrrev_b32_e32 v0, 16, v0
	v_lshlrev_b64 v[5:6], 1, v[5:6]
	s_delay_alu instid0(VALU_DEP_2) | instskip(SKIP_1) | instid1(VALU_DEP_2)
	v_cndmask_b32_e32 v0, 0x7fc0, v0, vcc_lo
	s_waitcnt lgkmcnt(0)
	v_add_co_u32 v5, vcc_lo, s8, v5
	s_delay_alu instid0(VALU_DEP_3)
	v_add_co_ci_u32_e32 v6, vcc_lo, s9, v6, vcc_lo
	global_store_b16 v[5:6], v0, off
	s_or_b32 exec_lo, exec_lo, s3
	s_and_saveexec_b32 s3, s0
	s_cbranch_execz .LBB168_63
.LBB168_86:
	v_bfe_u32 v0, v23, 16, 1
	s_delay_alu instid0(VALU_DEP_2) | instskip(SKIP_1) | instid1(VALU_DEP_3)
	v_dual_mov_b32 v6, 0 :: v_dual_add_nc_u32 v5, v1, v2
	v_cmp_o_f32_e32 vcc_lo, v23, v23
	v_add3_u32 v0, v23, v0, 0x7fff
	s_delay_alu instid0(VALU_DEP_3) | instskip(NEXT) | instid1(VALU_DEP_2)
	v_lshlrev_b64 v[5:6], 1, v[5:6]
	v_lshrrev_b32_e32 v0, 16, v0
	s_delay_alu instid0(VALU_DEP_1) | instskip(SKIP_1) | instid1(VALU_DEP_3)
	v_cndmask_b32_e32 v0, 0x7fc0, v0, vcc_lo
	s_waitcnt lgkmcnt(0)
	v_add_co_u32 v5, vcc_lo, s8, v5
	s_delay_alu instid0(VALU_DEP_4)
	v_add_co_ci_u32_e32 v6, vcc_lo, s9, v6, vcc_lo
	global_store_b16 v[5:6], v0, off
	s_or_b32 exec_lo, exec_lo, s3
	s_and_saveexec_b32 s0, s1
	s_cbranch_execz .LBB168_64
.LBB168_87:
	v_bfe_u32 v0, v22, 16, 1
	v_dual_mov_b32 v3, 0 :: v_dual_add_nc_u32 v2, v1, v3
	v_cmp_o_f32_e32 vcc_lo, v22, v22
	s_delay_alu instid0(VALU_DEP_3) | instskip(NEXT) | instid1(VALU_DEP_3)
	v_add3_u32 v0, v22, v0, 0x7fff
	v_lshlrev_b64 v[2:3], 1, v[2:3]
	s_delay_alu instid0(VALU_DEP_2) | instskip(NEXT) | instid1(VALU_DEP_1)
	v_lshrrev_b32_e32 v0, 16, v0
	v_cndmask_b32_e32 v0, 0x7fc0, v0, vcc_lo
	s_waitcnt lgkmcnt(0)
	s_delay_alu instid0(VALU_DEP_3) | instskip(NEXT) | instid1(VALU_DEP_4)
	v_add_co_u32 v2, vcc_lo, s8, v2
	v_add_co_ci_u32_e32 v3, vcc_lo, s9, v3, vcc_lo
	global_store_b16 v[2:3], v0, off
	s_or_b32 exec_lo, exec_lo, s0
	s_delay_alu instid0(SALU_CYCLE_1)
	s_and_b32 exec_lo, exec_lo, s2
	s_cbranch_execnz .LBB168_65
	s_branch .LBB168_66
	.section	.rodata,"a",@progbits
	.p2align	6, 0x0
	.amdhsa_kernel _ZL12mul_mat_q2_KIN3c108BFloat16ELb1EEvPKvS3_PT_iiiii
		.amdhsa_group_segment_fixed_size 31392
		.amdhsa_private_segment_fixed_size 456
		.amdhsa_kernarg_size 44
		.amdhsa_user_sgpr_count 14
		.amdhsa_user_sgpr_dispatch_ptr 0
		.amdhsa_user_sgpr_queue_ptr 0
		.amdhsa_user_sgpr_kernarg_segment_ptr 1
		.amdhsa_user_sgpr_dispatch_id 0
		.amdhsa_user_sgpr_private_segment_size 0
		.amdhsa_wavefront_size32 1
		.amdhsa_uses_dynamic_stack 0
		.amdhsa_enable_private_segment 1
		.amdhsa_system_sgpr_workgroup_id_x 1
		.amdhsa_system_sgpr_workgroup_id_y 1
		.amdhsa_system_sgpr_workgroup_id_z 0
		.amdhsa_system_sgpr_workgroup_info 0
		.amdhsa_system_vgpr_workitem_id 1
		.amdhsa_next_free_vgpr 256
		.amdhsa_next_free_sgpr 22
		.amdhsa_reserve_vcc 1
		.amdhsa_float_round_mode_32 0
		.amdhsa_float_round_mode_16_64 0
		.amdhsa_float_denorm_mode_32 3
		.amdhsa_float_denorm_mode_16_64 3
		.amdhsa_dx10_clamp 1
		.amdhsa_ieee_mode 1
		.amdhsa_fp16_overflow 0
		.amdhsa_workgroup_processor_mode 1
		.amdhsa_memory_ordered 1
		.amdhsa_forward_progress 0
		.amdhsa_shared_vgpr_count 0
		.amdhsa_exception_fp_ieee_invalid_op 0
		.amdhsa_exception_fp_denorm_src 0
		.amdhsa_exception_fp_ieee_div_zero 0
		.amdhsa_exception_fp_ieee_overflow 0
		.amdhsa_exception_fp_ieee_underflow 0
		.amdhsa_exception_fp_ieee_inexact 0
		.amdhsa_exception_int_div_zero 0
	.end_amdhsa_kernel
	.section	.text._ZL12mul_mat_q2_KIN3c108BFloat16ELb1EEvPKvS3_PT_iiiii,"axG",@progbits,_ZL12mul_mat_q2_KIN3c108BFloat16ELb1EEvPKvS3_PT_iiiii,comdat
.Lfunc_end168:
	.size	_ZL12mul_mat_q2_KIN3c108BFloat16ELb1EEvPKvS3_PT_iiiii, .Lfunc_end168-_ZL12mul_mat_q2_KIN3c108BFloat16ELb1EEvPKvS3_PT_iiiii
                                        ; -- End function
	.section	.AMDGPU.csdata,"",@progbits
; Kernel info:
; codeLenInByte = 45260
; NumSgprs: 24
; NumVgprs: 256
; ScratchSize: 456
; MemoryBound: 0
; FloatMode: 240
; IeeeMode: 1
; LDSByteSize: 31392 bytes/workgroup (compile time only)
; SGPRBlocks: 2
; VGPRBlocks: 31
; NumSGPRsForWavesPerEU: 24
; NumVGPRsForWavesPerEU: 256
; Occupancy: 5
; WaveLimiterHint : 0
; COMPUTE_PGM_RSRC2:SCRATCH_EN: 1
; COMPUTE_PGM_RSRC2:USER_SGPR: 14
; COMPUTE_PGM_RSRC2:TRAP_HANDLER: 0
; COMPUTE_PGM_RSRC2:TGID_X_EN: 1
; COMPUTE_PGM_RSRC2:TGID_Y_EN: 1
; COMPUTE_PGM_RSRC2:TGID_Z_EN: 0
; COMPUTE_PGM_RSRC2:TIDIG_COMP_CNT: 1
	.section	.text._ZL12mul_mat_q3_KIN3c108BFloat16ELb0EEvPKvS3_PT_iiiii,"axG",@progbits,_ZL12mul_mat_q3_KIN3c108BFloat16ELb0EEvPKvS3_PT_iiiii,comdat
	.globl	_ZL12mul_mat_q3_KIN3c108BFloat16ELb0EEvPKvS3_PT_iiiii ; -- Begin function _ZL12mul_mat_q3_KIN3c108BFloat16ELb0EEvPKvS3_PT_iiiii
	.p2align	8
	.type	_ZL12mul_mat_q3_KIN3c108BFloat16ELb0EEvPKvS3_PT_iiiii,@function
_ZL12mul_mat_q3_KIN3c108BFloat16ELb0EEvPKvS3_PT_iiiii: ; @_ZL12mul_mat_q3_KIN3c108BFloat16ELb0EEvPKvS3_PT_iiiii
; %bb.0:
	s_clause 0x1
	s_load_b32 s11, s[0:1], 0x18
	s_load_b128 s[4:7], s[0:1], 0x20
	v_bfe_u32 v1, v0, 10, 10
	s_waitcnt lgkmcnt(0)
	s_lshl_b32 s7, s15, 6
	scratch_store_b32 off, v1, off offset:516 ; 4-byte Folded Spill
	v_and_b32_e32 v1, 0x3ff, v0
	scratch_store_b32 off, v1, off offset:152 ; 4-byte Folded Spill
	s_cmpk_gt_i32 s11, 0xff
	s_cbranch_scc1 .LBB169_2
; %bb.1:
	v_bfe_u32 v1, v0, 10, 10
	v_and_b32_e32 v0, 0x3ff, v0
	s_mov_b32 s2, 0
	s_mov_b32 s3, 0
	s_delay_alu instid0(VALU_DEP_2)
	v_add_nc_u32_e32 v2, s7, v1
	s_branch .LBB169_3
.LBB169_2:
	s_mov_b32 s2, -1
                                        ; implicit-def: $sgpr3
                                        ; implicit-def: $vgpr1
                                        ; implicit-def: $vgpr0
                                        ; implicit-def: $vgpr2
.LBB169_3:
	s_load_b64 s[8:9], s[0:1], 0x10
	v_dual_mov_b32 v28, s3 :: v_dual_mov_b32 v121, s3
	v_dual_mov_b32 v50, s3 :: v_dual_mov_b32 v89, s3
	;; [unrolled: 1-line block ×15, first 2 shown]
	v_mov_b32_e32 v88, s3
	v_mov_b32_e32 v128, s3
	s_and_not1_b32 vcc_lo, exec_lo, s2
	s_lshl_b32 s10, s14, 7
	s_cbranch_vccnz .LBB169_15
; %bb.4:
	s_clause 0x1
	scratch_load_b32 v46, off, off offset:152
	scratch_load_b32 v45, off, off offset:516
	s_load_b128 s[0:3], s[0:1], 0x0
	s_ashr_i32 s12, s11, 31
	s_ashr_i32 s16, s5, 31
	s_lshr_b32 s12, s12, 24
	v_mov_b32_e32 v128, 0
	s_add_i32 s11, s11, s12
	s_lshr_b32 s12, s16, 27
	s_ashr_i32 s11, s11, 8
	s_add_i32 s5, s5, s12
	s_mul_i32 s12, s11, s10
	s_ashr_i32 s16, s5, 5
	s_mul_i32 s5, s12, 0x6e
	s_mul_hi_i32 s12, s12, 0x6e
	s_movk_i32 s13, 0x1080
	s_movk_i32 s14, 0x2100
	;; [unrolled: 1-line block ×3, first 2 shown]
	v_dual_mov_b32 v91, 0 :: v_dual_mov_b32 v88, 0
	v_mov_b32_e32 v114, 0
	v_mov_b32_e32 v90, 0
	s_waitcnt lgkmcnt(0)
	s_add_u32 s5, s0, s5
	s_addc_u32 s12, s1, s12
	s_lshl_b32 s0, s11, 3
	s_lshl_b32 s1, s11, 4
	s_add_i32 s17, s4, -1
	v_mov_b32_e32 v229, 0
	v_mov_b32_e32 v193, 0
	;; [unrolled: 1-line block ×3, first 2 shown]
	v_dual_mov_b32 v67, 0 :: v_dual_mov_b32 v136, 0
	v_dual_mov_b32 v86, 0 :: v_dual_mov_b32 v81, 0
	v_mov_b32_e32 v227, 0
	v_mov_b32_e32 v49, 0
	v_dual_mov_b32 v123, 0 :: v_dual_mov_b32 v56, 0
	v_dual_mov_b32 v85, 0 :: v_dual_mov_b32 v52, 0
	;; [unrolled: 1-line block ×3, first 2 shown]
	v_mov_b32_e32 v68, 0
	v_mov_b32_e32 v84, 0
	;; [unrolled: 1-line block ×5, first 2 shown]
	v_dual_mov_b32 v50, 0 :: v_dual_mov_b32 v55, 0
	v_mov_b32_e32 v121, 0
	v_mov_b32_e32 v89, 0
	s_waitcnt vmcnt(1)
	v_lshlrev_b32_e32 v19, 2, v46
	s_waitcnt vmcnt(0)
	v_mad_i32_i24 v2, s11, v45, s0
	v_and_b32_e32 v0, 15, v46
	v_and_b32_e32 v3, 1, v46
	v_lshrrev_b32_e32 v47, 4, v46
	v_lshlrev_b32_e32 v1, 1, v45
	v_add_nc_u32_e32 v4, s0, v2
	scratch_store_b32 off, v2, off offset:248 ; 4-byte Folded Spill
	v_cmp_lt_u32_e32 vcc_lo, 7, v0
	v_lshlrev_b32_e32 v41, 2, v0
	v_mad_u32_u24 v5, 0x84, v45, v19
	scratch_store_b32 off, v4, off offset:252 ; 4-byte Folded Spill
	v_add_nc_u32_e32 v4, s0, v4
	v_cndmask_b32_e64 v0, 0, 1, vcc_lo
	scratch_store_b32 off, v3, off offset:244 ; 4-byte Folded Spill
	v_add_nc_u32_e32 v18, v47, v1
	s_clause 0x1
	scratch_store_b32 off, v0, off offset:268
	scratch_store_b32 off, v4, off offset:264
	v_add_nc_u32_e32 v7, s0, v4
	v_add_nc_u16 v0, v47, v1
	v_lshlrev_b32_e32 v20, 4, v45
	v_lshrrev_b32_e32 v21, 1, v46
	v_lshlrev_b32_e32 v3, 2, v3
	scratch_store_b32 off, v7, off offset:272 ; 4-byte Folded Spill
	v_add_nc_u32_e32 v1, s0, v7
	v_mul_i32_i24_e32 v7, s11, v45
	v_add_nc_u32_e32 v2, v21, v20
	v_lshrrev_b16 v0, 1, v0
	v_add_nc_u32_e32 v24, 32, v18
	v_mad_i32_i24 v17, s11, v18, s1
	scratch_store_b32 off, v7, off offset:284 ; 4-byte Folded Spill
	v_add_nc_u32_e32 v7, 0x420, v5
	v_and_b32_e32 v0, 0xffff, v0
	v_add_nc_u32_e32 v15, s7, v45
	v_add_nc_u32_e32 v34, s1, v17
	;; [unrolled: 1-line block ×3, first 2 shown]
	scratch_store_b32 off, v7, off offset:288 ; 4-byte Folded Spill
	v_add_nc_u32_e32 v7, 0x840, v5
	v_add_nc_u32_e32 v4, 8, v15
	;; [unrolled: 1-line block ×5, first 2 shown]
	scratch_store_b32 off, v7, off offset:292 ; 4-byte Folded Spill
	v_add_nc_u32_e32 v7, 0xc60, v5
	s_clause 0x1
	scratch_store_b32 off, v7, off offset:296
	scratch_store_b32 off, v1, off offset:280
	v_add_nc_u32_e32 v7, 0x1080, v5
	v_add_nc_u32_e32 v1, s0, v1
	;; [unrolled: 1-line block ×5, first 2 shown]
	scratch_store_b32 off, v7, off offset:304 ; 4-byte Folded Spill
	v_add_nc_u32_e32 v7, 0x14a0, v5
	v_cvt_f64_u32_e32 v[10:11], v10
	v_cvt_f64_u32_e32 v[12:13], v12
	v_lshlrev_b32_e32 v29, 1, v28
	v_add_nc_u32_e32 v30, 64, v18
	scratch_store_b32 off, v7, off offset:308 ; 4-byte Folded Spill
	v_add_nc_u32_e32 v7, 0x18c0, v5
	v_add_nc_u32_e32 v31, 0x50, v18
	v_and_b32_e32 v29, 0xffc, v29
	v_add_nc_u32_e32 v38, s1, v37
	v_lshlrev_b32_e32 v33, 1, v30
	scratch_store_b32 off, v7, off offset:312 ; 4-byte Folded Spill
	v_add_nc_u32_e32 v7, 0x1ce0, v5
	s_clause 0x1
	scratch_store_b32 off, v7, off offset:316
	scratch_store_b32 off, v1, off offset:300
	v_add_nc_u32_e32 v7, 0x2100, v5
	v_add_nc_u32_e32 v1, s0, v1
	;; [unrolled: 1-line block ×3, first 2 shown]
	v_lshlrev_b32_e32 v36, 6, v28
	v_lshlrev_b32_e32 v23, 6, v18
	scratch_store_b32 off, v7, off offset:324 ; 4-byte Folded Spill
	v_add_nc_u32_e32 v7, 0x2520, v5
	v_and_b32_e32 v22, 7, v46
	v_and_b32_e32 v33, 0xffc, v33
	v_lshlrev_b32_e32 v39, 6, v31
	v_lshlrev_b32_e32 v66, 5, v46
	scratch_store_b32 off, v7, off offset:328 ; 4-byte Folded Spill
	v_add_nc_u32_e32 v7, 0x2940, v5
	v_add3_u32 v33, v33, v41, 0x4200
	v_lshlrev_b32_e32 v48, 2, v22
	v_lshl_add_u32 v58, v46, 4, v21
	v_mul_u32_u24_e32 v59, 0x84, v46
	scratch_store_b32 off, v7, off offset:332 ; 4-byte Folded Spill
	v_add_nc_u32_e32 v7, 0x2d60, v5
	s_clause 0x1
	scratch_store_b32 off, v7, off offset:336
	scratch_store_b32 off, v1, off offset:320
	v_add_nc_u32_e32 v7, 0x3180, v5
	v_add_nc_u32_e32 v1, s0, v1
	v_mad_u32_u24 v64, 0x84, v46, s13
	v_mad_u32_u24 v77, 0x84, v46, s14
	;; [unrolled: 1-line block ×3, first 2 shown]
	scratch_store_b32 off, v7, off offset:344 ; 4-byte Folded Spill
	v_add_nc_u32_e32 v7, 0x35a0, v5
	v_and_b32_e32 v96, 0xfc, v46
	s_mov_b32 s13, 0
	scratch_store_b32 off, v7, off offset:348 ; 4-byte Folded Spill
	v_add_nc_u32_e32 v7, 0x39c0, v5
	s_clause 0x1
	scratch_store_b32 off, v7, off offset:352
	scratch_store_b32 off, v5, off offset:260
	v_add_nc_u32_e32 v5, 0x3de0, v5
	s_clause 0x1
	scratch_store_b32 off, v5, off offset:356
	scratch_store_b32 off, v1, off offset:340
	v_add_nc_u32_e32 v5, s0, v1
	v_and_b32_e32 v1, 0x7f, v2
	v_mul_i32_i24_e32 v7, s11, v18
	v_lshrrev_b32_e32 v2, 2, v2
	v_add_nc_u32_e32 v100, 0x8308, v96
	scratch_store_b32 off, v5, off offset:360 ; 4-byte Folded Spill
	v_mul_i32_i24_e32 v8, s11, v1
	scratch_store_b32 off, v7, off offset:364 ; 4-byte Folded Spill
	v_add_nc_u32_e32 v7, s0, v5
	s_clause 0x1
	scratch_store_b32 off, v8, off offset:372
	scratch_store_b32 off, v7, off offset:368
	v_add_nc_u32_e32 v7, s0, v7
	v_lshl_or_b32 v1, v1, 3, v3
	v_and_b32_e32 v2, 28, v2
	v_add_nc_u32_e32 v5, 16, v18
	v_add_nc_u32_e32 v8, 24, v15
	s_clause 0x1
	scratch_store_b32 off, v17, off offset:396
	scratch_store_b32 off, v34, off offset:404
	v_add3_u32 v1, v1, v2, 0x9380
	scratch_store_b32 off, v7, off offset:376 ; 4-byte Folded Spill
	v_add_nc_u32_e32 v7, s0, v7
	v_lshlrev_b32_e32 v3, 1, v5
	v_lshlrev_b32_e32 v25, 6, v5
	;; [unrolled: 1-line block ×4, first 2 shown]
	v_add_nc_u32_e32 v0, s0, v7
	v_and_b32_e32 v3, 0xffc, v3
	scratch_store_b32 off, v7, off offset:380 ; 4-byte Folded Spill
	v_and_b32_e32 v26, 0xffc, v5
	v_add3_u32 v27, v2, v41, 0x4200
	v_add_nc_u32_e32 v5, s0, v0
	s_clause 0x1
	scratch_store_b32 off, v1, off offset:384
	scratch_store_b32 off, v0, off offset:388
	v_cvt_f64_i32_e32 v[0:1], s17
	v_add3_u32 v32, v3, v41, 0x4200
	v_add_nc_u32_e32 v2, s0, v5
	scratch_store_b32 off, v5, off offset:392 ; 4-byte Folded Spill
	v_cvt_f64_u32_e32 v[4:5], v4
	v_cvt_f64_u32_e32 v[6:7], v6
	;; [unrolled: 1-line block ×3, first 2 shown]
	s_clause 0x1
	scratch_store_b32 off, v2, off offset:400
	scratch_store_b32 off, v37, off offset:408
	v_cvt_f64_u32_e32 v[2:3], v15
	scratch_store_b32 off, v15, off offset:520 ; 4-byte Folded Spill
	v_cvt_f64_u32_e32 v[14:15], v14
	v_cvt_f64_u32_e32 v[16:17], v16
	v_add3_u32 v34, v29, v41, 0x4200
	v_lshlrev_b32_e32 v29, 1, v31
	v_lshlrev_b32_e32 v37, 6, v30
	v_add_nc_u32_e32 v30, s1, v38
	scratch_store_b32 off, v38, off offset:412 ; 4-byte Folded Spill
	v_add3_u32 v26, v26, v41, 0x4200
	v_and_b32_e32 v28, 0xffc, v29
	v_lshlrev_b32_e32 v29, 1, v35
	scratch_store_b32 off, v30, off offset:416 ; 4-byte Folded Spill
	v_add_nc_u32_e32 v30, s1, v30
	scratch_store_b32 off, v41, off offset:256 ; 4-byte Folded Spill
	v_add3_u32 v38, v28, v41, 0x4200
	v_and_b32_e32 v28, 0xffc, v29
	v_add_nc_u32_e32 v29, 0x70, v18
	v_and_b32_e32 v18, 3, v46
	scratch_store_b32 off, v30, off offset:420 ; 4-byte Folded Spill
	v_add_nc_u32_e32 v30, s1, v30
	v_add3_u32 v40, v28, v41, 0x4200
	v_lshlrev_b32_e32 v28, 1, v29
	v_cmp_gt_u32_e32 vcc_lo, 2, v18
	s_lshl_b32 s0, s11, 5
	scratch_store_b32 off, v30, off offset:424 ; 4-byte Folded Spill
	v_add_nc_u16 v30, v18, -2
	v_and_b32_e32 v28, 0xffc, v28
	v_lshlrev_b32_e32 v42, 6, v29
	v_min_f64 v[10:11], v[10:11], v[0:1]
	v_min_f64 v[12:13], v[12:13], v[0:1]
	v_lshlrev_b32_e32 v24, 6, v24
	v_add3_u32 v41, v28, v41, 0x4200
	v_min_f64 v[4:5], v[4:5], v[0:1]
	v_min_f64 v[6:7], v[6:7], v[0:1]
	;; [unrolled: 1-line block ×3, first 2 shown]
	v_lshlrev_b32_e32 v35, 6, v35
	v_min_f64 v[2:3], v[2:3], v[0:1]
	v_min_f64 v[14:15], v[14:15], v[0:1]
	;; [unrolled: 1-line block ×3, first 2 shown]
	v_cndmask_b32_e32 v17, v30, v18, vcc_lo
	v_cmp_lt_u32_e32 vcc_lo, 1, v18
	v_lshrrev_b32_e32 v16, 3, v46
	s_delay_alu instid0(VALU_DEP_3) | instskip(SKIP_2) | instid1(VALU_DEP_4)
	v_dual_mov_b32 v30, 0 :: v_dual_and_b32 v17, 0xff, v17
	v_cndmask_b32_e64 v28, 0, 1, vcc_lo
	v_cmp_lt_u32_e32 vcc_lo, 3, v22
	v_lshl_add_u32 v16, v45, 2, v16
	s_delay_alu instid0(VALU_DEP_4) | instskip(SKIP_1) | instid1(VALU_DEP_3)
	v_lshlrev_b32_e32 v17, 2, v17
	v_cndmask_b32_e64 v22, 0, 1, vcc_lo
	v_lshlrev_b32_e32 v44, 5, v16
	scratch_store_b32 off, v22, off offset:428 ; 4-byte Folded Spill
	v_lshlrev_b32_e32 v22, 2, v28
	v_and_b32_e32 v28, 0x7fc, v16
	s_delay_alu instid0(VALU_DEP_1)
	v_add3_u32 v43, v28, v48, 0x8300
	v_mad_i32_i24 v28, s11, v16, s0
	scratch_store_b32 off, v17, off offset:436 ; 4-byte Folded Spill
	v_lshlrev_b32_e32 v17, 1, v18
	scratch_store_b32 off, v22, off offset:432 ; 4-byte Folded Spill
	v_cvt_i32_f64_e32 v4, v[4:5]
	v_cvt_i32_f64_e32 v6, v[6:7]
	;; [unrolled: 1-line block ×3, first 2 shown]
	scratch_store_b32 off, v17, off offset:440 ; 4-byte Folded Spill
	v_cvt_i32_f64_e32 v9, v[10:11]
	v_cvt_i32_f64_e32 v2, v[2:3]
	v_lshrrev_b32_e32 v10, 2, v46
	v_add_nc_u32_e32 v22, 32, v16
	v_cvt_i32_f64_e32 v0, v[0:1]
	v_mul_i32_i24_e32 v17, s11, v16
	v_add_nc_u32_e32 v5, 64, v16
	v_lshl_add_u32 v10, v45, 3, v10
	v_cvt_i32_f64_e32 v11, v[12:13]
	v_cvt_i32_f64_e32 v13, v[14:15]
	v_and_b32_e32 v15, 28, v19
	v_lshlrev_b32_e32 v19, 2, v18
	v_and_b32_e32 v10, 63, v10
	scratch_store_b32 off, v17, off offset:444 ; 4-byte Folded Spill
	v_and_b32_e32 v17, 0xffc, v22
	v_lshlrev_b32_e32 v3, 5, v22
	v_add_nc_u32_e32 v22, s0, v28
	v_and_b32_e32 v12, 0xffc, v5
	v_add_nc_u32_e32 v8, 0x60, v16
	v_or_b32_e32 v16, s7, v10
	v_lshl_or_b32 v10, v10, 4, v19
	v_add3_u32 v17, v17, v48, 0x8300
	v_add3_u32 v1, v12, v48, 0x8300
	v_add_nc_u32_e32 v12, s0, v22
	scratch_store_b32 off, v28, off offset:448 ; 4-byte Folded Spill
	v_add_co_u32 v28, s0, s2, v15
	v_and_b32_e32 v14, 0xffc, v8
	scratch_store_b32 off, v12, off offset:456 ; 4-byte Folded Spill
	v_add_co_ci_u32_e64 v29, null, s3, 0, s0
	v_add_nc_u32_e32 v10, 0x97a0, v10
	v_add3_u32 v12, v14, v48, 0x8300
	v_and_b32_e32 v14, 31, v46
	scratch_store_b64 off, v[28:29], off offset:156 ; 8-byte Folded Spill
	v_min_i32_e32 v15, s17, v16
	v_lshlrev_b32_e32 v5, 5, v5
	v_lshlrev_b32_e32 v8, 5, v8
	v_mul_lo_u32 v2, s16, v2
	scratch_store_b32 off, v10, off offset:164 ; 4-byte Folded Spill
	v_mad_u64_u32 v[28:29], null, v15, s16, v[18:19]
	v_mul_lo_u32 v0, s16, v0
	v_lshlrev_b32_e32 v10, 3, v46
	s_clause 0x1
	scratch_store_b32 off, v2, off offset:168
	scratch_store_b32 off, v22, off offset:452
	v_lshlrev_b32_e32 v22, 7, v45
	scratch_store_b32 off, v0, off offset:224 ; 4-byte Folded Spill
	v_add_nc_u32_e32 v0, 64, v46
	v_lshl_or_b32 v14, v14, 2, v22
	s_delay_alu instid0(VALU_DEP_2) | instskip(NEXT) | instid1(VALU_DEP_2)
	v_and_b32_e32 v94, 0x1fc, v0
	v_add_nc_u32_e32 v2, 0x6300, v14
	s_delay_alu instid0(VALU_DEP_2)
	v_add_nc_u32_e32 v98, 0x8b08, v94
	scratch_store_b32 off, v2, off offset:172 ; 4-byte Folded Spill
	v_mul_lo_u32 v2, s16, v4
	v_add_nc_u32_e32 v4, 0x7f00, v14
	scratch_store_b32 off, v2, off offset:176 ; 4-byte Folded Spill
	v_add_nc_u32_e32 v2, 0x6700, v14
	s_clause 0x1
	scratch_store_b32 off, v48, off offset:276
	scratch_store_b32 off, v2, off offset:180
	v_mul_lo_u32 v2, s16, v6
	scratch_store_b64 off, v[28:29], off offset:460 ; 8-byte Folded Spill
	v_dual_mov_b32 v29, 0 :: v_dual_add_nc_u32 v6, 0x60, v46
	s_delay_alu instid0(VALU_DEP_1)
	v_dual_mov_b32 v28, 0 :: v_dual_and_b32 v93, 0x1fc, v6
	scratch_store_b32 off, v2, off offset:184 ; 4-byte Folded Spill
	v_add_nc_u32_e32 v2, 0x6b00, v14
	v_add_nc_u32_e32 v97, 0x8f08, v93
	scratch_store_b32 off, v2, off offset:188 ; 4-byte Folded Spill
	v_mul_lo_u32 v2, s16, v7
	v_lshrrev_b32_e32 v7, 1, v0
	s_delay_alu instid0(VALU_DEP_1)
	v_lshl_add_u32 v73, v0, 4, v7
	v_lshlrev_b32_e32 v7, 3, v6
	scratch_store_b32 off, v2, off offset:192 ; 4-byte Folded Spill
	v_add_nc_u32_e32 v2, 0x6f00, v14
	scratch_store_b32 off, v2, off offset:196 ; 4-byte Folded Spill
	v_mul_lo_u32 v2, s16, v9
	v_lshlrev_b32_e32 v9, 2, v47
	s_delay_alu instid0(VALU_DEP_1)
	v_add3_u32 v60, v9, v10, 0x9380
	scratch_store_b32 off, v2, off offset:200 ; 4-byte Folded Spill
	v_add_nc_u32_e32 v2, 0x7300, v14
	scratch_store_b32 off, v2, off offset:204 ; 4-byte Folded Spill
	v_mul_lo_u32 v2, s16, v11
	scratch_store_b32 off, v2, off offset:208 ; 4-byte Folded Spill
	v_add_nc_u32_e32 v2, 0x7700, v14
	scratch_store_b32 off, v2, off offset:212 ; 4-byte Folded Spill
	v_mul_lo_u32 v2, s16, v13
	v_lshrrev_b32_e32 v13, 1, v6
	s_delay_alu instid0(VALU_DEP_1) | instskip(SKIP_4) | instid1(VALU_DEP_1)
	v_lshl_add_u32 v79, v6, 4, v13
	scratch_store_b32 off, v2, off offset:216 ; 4-byte Folded Spill
	v_add_nc_u32_e32 v2, 0x7b00, v14
	scratch_store_b32 off, v2, off offset:220 ; 4-byte Folded Spill
	v_add_nc_u32_e32 v2, 32, v46
	v_lshrrev_b32_e32 v11, 2, v2
	v_lshlrev_b32_e32 v10, 3, v2
	v_and_b32_e32 v95, 0x1fc, v2
	s_delay_alu instid0(VALU_DEP_3) | instskip(SKIP_1) | instid1(VALU_DEP_3)
	v_and_b32_e32 v9, 0x7c, v11
	v_lshrrev_b32_e32 v11, 2, v0
	v_add_nc_u32_e32 v99, 0x8708, v95
	s_delay_alu instid0(VALU_DEP_3)
	v_add3_u32 v65, v10, v9, 0x9380
	v_lshlrev_b32_e32 v10, 3, v0
	v_add_nc_u32_e32 v0, 0x6300, v22
	scratch_store_b32 off, v4, off offset:228 ; 4-byte Folded Spill
	v_lshrrev_b32_e32 v4, 1, v2
	v_and_b32_e32 v9, 0x7c, v11
	scratch_store_b32 off, v0, off offset:236 ; 4-byte Folded Spill
	v_add_nc_u32_e32 v0, v27, v23
	v_lshl_add_u32 v61, v2, 4, v4
	v_lshrrev_b32_e32 v4, 2, v6
	v_add3_u32 v78, v10, v9, 0x9380
	scratch_store_b32 off, v0, off offset:468 ; 4-byte Folded Spill
	v_add_nc_u32_e32 v0, v32, v25
	v_and_b32_e32 v4, 0x7c, v4
	s_clause 0x1
	scratch_store_b32 off, v47, off offset:240
	scratch_store_b32 off, v0, off offset:472
	v_add3_u32 v87, v7, v4, 0x9380
	v_add_nc_u32_e32 v4, 0x97a0, v20
	v_add_nc_u32_e32 v0, v26, v24
	s_clause 0x1
	scratch_store_b32 off, v4, off offset:232
	scratch_store_b32 off, v0, off offset:476
	v_add_nc_u32_e32 v0, v34, v36
	scratch_store_b32 off, v0, off offset:480 ; 4-byte Folded Spill
	v_add_nc_u32_e32 v0, v33, v37
	scratch_store_b32 off, v0, off offset:484 ; 4-byte Folded Spill
	;; [unrolled: 2-line block ×8, first 2 shown]
	v_add_nc_u32_e32 v0, v12, v8
	s_clause 0x15
	scratch_store_b32 off, v0, off offset:512
	scratch_store_b32 off, v66, off offset:8
	;; [unrolled: 1-line block ×20, first 2 shown]
	scratch_store_b32 off, v65, off
	scratch_store_b32 off, v87, off offset:4
	s_branch .LBB169_6
.LBB169_5:                              ;   in Loop: Header=BB169_6 Depth=1
	s_add_i32 s13, s13, 2
	s_delay_alu instid0(SALU_CYCLE_1)
	s_cmp_ge_i32 s13, s11
	s_cbranch_scc1 .LBB169_14
.LBB169_6:                              ; =>This Loop Header: Depth=1
                                        ;     Child Loop BB169_8 Depth 2
                                        ;       Child Loop BB169_10 Depth 3
                                        ;       Child Loop BB169_12 Depth 3
	s_clause 0x5
	scratch_load_b32 v2, off, off offset:240
	scratch_load_b32 v6, off, off offset:248
	;; [unrolled: 1-line block ×6, first 2 shown]
	s_mul_i32 s0, s13, 0x6e
	s_mul_hi_u32 s1, s13, 0x6e
	s_add_u32 s0, s5, s0
	s_addc_u32 s1, s12, s1
	s_clause 0x1
	scratch_load_b32 v4, off, off offset:284
	scratch_load_b32 v18, off, off offset:320
	s_mov_b32 s14, 0
	scratch_load_b32 v12, off, off offset:272 ; 4-byte Folded Reload
	s_waitcnt vmcnt(8)
	v_mad_u64_u32 v[0:1], null, 0x6e, v2, s[0:1]
	scratch_load_b32 v2, off, off offset:256 ; 4-byte Folded Reload
	s_waitcnt vmcnt(0)
	v_add_co_u32 v0, vcc_lo, v0, v2
	v_add_co_ci_u32_e32 v1, vcc_lo, 0, v1, vcc_lo
	s_delay_alu instid0(VALU_DEP_2) | instskip(NEXT) | instid1(VALU_DEP_2)
	v_add_co_u32 v0, vcc_lo, v0, 32
	v_add_co_ci_u32_e32 v1, vcc_lo, 0, v1, vcc_lo
	s_delay_alu instid0(VALU_DEP_1)
	v_mad_u64_u32 v[2:3], null, 0x6e, v4, v[0:1]
	v_mad_u64_u32 v[4:5], null, 0x6e, v6, v[0:1]
	;; [unrolled: 1-line block ×8, first 2 shown]
	s_clause 0x7
	global_load_b32 v41, v[2:3], off
	global_load_b32 v42, v[4:5], off
	;; [unrolled: 1-line block ×8, first 2 shown]
	s_clause 0x11
	scratch_load_b32 v4, off, off offset:340
	scratch_load_b32 v6, off, off offset:360
	;; [unrolled: 1-line block ×18, first 2 shown]
	s_waitcnt vmcnt(17)
	v_mad_u64_u32 v[2:3], null, 0x6e, v4, v[0:1]
	s_waitcnt vmcnt(16)
	v_mad_u64_u32 v[4:5], null, 0x6e, v6, v[0:1]
	;; [unrolled: 2-line block ×6, first 2 shown]
	v_mad_u64_u32 v[14:15], null, 0x6e, v16, v[0:1]
	v_mad_u64_u32 v[16:17], null, 0x6e, v18, v[0:1]
	;; [unrolled: 1-line block ×3, first 2 shown]
	scratch_load_b32 v20, off, off offset:276 ; 4-byte Folded Reload
	s_waitcnt vmcnt(0)
	v_add_co_u32 v12, vcc_lo, v12, v20
	v_mad_u64_u32 v[20:21], null, 0x6e, v22, v[0:1]
	scratch_load_b32 v22, off, off offset:244 ; 4-byte Folded Reload
	v_add_co_ci_u32_e32 v13, vcc_lo, 0, v13, vcc_lo
	s_waitcnt vmcnt(0)
	v_mad_u64_u32 v[0:1], null, 0x6e, v22, v[18:19]
	scratch_load_b32 v22, off, off offset:364 ; 4-byte Folded Reload
	s_waitcnt vmcnt(0)
	v_mad_u64_u32 v[18:19], null, 0x6e, v22, v[12:13]
	v_mad_u64_u32 v[22:23], null, 0x6e, v24, v[12:13]
	;; [unrolled: 1-line block ×9, first 2 shown]
	scratch_load_b32 v57, off, off offset:444 ; 4-byte Folded Reload
	s_clause 0x8
	global_load_u16 v62, v[0:1], off offset:108
	global_load_b32 v72, v[18:19], off
	global_load_b32 v74, v[22:23], off
	;; [unrolled: 1-line block ×8, first 2 shown]
	s_clause 0x3
	scratch_load_b32 v36, off, off offset:436
	scratch_load_b32 v22, off, off offset:448
	;; [unrolled: 1-line block ×4, first 2 shown]
	v_add_co_u32 v26, vcc_lo, 0x60, v26
	v_add_co_ci_u32_e32 v27, vcc_lo, 0, v27, vcc_lo
	s_lshl_b32 s0, s13, 3
	s_mov_b32 s1, 0
	s_waitcnt vmcnt(13)
	s_delay_alu instid0(VALU_DEP_1)
	v_mad_u64_u32 v[12:13], null, 0x6e, v57, v[26:27]
	s_waitcnt vmcnt(2)
	v_mad_u64_u32 v[18:19], null, 0x6e, v22, v[26:27]
	s_waitcnt vmcnt(1)
	;; [unrolled: 2-line block ×3, first 2 shown]
	v_mad_u64_u32 v[24:25], null, 0x6e, v37, v[26:27]
	s_delay_alu instid0(VALU_DEP_4)
	v_add_co_u32 v0, vcc_lo, v12, v36
	v_add_co_ci_u32_e32 v1, vcc_lo, 0, v13, vcc_lo
	s_clause 0xc
	global_load_b32 v26, v[2:3], off
	global_load_b32 v27, v[4:5], off
	;; [unrolled: 1-line block ×8, first 2 shown]
	global_load_b32 v14, v[24:25], off offset:8
	global_load_b32 v15, v[22:23], off offset:8
	global_load_b32 v16, v[18:19], off offset:8
	global_load_b32 v17, v[0:1], off
	global_load_b32 v12, v[12:13], off offset:8
	v_add_co_u32 v0, vcc_lo, v18, v36
	v_add_co_ci_u32_e32 v1, vcc_lo, 0, v19, vcc_lo
	v_add_co_u32 v2, vcc_lo, v22, v36
	v_add_co_ci_u32_e32 v3, vcc_lo, 0, v23, vcc_lo
	v_add_co_u32 v4, vcc_lo, v24, v36
	v_add_co_ci_u32_e32 v5, vcc_lo, 0, v25, vcc_lo
	s_clause 0x2
	global_load_b32 v0, v[0:1], off
	global_load_b32 v1, v[2:3], off
	global_load_b32 v2, v[4:5], off
	s_clause 0x1
	scratch_load_b64 v[3:4], off, off offset:460
	scratch_load_b32 v23, off, off offset:260
	s_waitcnt vmcnt(1)
	v_not_b32_e32 v4, v72
	v_not_b32_e32 v5, v74
	;; [unrolled: 1-line block ×8, first 2 shown]
	v_add_nc_u32_e32 v3, s0, v3
	s_waitcnt vmcnt(0)
	ds_store_b32 v23, v41
	scratch_load_b32 v23, off, off offset:288 ; 4-byte Folded Reload
	scratch_store_b32 off, v3, off offset:148 ; 4-byte Folded Spill
	v_cvt_f32_f16_e32 v3, v62
	s_waitcnt vmcnt(0)
	ds_store_b32 v23, v42
	scratch_load_b32 v23, off, off offset:292 ; 4-byte Folded Reload
	s_waitcnt vmcnt(0)
	ds_store_b32 v23, v43
	scratch_load_b32 v23, off, off offset:296 ; 4-byte Folded Reload
	;; [unrolled: 3-line block ×10, first 2 shown]
	s_waitcnt vmcnt(0)
	ds_store_b32 v6, v7
	s_clause 0x1
	scratch_load_b32 v6, off, off offset:344
	scratch_load_b32 v7, off, off offset:432
	s_waitcnt vmcnt(1)
	ds_store_b32 v6, v8
	s_clause 0x1
	scratch_load_b32 v6, off, off offset:348
	scratch_load_b32 v8, off, off offset:440
	s_waitcnt vmcnt(2)
	v_ashrrev_i32_e32 v0, v7, v0
	v_ashrrev_i32_e32 v1, v7, v1
	;; [unrolled: 1-line block ×3, first 2 shown]
	s_delay_alu instid0(VALU_DEP_3) | instskip(NEXT) | instid1(VALU_DEP_3)
	v_and_b32_e32 v0, 0xf0f0f0f, v0
	v_and_b32_e32 v1, 0xf0f0f0f, v1
	s_delay_alu instid0(VALU_DEP_3)
	v_and_b32_e32 v2, 0xf0f0f0f, v2
	s_waitcnt vmcnt(1)
	ds_store_b32 v6, v9
	scratch_load_b32 v6, off, off offset:352 ; 4-byte Folded Reload
	s_waitcnt vmcnt(0)
	ds_store_b32 v6, v10
	scratch_load_b32 v6, off, off offset:356 ; 4-byte Folded Reload
	;; [unrolled: 3-line block ×4, first 2 shown]
	v_ashrrev_i32_e32 v6, v8, v15
	s_delay_alu instid0(VALU_DEP_1) | instskip(NEXT) | instid1(VALU_DEP_1)
	v_lshlrev_b32_e32 v6, 4, v6
	v_and_or_b32 v1, 0x30303030, v6, v1
	s_delay_alu instid0(VALU_DEP_1) | instskip(SKIP_4) | instid1(VALU_DEP_1)
	v_and_b32_e32 v9, 0x3f00, v1
	s_waitcnt vmcnt(0)
	ds_store_b32 v3, v4
	scratch_load_b32 v3, off, off offset:472 ; 4-byte Folded Reload
	v_ashrrev_i32_e32 v4, v8, v12
	v_lshlrev_b32_e32 v4, 4, v4
	s_waitcnt vmcnt(0)
	ds_store_b32 v3, v5
	scratch_load_b32 v3, off, off offset:476 ; 4-byte Folded Reload
	v_ashrrev_i32_e32 v5, v8, v16
	s_delay_alu instid0(VALU_DEP_1) | instskip(NEXT) | instid1(VALU_DEP_1)
	v_lshlrev_b32_e32 v5, 4, v5
	v_and_or_b32 v0, 0x30303030, v5, v0
	s_delay_alu instid0(VALU_DEP_1)
	v_lshrrev_b32_e32 v6, 16, v0
	s_waitcnt vmcnt(0)
	ds_store_b32 v3, v13
	scratch_load_b32 v3, off, off offset:480 ; 4-byte Folded Reload
	v_and_b32_e32 v13, 0x3f00, v6
	v_lshlrev_b16 v6, 8, v6
	s_delay_alu instid0(VALU_DEP_1)
	v_add_nc_u16 v6, v6, 0xe000
	s_waitcnt vmcnt(0)
	ds_store_b32 v3, v18
	scratch_load_b32 v3, off, off offset:484 ; 4-byte Folded Reload
	s_waitcnt vmcnt(0)
	ds_store_b32 v3, v19
	v_ashrrev_i32_e32 v3, v7, v17
	v_ashrrev_i32_e32 v7, v8, v14
	v_lshrrev_b32_e32 v8, 16, v1
	v_lshlrev_b16 v1, 8, v1
	s_delay_alu instid0(VALU_DEP_4) | instskip(NEXT) | instid1(VALU_DEP_4)
	v_and_b32_e32 v3, 0xf0f0f0f, v3
	v_lshlrev_b32_e32 v7, 4, v7
	s_delay_alu instid0(VALU_DEP_4)
	v_and_b32_e32 v14, 0x3f00, v8
	v_lshlrev_b16 v8, 8, v8
	v_add_nc_u16 v1, v1, 0xe000
	v_and_or_b32 v3, 0x30303030, v4, v3
	scratch_load_b32 v4, off, off offset:488 ; 4-byte Folded Reload
	v_and_or_b32 v2, 0x30303030, v7, v2
	v_add_nc_u16 v8, v8, 0xe000
	v_and_b32_e32 v7, 0x3f00, v0
	v_and_b32_e32 v5, 0x3f00, v3
	v_lshlrev_b16 v0, 8, v0
	v_lshrrev_b16 v1, 8, v1
	v_lshrrev_b32_e32 v10, 16, v2
	v_and_b32_e32 v11, 0x3f00, v2
	v_lshlrev_b16 v2, 8, v2
	v_add_nc_u16 v0, v0, 0xe000
	v_or_b32_e32 v1, v9, v1
	v_and_b32_e32 v15, 0x3f00, v10
	v_lshlrev_b16 v10, 8, v10
	v_add_nc_u16 v2, v2, 0xe000
	v_lshrrev_b16 v0, 8, v0
	v_add_nc_u16 v1, v1, 0xe000
	s_delay_alu instid0(VALU_DEP_4) | instskip(NEXT) | instid1(VALU_DEP_4)
	v_add_nc_u16 v10, v10, 0xe000
	v_lshrrev_b16 v2, 8, v2
	s_delay_alu instid0(VALU_DEP_4) | instskip(NEXT) | instid1(VALU_DEP_4)
	v_or_b32_e32 v0, v7, v0
	v_and_b32_e32 v1, 0xffff, v1
	s_delay_alu instid0(VALU_DEP_4) | instskip(NEXT) | instid1(VALU_DEP_4)
	v_lshrrev_b16 v7, 8, v10
	v_or_b32_e32 v2, v11, v2
	s_delay_alu instid0(VALU_DEP_4) | instskip(NEXT) | instid1(VALU_DEP_3)
	v_add_nc_u16 v0, v0, 0xe000
	v_or_b32_e32 v7, v15, v7
	s_delay_alu instid0(VALU_DEP_3) | instskip(NEXT) | instid1(VALU_DEP_3)
	v_add_nc_u16 v2, v2, 0xe000
	v_and_b32_e32 v0, 0xffff, v0
	s_delay_alu instid0(VALU_DEP_3) | instskip(NEXT) | instid1(VALU_DEP_3)
	v_add_nc_u16 v7, v7, 0xe000
	v_and_b32_e32 v2, 0xffff, v2
	s_delay_alu instid0(VALU_DEP_2) | instskip(NEXT) | instid1(VALU_DEP_1)
	v_lshlrev_b32_e32 v7, 16, v7
	v_or_b32_e32 v2, v2, v7
	s_waitcnt vmcnt(0)
	ds_store_b32 v4, v20
	v_lshrrev_b32_e32 v4, 16, v3
	v_lshlrev_b16 v3, 8, v3
	s_delay_alu instid0(VALU_DEP_2) | instskip(SKIP_1) | instid1(VALU_DEP_3)
	v_and_b32_e32 v12, 0x3f00, v4
	v_lshlrev_b16 v4, 8, v4
	v_add_nc_u16 v3, v3, 0xe000
	s_delay_alu instid0(VALU_DEP_2) | instskip(NEXT) | instid1(VALU_DEP_2)
	v_add_nc_u16 v4, v4, 0xe000
	v_lshrrev_b16 v3, 8, v3
	s_delay_alu instid0(VALU_DEP_2) | instskip(NEXT) | instid1(VALU_DEP_2)
	v_lshrrev_b16 v4, 8, v4
	v_or_b32_e32 v3, v5, v3
	v_lshrrev_b16 v5, 8, v6
	v_lshrrev_b16 v6, 8, v8
	scratch_load_b32 v8, off, off offset:492 ; 4-byte Folded Reload
	v_or_b32_e32 v4, v12, v4
	v_add_nc_u16 v3, v3, 0xe000
	v_or_b32_e32 v5, v13, v5
	v_or_b32_e32 v6, v14, v6
	s_delay_alu instid0(VALU_DEP_4) | instskip(NEXT) | instid1(VALU_DEP_4)
	v_add_nc_u16 v4, v4, 0xe000
	v_and_b32_e32 v3, 0xffff, v3
	s_delay_alu instid0(VALU_DEP_4) | instskip(NEXT) | instid1(VALU_DEP_4)
	v_add_nc_u16 v5, v5, 0xe000
	v_add_nc_u16 v6, v6, 0xe000
	s_delay_alu instid0(VALU_DEP_4) | instskip(NEXT) | instid1(VALU_DEP_3)
	v_lshlrev_b32_e32 v4, 16, v4
	v_lshlrev_b32_e32 v5, 16, v5
	s_delay_alu instid0(VALU_DEP_3) | instskip(NEXT) | instid1(VALU_DEP_3)
	v_lshlrev_b32_e32 v6, 16, v6
	v_or_b32_e32 v3, v3, v4
	scratch_load_b32 v4, off, off offset:496 ; 4-byte Folded Reload
	v_or_b32_e32 v0, v0, v5
	v_or_b32_e32 v1, v1, v6
	s_waitcnt vmcnt(1)
	ds_store_b32 v8, v21
	s_waitcnt vmcnt(0)
	ds_store_b32 v4, v22
	scratch_load_b32 v4, off, off offset:500 ; 4-byte Folded Reload
	s_waitcnt vmcnt(0)
	ds_store_b32 v4, v3
	scratch_load_b32 v3, off, off offset:504 ; 4-byte Folded Reload
	;; [unrolled: 3-line block ×4, first 2 shown]
	s_waitcnt vmcnt(0)
	ds_store_b32 v0, v2
	s_branch .LBB169_8
.LBB169_7:                              ;   in Loop: Header=BB169_8 Depth=2
                                        ; implicit-def: $sgpr14
                                        ; implicit-def: $sgpr1
	s_cbranch_execnz .LBB169_5
.LBB169_8:                              ;   Parent Loop BB169_6 Depth=1
                                        ; =>  This Loop Header: Depth=2
                                        ;       Child Loop BB169_10 Depth 3
                                        ;       Child Loop BB169_12 Depth 3
	s_lshr_b32 s15, s14, 1
	s_delay_alu instid0(SALU_CYCLE_1) | instskip(NEXT) | instid1(SALU_CYCLE_1)
	s_or_b32 s15, s15, s13
	s_cmp_lt_i32 s15, s11
	s_cbranch_scc0 .LBB169_7
; %bb.9:                                ;   in Loop: Header=BB169_8 Depth=2
	scratch_load_b32 v0, off, off offset:152 ; 4-byte Folded Reload
	s_or_b32 s16, s14, 1
	s_lshl_b32 s17, s14, 3
	s_mov_b32 s18, 0
	s_mov_b32 s19, 0
	s_lshl_b32 s15, s16, 3
	scratch_load_b64 v[19:20], off, off offset:156 ; 8-byte Folded Reload
	s_waitcnt vmcnt(1)
	v_lshl_add_u32 v0, s14, 5, v0
	s_delay_alu instid0(VALU_DEP_1) | instskip(NEXT) | instid1(VALU_DEP_1)
	v_lshrrev_b32_e32 v0, 3, v0
	v_add_nc_u32_e32 v12, s0, v0
	scratch_load_b32 v0, off, off offset:148 ; 4-byte Folded Reload
	s_waitcnt vmcnt(0)
	v_lshl_add_u32 v13, s14, 2, v0
	scratch_load_b32 v0, off, off offset:168 ; 4-byte Folded Reload
	s_waitcnt vmcnt(0)
	v_add_nc_u32_e32 v2, v12, v0
	scratch_load_b32 v0, off, off offset:176 ; 4-byte Folded Reload
	s_waitcnt vmcnt(0)
	v_add_nc_u32_e32 v4, v12, v0
	;; [unrolled: 3-line block ×7, first 2 shown]
	v_mad_i64_i32 v[0:1], null, v2, 36, v[19:20]
	v_mad_i64_i32 v[2:3], null, v4, 36, v[19:20]
	;; [unrolled: 1-line block ×5, first 2 shown]
	v_mad_u64_u32 v[10:11], null, v13, 36, s[2:3]
	scratch_load_b32 v13, off, off offset:224 ; 4-byte Folded Reload
	s_waitcnt vmcnt(0)
	v_add_nc_u32_e32 v18, v12, v13
	v_mad_i64_i32 v[12:13], null, v14, 36, v[19:20]
	v_mad_i64_i32 v[14:15], null, v16, 36, v[19:20]
	s_delay_alu instid0(VALU_DEP_3)
	v_mad_i64_i32 v[16:17], null, v18, 36, v[19:20]
	s_clause 0x8
	global_load_b32 v10, v[10:11], off
	global_load_b32 v2, v[2:3], off offset:4
	global_load_b32 v3, v[4:5], off offset:4
	;; [unrolled: 1-line block ×8, first 2 shown]
	s_clause 0x2
	scratch_load_b32 v192, off, off offset:236
	scratch_load_b32 v247, off, off offset:232
	;; [unrolled: 1-line block ×3, first 2 shown]
	s_waitcnt vmcnt(11)
	v_cvt_f32_f16_e32 v1, v10
	s_waitcnt vmcnt(0)
	ds_store_b32 v9, v2
	scratch_load_b32 v2, off, off offset:188 ; 4-byte Folded Reload
	s_waitcnt vmcnt(0)
	ds_store_b32 v2, v3
	scratch_load_b32 v2, off, off offset:196 ; 4-byte Folded Reload
	;; [unrolled: 3-line block ×8, first 2 shown]
	s_waitcnt vmcnt(0)
	ds_store_b32 v0, v1
	s_waitcnt lgkmcnt(0)
	s_waitcnt_vscnt null, 0x0
	s_barrier
	buffer_gl0_inv
.LBB169_10:                             ;   Parent Loop BB169_6 Depth=1
                                        ;     Parent Loop BB169_8 Depth=2
                                        ; =>    This Inner Loop Header: Depth=3
	s_add_i32 s20, s1, s19
	v_mov_b32_e32 v245, v76
	s_and_b32 s21, s20, 0x3ffffff8
	s_lshr_b32 s22, s20, 4
	s_lshl_b32 s21, s21, 2
	s_lshl_b32 s20, s22, 2
	s_waitcnt vmcnt(4)
	v_add_nc_u32_e32 v4, s21, v59
	s_waitcnt vmcnt(2)
	v_dual_mov_b32 v230, v89 :: v_dual_add_nc_u32 v183, s21, v64
	v_dual_mov_b32 v231, v84 :: v_dual_add_nc_u32 v6, s20, v60
	ds_load_2addr_b32 v[0:1], v4 offset1:1
	ds_load_2addr_b32 v[2:3], v4 offset0:2 offset1:3
	ds_load_2addr_b32 v[31:32], v4 offset0:4 offset1:5
	;; [unrolled: 1-line block ×3, first 2 shown]
	v_add_nc_u32_e32 v12, s21, v77
	v_add_nc_u32_e32 v184, s21, v80
	v_dual_mov_b32 v244, v67 :: v_dual_mov_b32 v67, v28
	s_lshl_b32 s21, s22, 3
	v_mov_b32_e32 v96, v90
	s_waitcnt vmcnt(1)
	v_add_lshl_u32 v182, v61, s21, 2
	v_add_lshl_u32 v181, v79, s21, 2
	v_mov_b32_e32 v235, v68
	v_mov_b32_e32 v94, v92
	v_dual_mov_b32 v92, v91 :: v_dual_mov_b32 v71, v49
	v_mov_b32_e32 v77, v51
	v_mov_b32_e32 v87, v55
	v_dual_mov_b32 v79, v53 :: v_dual_mov_b32 v90, v88
	s_waitcnt lgkmcnt(3)
	v_ashrrev_i32_e32 v5, s19, v0
	v_ashrrev_i32_e32 v4, s19, v1
	s_waitcnt lgkmcnt(2)
	v_ashrrev_i32_e32 v1, s19, v2
	v_ashrrev_i32_e32 v0, s19, v3
	ds_load_2addr_b32 v[2:3], v183 offset0:2 offset1:3
	ds_load_b32 v194, v6
	ds_load_2addr_b32 v[6:7], v183 offset1:1
	v_bfe_u32 v76, v5, 24, 2
	v_and_b32_e32 v5, 0x3030303, v5
	v_dual_mov_b32 v95, v56 :: v_dual_mov_b32 v68, v29
	v_mov_b32_e32 v224, v81
	v_mov_b32_e32 v240, v70
	;; [unrolled: 1-line block ×4, first 2 shown]
	s_waitcnt lgkmcnt(2)
	v_ashrrev_i32_e32 v10, s19, v2
	v_ashrrev_i32_e32 v11, s19, v3
	s_waitcnt lgkmcnt(0)
	v_ashrrev_i32_e32 v8, s19, v6
	v_ashrrev_i32_e32 v9, s19, v7
	ds_load_2addr_b32 v[2:3], v12 offset1:1
	ds_load_2addr_b32 v[6:7], v12 offset0:2 offset1:3
	ds_load_2addr_b32 v[41:42], v12 offset0:4 offset1:5
	;; [unrolled: 1-line block ×3, first 2 shown]
	s_waitcnt lgkmcnt(3)
	v_ashrrev_i32_e32 v12, s19, v2
	s_waitcnt lgkmcnt(2)
	v_ashrrev_i32_e32 v14, s19, v6
	v_add_nc_u32_e32 v6, s20, v78
	v_ashrrev_i32_e32 v13, s19, v3
	v_ashrrev_i32_e32 v15, s19, v7
	ds_load_2addr_b32 v[2:3], v184 offset0:2 offset1:3
	ds_load_b32 v195, v6
	ds_load_2addr_b32 v[6:7], v184 offset1:1
	v_mov_b32_e32 v78, v52
	s_waitcnt lgkmcnt(2)
	v_ashrrev_i32_e32 v18, s19, v2
	v_add_lshl_u32 v2, v58, s21, 2
	v_ashrrev_i32_e32 v19, s19, v3
	s_waitcnt lgkmcnt(0)
	v_ashrrev_i32_e32 v16, s19, v6
	v_ashrrev_i32_e32 v17, s19, v7
	v_add_nc_u32_e32 v3, 0x4200, v2
	v_add_nc_u32_e32 v6, 0x4208, v2
	;; [unrolled: 1-line block ×4, first 2 shown]
	ds_load_2addr_b32 v[2:3], v3 offset1:1
	ds_load_2addr_b32 v[6:7], v6 offset1:1
	;; [unrolled: 1-line block ×4, first 2 shown]
	s_waitcnt lgkmcnt(3)
	v_ashrrev_i32_e32 v20, s18, v2
	v_add_nc_u32_e32 v2, 0x4200, v182
	s_waitcnt lgkmcnt(2)
	v_ashrrev_i32_e32 v22, s18, v6
	v_add_nc_u32_e32 v6, 0x4208, v182
	v_ashrrev_i32_e32 v21, s18, v3
	v_ashrrev_i32_e32 v23, s18, v7
	ds_load_2addr_b32 v[2:3], v2 offset1:1
	ds_load_2addr_b32 v[6:7], v6 offset1:1
	ds_load_2addr_b32 v[47:48], v183 offset0:6 offset1:7
	v_lshlrev_b32_e32 v20, 2, v20
	s_waitcnt lgkmcnt(4)
	v_ashrrev_i32_e32 v45, s18, v45
	v_ashrrev_i32_e32 v46, s18, v46
	s_waitcnt lgkmcnt(3)
	v_ashrrev_i32_e32 v44, s18, v44
	v_and_b32_e32 v20, 0x4040404, v20
	s_waitcnt lgkmcnt(2)
	v_ashrrev_i32_e32 v24, s18, v2
	v_add_lshl_u32 v2, v73, s21, 2
	v_mov_b32_e32 v73, v50
	v_lshrrev_b32_e32 v84, 24, v20
	v_lshrrev_b32_e32 v89, 16, v20
	v_sub_nc_u16 v203, v5, v20
	v_ashrrev_i32_e32 v25, s18, v3
	s_waitcnt lgkmcnt(1)
	v_ashrrev_i32_e32 v26, s18, v6
	v_sub_nc_u16 v76, v76, v84
	v_lshrrev_b32_e32 v84, 16, v5
	v_add_nc_u32_e32 v3, 0x4200, v2
	v_add_nc_u32_e32 v6, 0x4208, v2
	;; [unrolled: 1-line block ×4, first 2 shown]
	v_sub_nc_u16 v202, v84, v89
	v_lshrrev_b16 v84, 8, v5
	v_lshrrev_b16 v5, 8, v20
	v_lshlrev_b32_e32 v20, 2, v21
	v_bfe_u32 v21, v4, 24, 2
	v_and_b32_e32 v4, 0x3030303, v4
	v_ashrrev_i32_e32 v27, s18, v7
	v_sub_nc_u16 v5, v84, v5
	v_and_b32_e32 v20, 0x4040404, v20
	ds_load_2addr_b32 v[2:3], v3 offset1:1
	ds_load_2addr_b32 v[6:7], v6 offset1:1
	;; [unrolled: 1-line block ×4, first 2 shown]
	s_and_b32 s21, s17, -16
	s_waitcnt lgkmcnt(4)
	v_ashrrev_i32_e32 v47, s19, v47
	v_lshlrev_b16 v5, 8, v5
	v_lshrrev_b32_e32 v84, 24, v20
	v_lshrrev_b32_e32 v89, 16, v20
	v_sub_nc_u16 v205, v4, v20
	v_ashrrev_i32_e32 v48, s19, v48
	s_add_i32 s17, s17, 2
	v_sub_nc_u16 v21, v21, v84
	v_lshrrev_b32_e32 v84, 16, v4
	s_delay_alu instid0(VALU_DEP_1)
	v_sub_nc_u16 v204, v84, v89
	v_lshrrev_b16 v84, 8, v4
	v_lshrrev_b16 v4, 8, v20
	v_lshlrev_b32_e32 v20, 2, v22
	v_bfe_u32 v22, v1, 24, 2
	v_and_b32_e32 v1, 0x3030303, v1
	s_waitcnt lgkmcnt(3)
	v_ashrrev_i32_e32 v62, s18, v2
	v_sub_nc_u16 v4, v84, v4
	v_and_b32_e32 v20, 0x4040404, v20
	v_add_nc_u32_e32 v2, 0x4200, v181
	s_waitcnt lgkmcnt(2)
	v_ashrrev_i32_e32 v74, s18, v6
	v_add_nc_u32_e32 v6, 0x4208, v181
	v_ashrrev_i32_e32 v72, s18, v3
	v_lshrrev_b32_e32 v84, 24, v20
	v_lshrrev_b32_e32 v89, 16, v20
	v_sub_nc_u16 v199, v1, v20
	v_ashrrev_i32_e32 v75, s18, v7
	ds_load_2addr_b32 v[2:3], v2 offset1:1
	ds_load_2addr_b32 v[6:7], v6 offset1:1
	ds_load_2addr_b32 v[189:190], v184 offset0:6 offset1:7
	v_sub_nc_u16 v22, v22, v84
	v_lshrrev_b32_e32 v84, 16, v1
	v_lshlrev_b16 v4, 8, v4
	s_delay_alu instid0(VALU_DEP_2)
	v_sub_nc_u16 v198, v84, v89
	v_lshrrev_b16 v84, 8, v1
	v_lshrrev_b16 v1, 8, v20
	v_lshlrev_b32_e32 v20, 2, v23
	v_bfe_u32 v23, v0, 24, 2
	v_and_b32_e32 v0, 0x3030303, v0
	s_delay_alu instid0(VALU_DEP_4) | instskip(NEXT) | instid1(VALU_DEP_4)
	v_sub_nc_u16 v1, v84, v1
	v_and_b32_e32 v20, 0x4040404, v20
	s_waitcnt lgkmcnt(2)
	v_ashrrev_i32_e32 v3, s18, v3
	v_ashrrev_i32_e32 v2, s18, v2
	s_delay_alu instid0(VALU_DEP_3)
	v_lshrrev_b32_e32 v84, 24, v20
	v_lshrrev_b32_e32 v89, 16, v20
	v_sub_nc_u16 v197, v0, v20
	v_lshlrev_b32_e32 v3, 2, v3
	v_lshlrev_b32_e32 v2, 2, v2
	v_sub_nc_u16 v23, v23, v84
	v_lshrrev_b32_e32 v84, 16, v0
	s_waitcnt lgkmcnt(1)
	v_ashrrev_i32_e32 v6, s18, v6
	v_and_b32_e32 v3, 0x4040404, v3
	v_and_b32_e32 v2, 0x4040404, v2
	v_ashrrev_i32_e32 v7, s18, v7
	v_sub_nc_u16 v196, v84, v89
	v_lshrrev_b16 v84, 8, v0
	v_lshrrev_b16 v0, 8, v20
	v_lshlrev_b32_e32 v20, 2, v24
	v_bfe_u32 v24, v8, 24, 2
	v_and_b32_e32 v8, 0x3030303, v8
	v_lshlrev_b32_e32 v6, 2, v6
	v_sub_nc_u16 v0, v84, v0
	v_and_b32_e32 v20, 0x4040404, v20
	v_lshlrev_b32_e32 v7, 2, v7
	v_lshlrev_b16 v1, 8, v1
	v_and_b32_e32 v6, 0x4040404, v6
	v_lshlrev_b16 v0, 8, v0
	v_lshrrev_b32_e32 v84, 24, v20
	v_lshrrev_b32_e32 v89, 16, v20
	v_sub_nc_u16 v211, v8, v20
	v_and_b32_e32 v7, 0x4040404, v7
	s_delay_alu instid0(VALU_DEP_4) | instskip(SKIP_1) | instid1(VALU_DEP_1)
	v_sub_nc_u16 v24, v24, v84
	v_lshrrev_b32_e32 v84, 16, v8
	v_sub_nc_u16 v210, v84, v89
	v_lshrrev_b16 v84, 8, v8
	v_lshrrev_b16 v8, 8, v20
	v_lshlrev_b32_e32 v20, 2, v25
	v_bfe_u32 v25, v9, 24, 2
	v_and_b32_e32 v9, 0x3030303, v9
	s_delay_alu instid0(VALU_DEP_4) | instskip(NEXT) | instid1(VALU_DEP_4)
	v_sub_nc_u16 v8, v84, v8
	v_and_b32_e32 v20, 0x4040404, v20
	s_delay_alu instid0(VALU_DEP_1) | instskip(SKIP_2) | instid1(VALU_DEP_3)
	v_lshrrev_b32_e32 v84, 24, v20
	v_lshrrev_b32_e32 v89, 16, v20
	v_sub_nc_u16 v213, v9, v20
	v_sub_nc_u16 v25, v25, v84
	v_lshrrev_b32_e32 v84, 16, v9
	s_delay_alu instid0(VALU_DEP_1)
	v_sub_nc_u16 v212, v84, v89
	v_lshrrev_b16 v84, 8, v9
	v_lshrrev_b16 v9, 8, v20
	v_lshlrev_b32_e32 v20, 2, v26
	v_bfe_u32 v26, v10, 24, 2
	v_and_b32_e32 v10, 0x3030303, v10
	s_delay_alu instid0(VALU_DEP_4) | instskip(NEXT) | instid1(VALU_DEP_4)
	v_sub_nc_u16 v9, v84, v9
	v_and_b32_e32 v20, 0x4040404, v20
	s_delay_alu instid0(VALU_DEP_1) | instskip(SKIP_2) | instid1(VALU_DEP_3)
	v_lshrrev_b32_e32 v84, 24, v20
	v_lshrrev_b32_e32 v89, 16, v20
	v_sub_nc_u16 v207, v10, v20
	v_sub_nc_u16 v26, v26, v84
	v_lshrrev_b32_e32 v84, 16, v10
	s_delay_alu instid0(VALU_DEP_1)
	;; [unrolled: 16-line block ×7, first 2 shown]
	v_sub_nc_u16 v208, v84, v89
	v_lshrrev_b16 v84, 8, v15
	v_lshrrev_b16 v15, 8, v20
	v_bfe_u32 v20, v16, 24, 2
	v_and_b32_e32 v16, 0x3030303, v16
	v_lshrrev_b32_e32 v89, 16, v2
	s_delay_alu instid0(VALU_DEP_4) | instskip(SKIP_1) | instid1(VALU_DEP_4)
	v_sub_nc_u16 v15, v84, v15
	v_lshrrev_b32_e32 v84, 24, v2
	v_sub_nc_u16 v228, v16, v2
	v_lshrrev_b16 v2, 8, v2
	s_delay_alu instid0(VALU_DEP_3) | instskip(SKIP_1) | instid1(VALU_DEP_1)
	v_sub_nc_u16 v20, v20, v84
	v_lshrrev_b32_e32 v84, 16, v16
	v_sub_nc_u16 v226, v84, v89
	v_lshrrev_b16 v84, 8, v16
	v_bfe_u32 v16, v17, 24, 2
	v_and_b32_e32 v17, 0x3030303, v17
	v_lshrrev_b32_e32 v89, 16, v3
	s_delay_alu instid0(VALU_DEP_4) | instskip(SKIP_1) | instid1(VALU_DEP_4)
	v_sub_nc_u16 v2, v84, v2
	v_lshrrev_b32_e32 v84, 24, v3
	v_sub_nc_u16 v233, v17, v3
	v_lshrrev_b16 v3, 8, v3
	s_delay_alu instid0(VALU_DEP_3) | instskip(SKIP_1) | instid1(VALU_DEP_1)
	v_sub_nc_u16 v16, v16, v84
	v_lshrrev_b32_e32 v84, 16, v17
	v_sub_nc_u16 v232, v84, v89
	;; [unrolled: 13-line block ×4, first 2 shown]
	v_lshrrev_b16 v84, 8, v19
	v_lshlrev_b16 v19, 8, v76
	v_and_b32_e32 v76, 0xff, v202
	s_delay_alu instid0(VALU_DEP_3) | instskip(NEXT) | instid1(VALU_DEP_2)
	v_sub_nc_u16 v7, v84, v7
	v_or_b32_e32 v57, v76, v19
	v_and_b32_e32 v19, 0xff, v203
	s_delay_alu instid0(VALU_DEP_1)
	v_or_b32_e32 v58, v19, v5
	v_lshlrev_b16 v5, 8, v21
	v_and_b32_e32 v19, 0xff, v204
	scratch_store_b32 off, v58, off offset:112 ; 4-byte Folded Spill
	v_or_b32_e32 v248, v19, v5
	v_and_b32_e32 v5, 0xff, v205
	s_delay_alu instid0(VALU_DEP_1) | instskip(SKIP_2) | instid1(VALU_DEP_1)
	v_or_b32_e32 v251, v5, v4
	v_lshlrev_b16 v4, 8, v22
	v_and_b32_e32 v5, 0xff, v198
	v_or_b32_e32 v19, v5, v4
	v_and_b32_e32 v4, 0xff, v199
	s_delay_alu instid0(VALU_DEP_1)
	v_or_b32_e32 v21, v4, v1
	v_lshlrev_b16 v1, 8, v23
	v_and_b32_e32 v4, 0xff, v196
	scratch_store_b32 off, v21, off offset:80 ; 4-byte Folded Spill
	v_or_b32_e32 v4, v4, v1
	v_and_b32_e32 v1, 0xff, v197
	s_delay_alu instid0(VALU_DEP_1)
	v_or_b32_e32 v5, v1, v0
	v_lshlrev_b16 v0, 8, v24
	v_and_b32_e32 v1, 0xff, v210
	scratch_store_b32 off, v4, off offset:52 ; 4-byte Folded Spill
	v_or_b32_e32 v255, v1, v0
	v_lshlrev_b16 v0, 8, v8
	v_and_b32_e32 v1, 0xff, v211
	s_delay_alu instid0(VALU_DEP_1) | instskip(SKIP_2) | instid1(VALU_DEP_1)
	v_or_b32_e32 v242, v1, v0
	v_lshlrev_b16 v0, 8, v25
	v_and_b32_e32 v1, 0xff, v212
	v_or_b32_e32 v243, v1, v0
	v_lshlrev_b16 v0, 8, v9
	v_and_b32_e32 v1, 0xff, v213
	s_delay_alu instid0(VALU_DEP_1) | instskip(SKIP_2) | instid1(VALU_DEP_1)
	v_or_b32_e32 v238, v1, v0
	v_lshlrev_b16 v0, 8, v26
	v_and_b32_e32 v1, 0xff, v206
	;; [unrolled: 7-line block ×3, first 2 shown]
	v_or_b32_e32 v8, v1, v0
	v_lshlrev_b16 v0, 8, v11
	v_and_b32_e32 v1, 0xff, v201
	scratch_store_b32 off, v5, off offset:56 ; 4-byte Folded Spill
	v_or_b32_e32 v9, v1, v0
	scratch_store_b32 off, v8, off offset:60 ; 4-byte Folded Spill
	v_lshlrev_b16 v0, 8, v62
	v_dual_mov_b32 v62, v85 :: v_dual_and_b32 v1, 0xff, v218
	s_delay_alu instid0(VALU_DEP_1) | instskip(SKIP_2) | instid1(VALU_DEP_1)
	v_or_b32_e32 v236, v1, v0
	v_lshlrev_b16 v0, 8, v12
	v_and_b32_e32 v1, 0xff, v219
	v_or_b32_e32 v234, v1, v0
	v_lshlrev_b16 v0, 8, v72
	v_dual_mov_b32 v72, v229 :: v_dual_and_b32 v1, 0xff, v220
	v_mov_b32_e32 v229, v86
	s_delay_alu instid0(VALU_DEP_2) | instskip(SKIP_2) | instid1(VALU_DEP_1)
	v_or_b32_e32 v89, v1, v0
	v_lshlrev_b16 v0, 8, v13
	v_and_b32_e32 v1, 0xff, v221
	v_or_b32_e32 v84, v1, v0
	v_lshlrev_b16 v0, 8, v74
	v_and_b32_e32 v1, 0xff, v214
	s_delay_alu instid0(VALU_DEP_1)
	v_or_b32_e32 v12, v1, v0
	v_lshlrev_b16 v0, 8, v14
	v_and_b32_e32 v1, 0xff, v215
	scratch_store_b32 off, v23, off offset:96 ; 4-byte Folded Spill
	v_or_b32_e32 v13, v1, v0
	scratch_store_b32 off, v12, off offset:100 ; 4-byte Folded Spill
	v_lshlrev_b16 v0, 8, v75
	v_and_b32_e32 v1, 0xff, v208
	s_clause 0x1
	scratch_store_b32 off, v57, off offset:108
	scratch_store_b32 off, v13, off offset:104
	v_or_b32_e32 v10, v1, v0
	v_lshlrev_b16 v0, 8, v15
	v_and_b32_e32 v1, 0xff, v209
	scratch_store_b32 off, v9, off offset:64 ; 4-byte Folded Spill
	v_or_b32_e32 v11, v1, v0
	scratch_store_b32 off, v10, off offset:68 ; 4-byte Folded Spill
	v_lshlrev_b16 v0, 8, v20
	v_and_b32_e32 v1, 0xff, v226
	s_clause 0x1
	scratch_store_b32 off, v19, off offset:76
	scratch_store_b32 off, v11, off offset:72
	v_or_b32_e32 v97, v1, v0
	v_lshlrev_b16 v0, 8, v2
	v_and_b32_e32 v1, 0xff, v228
	s_delay_alu instid0(VALU_DEP_1) | instskip(SKIP_2) | instid1(VALU_DEP_1)
	v_or_b32_e32 v91, v1, v0
	v_lshlrev_b16 v0, 8, v16
	v_and_b32_e32 v1, 0xff, v232
	v_or_b32_e32 v101, v1, v0
	v_lshlrev_b16 v0, 8, v3
	v_and_b32_e32 v1, 0xff, v233
	s_delay_alu instid0(VALU_DEP_1) | instskip(SKIP_2) | instid1(VALU_DEP_1)
	v_or_b32_e32 v100, v1, v0
	v_lshlrev_b16 v0, 8, v17
	v_and_b32_e32 v1, 0xff, v222
	;; [unrolled: 7-line block ×3, first 2 shown]
	v_or_b32_e32 v2, v1, v0
	v_lshlrev_b16 v0, 8, v7
	v_and_b32_e32 v1, 0xff, v217
	s_delay_alu instid0(VALU_DEP_1)
	v_or_b32_e32 v3, v1, v0
	v_perm_b32 v0, v58, v203, 0xc0c0500
	v_perm_b32 v1, v57, v202, 0x5000c0c
	s_clause 0x2
	scratch_store_b32 off, v2, off offset:84
	scratch_store_b32 off, v22, off offset:92
	;; [unrolled: 1-line block ×3, first 2 shown]
	v_or_b32_e32 v76, v1, v0
	v_perm_b32 v0, v251, v205, 0xc0c0500
	v_perm_b32 v1, v248, v204, 0x5000c0c
	s_delay_alu instid0(VALU_DEP_1) | instskip(SKIP_2) | instid1(VALU_DEP_1)
	v_or_b32_e32 v116, v1, v0
	v_perm_b32 v0, v21, v199, 0xc0c0500
	v_perm_b32 v1, v19, v198, 0x5000c0c
	v_or_b32_e32 v138, v1, v0
	v_perm_b32 v0, v5, v197, 0xc0c0500
	v_perm_b32 v1, v4, v196, 0x5000c0c
	s_delay_alu instid0(VALU_DEP_1) | instskip(SKIP_2) | instid1(VALU_DEP_1)
	v_or_b32_e32 v180, v1, v0
	v_perm_b32 v0, v242, v211, 0xc0c0500
	v_perm_b32 v1, v255, v210, 0x5000c0c
	;; [unrolled: 7-line block ×4, first 2 shown]
	v_or_b32_e32 v99, v1, v0
	v_perm_b32 v0, v84, v221, 0xc0c0500
	v_perm_b32 v1, v89, v220, 0x5000c0c
	;; [unrolled: 1-line block ×4, first 2 shown]
	s_delay_alu instid0(VALU_DEP_3) | instskip(SKIP_2) | instid1(VALU_DEP_1)
	v_or_b32_e32 v104, v1, v0
	v_perm_b32 v0, v13, v215, 0xc0c0500
	v_perm_b32 v1, v12, v214, 0x5000c0c
	v_or_b32_e32 v109, v1, v0
	v_perm_b32 v0, v11, v209, 0xc0c0500
	v_perm_b32 v1, v10, v208, 0x5000c0c
	s_delay_alu instid0(VALU_DEP_1) | instskip(SKIP_4) | instid1(VALU_DEP_3)
	v_or_b32_e32 v111, v1, v0
	v_perm_b32 v0, v91, v228, 0xc0c0500
	v_perm_b32 v1, v97, v226, 0x5000c0c
	;; [unrolled: 1-line block ×4, first 2 shown]
	v_or_b32_e32 v113, v1, v0
	v_perm_b32 v0, v100, v233, 0xc0c0500
	v_perm_b32 v1, v101, v232, 0x5000c0c
	;; [unrolled: 1-line block ×4, first 2 shown]
	s_delay_alu instid0(VALU_DEP_3) | instskip(SKIP_2) | instid1(VALU_DEP_1)
	v_or_b32_e32 v115, v1, v0
	v_perm_b32 v0, v253, v223, 0xc0c0500
	v_perm_b32 v1, v252, v222, 0x5000c0c
	v_or_b32_e32 v117, v1, v0
	v_perm_b32 v0, v3, v217, 0xc0c0500
	v_perm_b32 v1, v2, v216, 0x5000c0c
	s_delay_alu instid0(VALU_DEP_1)
	v_or_b32_e32 v118, v1, v0
	ds_load_b128 v[4:7], v192 offset:1024
	ds_load_b128 v[0:3], v192 offset:1040
	s_waitcnt lgkmcnt(1)
	v_dot4_i32_iu8 v8, v4, v76, 0 neg_lo:[1,1,0]
	v_dot4_i32_iu8 v9, v4, v83, 0 neg_lo:[1,1,0]
	v_dot4_i32_iu8 v10, v4, v99, 0 neg_lo:[1,1,0]
	v_dot4_i32_iu8 v4, v4, v113, 0 neg_lo:[1,1,0]
	s_delay_alu instid0(VALU_DEP_4) | instskip(NEXT) | instid1(VALU_DEP_4)
	v_dot4_i32_iu8 v8, v5, v116, v8 neg_lo:[1,1,0]
	v_dot4_i32_iu8 v9, v5, v85, v9 neg_lo:[1,1,0]
	s_delay_alu instid0(VALU_DEP_4) | instskip(NEXT) | instid1(VALU_DEP_4)
	v_dot4_i32_iu8 v10, v5, v104, v10 neg_lo:[1,1,0]
	v_dot4_i32_iu8 v4, v5, v115, v4 neg_lo:[1,1,0]
	s_delay_alu instid0(VALU_DEP_4) | instskip(NEXT) | instid1(VALU_DEP_4)
	v_dot4_i32_iu8 v5, v6, v138, v8 neg_lo:[1,1,0]
	v_dot4_i32_iu8 v8, v6, v88, v9 neg_lo:[1,1,0]
	s_delay_alu instid0(VALU_DEP_4) | instskip(NEXT) | instid1(VALU_DEP_4)
	v_dot4_i32_iu8 v9, v6, v109, v10 neg_lo:[1,1,0]
	v_dot4_i32_iu8 v4, v6, v117, v4 neg_lo:[1,1,0]
	s_delay_alu instid0(VALU_DEP_4) | instskip(NEXT) | instid1(VALU_DEP_4)
	v_dot4_i32_iu8 v112, v7, v180, v5 neg_lo:[1,1,0]
	v_dot4_i32_iu8 v250, v7, v93, v8 neg_lo:[1,1,0]
	s_delay_alu instid0(VALU_DEP_4) | instskip(NEXT) | instid1(VALU_DEP_4)
	v_dot4_i32_iu8 v241, v7, v111, v9 neg_lo:[1,1,0]
	v_dot4_i32_iu8 v237, v7, v118, v4 neg_lo:[1,1,0]
	ds_load_b128 v[8:11], v192 offset:2048
	ds_load_b128 v[4:7], v192 offset:2064
	s_waitcnt lgkmcnt(1)
	v_dot4_i32_iu8 v12, v8, v76, 0 neg_lo:[1,1,0]
	v_dot4_i32_iu8 v13, v8, v83, 0 neg_lo:[1,1,0]
	v_dot4_i32_iu8 v14, v8, v99, 0 neg_lo:[1,1,0]
	v_dot4_i32_iu8 v8, v8, v113, 0 neg_lo:[1,1,0]
	s_delay_alu instid0(VALU_DEP_4) | instskip(NEXT) | instid1(VALU_DEP_4)
	v_dot4_i32_iu8 v12, v9, v116, v12 neg_lo:[1,1,0]
	v_dot4_i32_iu8 v13, v9, v85, v13 neg_lo:[1,1,0]
	s_delay_alu instid0(VALU_DEP_4) | instskip(NEXT) | instid1(VALU_DEP_4)
	v_dot4_i32_iu8 v14, v9, v104, v14 neg_lo:[1,1,0]
	v_dot4_i32_iu8 v8, v9, v115, v8 neg_lo:[1,1,0]
	s_delay_alu instid0(VALU_DEP_4) | instskip(NEXT) | instid1(VALU_DEP_4)
	v_dot4_i32_iu8 v9, v10, v138, v12 neg_lo:[1,1,0]
	v_dot4_i32_iu8 v12, v10, v88, v13 neg_lo:[1,1,0]
	s_delay_alu instid0(VALU_DEP_4) | instskip(NEXT) | instid1(VALU_DEP_4)
	v_dot4_i32_iu8 v13, v10, v109, v14 neg_lo:[1,1,0]
	v_dot4_i32_iu8 v8, v10, v117, v8 neg_lo:[1,1,0]
	s_delay_alu instid0(VALU_DEP_4) | instskip(NEXT) | instid1(VALU_DEP_4)
	v_dot4_i32_iu8 v98, v11, v180, v9 neg_lo:[1,1,0]
	v_dot4_i32_iu8 v120, v11, v93, v12 neg_lo:[1,1,0]
	s_delay_alu instid0(VALU_DEP_4) | instskip(NEXT) | instid1(VALU_DEP_4)
	v_dot4_i32_iu8 v249, v11, v111, v13 neg_lo:[1,1,0]
	v_dot4_i32_iu8 v239, v11, v118, v8 neg_lo:[1,1,0]
	;; [unrolled: 25-line block ×6, first 2 shown]
	ds_load_b128 v[185:188], v192 offset:7168
	ds_load_b128 v[24:27], v192 offset:7184
	s_waitcnt lgkmcnt(1)
	v_dot4_i32_iu8 v83, v185, v83, 0 neg_lo:[1,1,0]
	v_dot4_i32_iu8 v76, v185, v76, 0 neg_lo:[1,1,0]
	s_delay_alu instid0(VALU_DEP_2) | instskip(SKIP_1) | instid1(VALU_DEP_3)
	v_dot4_i32_iu8 v83, v186, v85, v83 neg_lo:[1,1,0]
	v_dot4_i32_iu8 v85, v185, v99, 0 neg_lo:[1,1,0]
	;; [unrolled: 1-line block ×4, first 2 shown]
	v_ashrrev_i32_e32 v113, s19, v39
	v_dot4_i32_iu8 v83, v187, v88, v83 neg_lo:[1,1,0]
	v_dot4_i32_iu8 v85, v186, v104, v85 neg_lo:[1,1,0]
	;; [unrolled: 1-line block ×4, first 2 shown]
	v_ashrrev_i32_e32 v115, s19, v40
	v_ashrrev_i32_e32 v185, s18, v43
	v_dot4_i32_iu8 v85, v187, v109, v85 neg_lo:[1,1,0]
	v_dot4_i32_iu8 v180, v188, v180, v76 neg_lo:[1,1,0]
	;; [unrolled: 1-line block ×3, first 2 shown]
	v_ashrrev_i32_e32 v83, s19, v31
	v_dot4_i32_iu8 v88, v187, v117, v99 neg_lo:[1,1,0]
	v_dot4_i32_iu8 v138, v188, v111, v85 neg_lo:[1,1,0]
	v_ashrrev_i32_e32 v85, s19, v32
	ds_load_2addr_b32 v[31:32], v183 offset0:4 offset1:5
	v_ashrrev_i32_e32 v93, s19, v34
	v_dot4_i32_iu8 v116, v188, v118, v88 neg_lo:[1,1,0]
	v_ashrrev_i32_e32 v88, s19, v33
	s_waitcnt vmcnt(0)
	v_add_nc_u32_e32 v33, s19, v66
	v_add_nc_u32_e32 v34, 0x4218, v182
	v_ashrrev_i32_e32 v109, s19, v41
	v_ashrrev_i32_e32 v111, s19, v42
	;; [unrolled: 1-line block ×6, first 2 shown]
	s_waitcnt lgkmcnt(0)
	v_ashrrev_i32_e32 v99, s19, v31
	v_ashrrev_i32_e32 v104, s19, v32
	ds_load_2addr_b32 v[31:32], v184 offset0:4 offset1:5
	v_ashrrev_i32_e32 v184, s19, v190
	v_ashrrev_i32_e32 v190, s18, v36
	v_add_nc_u32_e32 v36, 0x4218, v181
	s_waitcnt lgkmcnt(0)
	v_ashrrev_i32_e32 v117, s19, v31
	scratch_load_b32 v31, off, off offset:124 ; 4-byte Folded Reload
	v_ashrrev_i32_e32 v118, s19, v32
	v_add_nc_u32_e32 v32, 0x4210, v182
	s_add_i32 s19, s19, 2
	s_waitcnt vmcnt(0)
	v_add3_u32 v31, v31, s21, v33
	ds_load_u16 v31, v31 offset:34560
	ds_load_2addr_b32 v[39:40], v32 offset1:1
	ds_load_2addr_b32 v[41:42], v34 offset1:1
	scratch_load_b32 v32, off, off offset:116 ; 4-byte Folded Reload
	v_add_nc_u32_e32 v34, 0x4210, v181
	s_waitcnt lgkmcnt(1)
	v_ashrrev_i32_e32 v182, s18, v39
	s_waitcnt lgkmcnt(0)
	v_ashrrev_i32_e32 v186, s18, v42
	v_ashrrev_i32_e32 v40, s18, v40
	;; [unrolled: 1-line block ×3, first 2 shown]
	s_delay_alu instid0(VALU_DEP_2) | instskip(NEXT) | instid1(VALU_DEP_1)
	v_lshlrev_b32_e32 v40, 2, v40
	v_and_b32_e32 v40, 0x4040404, v40
	s_waitcnt vmcnt(0)
	v_add3_u32 v32, v32, s21, v33
	ds_load_u16 v32, v32 offset:36608
	ds_load_2addr_b32 v[34:35], v34 offset1:1
	ds_load_2addr_b32 v[36:37], v36 offset1:1
	s_waitcnt lgkmcnt(1)
	v_ashrrev_i32_e32 v181, s18, v34
	v_lshlrev_b32_e32 v34, 2, v45
	v_ashrrev_i32_e32 v119, s18, v35
	s_waitcnt lgkmcnt(0)
	v_ashrrev_i32_e32 v122, s18, v36
	v_bfe_u32 v35, v83, 24, 2
	v_ashrrev_i32_e32 v124, s18, v37
	v_and_b32_e32 v34, 0x4040404, v34
	v_lshlrev_b32_e32 v181, 2, v181
	v_lshlrev_b32_e32 v119, 2, v119
	;; [unrolled: 1-line block ×4, first 2 shown]
	v_lshrrev_b32_e32 v36, 24, v34
	v_lshrrev_b32_e32 v37, 16, v34
	v_and_b32_e32 v181, 0x4040404, v181
	v_and_b32_e32 v119, 0x4040404, v119
	;; [unrolled: 1-line block ×3, first 2 shown]
	v_sub_nc_u16 v125, v35, v36
	v_and_b32_e32 v35, 0x3030303, v83
	v_lshrrev_b32_e32 v142, 24, v181
	v_lshrrev_b32_e32 v143, 16, v181
	v_lshrrev_b32_e32 v144, 24, v119
	v_lshrrev_b32_e32 v145, 16, v119
	v_lshrrev_b32_e32 v36, 16, v35
	v_sub_nc_u16 v39, v35, v34
	v_lshrrev_b16 v34, 8, v34
	v_lshrrev_b32_e32 v146, 24, v122
	v_lshrrev_b32_e32 v147, 16, v122
	v_sub_nc_u16 v38, v36, v37
	v_lshrrev_b16 v36, 8, v35
	v_bfe_u32 v35, v85, 24, 2
	v_and_b32_e32 v124, 0x4040404, v124
	v_lshlrev_b16 v125, 8, v125
	s_add_i32 s18, s18, 1
	v_sub_nc_u16 v83, v36, v34
	v_lshlrev_b32_e32 v34, 2, v46
	v_lshrrev_b32_e32 v148, 24, v124
	v_lshrrev_b32_e32 v149, 16, v124
	s_delay_alu instid0(VALU_DEP_4) | instskip(NEXT) | instid1(VALU_DEP_4)
	v_lshlrev_b16 v83, 8, v83
	v_and_b32_e32 v34, 0x4040404, v34
	s_delay_alu instid0(VALU_DEP_1) | instskip(SKIP_1) | instid1(VALU_DEP_2)
	v_lshrrev_b32_e32 v36, 24, v34
	v_lshrrev_b32_e32 v37, 16, v34
	v_sub_nc_u16 v46, v35, v36
	v_and_b32_e32 v35, 0x3030303, v85
	s_delay_alu instid0(VALU_DEP_2) | instskip(NEXT) | instid1(VALU_DEP_2)
	v_lshlrev_b16 v46, 8, v46
	v_lshrrev_b32_e32 v36, 16, v35
	v_sub_nc_u16 v43, v35, v34
	v_lshrrev_b16 v34, 8, v34
	s_delay_alu instid0(VALU_DEP_3) | instskip(SKIP_2) | instid1(VALU_DEP_2)
	v_sub_nc_u16 v42, v36, v37
	v_lshrrev_b16 v36, 8, v35
	v_bfe_u32 v35, v88, 24, 2
	v_sub_nc_u16 v85, v36, v34
	v_lshlrev_b32_e32 v34, 2, v185
	s_delay_alu instid0(VALU_DEP_2) | instskip(NEXT) | instid1(VALU_DEP_2)
	v_lshlrev_b16 v85, 8, v85
	v_and_b32_e32 v34, 0x4040404, v34
	s_delay_alu instid0(VALU_DEP_1) | instskip(SKIP_1) | instid1(VALU_DEP_2)
	v_lshrrev_b32_e32 v36, 24, v34
	v_lshrrev_b32_e32 v37, 16, v34
	v_sub_nc_u16 v185, v35, v36
	v_and_b32_e32 v35, 0x3030303, v88
	s_delay_alu instid0(VALU_DEP_2) | instskip(NEXT) | instid1(VALU_DEP_2)
	v_lshlrev_b16 v185, 8, v185
	v_lshrrev_b32_e32 v36, 16, v35
	v_lshrrev_b16 v45, 8, v35
	s_delay_alu instid0(VALU_DEP_2) | instskip(SKIP_2) | instid1(VALU_DEP_1)
	v_sub_nc_u16 v36, v36, v37
	v_sub_nc_u16 v37, v35, v34
	v_lshrrev_b16 v34, 8, v34
	v_sub_nc_u16 v88, v45, v34
	v_lshlrev_b32_e32 v34, 2, v44
	s_delay_alu instid0(VALU_DEP_2) | instskip(NEXT) | instid1(VALU_DEP_2)
	v_lshlrev_b16 v88, 8, v88
	v_and_b32_e32 v44, 0x4040404, v34
	v_bfe_u32 v34, v93, 24, 2
	s_delay_alu instid0(VALU_DEP_2) | instskip(SKIP_1) | instid1(VALU_DEP_2)
	v_lshrrev_b32_e32 v35, 24, v44
	v_lshrrev_b32_e32 v45, 16, v44
	v_sub_nc_u16 v126, v34, v35
	v_and_b32_e32 v35, 0x3030303, v93
	s_delay_alu instid0(VALU_DEP_2) | instskip(NEXT) | instid1(VALU_DEP_2)
	v_lshlrev_b16 v126, 8, v126
	v_lshrrev_b32_e32 v34, 16, v35
	s_delay_alu instid0(VALU_DEP_1) | instskip(SKIP_3) | instid1(VALU_DEP_1)
	v_sub_nc_u16 v34, v34, v45
	v_lshrrev_b16 v45, 8, v35
	v_sub_nc_u16 v35, v35, v44
	v_lshrrev_b16 v44, 8, v44
	v_sub_nc_u16 v93, v45, v44
	v_lshlrev_b32_e32 v44, 2, v182
	v_bfe_u32 v45, v99, 24, 2
	s_delay_alu instid0(VALU_DEP_3) | instskip(NEXT) | instid1(VALU_DEP_3)
	v_lshlrev_b16 v93, 8, v93
	v_and_b32_e32 v44, 0x4040404, v44
	s_delay_alu instid0(VALU_DEP_1) | instskip(SKIP_1) | instid1(VALU_DEP_2)
	v_lshrrev_b32_e32 v182, 24, v44
	v_lshrrev_b32_e32 v127, 16, v44
	v_sub_nc_u16 v182, v45, v182
	v_and_b32_e32 v45, 0x3030303, v99
	s_delay_alu instid0(VALU_DEP_2) | instskip(NEXT) | instid1(VALU_DEP_2)
	v_lshlrev_b16 v182, 8, v182
	v_lshrrev_b32_e32 v99, 16, v45
	v_sub_nc_u16 v135, v45, v44
	v_lshrrev_b16 v44, 8, v44
	s_delay_alu instid0(VALU_DEP_3) | instskip(SKIP_2) | instid1(VALU_DEP_2)
	v_sub_nc_u16 v99, v99, v127
	v_lshrrev_b16 v127, 8, v45
	v_lshrrev_b32_e32 v45, 24, v40
	v_sub_nc_u16 v127, v127, v44
	v_bfe_u32 v44, v104, 24, 2
	s_delay_alu instid0(VALU_DEP_2) | instskip(NEXT) | instid1(VALU_DEP_2)
	v_lshlrev_b16 v127, 8, v127
	v_sub_nc_u16 v137, v44, v45
	v_and_b32_e32 v44, 0x3030303, v104
	v_lshrrev_b32_e32 v104, 16, v40
	s_delay_alu instid0(VALU_DEP_3) | instskip(NEXT) | instid1(VALU_DEP_3)
	v_lshlrev_b16 v137, 8, v137
	v_lshrrev_b32_e32 v45, 16, v44
	v_sub_nc_u16 v69, v44, v40
	v_lshrrev_b16 v40, 8, v40
	s_delay_alu instid0(VALU_DEP_3) | instskip(SKIP_1) | instid1(VALU_DEP_1)
	v_sub_nc_u16 v104, v45, v104
	v_lshrrev_b16 v45, 8, v44
	v_sub_nc_u16 v86, v45, v40
	v_lshlrev_b32_e32 v40, 2, v41
	v_bfe_u32 v41, v47, 24, 2
	s_delay_alu instid0(VALU_DEP_3) | instskip(NEXT) | instid1(VALU_DEP_3)
	v_lshlrev_b16 v86, 8, v86
	v_and_b32_e32 v40, 0x4040404, v40
	s_delay_alu instid0(VALU_DEP_1) | instskip(SKIP_1) | instid1(VALU_DEP_2)
	v_lshrrev_b32_e32 v44, 24, v40
	v_lshrrev_b32_e32 v45, 16, v40
	v_sub_nc_u16 v81, v41, v44
	v_and_b32_e32 v41, 0x3030303, v47
	s_delay_alu instid0(VALU_DEP_2) | instskip(NEXT) | instid1(VALU_DEP_2)
	v_lshlrev_b16 v81, 8, v81
	v_lshrrev_b32_e32 v44, 16, v41
	v_lshrrev_b16 v47, 8, v41
	s_delay_alu instid0(VALU_DEP_2) | instskip(SKIP_2) | instid1(VALU_DEP_1)
	v_sub_nc_u16 v44, v44, v45
	v_sub_nc_u16 v45, v41, v40
	v_lshrrev_b16 v40, 8, v40
	v_sub_nc_u16 v47, v47, v40
	v_lshlrev_b32_e32 v40, 2, v186
	s_delay_alu instid0(VALU_DEP_2) | instskip(NEXT) | instid1(VALU_DEP_2)
	v_lshlrev_b16 v47, 8, v47
	v_and_b32_e32 v186, 0x4040404, v40
	v_bfe_u32 v40, v48, 24, 2
	s_delay_alu instid0(VALU_DEP_2) | instskip(NEXT) | instid1(VALU_DEP_1)
	v_lshrrev_b32_e32 v41, 24, v186
	v_sub_nc_u16 v82, v40, v41
	v_and_b32_e32 v41, 0x3030303, v48
	v_lshrrev_b32_e32 v48, 16, v186
	s_delay_alu instid0(VALU_DEP_3) | instskip(NEXT) | instid1(VALU_DEP_3)
	v_lshlrev_b16 v82, 8, v82
	v_lshrrev_b32_e32 v40, 16, v41
	s_delay_alu instid0(VALU_DEP_1) | instskip(SKIP_3) | instid1(VALU_DEP_1)
	v_sub_nc_u16 v40, v40, v48
	v_lshrrev_b16 v48, 8, v41
	v_sub_nc_u16 v41, v41, v186
	v_lshrrev_b16 v186, 8, v186
	v_sub_nc_u16 v48, v48, v186
	v_lshlrev_b32_e32 v186, 2, v187
	v_bfe_u32 v187, v109, 24, 2
	v_and_b32_e32 v109, 0x3030303, v109
	s_delay_alu instid0(VALU_DEP_4) | instskip(NEXT) | instid1(VALU_DEP_4)
	v_lshlrev_b16 v48, 8, v48
	v_and_b32_e32 v186, 0x4040404, v186
	s_delay_alu instid0(VALU_DEP_1) | instskip(SKIP_1) | instid1(VALU_DEP_2)
	v_lshrrev_b32_e32 v30, 24, v186
	v_lshrrev_b32_e32 v131, 16, v186
	v_sub_nc_u16 v30, v187, v30
	v_lshrrev_b32_e32 v187, 16, v109
	s_delay_alu instid0(VALU_DEP_2) | instskip(NEXT) | instid1(VALU_DEP_2)
	v_lshlrev_b16 v30, 8, v30
	v_sub_nc_u16 v131, v187, v131
	v_lshrrev_b16 v187, 8, v109
	v_sub_nc_u16 v109, v109, v186
	v_lshrrev_b16 v186, 8, v186
	s_delay_alu instid0(VALU_DEP_1) | instskip(SKIP_3) | instid1(VALU_DEP_4)
	v_sub_nc_u16 v186, v187, v186
	v_lshlrev_b32_e32 v187, 2, v188
	v_bfe_u32 v188, v111, 24, 2
	v_and_b32_e32 v111, 0x3030303, v111
	v_lshlrev_b16 v186, 8, v186
	s_delay_alu instid0(VALU_DEP_4) | instskip(NEXT) | instid1(VALU_DEP_1)
	v_and_b32_e32 v187, 0x4040404, v187
	v_lshrrev_b32_e32 v132, 24, v187
	v_lshrrev_b32_e32 v133, 16, v187
	s_delay_alu instid0(VALU_DEP_2) | instskip(SKIP_1) | instid1(VALU_DEP_2)
	v_sub_nc_u16 v132, v188, v132
	v_lshrrev_b32_e32 v188, 16, v111
	v_lshlrev_b16 v132, 8, v132
	s_delay_alu instid0(VALU_DEP_2) | instskip(SKIP_3) | instid1(VALU_DEP_1)
	v_sub_nc_u16 v133, v188, v133
	v_lshrrev_b16 v188, 8, v111
	v_sub_nc_u16 v111, v111, v187
	v_lshrrev_b16 v187, 8, v187
	v_sub_nc_u16 v187, v188, v187
	v_lshlrev_b32_e32 v188, 2, v189
	v_bfe_u32 v189, v113, 24, 2
	v_and_b32_e32 v113, 0x3030303, v113
	s_delay_alu instid0(VALU_DEP_4) | instskip(NEXT) | instid1(VALU_DEP_4)
	v_lshlrev_b16 v187, 8, v187
	v_and_b32_e32 v188, 0x4040404, v188
	s_delay_alu instid0(VALU_DEP_1) | instskip(SKIP_1) | instid1(VALU_DEP_2)
	v_lshrrev_b32_e32 v63, 24, v188
	v_lshrrev_b32_e32 v139, 16, v188
	v_sub_nc_u16 v63, v189, v63
	v_lshrrev_b32_e32 v189, 16, v113
	s_delay_alu instid0(VALU_DEP_2) | instskip(NEXT) | instid1(VALU_DEP_2)
	v_lshlrev_b16 v63, 8, v63
	v_sub_nc_u16 v139, v189, v139
	v_lshrrev_b16 v189, 8, v113
	v_sub_nc_u16 v113, v113, v188
	v_lshrrev_b16 v188, 8, v188
	s_delay_alu instid0(VALU_DEP_1) | instskip(SKIP_3) | instid1(VALU_DEP_4)
	v_sub_nc_u16 v188, v189, v188
	v_lshlrev_b32_e32 v189, 2, v190
	v_bfe_u32 v190, v115, 24, 2
	v_and_b32_e32 v115, 0x3030303, v115
	v_lshlrev_b16 v188, 8, v188
	s_delay_alu instid0(VALU_DEP_4) | instskip(NEXT) | instid1(VALU_DEP_1)
	v_and_b32_e32 v189, 0x4040404, v189
	v_lshrrev_b32_e32 v140, 24, v189
	v_lshrrev_b32_e32 v141, 16, v189
	s_delay_alu instid0(VALU_DEP_2) | instskip(SKIP_1) | instid1(VALU_DEP_2)
	v_sub_nc_u16 v140, v190, v140
	v_lshrrev_b32_e32 v190, 16, v115
	v_lshlrev_b16 v140, 8, v140
	s_delay_alu instid0(VALU_DEP_2) | instskip(SKIP_3) | instid1(VALU_DEP_1)
	v_sub_nc_u16 v141, v190, v141
	v_lshrrev_b16 v190, 8, v115
	v_sub_nc_u16 v115, v115, v189
	v_lshrrev_b16 v189, 8, v189
	v_sub_nc_u16 v189, v190, v189
	v_bfe_u32 v190, v117, 24, 2
	v_and_b32_e32 v117, 0x3030303, v117
	s_delay_alu instid0(VALU_DEP_3) | instskip(NEXT) | instid1(VALU_DEP_3)
	v_lshlrev_b16 v189, 8, v189
	v_sub_nc_u16 v142, v190, v142
	s_delay_alu instid0(VALU_DEP_3) | instskip(NEXT) | instid1(VALU_DEP_2)
	v_lshrrev_b32_e32 v190, 16, v117
	v_lshlrev_b16 v142, 8, v142
	s_delay_alu instid0(VALU_DEP_2) | instskip(SKIP_3) | instid1(VALU_DEP_1)
	v_sub_nc_u16 v143, v190, v143
	v_lshrrev_b16 v190, 8, v117
	v_sub_nc_u16 v117, v117, v181
	v_lshrrev_b16 v181, 8, v181
	v_sub_nc_u16 v181, v190, v181
	v_bfe_u32 v190, v118, 24, 2
	v_and_b32_e32 v118, 0x3030303, v118
	s_delay_alu instid0(VALU_DEP_3) | instskip(NEXT) | instid1(VALU_DEP_3)
	v_lshlrev_b16 v181, 8, v181
	v_sub_nc_u16 v144, v190, v144
	s_delay_alu instid0(VALU_DEP_3) | instskip(NEXT) | instid1(VALU_DEP_2)
	;; [unrolled: 14-line block ×4, first 2 shown]
	v_lshrrev_b32_e32 v190, 16, v184
	v_lshlrev_b16 v148, 8, v148
	s_delay_alu instid0(VALU_DEP_2) | instskip(SKIP_3) | instid1(VALU_DEP_1)
	v_sub_nc_u16 v149, v190, v149
	v_lshrrev_b16 v190, 8, v184
	v_sub_nc_u16 v184, v184, v124
	v_lshrrev_b16 v124, 8, v124
	v_sub_nc_u16 v124, v190, v124
	v_and_b32_e32 v190, 0xff, v38
	s_delay_alu instid0(VALU_DEP_2) | instskip(NEXT) | instid1(VALU_DEP_2)
	v_lshlrev_b16 v124, 8, v124
	v_or_b32_e32 v125, v190, v125
	v_and_b32_e32 v190, 0xff, v39
	s_delay_alu instid0(VALU_DEP_2) | instskip(NEXT) | instid1(VALU_DEP_2)
	v_perm_b32 v150, v125, v38, 0x5000c0c
	v_or_b32_e32 v83, v190, v83
	v_and_b32_e32 v190, 0xff, v42
	s_delay_alu instid0(VALU_DEP_1) | instskip(SKIP_1) | instid1(VALU_DEP_2)
	v_or_b32_e32 v46, v190, v46
	v_and_b32_e32 v190, 0xff, v43
	v_perm_b32 v151, v46, v42, 0x5000c0c
	s_delay_alu instid0(VALU_DEP_2) | instskip(SKIP_1) | instid1(VALU_DEP_1)
	v_or_b32_e32 v85, v190, v85
	v_and_b32_e32 v190, 0xff, v36
	v_or_b32_e32 v185, v190, v185
	v_and_b32_e32 v190, 0xff, v37
	s_delay_alu instid0(VALU_DEP_2) | instskip(NEXT) | instid1(VALU_DEP_2)
	v_perm_b32 v152, v185, v36, 0x5000c0c
	v_or_b32_e32 v88, v190, v88
	v_and_b32_e32 v190, 0xff, v34
	s_delay_alu instid0(VALU_DEP_1) | instskip(SKIP_1) | instid1(VALU_DEP_2)
	v_or_b32_e32 v126, v190, v126
	v_and_b32_e32 v190, 0xff, v35
	v_perm_b32 v153, v126, v34, 0x5000c0c
	s_delay_alu instid0(VALU_DEP_2) | instskip(SKIP_1) | instid1(VALU_DEP_1)
	v_or_b32_e32 v93, v190, v93
	v_and_b32_e32 v190, 0xff, v99
	;; [unrolled: 13-line block ×4, first 2 shown]
	v_or_b32_e32 v30, v190, v30
	v_and_b32_e32 v190, 0xff, v109
	s_delay_alu instid0(VALU_DEP_2) | instskip(NEXT) | instid1(VALU_DEP_2)
	v_perm_b32 v191, v30, v131, 0x5000c0c
	v_or_b32_e32 v186, v190, v186
	v_and_b32_e32 v190, 0xff, v133
	v_perm_b32 v30, v109, v30, 0x4010c0c
	s_delay_alu instid0(VALU_DEP_2) | instskip(SKIP_1) | instid1(VALU_DEP_2)
	v_or_b32_e32 v132, v190, v132
	v_and_b32_e32 v190, 0xff, v111
	v_perm_b32 v28, v132, v133, 0x5000c0c
	s_delay_alu instid0(VALU_DEP_2) | instskip(SKIP_1) | instid1(VALU_DEP_1)
	v_or_b32_e32 v187, v190, v187
	v_and_b32_e32 v190, 0xff, v139
	v_or_b32_e32 v63, v190, v63
	v_and_b32_e32 v190, 0xff, v113
	s_delay_alu instid0(VALU_DEP_1) | instskip(SKIP_1) | instid1(VALU_DEP_2)
	v_or_b32_e32 v188, v190, v188
	v_and_b32_e32 v190, 0xff, v141
	v_perm_b32 v29, v188, v113, 0xc0c0500
	s_delay_alu instid0(VALU_DEP_2) | instskip(SKIP_1) | instid1(VALU_DEP_2)
	v_or_b32_e32 v140, v190, v140
	v_and_b32_e32 v190, 0xff, v115
	v_perm_b32 v170, v140, v141, 0x5000c0c
	s_delay_alu instid0(VALU_DEP_2) | instskip(SKIP_1) | instid1(VALU_DEP_1)
	v_or_b32_e32 v189, v190, v189
	v_and_b32_e32 v190, 0xff, v143
	v_or_b32_e32 v142, v190, v142
	v_and_b32_e32 v190, 0xff, v117
	s_delay_alu instid0(VALU_DEP_2) | instskip(NEXT) | instid1(VALU_DEP_2)
	v_perm_b32 v171, v142, v143, 0x5000c0c
	v_or_b32_e32 v181, v190, v181
	v_and_b32_e32 v190, 0xff, v145
	s_delay_alu instid0(VALU_DEP_1) | instskip(SKIP_1) | instid1(VALU_DEP_2)
	v_or_b32_e32 v144, v190, v144
	v_and_b32_e32 v190, 0xff, v118
	v_perm_b32 v172, v144, v145, 0x5000c0c
	s_delay_alu instid0(VALU_DEP_2) | instskip(SKIP_1) | instid1(VALU_DEP_1)
	v_or_b32_e32 v119, v190, v119
	v_and_b32_e32 v190, 0xff, v147
	v_or_b32_e32 v146, v190, v146
	v_and_b32_e32 v190, 0xff, v183
	s_delay_alu instid0(VALU_DEP_2) | instskip(NEXT) | instid1(VALU_DEP_2)
	v_perm_b32 v173, v146, v147, 0x5000c0c
	v_or_b32_e32 v122, v190, v122
	v_and_b32_e32 v190, 0xff, v149
	s_delay_alu instid0(VALU_DEP_1) | instskip(SKIP_1) | instid1(VALU_DEP_2)
	v_or_b32_e32 v148, v190, v148
	v_and_b32_e32 v190, 0xff, v184
	v_perm_b32 v175, v148, v149, 0x5000c0c
	s_delay_alu instid0(VALU_DEP_2) | instskip(SKIP_1) | instid1(VALU_DEP_1)
	v_or_b32_e32 v124, v190, v124
	v_perm_b32 v190, v83, v39, 0xc0c0500
	v_or_b32_e32 v150, v150, v190
	v_perm_b32 v190, v85, v43, 0xc0c0500
	s_delay_alu instid0(VALU_DEP_1) | instskip(SKIP_1) | instid1(VALU_DEP_1)
	v_or_b32_e32 v151, v151, v190
	v_perm_b32 v190, v88, v37, 0xc0c0500
	v_or_b32_e32 v152, v152, v190
	v_perm_b32 v190, v93, v35, 0xc0c0500
	s_delay_alu instid0(VALU_DEP_1) | instskip(SKIP_1) | instid1(VALU_DEP_1)
	v_or_b32_e32 v153, v153, v190
	v_perm_b32 v190, v127, v135, 0xc0c0500
	v_or_b32_e32 v154, v154, v190
	v_perm_b32 v190, v86, v69, 0xc0c0500
	s_delay_alu instid0(VALU_DEP_2) | instskip(NEXT) | instid1(VALU_DEP_2)
	v_dot4_i32_iu8 v176, v0, v154, 0 neg_lo:[1,1,0]
	v_or_b32_e32 v155, v155, v190
	v_perm_b32 v190, v47, v45, 0xc0c0500
	s_delay_alu instid0(VALU_DEP_2) | instskip(NEXT) | instid1(VALU_DEP_2)
	v_dot4_i32_iu8 v176, v1, v155, v176 neg_lo:[1,1,0]
	;; [unrolled: 4-line block ×8, first 2 shown]
	v_or_b32_e32 v171, v171, v191
	v_perm_b32 v191, v119, v118, 0xc0c0500
	s_delay_alu instid0(VALU_DEP_1) | instskip(SKIP_1) | instid1(VALU_DEP_1)
	v_or_b32_e32 v172, v172, v191
	v_perm_b32 v191, v122, v183, 0xc0c0500
	v_or_b32_e32 v173, v173, v191
	v_perm_b32 v191, v124, v184, 0xc0c0500
	s_delay_alu instid0(VALU_DEP_1) | instskip(SKIP_2) | instid1(VALU_DEP_2)
	v_or_b32_e32 v175, v175, v191
	v_dot4_i32_iu8 v191, v0, v150, 0 neg_lo:[1,1,0]
	v_dot4_i32_iu8 v0, v0, v171, 0 neg_lo:[1,1,0]
	v_dot4_i32_iu8 v191, v1, v151, v191 neg_lo:[1,1,0]
	s_delay_alu instid0(VALU_DEP_2) | instskip(NEXT) | instid1(VALU_DEP_2)
	v_dot4_i32_iu8 v0, v1, v172, v0 neg_lo:[1,1,0]
	v_dot4_i32_iu8 v1, v2, v152, v191 neg_lo:[1,1,0]
	s_delay_alu instid0(VALU_DEP_2) | instskip(SKIP_1) | instid1(VALU_DEP_3)
	v_dot4_i32_iu8 v0, v2, v173, v0 neg_lo:[1,1,0]
	v_dot4_i32_iu8 v2, v4, v190, 0 neg_lo:[1,1,0]
	v_dot4_i32_iu8 v191, v3, v153, v1 neg_lo:[1,1,0]
	s_delay_alu instid0(VALU_DEP_3) | instskip(SKIP_4) | instid1(VALU_DEP_4)
	v_dot4_i32_iu8 v178, v3, v175, v0 neg_lo:[1,1,0]
	v_dot4_i32_iu8 v0, v4, v150, 0 neg_lo:[1,1,0]
	v_dot4_i32_iu8 v1, v4, v154, 0 neg_lo:[1,1,0]
	v_dot4_i32_iu8 v3, v4, v171, 0 neg_lo:[1,1,0]
	v_dot4_i32_iu8 v2, v5, v28, v2 neg_lo:[1,1,0]
	v_dot4_i32_iu8 v0, v5, v151, v0 neg_lo:[1,1,0]
	s_delay_alu instid0(VALU_DEP_4) | instskip(NEXT) | instid1(VALU_DEP_4)
	v_dot4_i32_iu8 v1, v5, v155, v1 neg_lo:[1,1,0]
	v_dot4_i32_iu8 v3, v5, v172, v3 neg_lo:[1,1,0]
	s_delay_alu instid0(VALU_DEP_4) | instskip(NEXT) | instid1(VALU_DEP_4)
	v_dot4_i32_iu8 v2, v6, v29, v2 neg_lo:[1,1,0]
	v_dot4_i32_iu8 v0, v6, v152, v0 neg_lo:[1,1,0]
	s_delay_alu instid0(VALU_DEP_4) | instskip(NEXT) | instid1(VALU_DEP_4)
	v_dot4_i32_iu8 v1, v6, v169, v1 neg_lo:[1,1,0]
	v_dot4_i32_iu8 v3, v6, v173, v3 neg_lo:[1,1,0]
	s_delay_alu instid0(VALU_DEP_4)
	v_dot4_i32_iu8 v158, v7, v170, v2 neg_lo:[1,1,0]
	v_dot4_i32_iu8 v2, v8, v190, 0 neg_lo:[1,1,0]
	v_dot4_i32_iu8 v156, v7, v153, v0 neg_lo:[1,1,0]
	v_dot4_i32_iu8 v157, v7, v174, v1 neg_lo:[1,1,0]
	v_dot4_i32_iu8 v159, v7, v175, v3 neg_lo:[1,1,0]
	v_dot4_i32_iu8 v0, v8, v150, 0 neg_lo:[1,1,0]
	v_dot4_i32_iu8 v1, v8, v154, 0 neg_lo:[1,1,0]
	v_dot4_i32_iu8 v3, v8, v171, 0 neg_lo:[1,1,0]
	v_dot4_i32_iu8 v2, v9, v28, v2 neg_lo:[1,1,0]
	s_delay_alu instid0(VALU_DEP_4) | instskip(NEXT) | instid1(VALU_DEP_4)
	v_dot4_i32_iu8 v0, v9, v151, v0 neg_lo:[1,1,0]
	v_dot4_i32_iu8 v1, v9, v155, v1 neg_lo:[1,1,0]
	s_delay_alu instid0(VALU_DEP_4) | instskip(NEXT) | instid1(VALU_DEP_4)
	v_dot4_i32_iu8 v3, v9, v172, v3 neg_lo:[1,1,0]
	v_dot4_i32_iu8 v2, v10, v29, v2 neg_lo:[1,1,0]
	s_delay_alu instid0(VALU_DEP_4) | instskip(NEXT) | instid1(VALU_DEP_4)
	v_dot4_i32_iu8 v0, v10, v152, v0 neg_lo:[1,1,0]
	v_dot4_i32_iu8 v1, v10, v169, v1 neg_lo:[1,1,0]
	s_delay_alu instid0(VALU_DEP_4) | instskip(NEXT) | instid1(VALU_DEP_4)
	v_dot4_i32_iu8 v3, v10, v173, v3 neg_lo:[1,1,0]
	v_dot4_i32_iu8 v161, v11, v170, v2 neg_lo:[1,1,0]
	v_dot4_i32_iu8 v2, v12, v190, 0 neg_lo:[1,1,0]
	v_dot4_i32_iu8 v8, v11, v153, v0 neg_lo:[1,1,0]
	v_dot4_i32_iu8 v160, v11, v174, v1 neg_lo:[1,1,0]
	v_dot4_i32_iu8 v162, v11, v175, v3 neg_lo:[1,1,0]
	v_dot4_i32_iu8 v0, v12, v150, 0 neg_lo:[1,1,0]
	v_dot4_i32_iu8 v1, v12, v154, 0 neg_lo:[1,1,0]
	v_dot4_i32_iu8 v3, v12, v171, 0 neg_lo:[1,1,0]
	v_dot4_i32_iu8 v2, v13, v28, v2 neg_lo:[1,1,0]
	s_delay_alu instid0(VALU_DEP_4) | instskip(NEXT) | instid1(VALU_DEP_4)
	v_dot4_i32_iu8 v0, v13, v151, v0 neg_lo:[1,1,0]
	v_dot4_i32_iu8 v1, v13, v155, v1 neg_lo:[1,1,0]
	s_delay_alu instid0(VALU_DEP_4) | instskip(NEXT) | instid1(VALU_DEP_4)
	v_dot4_i32_iu8 v3, v13, v172, v3 neg_lo:[1,1,0]
	v_dot4_i32_iu8 v2, v14, v29, v2 neg_lo:[1,1,0]
	s_delay_alu instid0(VALU_DEP_4) | instskip(NEXT) | instid1(VALU_DEP_4)
	v_dot4_i32_iu8 v0, v14, v152, v0 neg_lo:[1,1,0]
	v_dot4_i32_iu8 v1, v14, v169, v1 neg_lo:[1,1,0]
	s_delay_alu instid0(VALU_DEP_4) | instskip(NEXT) | instid1(VALU_DEP_4)
	v_dot4_i32_iu8 v3, v14, v173, v3 neg_lo:[1,1,0]
	;; [unrolled: 20-line block ×4, first 2 shown]
	v_dot4_i32_iu8 v168, v23, v170, v2 neg_lo:[1,1,0]
	v_dot4_i32_iu8 v2, v24, v190, 0 neg_lo:[1,1,0]
	;; [unrolled: 1-line block ×9, first 2 shown]
	v_perm_b32 v22, v210, v242, 0xc0c0401
	v_dot4_i32_iu8 v0, v25, v151, v0 neg_lo:[1,1,0]
	v_dot4_i32_iu8 v1, v25, v155, v1 neg_lo:[1,1,0]
	;; [unrolled: 1-line block ×4, first 2 shown]
	v_perm_b32 v23, v211, v255, 0x4010c0c
	v_dot4_i32_iu8 v0, v26, v152, v0 neg_lo:[1,1,0]
	v_dot4_i32_iu8 v1, v26, v169, v1 neg_lo:[1,1,0]
	;; [unrolled: 1-line block ×4, first 2 shown]
	v_perm_b32 v24, v212, v238, 0xc0c0401
	v_dot4_i32_iu8 v12, v27, v153, v0 neg_lo:[1,1,0]
	v_dot4_i32_iu8 v18, v27, v174, v1 neg_lo:[1,1,0]
	;; [unrolled: 1-line block ×3, first 2 shown]
	ds_load_b128 v[0:3], v192
	ds_load_b128 v[4:7], v192 offset:16
	s_clause 0x1
	scratch_load_b32 v15, off, off
	scratch_load_b32 v19, off, off offset:4
	v_perm_b32 v25, v213, v243, 0x4010c0c
	v_perm_b32 v27, v218, v234, 0xc0c0401
	v_add_nc_u32_e32 v192, 32, v192
	s_waitcnt lgkmcnt(1)
	v_perm_b32 v13, v0, v0, 0x30201
	v_perm_b32 v14, v1, v1, 0x30201
	s_clause 0x1
	scratch_load_b32 v0, off, off offset:128
	scratch_load_b32 v1, off, off offset:120
	s_waitcnt lgkmcnt(0)
	v_perm_b32 v4, v4, v4, 0x30201
	v_perm_b32 v5, v5, v5, 0x30201
	;; [unrolled: 1-line block ×6, first 2 shown]
	s_waitcnt vmcnt(3)
	v_add_nc_u32_e32 v15, s20, v15
	s_waitcnt vmcnt(2)
	v_add_nc_u32_e32 v19, s20, v19
	s_add_i32 s20, s1, s19
	s_delay_alu instid0(SALU_CYCLE_1)
	s_cmp_lt_u32 s20, s15
	ds_load_b32 v15, v15
	s_waitcnt vmcnt(1)
	v_add3_u32 v0, v0, s21, v33
	s_waitcnt vmcnt(0)
	v_add3_u32 v1, v1, s21, v33
	ds_load_b32 v19, v19
	ds_load_u16 v20, v0 offset:33536
	ds_load_u16 v21, v1 offset:35584
	ds_load_2addr_b32 v[0:1], v247 offset1:32
	v_perm_b32 v33, v219, v236, 0x4010c0c
	s_waitcnt lgkmcnt(0)
	v_mul_f32_e32 v29, v0, v194
	v_mul_f32_e32 v150, v0, v15
	v_mul_f32_e32 v151, v0, v195
	v_dual_mul_f32 v152, v0, v19 :: v_dual_mul_f32 v153, v194, v1
	v_mul_f32_e32 v154, v15, v1
	v_mul_f32_e32 v155, v195, v1
	v_mul_f32_e32 v169, v19, v1
	ds_load_2addr_b32 v[0:1], v247 offset0:64 offset1:96
	s_waitcnt lgkmcnt(0)
	v_mul_f32_e32 v170, v194, v0
	v_mul_f32_e32 v171, v15, v0
	v_mul_f32_e32 v172, v195, v0
	v_dual_mul_f32 v173, v19, v0 :: v_dual_mul_f32 v174, v194, v1
	v_mul_f32_e32 v175, v15, v1
	v_mul_f32_e32 v190, v195, v1
	v_mul_f32_e32 v50, v19, v1
	ds_load_2addr_b32 v[0:1], v247 offset0:128 offset1:160
	;; [unrolled: 9-line block ×3, first 2 shown]
	v_add_nc_u32_e32 v247, 4, v247
	s_waitcnt lgkmcnt(0)
	v_mul_f32_e32 v59, v194, v0
	v_mul_f32_e32 v194, v194, v1
	;; [unrolled: 1-line block ×8, first 2 shown]
	s_clause 0x1
	scratch_load_b32 v0, off, off offset:112
	scratch_load_b32 v1, off, off offset:108
	v_perm_b32 v15, v204, v251, 0xc0c0401
	v_perm_b32 v19, v205, v248, 0x4010c0c
	s_waitcnt vmcnt(1)
	v_perm_b32 v0, v202, v0, 0xc0c0401
	s_waitcnt vmcnt(0)
	v_perm_b32 v1, v203, v1, 0x4010c0c
	s_delay_alu instid0(VALU_DEP_1)
	v_or_b32_e32 v0, v1, v0
	v_or_b32_e32 v1, v19, v15
	;; [unrolled: 1-line block ×8, first 2 shown]
	v_dot4_i32_iu8 v0, v0, v13, 0 neg_lo:[1,1,0]
	v_dot4_i32_iu8 v15, v15, v13, 0 neg_lo:[1,1,0]
	v_dot4_i32_iu8 v22, v22, v13, 0 neg_lo:[1,1,0]
	v_dot4_i32_iu8 v13, v24, v13, 0 neg_lo:[1,1,0]
	v_perm_b32 v24, v99, v127, 0xc0c0401
	v_dot4_i32_iu8 v0, v1, v14, v0 neg_lo:[1,1,0]
	v_dot4_i32_iu8 v1, v19, v14, v15 neg_lo:[1,1,0]
	;; [unrolled: 1-line block ×4, first 2 shown]
	v_perm_b32 v14, v38, v83, 0xc0c0401
	v_perm_b32 v19, v39, v125, 0x4010c0c
	;; [unrolled: 1-line block ×14, first 2 shown]
	v_or_b32_e32 v14, v19, v14
	v_or_b32_e32 v19, v23, v22
	;; [unrolled: 1-line block ×8, first 2 shown]
	v_dot4_i32_iu8 v14, v14, v4, 0 neg_lo:[1,1,0]
	v_dot4_i32_iu8 v22, v22, v4, 0 neg_lo:[1,1,0]
	;; [unrolled: 1-line block ×4, first 2 shown]
	scratch_load_b32 v27, off, off offset:104 ; 4-byte Folded Reload
	v_dot4_i32_iu8 v14, v19, v5, v14 neg_lo:[1,1,0]
	v_dot4_i32_iu8 v19, v23, v5, v22 neg_lo:[1,1,0]
	;; [unrolled: 1-line block ×4, first 2 shown]
	s_clause 0x4
	scratch_load_b32 v30, off, off offset:100
	scratch_load_b32 v5, off, off offset:80
	;; [unrolled: 1-line block ×5, first 2 shown]
	v_perm_b32 v33, v222, v253, 0xc0c0401
	v_perm_b32 v38, v223, v252, 0x4010c0c
	v_dual_mov_b32 v91, v92 :: v_dual_mov_b32 v92, v94
	v_dual_mov_b32 v89, v230 :: v_dual_mov_b32 v86, v229
	;; [unrolled: 1-line block ×3, first 2 shown]
	v_mov_b32_e32 v229, v72
	s_waitcnt vmcnt(5)
	v_perm_b32 v27, v214, v27, 0xc0c0401
	s_waitcnt vmcnt(4)
	v_perm_b32 v30, v215, v30, 0x4010c0c
	s_waitcnt vmcnt(3)
	v_perm_b32 v5, v198, v5, 0xc0c0401
	s_waitcnt vmcnt(2)
	v_perm_b32 v25, v207, v25, 0x4010c0c
	s_waitcnt vmcnt(1)
	v_perm_b32 v23, v199, v23, 0x4010c0c
	s_waitcnt vmcnt(0)
	v_perm_b32 v24, v206, v24, 0xc0c0401
	s_delay_alu instid0(VALU_DEP_2) | instskip(NEXT) | instid1(VALU_DEP_2)
	v_or_b32_e32 v5, v23, v5
	v_or_b32_e32 v23, v25, v24
	;; [unrolled: 1-line block ×4, first 2 shown]
	v_perm_b32 v27, v113, v63, 0x4010c0c
	v_dot4_i32_iu8 v0, v5, v2, v0 neg_lo:[1,1,0]
	v_dot4_i32_iu8 v1, v23, v2, v1 neg_lo:[1,1,0]
	;; [unrolled: 1-line block ×4, first 2 shown]
	v_perm_b32 v13, v36, v88, 0xc0c0401
	v_perm_b32 v15, v37, v185, 0x4010c0c
	;; [unrolled: 1-line block ×7, first 2 shown]
	v_or_b32_e32 v13, v15, v13
	v_or_b32_e32 v15, v24, v23
	;; [unrolled: 1-line block ×3, first 2 shown]
	scratch_load_b32 v27, off, off offset:88 ; 4-byte Folded Reload
	v_or_b32_e32 v24, v33, v30
	scratch_load_b32 v30, off, off offset:84 ; 4-byte Folded Reload
	v_dot4_i32_iu8 v13, v13, v6, v14 neg_lo:[1,1,0]
	v_dot4_i32_iu8 v14, v15, v6, v19 neg_lo:[1,1,0]
	;; [unrolled: 1-line block ×4, first 2 shown]
	s_clause 0x5
	scratch_load_b32 v6, off, off offset:56
	scratch_load_b32 v22, off, off offset:64
	;; [unrolled: 1-line block ×6, first 2 shown]
	v_bfe_i32 v37, v32, 0, 8
	v_mov_b32_e32 v88, v90
	v_mov_b32_e32 v90, v96
	;; [unrolled: 1-line block ×3, first 2 shown]
	s_waitcnt vmcnt(7)
	v_perm_b32 v27, v216, v27, 0xc0c0401
	s_waitcnt vmcnt(6)
	v_perm_b32 v30, v217, v30, 0x4010c0c
	;; [unrolled: 2-line block ×8, first 2 shown]
	s_delay_alu instid0(VALU_DEP_2) | instskip(SKIP_1) | instid1(VALU_DEP_3)
	v_or_b32_e32 v6, v19, v6
	v_or_b32_e32 v19, v23, v22
	;; [unrolled: 1-line block ×4, first 2 shown]
	v_perm_b32 v24, v149, v124, 0xc0c0401
	v_dot4_i32_iu8 v0, v6, v3, v0 neg_lo:[1,1,0]
	v_dot4_i32_iu8 v19, v19, v3, v1 neg_lo:[1,1,0]
	;; [unrolled: 1-line block ×4, first 2 shown]
	v_perm_b32 v1, v34, v93, 0xc0c0401
	v_perm_b32 v2, v35, v126, 0x4010c0c
	;; [unrolled: 1-line block ×6, first 2 shown]
	v_or_b32_e32 v1, v2, v1
	v_perm_b32 v25, v184, v148, 0x4010c0c
	v_or_b32_e32 v2, v5, v3
	s_delay_alu instid0(VALU_DEP_4) | instskip(NEXT) | instid1(VALU_DEP_4)
	v_or_b32_e32 v3, v23, v6
	v_dot4_i32_iu8 v6, v1, v7, v13 neg_lo:[1,1,0]
	v_lshrrev_b16 v1, 8, v20
	s_delay_alu instid0(VALU_DEP_4)
	v_dot4_i32_iu8 v13, v2, v7, v14 neg_lo:[1,1,0]
	v_bfe_i32 v14, v20, 0, 8
	v_dot4_i32_iu8 v23, v3, v7, v15 neg_lo:[1,1,0]
	v_or_b32_e32 v5, v25, v24
	v_bfe_i32 v15, v1, 0, 8
	v_bfe_i32 v20, v31, 0, 8
	v_mul_lo_u32 v0, v0, v14
	v_bfe_i32 v25, v21, 0, 8
	v_dot4_i32_iu8 v30, v5, v7, v4 neg_lo:[1,1,0]
	s_delay_alu instid0(VALU_DEP_3) | instskip(SKIP_1) | instid1(VALU_DEP_1)
	v_mad_u64_u32 v[1:2], null, v6, v15, v[0:1]
	v_mul_lo_u32 v0, v112, v14
	v_mad_u64_u32 v[2:3], null, v191, v15, v[0:1]
	v_mul_lo_u32 v0, v98, v14
	s_delay_alu instid0(VALU_DEP_1) | instskip(SKIP_1) | instid1(VALU_DEP_1)
	v_mad_u64_u32 v[3:4], null, v156, v15, v[0:1]
	v_mul_lo_u32 v0, v107, v14
	v_mad_u64_u32 v[4:5], null, v8, v15, v[0:1]
	v_mul_lo_u32 v0, v134, v14
	s_delay_alu instid0(VALU_DEP_1) | instskip(SKIP_1) | instid1(VALU_DEP_1)
	;; [unrolled: 5-line block ×3, first 2 shown]
	v_mad_u64_u32 v[7:8], null, v11, v15, v[0:1]
	v_mul_lo_u32 v0, v180, v14
	v_mad_u64_u32 v[8:9], null, v12, v15, v[0:1]
	v_lshrrev_b16 v0, 8, v31
	s_delay_alu instid0(VALU_DEP_1) | instskip(SKIP_1) | instid1(VALU_DEP_1)
	v_bfe_i32 v24, v0, 0, 8
	v_mul_lo_u32 v0, v19, v20
	v_mad_u64_u32 v[9:10], null, v13, v24, v[0:1]
	v_mul_lo_u32 v0, v250, v20
	s_delay_alu instid0(VALU_DEP_1) | instskip(SKIP_1) | instid1(VALU_DEP_1)
	v_mad_u64_u32 v[10:11], null, v176, v24, v[0:1]
	v_mul_lo_u32 v0, v120, v20
	v_mad_u64_u32 v[11:12], null, v157, v24, v[0:1]
	v_mul_lo_u32 v0, v102, v20
	s_delay_alu instid0(VALU_DEP_1) | instskip(SKIP_1) | instid1(VALU_DEP_1)
	v_mad_u64_u32 v[12:13], null, v160, v24, v[0:1]
	;; [unrolled: 5-line block ×3, first 2 shown]
	v_mul_lo_u32 v0, v74, v20
	v_mad_u64_u32 v[15:16], null, v17, v24, v[0:1]
	v_mul_lo_u32 v0, v76, v20
	v_mov_b32_e32 v76, v245
	s_delay_alu instid0(VALU_DEP_2) | instskip(SKIP_1) | instid1(VALU_DEP_1)
	v_mad_u64_u32 v[16:17], null, v18, v24, v[0:1]
	v_lshrrev_b16 v0, 8, v21
	v_bfe_i32 v31, v0, 0, 8
	v_mul_lo_u32 v0, v22, v25
	s_delay_alu instid0(VALU_DEP_1) | instskip(SKIP_1) | instid1(VALU_DEP_1)
	v_mad_u64_u32 v[17:18], null, v23, v31, v[0:1]
	v_mul_lo_u32 v0, v241, v25
	v_mad_u64_u32 v[18:19], null, v177, v31, v[0:1]
	v_mul_lo_u32 v0, v249, v25
	s_delay_alu instid0(VALU_DEP_1) | instskip(SKIP_1) | instid1(VALU_DEP_1)
	v_mad_u64_u32 v[19:20], null, v158, v31, v[0:1]
	v_mul_lo_u32 v0, v225, v25
	v_mad_u64_u32 v[20:21], null, v161, v31, v[0:1]
	;; [unrolled: 5-line block ×4, first 2 shown]
	v_lshrrev_b16 v0, 8, v32
	s_delay_alu instid0(VALU_DEP_1) | instskip(SKIP_1) | instid1(VALU_DEP_1)
	v_bfe_i32 v38, v0, 0, 8
	v_mul_lo_u32 v0, v27, v37
	v_mad_u64_u32 v[25:26], null, v30, v38, v[0:1]
	v_mul_lo_u32 v0, v237, v37
	v_mov_b32_e32 v30, v70
	v_mov_b32_e32 v70, v240
	s_delay_alu instid0(VALU_DEP_3) | instskip(SKIP_1) | instid1(VALU_DEP_1)
	v_mad_u64_u32 v[26:27], null, v178, v38, v[0:1]
	v_mul_lo_u32 v0, v239, v37
	v_mad_u64_u32 v[31:32], null, v159, v38, v[0:1]
	v_mul_lo_u32 v0, v246, v37
	s_delay_alu instid0(VALU_DEP_1) | instskip(SKIP_1) | instid1(VALU_DEP_1)
	v_mad_u64_u32 v[32:33], null, v162, v38, v[0:1]
	v_mul_lo_u32 v0, v254, v37
	v_mad_u64_u32 v[33:34], null, v165, v38, v[0:1]
	v_mul_lo_u32 v0, v110, v37
	s_delay_alu instid0(VALU_DEP_1) | instskip(SKIP_1) | instid1(VALU_DEP_1)
	v_mad_u64_u32 v[34:35], null, v167, v38, v[0:1]
	v_mul_lo_u32 v0, v103, v37
	v_mad_u64_u32 v[35:36], null, v49, v38, v[0:1]
	v_mul_lo_u32 v0, v116, v37
	v_mov_b32_e32 v49, v71
	s_delay_alu instid0(VALU_DEP_2) | instskip(SKIP_2) | instid1(VALU_DEP_2)
	v_mad_u64_u32 v[36:37], null, v28, v38, v[0:1]
	v_cvt_f32_i32_e32 v0, v1
	v_dual_mov_b32 v28, v67 :: v_dual_mov_b32 v67, v244
	v_fmac_f32_e32 v128, v29, v0
	v_cvt_f32_i32_e32 v0, v9
	v_dual_mov_b32 v29, v68 :: v_dual_mov_b32 v68, v235
	s_delay_alu instid0(VALU_DEP_2) | instskip(SKIP_1) | instid1(VALU_DEP_1)
	v_fmac_f32_e32 v67, v150, v0
	v_cvt_f32_i32_e32 v0, v17
	v_fmac_f32_e32 v92, v151, v0
	v_cvt_f32_i32_e32 v0, v25
	s_delay_alu instid0(VALU_DEP_1) | instskip(SKIP_1) | instid1(VALU_DEP_1)
	v_fmac_f32_e32 v70, v152, v0
	v_cvt_f32_i32_e32 v0, v2
	v_fmac_f32_e32 v91, v153, v0
	v_cvt_f32_i32_e32 v0, v10
	s_delay_alu instid0(VALU_DEP_1) | instskip(SKIP_1) | instid1(VALU_DEP_1)
	;; [unrolled: 5-line block ×6, first 2 shown]
	v_fmac_f32_e32 v227, v175, v0
	v_cvt_f32_i32_e32 v0, v20
	v_fmac_f32_e32 v81, v190, v0
	v_cvt_f32_i32_e32 v0, v32
	s_delay_alu instid0(VALU_DEP_1)
	v_fmac_f32_e32 v76, v50, v0
	v_cvt_f32_i32_e32 v0, v5
	v_mov_b32_e32 v50, v73
	scratch_load_b32 v73, off, off offset:32 ; 4-byte Folded Reload
	v_fmac_f32_e32 v193, v51, v0
	v_cvt_f32_i32_e32 v0, v13
	v_mov_b32_e32 v51, v77
	scratch_load_b32 v77, off, off offset:36 ; 4-byte Folded Reload
	;; [unrolled: 4-line block ×5, first 2 shown]
	v_fmac_f32_e32 v114, v55, v0
	v_cvt_f32_i32_e32 v0, v14
	v_mov_b32_e32 v55, v87
	s_delay_alu instid0(VALU_DEP_2) | instskip(SKIP_1) | instid1(VALU_DEP_1)
	v_fmac_f32_e32 v95, v56, v0
	v_cvt_f32_i32_e32 v0, v22
	v_dual_mov_b32 v56, v95 :: v_dual_fmac_f32 v55, v57, v0
	v_cvt_f32_i32_e32 v0, v34
	s_delay_alu instid0(VALU_DEP_1)
	v_fmac_f32_e32 v54, v58, v0
	v_cvt_f32_i32_e32 v0, v7
	scratch_load_b32 v58, off, off offset:12 ; 4-byte Folded Reload
	v_fmac_f32_e32 v53, v59, v0
	scratch_load_b32 v59, off, off offset:16 ; 4-byte Folded Reload
	v_cvt_f32_i32_e32 v0, v15
	s_delay_alu instid0(VALU_DEP_1) | instskip(SKIP_2) | instid1(VALU_DEP_1)
	v_fmac_f32_e32 v52, v60, v0
	scratch_load_b32 v60, off, off offset:20 ; 4-byte Folded Reload
	v_cvt_f32_i32_e32 v0, v23
	v_fmac_f32_e32 v51, v64, v0
	v_cvt_f32_i32_e32 v0, v35
	scratch_load_b32 v64, off, off offset:28 ; 4-byte Folded Reload
	v_fmac_f32_e32 v50, v65, v0
	v_cvt_f32_i32_e32 v0, v8
	s_delay_alu instid0(VALU_DEP_1) | instskip(SKIP_1) | instid1(VALU_DEP_1)
	v_fmac_f32_e32 v49, v194, v0
	v_cvt_f32_i32_e32 v0, v16
	v_fmac_f32_e32 v30, v61, v0
	scratch_load_b32 v61, off, off offset:24 ; 4-byte Folded Reload
	v_cvt_f32_i32_e32 v0, v24
	s_delay_alu instid0(VALU_DEP_1) | instskip(SKIP_1) | instid1(VALU_DEP_1)
	v_fmac_f32_e32 v29, v195, v0
	v_cvt_f32_i32_e32 v0, v36
	v_fmac_f32_e32 v28, v66, v0
	scratch_load_b32 v66, off, off offset:8 ; 4-byte Folded Reload
	s_cbranch_scc1 .LBB169_10
; %bb.11:                               ;   in Loop: Header=BB169_8 Depth=2
	scratch_load_b32 v0, off, off offset:152 ; 4-byte Folded Reload
	s_waitcnt vmcnt(0)
	s_waitcnt_vscnt null, 0x0
	s_barrier
	buffer_gl0_inv
	s_add_i32 s14, s14, 2
	s_mov_b32 s17, 4
	s_lshl_b32 s18, s14, 3
	scratch_load_b64 v[19:20], off, off offset:156 ; 8-byte Folded Reload
	v_lshl_add_u32 v0, s16, 5, v0
	s_delay_alu instid0(VALU_DEP_1) | instskip(NEXT) | instid1(VALU_DEP_1)
	v_lshrrev_b32_e32 v0, 3, v0
	v_add_nc_u32_e32 v12, s0, v0
	scratch_load_b32 v0, off, off offset:148 ; 4-byte Folded Reload
	s_waitcnt vmcnt(0)
	v_lshl_add_u32 v13, s16, 2, v0
	scratch_load_b32 v0, off, off offset:168 ; 4-byte Folded Reload
	s_mov_b32 s16, 0
	s_waitcnt vmcnt(0)
	v_add_nc_u32_e32 v2, v12, v0
	scratch_load_b32 v0, off, off offset:176 ; 4-byte Folded Reload
	s_waitcnt vmcnt(0)
	v_add_nc_u32_e32 v4, v12, v0
	scratch_load_b32 v0, off, off offset:184 ; 4-byte Folded Reload
	;; [unrolled: 3-line block ×4, first 2 shown]
	s_waitcnt vmcnt(0)
	v_add_nc_u32_e32 v10, v12, v0
	v_mad_i64_i32 v[0:1], null, v2, 36, v[19:20]
	v_mad_i64_i32 v[2:3], null, v4, 36, v[19:20]
	;; [unrolled: 1-line block ×5, first 2 shown]
	scratch_load_b32 v10, off, off offset:208 ; 4-byte Folded Reload
	s_waitcnt vmcnt(0)
	v_add_nc_u32_e32 v14, v12, v10
	scratch_load_b32 v10, off, off offset:216 ; 4-byte Folded Reload
	s_waitcnt vmcnt(0)
	v_add_nc_u32_e32 v16, v12, v10
	v_mad_u64_u32 v[10:11], null, v13, 36, s[2:3]
	scratch_load_b32 v13, off, off offset:224 ; 4-byte Folded Reload
	s_waitcnt vmcnt(0)
	v_add_nc_u32_e32 v18, v12, v13
	v_mad_i64_i32 v[12:13], null, v14, 36, v[19:20]
	v_mad_i64_i32 v[14:15], null, v16, 36, v[19:20]
	s_delay_alu instid0(VALU_DEP_3)
	v_mad_i64_i32 v[16:17], null, v18, 36, v[19:20]
	s_clause 0x8
	global_load_b32 v10, v[10:11], off
	global_load_b32 v2, v[2:3], off offset:4
	global_load_b32 v3, v[4:5], off offset:4
	;; [unrolled: 1-line block ×8, first 2 shown]
	s_clause 0x2
	scratch_load_b32 v192, off, off offset:236
	scratch_load_b32 v238, off, off offset:232
	;; [unrolled: 1-line block ×3, first 2 shown]
	s_waitcnt vmcnt(11)
	v_cvt_f32_f16_e32 v1, v10
	s_waitcnt vmcnt(0)
	ds_store_b32 v9, v2
	scratch_load_b32 v2, off, off offset:188 ; 4-byte Folded Reload
	s_waitcnt vmcnt(0)
	ds_store_b32 v2, v3
	scratch_load_b32 v2, off, off offset:196 ; 4-byte Folded Reload
	;; [unrolled: 3-line block ×8, first 2 shown]
	s_waitcnt vmcnt(0)
	ds_store_b32 v0, v1
	s_waitcnt lgkmcnt(0)
	s_barrier
	buffer_gl0_inv
.LBB169_12:                             ;   Parent Loop BB169_6 Depth=1
                                        ;     Parent Loop BB169_8 Depth=2
                                        ; =>    This Inner Loop Header: Depth=3
	s_add_i32 s20, s1, s16
	s_clause 0x5
	scratch_store_b32 off, v28, off offset:72
	scratch_store_b32 off, v121, off offset:68
	;; [unrolled: 1-line block ×6, first 2 shown]
	s_add_i32 s20, s20, 8
	v_mov_b32_e32 v123, v193
	s_and_b32 s19, s20, 0x3ffffff8
	s_lshr_b32 s21, s20, 4
	s_lshl_b32 s19, s19, 2
	s_lshl_b32 s20, s21, 2
	v_add_nc_u32_e32 v4, s19, v59
	v_dual_mov_b32 v110, v50 :: v_dual_add_nc_u32 v183, s19, v64
	v_dual_mov_b32 v121, v49 :: v_dual_add_nc_u32 v6, s20, v60
	ds_load_2addr_b32 v[0:1], v4 offset1:1
	ds_load_2addr_b32 v[2:3], v4 offset0:2 offset1:3
	ds_load_2addr_b32 v[31:32], v4 offset0:4 offset1:5
	;; [unrolled: 1-line block ×3, first 2 shown]
	v_dual_mov_b32 v101, v84 :: v_dual_add_nc_u32 v12, s19, v77
	v_dual_mov_b32 v71, v89 :: v_dual_add_nc_u32 v184, s19, v80
	s_lshl_b32 s19, s21, 3
	v_mov_b32_e32 v80, v54
	v_add_lshl_u32 v181, v79, s19, 2
	v_add_lshl_u32 v182, v61, s19, 2
	v_dual_mov_b32 v79, v53 :: v_dual_mov_b32 v108, v51
	v_dual_mov_b32 v102, v52 :: v_dual_mov_b32 v87, v55
	v_mov_b32_e32 v95, v56
	v_mov_b32_e32 v193, v81
	v_dual_mov_b32 v235, v88 :: v_dual_mov_b32 v230, v85
	s_waitcnt lgkmcnt(3)
	v_ashrrev_i32_e32 v5, s16, v0
	v_ashrrev_i32_e32 v4, s16, v1
	s_waitcnt lgkmcnt(2)
	v_ashrrev_i32_e32 v1, s16, v2
	v_ashrrev_i32_e32 v0, s16, v3
	ds_load_2addr_b32 v[2:3], v183 offset0:2 offset1:3
	ds_load_b32 v194, v6
	ds_load_2addr_b32 v[6:7], v183 offset1:1
	v_bfe_u32 v50, v5, 24, 2
	v_dual_mov_b32 v234, v86 :: v_dual_and_b32 v5, 0x3030303, v5
	s_waitcnt lgkmcnt(2)
	v_ashrrev_i32_e32 v10, s16, v2
	v_ashrrev_i32_e32 v11, s16, v3
	s_waitcnt lgkmcnt(0)
	v_ashrrev_i32_e32 v8, s16, v6
	v_ashrrev_i32_e32 v9, s16, v7
	ds_load_2addr_b32 v[2:3], v12 offset1:1
	ds_load_2addr_b32 v[6:7], v12 offset0:2 offset1:3
	ds_load_2addr_b32 v[41:42], v12 offset0:4 offset1:5
	;; [unrolled: 1-line block ×3, first 2 shown]
	s_waitcnt lgkmcnt(3)
	v_ashrrev_i32_e32 v12, s16, v2
	s_waitcnt lgkmcnt(2)
	v_ashrrev_i32_e32 v14, s16, v6
	v_add_nc_u32_e32 v6, s20, v78
	v_ashrrev_i32_e32 v13, s16, v3
	v_ashrrev_i32_e32 v15, s16, v7
	ds_load_2addr_b32 v[2:3], v184 offset0:2 offset1:3
	ds_load_b32 v195, v6
	ds_load_2addr_b32 v[6:7], v184 offset1:1
	v_mov_b32_e32 v78, v68
	v_mov_b32_e32 v68, v91
	s_waitcnt lgkmcnt(2)
	v_ashrrev_i32_e32 v18, s16, v2
	v_add_lshl_u32 v2, v58, s19, 2
	v_ashrrev_i32_e32 v19, s16, v3
	s_waitcnt lgkmcnt(0)
	v_ashrrev_i32_e32 v16, s16, v6
	v_ashrrev_i32_e32 v17, s16, v7
	v_add_nc_u32_e32 v3, 0x4200, v2
	v_add_nc_u32_e32 v6, 0x4208, v2
	;; [unrolled: 1-line block ×4, first 2 shown]
	ds_load_2addr_b32 v[2:3], v3 offset1:1
	ds_load_2addr_b32 v[6:7], v6 offset1:1
	;; [unrolled: 1-line block ×4, first 2 shown]
	s_waitcnt lgkmcnt(3)
	v_ashrrev_i32_e32 v20, s17, v2
	v_ashrrev_i32_e32 v21, s17, v3
	s_waitcnt lgkmcnt(2)
	v_ashrrev_i32_e32 v22, s17, v6
	v_add_nc_u32_e32 v2, 0x4200, v182
	v_add_nc_u32_e32 v6, 0x4208, v182
	v_lshlrev_b32_e32 v20, 2, v20
	v_ashrrev_i32_e32 v23, s17, v7
	ds_load_2addr_b32 v[2:3], v2 offset1:1
	ds_load_2addr_b32 v[6:7], v6 offset1:1
	ds_load_2addr_b32 v[47:48], v183 offset0:6 offset1:7
	s_waitcnt lgkmcnt(4)
	v_ashrrev_i32_e32 v45, s17, v45
	v_and_b32_e32 v20, 0x4040404, v20
	v_ashrrev_i32_e32 v46, s17, v46
	s_waitcnt lgkmcnt(3)
	v_ashrrev_i32_e32 v44, s17, v44
	s_delay_alu instid0(VALU_DEP_3) | instskip(SKIP_2) | instid1(VALU_DEP_3)
	v_lshrrev_b32_e32 v51, 24, v20
	v_lshrrev_b32_e32 v52, 16, v20
	v_sub_nc_u16 v203, v5, v20
	v_sub_nc_u16 v50, v50, v51
	v_lshrrev_b32_e32 v51, 16, v5
	s_delay_alu instid0(VALU_DEP_1)
	v_sub_nc_u16 v202, v51, v52
	v_lshrrev_b16 v51, 8, v5
	v_lshrrev_b16 v5, 8, v20
	v_lshlrev_b32_e32 v20, 2, v21
	v_bfe_u32 v21, v4, 24, 2
	v_and_b32_e32 v4, 0x3030303, v4
	s_waitcnt lgkmcnt(2)
	v_ashrrev_i32_e32 v24, s17, v2
	v_sub_nc_u16 v5, v51, v5
	v_and_b32_e32 v20, 0x4040404, v20
	v_add_lshl_u32 v2, v73, s19, 2
	v_ashrrev_i32_e32 v25, s17, v3
	s_waitcnt lgkmcnt(1)
	v_ashrrev_i32_e32 v26, s17, v6
	v_ashrrev_i32_e32 v27, s17, v7
	v_lshrrev_b32_e32 v51, 24, v20
	v_lshrrev_b32_e32 v52, 16, v20
	v_sub_nc_u16 v205, v4, v20
	v_add_nc_u32_e32 v3, 0x4200, v2
	v_add_nc_u32_e32 v29, 0x4218, v2
	v_sub_nc_u16 v21, v21, v51
	v_lshrrev_b32_e32 v51, 16, v4
	v_add_nc_u32_e32 v6, 0x4208, v2
	v_add_nc_u32_e32 v28, 0x4210, v2
	ds_load_2addr_b32 v[2:3], v3 offset1:1
	ds_load_2addr_b32 v[6:7], v6 offset1:1
	;; [unrolled: 1-line block ×4, first 2 shown]
	v_sub_nc_u16 v204, v51, v52
	v_lshrrev_b16 v51, 8, v4
	v_lshrrev_b16 v4, 8, v20
	v_lshlrev_b32_e32 v20, 2, v22
	v_bfe_u32 v22, v1, 24, 2
	v_and_b32_e32 v1, 0x3030303, v1
	v_lshlrev_b16 v5, 8, v5
	v_sub_nc_u16 v4, v51, v4
	v_and_b32_e32 v20, 0x4040404, v20
	s_and_b32 s19, s15, -16
	s_waitcnt lgkmcnt(4)
	v_ashrrev_i32_e32 v47, s16, v47
	v_ashrrev_i32_e32 v48, s16, v48
	v_lshlrev_b16 v4, 8, v4
	v_lshrrev_b32_e32 v51, 24, v20
	v_lshrrev_b32_e32 v52, 16, v20
	v_sub_nc_u16 v199, v1, v20
	s_waitcnt lgkmcnt(3)
	v_ashrrev_i32_e32 v28, s17, v2
	v_ashrrev_i32_e32 v29, s17, v3
	v_sub_nc_u16 v22, v22, v51
	v_lshrrev_b32_e32 v51, 16, v1
	s_waitcnt lgkmcnt(2)
	v_ashrrev_i32_e32 v30, s17, v6
	v_add_nc_u32_e32 v2, 0x4200, v181
	v_add_nc_u32_e32 v6, 0x4208, v181
	v_ashrrev_i32_e32 v49, s17, v7
	v_sub_nc_u16 v198, v51, v52
	v_lshrrev_b16 v51, 8, v1
	v_lshrrev_b16 v1, 8, v20
	v_lshlrev_b32_e32 v20, 2, v23
	v_bfe_u32 v23, v0, 24, 2
	v_and_b32_e32 v0, 0x3030303, v0
	ds_load_2addr_b32 v[2:3], v2 offset1:1
	ds_load_2addr_b32 v[6:7], v6 offset1:1
	ds_load_2addr_b32 v[189:190], v184 offset0:6 offset1:7
	v_sub_nc_u16 v1, v51, v1
	v_and_b32_e32 v20, 0x4040404, v20
	s_waitcnt lgkmcnt(3)
	v_ashrrev_i32_e32 v69, s17, v36
	v_add_nc_u32_e32 v36, 0x4218, v181
	s_add_i32 s15, s15, 2
	v_lshlrev_b16 v1, 8, v1
	v_lshrrev_b32_e32 v51, 24, v20
	v_lshrrev_b32_e32 v52, 16, v20
	v_sub_nc_u16 v197, v0, v20
	v_lshlrev_b32_e32 v69, 2, v69
	s_delay_alu instid0(VALU_DEP_4) | instskip(SKIP_1) | instid1(VALU_DEP_3)
	v_sub_nc_u16 v23, v23, v51
	v_lshrrev_b32_e32 v51, 16, v0
	v_and_b32_e32 v69, 0x4040404, v69
	s_delay_alu instid0(VALU_DEP_2)
	v_sub_nc_u16 v196, v51, v52
	v_lshrrev_b16 v51, 8, v0
	v_lshrrev_b16 v0, 8, v20
	v_lshlrev_b32_e32 v20, 2, v24
	v_bfe_u32 v24, v8, 24, 2
	v_and_b32_e32 v8, 0x3030303, v8
	s_waitcnt lgkmcnt(2)
	v_ashrrev_i32_e32 v2, s17, v2
	v_sub_nc_u16 v0, v51, v0
	v_and_b32_e32 v20, 0x4040404, v20
	v_ashrrev_i32_e32 v3, s17, v3
	s_waitcnt lgkmcnt(1)
	v_ashrrev_i32_e32 v6, s17, v6
	v_lshlrev_b32_e32 v2, 2, v2
	v_ashrrev_i32_e32 v7, s17, v7
	v_lshrrev_b32_e32 v51, 24, v20
	v_lshrrev_b32_e32 v52, 16, v20
	v_sub_nc_u16 v211, v8, v20
	v_and_b32_e32 v2, 0x4040404, v2
	v_lshlrev_b32_e32 v3, 2, v3
	v_sub_nc_u16 v24, v24, v51
	v_lshrrev_b32_e32 v51, 16, v8
	v_lshlrev_b32_e32 v6, 2, v6
	v_lshlrev_b32_e32 v7, 2, v7
	v_and_b32_e32 v3, 0x4040404, v3
	v_lshlrev_b16 v0, 8, v0
	v_sub_nc_u16 v210, v51, v52
	v_lshrrev_b16 v51, 8, v8
	v_lshrrev_b16 v8, 8, v20
	v_lshlrev_b32_e32 v20, 2, v25
	v_bfe_u32 v25, v9, 24, 2
	v_and_b32_e32 v9, 0x3030303, v9
	v_and_b32_e32 v6, 0x4040404, v6
	v_sub_nc_u16 v8, v51, v8
	v_and_b32_e32 v20, 0x4040404, v20
	v_and_b32_e32 v7, 0x4040404, v7
	v_lshrrev_b32_e32 v126, 24, v69
	v_lshrrev_b32_e32 v127, 16, v69
	s_delay_alu instid0(VALU_DEP_4) | instskip(SKIP_2) | instid1(VALU_DEP_3)
	v_lshrrev_b32_e32 v51, 24, v20
	v_lshrrev_b32_e32 v52, 16, v20
	v_sub_nc_u16 v213, v9, v20
	v_sub_nc_u16 v25, v25, v51
	v_lshrrev_b32_e32 v51, 16, v9
	s_delay_alu instid0(VALU_DEP_1)
	v_sub_nc_u16 v212, v51, v52
	v_lshrrev_b16 v51, 8, v9
	v_lshrrev_b16 v9, 8, v20
	v_lshlrev_b32_e32 v20, 2, v26
	v_bfe_u32 v26, v10, 24, 2
	v_and_b32_e32 v10, 0x3030303, v10
	s_delay_alu instid0(VALU_DEP_4) | instskip(NEXT) | instid1(VALU_DEP_4)
	v_sub_nc_u16 v9, v51, v9
	v_and_b32_e32 v20, 0x4040404, v20
	s_delay_alu instid0(VALU_DEP_1) | instskip(SKIP_2) | instid1(VALU_DEP_3)
	v_lshrrev_b32_e32 v51, 24, v20
	v_lshrrev_b32_e32 v52, 16, v20
	v_sub_nc_u16 v207, v10, v20
	v_sub_nc_u16 v26, v26, v51
	v_lshrrev_b32_e32 v51, 16, v10
	s_delay_alu instid0(VALU_DEP_1)
	v_sub_nc_u16 v206, v51, v52
	v_lshrrev_b16 v51, 8, v10
	v_lshrrev_b16 v10, 8, v20
	v_lshlrev_b32_e32 v20, 2, v27
	v_bfe_u32 v27, v11, 24, 2
	v_and_b32_e32 v11, 0x3030303, v11
	s_delay_alu instid0(VALU_DEP_4) | instskip(NEXT) | instid1(VALU_DEP_4)
	v_sub_nc_u16 v10, v51, v10
	v_and_b32_e32 v20, 0x4040404, v20
	s_delay_alu instid0(VALU_DEP_1) | instskip(SKIP_2) | instid1(VALU_DEP_3)
	;; [unrolled: 16-line block ×6, first 2 shown]
	v_lshrrev_b32_e32 v51, 24, v20
	v_lshrrev_b32_e32 v52, 16, v20
	v_sub_nc_u16 v209, v15, v20
	v_sub_nc_u16 v49, v49, v51
	v_lshrrev_b32_e32 v51, 16, v15
	s_delay_alu instid0(VALU_DEP_1)
	v_sub_nc_u16 v208, v51, v52
	v_lshrrev_b16 v51, 8, v15
	v_lshrrev_b16 v15, 8, v20
	v_bfe_u32 v20, v16, 24, 2
	v_and_b32_e32 v16, 0x3030303, v16
	v_lshrrev_b32_e32 v52, 16, v2
	s_delay_alu instid0(VALU_DEP_4) | instskip(SKIP_1) | instid1(VALU_DEP_4)
	v_sub_nc_u16 v15, v51, v15
	v_lshrrev_b32_e32 v51, 24, v2
	v_sub_nc_u16 v228, v16, v2
	v_lshrrev_b16 v2, 8, v2
	s_delay_alu instid0(VALU_DEP_3) | instskip(SKIP_1) | instid1(VALU_DEP_1)
	v_sub_nc_u16 v20, v20, v51
	v_lshrrev_b32_e32 v51, 16, v16
	v_sub_nc_u16 v226, v51, v52
	v_lshrrev_b16 v51, 8, v16
	v_bfe_u32 v16, v17, 24, 2
	v_and_b32_e32 v17, 0x3030303, v17
	v_lshrrev_b32_e32 v52, 16, v3
	s_delay_alu instid0(VALU_DEP_4) | instskip(SKIP_1) | instid1(VALU_DEP_4)
	v_sub_nc_u16 v2, v51, v2
	v_lshrrev_b32_e32 v51, 24, v3
	v_sub_nc_u16 v233, v17, v3
	v_lshrrev_b16 v3, 8, v3
	s_delay_alu instid0(VALU_DEP_3) | instskip(SKIP_1) | instid1(VALU_DEP_1)
	v_sub_nc_u16 v16, v16, v51
	v_lshrrev_b32_e32 v51, 16, v17
	v_sub_nc_u16 v232, v51, v52
	;; [unrolled: 13-line block ×4, first 2 shown]
	v_lshrrev_b16 v51, 8, v19
	v_lshlrev_b16 v19, 8, v50
	v_and_b32_e32 v50, 0xff, v202
	s_delay_alu instid0(VALU_DEP_3) | instskip(NEXT) | instid1(VALU_DEP_2)
	v_sub_nc_u16 v7, v51, v7
	v_or_b32_e32 v245, v50, v19
	v_and_b32_e32 v19, 0xff, v203
	s_delay_alu instid0(VALU_DEP_1) | instskip(SKIP_2) | instid1(VALU_DEP_1)
	v_or_b32_e32 v247, v19, v5
	v_lshlrev_b16 v5, 8, v21
	v_and_b32_e32 v19, 0xff, v204
	v_or_b32_e32 v248, v19, v5
	v_and_b32_e32 v5, 0xff, v205
	s_delay_alu instid0(VALU_DEP_1) | instskip(SKIP_2) | instid1(VALU_DEP_1)
	v_or_b32_e32 v251, v5, v4
	v_lshlrev_b16 v4, 8, v22
	v_and_b32_e32 v5, 0xff, v198
	v_or_b32_e32 v19, v5, v4
	v_and_b32_e32 v4, 0xff, v199
	s_delay_alu instid0(VALU_DEP_1)
	v_or_b32_e32 v21, v4, v1
	v_lshlrev_b16 v1, 8, v23
	v_and_b32_e32 v4, 0xff, v196
	scratch_store_b32 off, v21, off offset:104 ; 4-byte Folded Spill
	v_or_b32_e32 v4, v4, v1
	v_and_b32_e32 v1, 0xff, v197
	s_delay_alu instid0(VALU_DEP_1)
	v_or_b32_e32 v5, v1, v0
	v_lshlrev_b16 v0, 8, v24
	v_and_b32_e32 v1, 0xff, v210
	scratch_store_b32 off, v4, off offset:76 ; 4-byte Folded Spill
	v_or_b32_e32 v231, v1, v0
	v_lshlrev_b16 v0, 8, v8
	v_and_b32_e32 v1, 0xff, v211
	s_delay_alu instid0(VALU_DEP_1) | instskip(SKIP_2) | instid1(VALU_DEP_1)
	v_or_b32_e32 v225, v1, v0
	v_lshlrev_b16 v0, 8, v25
	v_and_b32_e32 v1, 0xff, v212
	v_or_b32_e32 v224, v1, v0
	v_lshlrev_b16 v0, 8, v9
	v_and_b32_e32 v1, 0xff, v213
	s_delay_alu instid0(VALU_DEP_1) | instskip(SKIP_2) | instid1(VALU_DEP_1)
	v_or_b32_e32 v136, v1, v0
	v_lshlrev_b16 v0, 8, v26
	v_and_b32_e32 v1, 0xff, v206
	v_or_b32_e32 v22, v1, v0
	v_lshlrev_b16 v0, 8, v10
	v_and_b32_e32 v1, 0xff, v207
	s_delay_alu instid0(VALU_DEP_1)
	v_or_b32_e32 v23, v1, v0
	v_lshlrev_b16 v0, 8, v27
	v_and_b32_e32 v1, 0xff, v200
	s_clause 0x1
	scratch_store_b32 off, v22, off offset:108
	scratch_store_b32 off, v23, off offset:112
	v_or_b32_e32 v8, v1, v0
	v_lshlrev_b16 v0, 8, v11
	v_and_b32_e32 v1, 0xff, v201
	scratch_store_b32 off, v5, off offset:80 ; 4-byte Folded Spill
	v_or_b32_e32 v9, v1, v0
	scratch_store_b32 off, v8, off offset:84 ; 4-byte Folded Spill
	v_lshlrev_b16 v0, 8, v28
	v_and_b32_e32 v1, 0xff, v218
	s_delay_alu instid0(VALU_DEP_1) | instskip(SKIP_2) | instid1(VALU_DEP_1)
	v_or_b32_e32 v97, v1, v0
	v_lshlrev_b16 v0, 8, v12
	v_and_b32_e32 v1, 0xff, v219
	v_or_b32_e32 v100, v1, v0
	v_lshlrev_b16 v0, 8, v29
	v_and_b32_e32 v1, 0xff, v220
	s_delay_alu instid0(VALU_DEP_1) | instskip(SKIP_2) | instid1(VALU_DEP_1)
	v_or_b32_e32 v84, v1, v0
	v_lshlrev_b16 v0, 8, v13
	v_and_b32_e32 v1, 0xff, v221
	v_or_b32_e32 v62, v1, v0
	;; [unrolled: 7-line block ×3, first 2 shown]
	v_lshlrev_b16 v0, 8, v49
	v_and_b32_e32 v1, 0xff, v208
	s_delay_alu instid0(VALU_DEP_1)
	v_or_b32_e32 v10, v1, v0
	v_lshlrev_b16 v0, 8, v15
	v_and_b32_e32 v1, 0xff, v209
	scratch_store_b32 off, v9, off offset:88 ; 4-byte Folded Spill
	v_or_b32_e32 v11, v1, v0
	scratch_store_b32 off, v10, off offset:92 ; 4-byte Folded Spill
	v_lshlrev_b16 v0, 8, v20
	v_and_b32_e32 v1, 0xff, v226
	s_clause 0x1
	scratch_store_b32 off, v19, off offset:100
	scratch_store_b32 off, v11, off offset:96
	v_or_b32_e32 v91, v1, v0
	v_lshlrev_b16 v0, 8, v2
	v_and_b32_e32 v1, 0xff, v228
	s_delay_alu instid0(VALU_DEP_1) | instskip(SKIP_2) | instid1(VALU_DEP_1)
	v_or_b32_e32 v89, v1, v0
	v_lshlrev_b16 v0, 8, v16
	v_and_b32_e32 v1, 0xff, v232
	v_or_b32_e32 v112, v1, v0
	v_lshlrev_b16 v0, 8, v3
	v_and_b32_e32 v1, 0xff, v233
	s_delay_alu instid0(VALU_DEP_1) | instskip(SKIP_2) | instid1(VALU_DEP_1)
	v_or_b32_e32 v120, v1, v0
	v_lshlrev_b16 v0, 8, v17
	v_and_b32_e32 v1, 0xff, v222
	;; [unrolled: 7-line block ×3, first 2 shown]
	v_or_b32_e32 v240, v1, v0
	v_lshlrev_b16 v0, 8, v7
	v_and_b32_e32 v1, 0xff, v217
	s_delay_alu instid0(VALU_DEP_1) | instskip(SKIP_2) | instid1(VALU_DEP_1)
	v_or_b32_e32 v243, v1, v0
	v_perm_b32 v0, v247, v203, 0xc0c0500
	v_perm_b32 v1, v245, v202, 0x5000c0c
	v_or_b32_e32 v28, v1, v0
	v_perm_b32 v0, v251, v205, 0xc0c0500
	v_perm_b32 v1, v248, v204, 0x5000c0c
	s_delay_alu instid0(VALU_DEP_1) | instskip(SKIP_2) | instid1(VALU_DEP_1)
	v_or_b32_e32 v29, v1, v0
	v_perm_b32 v0, v21, v199, 0xc0c0500
	v_perm_b32 v1, v19, v198, 0x5000c0c
	v_or_b32_e32 v30, v1, v0
	v_perm_b32 v0, v5, v197, 0xc0c0500
	v_perm_b32 v1, v4, v196, 0x5000c0c
	;; [unrolled: 7-line block ×5, first 2 shown]
	v_perm_b32 v62, v220, v62, 0xc0c0401
	v_perm_b32 v84, v221, v84, 0x4010c0c
	s_delay_alu instid0(VALU_DEP_3) | instskip(SKIP_2) | instid1(VALU_DEP_1)
	v_or_b32_e32 v55, v1, v0
	v_perm_b32 v0, v244, v215, 0xc0c0500
	v_perm_b32 v1, v242, v214, 0x5000c0c
	v_or_b32_e32 v56, v1, v0
	v_perm_b32 v0, v11, v209, 0xc0c0500
	v_perm_b32 v1, v10, v208, 0x5000c0c
	s_delay_alu instid0(VALU_DEP_1) | instskip(SKIP_4) | instid1(VALU_DEP_3)
	v_or_b32_e32 v57, v1, v0
	v_perm_b32 v0, v89, v228, 0xc0c0500
	v_perm_b32 v1, v91, v226, 0x5000c0c
	;; [unrolled: 1-line block ×4, first 2 shown]
	v_or_b32_e32 v58, v1, v0
	v_perm_b32 v0, v120, v233, 0xc0c0500
	v_perm_b32 v1, v112, v232, 0x5000c0c
	s_delay_alu instid0(VALU_DEP_1) | instskip(SKIP_2) | instid1(VALU_DEP_1)
	v_or_b32_e32 v59, v1, v0
	v_perm_b32 v0, v253, v223, 0xc0c0500
	v_perm_b32 v1, v252, v222, 0x5000c0c
	v_or_b32_e32 v60, v1, v0
	v_perm_b32 v0, v243, v217, 0xc0c0500
	v_perm_b32 v1, v240, v216, 0x5000c0c
	s_delay_alu instid0(VALU_DEP_1)
	v_or_b32_e32 v61, v1, v0
	ds_load_b128 v[4:7], v192 offset:1024
	ds_load_b128 v[0:3], v192 offset:1040
	s_waitcnt lgkmcnt(1)
	v_dot4_i32_iu8 v8, v4, v28, 0 neg_lo:[1,1,0]
	v_dot4_i32_iu8 v9, v4, v50, 0 neg_lo:[1,1,0]
	v_dot4_i32_iu8 v10, v4, v54, 0 neg_lo:[1,1,0]
	v_dot4_i32_iu8 v4, v4, v58, 0 neg_lo:[1,1,0]
	s_delay_alu instid0(VALU_DEP_4) | instskip(NEXT) | instid1(VALU_DEP_4)
	v_dot4_i32_iu8 v8, v5, v29, v8 neg_lo:[1,1,0]
	v_dot4_i32_iu8 v9, v5, v51, v9 neg_lo:[1,1,0]
	s_delay_alu instid0(VALU_DEP_4) | instskip(NEXT) | instid1(VALU_DEP_4)
	v_dot4_i32_iu8 v10, v5, v55, v10 neg_lo:[1,1,0]
	v_dot4_i32_iu8 v4, v5, v59, v4 neg_lo:[1,1,0]
	s_delay_alu instid0(VALU_DEP_4) | instskip(NEXT) | instid1(VALU_DEP_4)
	v_dot4_i32_iu8 v5, v6, v30, v8 neg_lo:[1,1,0]
	v_dot4_i32_iu8 v8, v6, v52, v9 neg_lo:[1,1,0]
	s_delay_alu instid0(VALU_DEP_4) | instskip(NEXT) | instid1(VALU_DEP_4)
	v_dot4_i32_iu8 v9, v6, v56, v10 neg_lo:[1,1,0]
	v_dot4_i32_iu8 v4, v6, v60, v4 neg_lo:[1,1,0]
	s_delay_alu instid0(VALU_DEP_4) | instskip(NEXT) | instid1(VALU_DEP_4)
	v_dot4_i32_iu8 v73, v7, v49, v5 neg_lo:[1,1,0]
	v_dot4_i32_iu8 v250, v7, v53, v8 neg_lo:[1,1,0]
	s_delay_alu instid0(VALU_DEP_4) | instskip(NEXT) | instid1(VALU_DEP_4)
	v_dot4_i32_iu8 v241, v7, v57, v9 neg_lo:[1,1,0]
	v_dot4_i32_iu8 v237, v7, v61, v4 neg_lo:[1,1,0]
	ds_load_b128 v[8:11], v192 offset:2048
	ds_load_b128 v[4:7], v192 offset:2064
	s_waitcnt lgkmcnt(1)
	v_dot4_i32_iu8 v12, v8, v28, 0 neg_lo:[1,1,0]
	v_dot4_i32_iu8 v13, v8, v50, 0 neg_lo:[1,1,0]
	v_dot4_i32_iu8 v14, v8, v54, 0 neg_lo:[1,1,0]
	v_dot4_i32_iu8 v8, v8, v58, 0 neg_lo:[1,1,0]
	s_delay_alu instid0(VALU_DEP_4) | instskip(NEXT) | instid1(VALU_DEP_4)
	v_dot4_i32_iu8 v12, v9, v29, v12 neg_lo:[1,1,0]
	v_dot4_i32_iu8 v13, v9, v51, v13 neg_lo:[1,1,0]
	s_delay_alu instid0(VALU_DEP_4) | instskip(NEXT) | instid1(VALU_DEP_4)
	v_dot4_i32_iu8 v14, v9, v55, v14 neg_lo:[1,1,0]
	v_dot4_i32_iu8 v8, v9, v59, v8 neg_lo:[1,1,0]
	s_delay_alu instid0(VALU_DEP_4) | instskip(NEXT) | instid1(VALU_DEP_4)
	v_dot4_i32_iu8 v9, v10, v30, v12 neg_lo:[1,1,0]
	v_dot4_i32_iu8 v12, v10, v52, v13 neg_lo:[1,1,0]
	s_delay_alu instid0(VALU_DEP_4) | instskip(NEXT) | instid1(VALU_DEP_4)
	v_dot4_i32_iu8 v13, v10, v56, v14 neg_lo:[1,1,0]
	v_dot4_i32_iu8 v8, v10, v60, v8 neg_lo:[1,1,0]
	s_delay_alu instid0(VALU_DEP_4) | instskip(NEXT) | instid1(VALU_DEP_4)
	v_dot4_i32_iu8 v98, v11, v49, v9 neg_lo:[1,1,0]
	v_dot4_i32_iu8 v77, v11, v53, v12 neg_lo:[1,1,0]
	s_delay_alu instid0(VALU_DEP_4) | instskip(NEXT) | instid1(VALU_DEP_4)
	v_dot4_i32_iu8 v249, v11, v57, v13 neg_lo:[1,1,0]
	v_dot4_i32_iu8 v239, v11, v61, v8 neg_lo:[1,1,0]
	;; [unrolled: 25-line block ×5, first 2 shown]
	ds_load_b128 v[24:27], v192 offset:6144
	ds_load_b128 v[20:23], v192 offset:6160
	s_waitcnt lgkmcnt(1)
	v_dot4_i32_iu8 v63, v24, v28, 0 neg_lo:[1,1,0]
	v_dot4_i32_iu8 v64, v24, v50, 0 neg_lo:[1,1,0]
	;; [unrolled: 1-line block ×4, first 2 shown]
	s_delay_alu instid0(VALU_DEP_4) | instskip(NEXT) | instid1(VALU_DEP_4)
	v_dot4_i32_iu8 v63, v25, v29, v63 neg_lo:[1,1,0]
	v_dot4_i32_iu8 v64, v25, v51, v64 neg_lo:[1,1,0]
	s_delay_alu instid0(VALU_DEP_4) | instskip(NEXT) | instid1(VALU_DEP_4)
	v_dot4_i32_iu8 v65, v25, v55, v65 neg_lo:[1,1,0]
	v_dot4_i32_iu8 v24, v25, v59, v24 neg_lo:[1,1,0]
	;; [unrolled: 3-line block ×4, first 2 shown]
	v_ashrrev_i32_e32 v65, s17, v38
	v_dot4_i32_iu8 v179, v27, v49, v25 neg_lo:[1,1,0]
	v_dot4_i32_iu8 v74, v27, v53, v63 neg_lo:[1,1,0]
	;; [unrolled: 1-line block ×4, first 2 shown]
	ds_load_b128 v[185:188], v192 offset:7168
	ds_load_b128 v[24:27], v192 offset:7184
	v_ashrrev_i32_e32 v64, s17, v37
	v_lshlrev_b32_e32 v65, 2, v65
	s_delay_alu instid0(VALU_DEP_1) | instskip(NEXT) | instid1(VALU_DEP_1)
	v_and_b32_e32 v65, 0x4040404, v65
	v_lshrrev_b32_e32 v119, 24, v65
	v_lshrrev_b32_e32 v122, 16, v65
	s_waitcnt lgkmcnt(1)
	v_dot4_i32_iu8 v28, v185, v28, 0 neg_lo:[1,1,0]
	s_delay_alu instid0(VALU_DEP_1) | instskip(SKIP_3) | instid1(VALU_DEP_4)
	v_dot4_i32_iu8 v28, v186, v29, v28 neg_lo:[1,1,0]
	v_dot4_i32_iu8 v29, v185, v50, 0 neg_lo:[1,1,0]
	;; [unrolled: 1-line block ×3, first 2 shown]
	v_ashrrev_i32_e32 v54, s16, v39
	v_dot4_i32_iu8 v28, v187, v30, v28 neg_lo:[1,1,0]
	s_delay_alu instid0(VALU_DEP_4)
	v_dot4_i32_iu8 v29, v186, v51, v29 neg_lo:[1,1,0]
	v_dot4_i32_iu8 v51, v185, v58, 0 neg_lo:[1,1,0]
	;; [unrolled: 1-line block ×3, first 2 shown]
	v_ashrrev_i32_e32 v55, s16, v40
	v_dot4_i32_iu8 v180, v188, v49, v28 neg_lo:[1,1,0]
	v_dot4_i32_iu8 v29, v187, v52, v29 neg_lo:[1,1,0]
	v_ashrrev_i32_e32 v28, s16, v31
	v_dot4_i32_iu8 v51, v186, v59, v51 neg_lo:[1,1,0]
	v_dot4_i32_iu8 v30, v187, v56, v50 neg_lo:[1,1,0]
	v_ashrrev_i32_e32 v49, s16, v34
	v_dot4_i32_iu8 v236, v188, v53, v29 neg_lo:[1,1,0]
	v_ashrrev_i32_e32 v29, s16, v32
	ds_load_2addr_b32 v[31:32], v183 offset0:4 offset1:5
	v_dot4_i32_iu8 v50, v187, v60, v51 neg_lo:[1,1,0]
	v_dot4_i32_iu8 v138, v188, v57, v30 neg_lo:[1,1,0]
	v_ashrrev_i32_e32 v30, s16, v33
	v_add_nc_u32_e32 v33, s16, v66
	v_add_nc_u32_e32 v34, 0x4218, v182
	v_dot4_i32_iu8 v116, v188, v61, v50 neg_lo:[1,1,0]
	v_ashrrev_i32_e32 v52, s16, v41
	v_ashrrev_i32_e32 v53, s16, v42
	;; [unrolled: 1-line block ×6, first 2 shown]
	s_delay_alu instid0(VALU_DEP_4) | instskip(NEXT) | instid1(VALU_DEP_1)
	v_lshlrev_b32_e32 v66, 2, v66
	v_and_b32_e32 v66, 0x4040404, v66
	s_waitcnt lgkmcnt(0)
	v_ashrrev_i32_e32 v50, s16, v31
	v_ashrrev_i32_e32 v51, s16, v32
	ds_load_2addr_b32 v[31:32], v184 offset0:4 offset1:5
	v_lshrrev_b32_e32 v124, 24, v66
	v_lshrrev_b32_e32 v125, 16, v66
	s_waitcnt lgkmcnt(0)
	v_ashrrev_i32_e32 v56, s16, v31
	scratch_load_b32 v31, off, off offset:140 ; 4-byte Folded Reload
	v_ashrrev_i32_e32 v57, s16, v32
	v_add_nc_u32_e32 v32, 0x4210, v182
	s_add_i32 s16, s16, 2
	s_waitcnt vmcnt(0)
	v_add3_u32 v31, v31, s19, v33
	ds_load_u16 v31, v31
	ds_load_2addr_b32 v[39:40], v32 offset1:1
	ds_load_2addr_b32 v[41:42], v34 offset1:1
	scratch_load_b32 v32, off, off offset:132 ; 4-byte Folded Reload
	v_add_nc_u32_e32 v34, 0x4210, v181
	s_waitcnt lgkmcnt(1)
	v_ashrrev_i32_e32 v61, s17, v39
	s_waitcnt lgkmcnt(0)
	v_ashrrev_i32_e32 v63, s17, v42
	v_ashrrev_i32_e32 v40, s17, v40
	;; [unrolled: 1-line block ×3, first 2 shown]
	s_delay_alu instid0(VALU_DEP_2) | instskip(NEXT) | instid1(VALU_DEP_1)
	v_lshlrev_b32_e32 v40, 2, v40
	v_and_b32_e32 v40, 0x4040404, v40
	s_waitcnt vmcnt(0)
	v_add3_u32 v32, v32, s19, v33
	ds_load_u16 v32, v32
	ds_load_2addr_b32 v[34:35], v34 offset1:1
	ds_load_2addr_b32 v[36:37], v36 offset1:1
	s_waitcnt lgkmcnt(1)
	v_ashrrev_i32_e32 v81, s17, v34
	v_lshlrev_b32_e32 v34, 2, v45
	v_ashrrev_i32_e32 v82, s17, v35
	s_waitcnt lgkmcnt(0)
	v_ashrrev_i32_e32 v83, s17, v36
	v_bfe_u32 v35, v28, 24, 2
	v_and_b32_e32 v28, 0x3030303, v28
	v_and_b32_e32 v34, 0x4040404, v34
	v_ashrrev_i32_e32 v85, s17, v37
	v_lshlrev_b32_e32 v81, 2, v81
	v_lshlrev_b32_e32 v82, 2, v82
	;; [unrolled: 1-line block ×3, first 2 shown]
	v_lshrrev_b32_e32 v36, 24, v34
	v_sub_nc_u16 v39, v28, v34
	v_and_b32_e32 v81, 0x4040404, v81
	v_and_b32_e32 v82, 0x4040404, v82
	;; [unrolled: 1-line block ×3, first 2 shown]
	v_sub_nc_u16 v86, v35, v36
	v_lshrrev_b32_e32 v35, 16, v28
	v_lshrrev_b32_e32 v36, 16, v34
	;; [unrolled: 1-line block ×6, first 2 shown]
	v_sub_nc_u16 v38, v35, v36
	v_lshrrev_b16 v35, 8, v28
	v_lshrrev_b16 v28, 8, v34
	v_lshlrev_b32_e32 v34, 2, v46
	v_lshrrev_b32_e32 v137, 24, v83
	v_lshrrev_b32_e32 v139, 16, v83
	v_lshlrev_b32_e32 v85, 2, v85
	v_sub_nc_u16 v28, v35, v28
	v_and_b32_e32 v34, 0x4040404, v34
	v_bfe_u32 v35, v29, 24, 2
	v_and_b32_e32 v29, 0x3030303, v29
	v_and_b32_e32 v85, 0x4040404, v85
	v_lshlrev_b16 v86, 8, v86
	v_lshrrev_b32_e32 v36, 24, v34
	v_lshlrev_b16 v28, 8, v28
	v_sub_nc_u16 v43, v29, v34
	v_lshrrev_b32_e32 v140, 24, v85
	v_lshrrev_b32_e32 v141, 16, v85
	v_sub_nc_u16 v46, v35, v36
	v_lshrrev_b32_e32 v35, 16, v29
	v_lshrrev_b32_e32 v36, 16, v34
	s_add_i32 s17, s17, 1
	s_delay_alu instid0(VALU_DEP_3) | instskip(NEXT) | instid1(VALU_DEP_2)
	v_lshlrev_b16 v46, 8, v46
	v_sub_nc_u16 v42, v35, v36
	v_lshrrev_b16 v35, 8, v29
	v_lshrrev_b16 v29, 8, v34
	v_lshlrev_b32_e32 v34, 2, v60
	s_delay_alu instid0(VALU_DEP_2) | instskip(NEXT) | instid1(VALU_DEP_2)
	v_sub_nc_u16 v29, v35, v29
	v_and_b32_e32 v34, 0x4040404, v34
	v_bfe_u32 v35, v30, 24, 2
	v_and_b32_e32 v30, 0x3030303, v30
	s_delay_alu instid0(VALU_DEP_4) | instskip(NEXT) | instid1(VALU_DEP_4)
	v_lshlrev_b16 v29, 8, v29
	v_lshrrev_b32_e32 v36, 24, v34
	s_delay_alu instid0(VALU_DEP_3) | instskip(NEXT) | instid1(VALU_DEP_2)
	v_sub_nc_u16 v37, v30, v34
	v_sub_nc_u16 v60, v35, v36
	v_lshrrev_b32_e32 v35, 16, v30
	v_lshrrev_b32_e32 v36, 16, v34
	s_delay_alu instid0(VALU_DEP_3) | instskip(NEXT) | instid1(VALU_DEP_2)
	v_lshlrev_b16 v60, 8, v60
	v_sub_nc_u16 v36, v35, v36
	v_lshrrev_b16 v35, 8, v30
	v_lshrrev_b16 v30, 8, v34
	v_lshlrev_b32_e32 v34, 2, v44
	s_delay_alu instid0(VALU_DEP_2) | instskip(NEXT) | instid1(VALU_DEP_2)
	v_sub_nc_u16 v30, v35, v30
	v_and_b32_e32 v44, 0x4040404, v34
	v_bfe_u32 v34, v49, 24, 2
	s_delay_alu instid0(VALU_DEP_3) | instskip(NEXT) | instid1(VALU_DEP_3)
	v_lshlrev_b16 v30, 8, v30
	v_lshrrev_b32_e32 v35, 24, v44
	v_lshrrev_b32_e32 v45, 16, v44
	s_delay_alu instid0(VALU_DEP_2) | instskip(SKIP_1) | instid1(VALU_DEP_2)
	v_sub_nc_u16 v88, v34, v35
	v_and_b32_e32 v35, 0x3030303, v49
	v_lshlrev_b16 v88, 8, v88
	s_delay_alu instid0(VALU_DEP_2) | instskip(NEXT) | instid1(VALU_DEP_1)
	v_lshrrev_b32_e32 v34, 16, v35
	v_sub_nc_u16 v34, v34, v45
	v_lshrrev_b16 v45, 8, v35
	v_sub_nc_u16 v35, v35, v44
	v_lshrrev_b16 v44, 8, v44
	s_delay_alu instid0(VALU_DEP_1) | instskip(SKIP_2) | instid1(VALU_DEP_3)
	v_sub_nc_u16 v49, v45, v44
	v_lshlrev_b32_e32 v44, 2, v61
	v_bfe_u32 v45, v50, 24, 2
	v_lshlrev_b16 v49, 8, v49
	s_delay_alu instid0(VALU_DEP_3) | instskip(NEXT) | instid1(VALU_DEP_1)
	v_and_b32_e32 v44, 0x4040404, v44
	v_lshrrev_b32_e32 v61, 24, v44
	v_lshrrev_b32_e32 v93, 16, v44
	s_delay_alu instid0(VALU_DEP_2) | instskip(SKIP_1) | instid1(VALU_DEP_2)
	v_sub_nc_u16 v61, v45, v61
	v_and_b32_e32 v45, 0x3030303, v50
	v_lshlrev_b16 v61, 8, v61
	s_delay_alu instid0(VALU_DEP_2) | instskip(SKIP_2) | instid1(VALU_DEP_3)
	v_lshrrev_b32_e32 v50, 16, v45
	v_sub_nc_u16 v99, v45, v44
	v_lshrrev_b16 v44, 8, v44
	v_sub_nc_u16 v50, v50, v93
	v_lshrrev_b16 v93, 8, v45
	v_lshrrev_b32_e32 v45, 24, v40
	s_delay_alu instid0(VALU_DEP_2) | instskip(SKIP_1) | instid1(VALU_DEP_2)
	v_sub_nc_u16 v93, v93, v44
	v_bfe_u32 v44, v51, 24, 2
	v_lshlrev_b16 v93, 8, v93
	s_delay_alu instid0(VALU_DEP_2) | instskip(SKIP_2) | instid1(VALU_DEP_3)
	v_sub_nc_u16 v104, v44, v45
	v_and_b32_e32 v44, 0x3030303, v51
	v_lshrrev_b32_e32 v51, 16, v40
	v_lshlrev_b16 v104, 8, v104
	s_delay_alu instid0(VALU_DEP_3) | instskip(SKIP_2) | instid1(VALU_DEP_3)
	v_lshrrev_b32_e32 v45, 16, v44
	v_sub_nc_u16 v109, v44, v40
	v_lshrrev_b16 v40, 8, v40
	v_sub_nc_u16 v51, v45, v51
	v_lshrrev_b16 v45, 8, v44
	s_delay_alu instid0(VALU_DEP_1) | instskip(SKIP_2) | instid1(VALU_DEP_3)
	v_sub_nc_u16 v111, v45, v40
	v_lshlrev_b32_e32 v40, 2, v41
	v_bfe_u32 v41, v47, 24, 2
	v_lshlrev_b16 v111, 8, v111
	s_delay_alu instid0(VALU_DEP_3) | instskip(NEXT) | instid1(VALU_DEP_1)
	v_and_b32_e32 v40, 0x4040404, v40
	v_lshrrev_b32_e32 v44, 24, v40
	v_lshrrev_b32_e32 v45, 16, v40
	s_delay_alu instid0(VALU_DEP_2) | instskip(SKIP_1) | instid1(VALU_DEP_2)
	v_sub_nc_u16 v113, v41, v44
	v_and_b32_e32 v41, 0x3030303, v47
	v_lshlrev_b16 v113, 8, v113
	s_delay_alu instid0(VALU_DEP_2) | instskip(SKIP_1) | instid1(VALU_DEP_2)
	v_lshrrev_b32_e32 v44, 16, v41
	v_lshrrev_b16 v47, 8, v41
	v_sub_nc_u16 v44, v44, v45
	v_sub_nc_u16 v45, v41, v40
	v_lshrrev_b16 v40, 8, v40
	s_delay_alu instid0(VALU_DEP_1) | instskip(SKIP_1) | instid1(VALU_DEP_2)
	v_sub_nc_u16 v47, v47, v40
	v_lshlrev_b32_e32 v40, 2, v63
	v_lshlrev_b16 v47, 8, v47
	s_delay_alu instid0(VALU_DEP_2) | instskip(SKIP_1) | instid1(VALU_DEP_2)
	v_and_b32_e32 v63, 0x4040404, v40
	v_bfe_u32 v40, v48, 24, 2
	v_lshrrev_b32_e32 v41, 24, v63
	s_delay_alu instid0(VALU_DEP_1) | instskip(SKIP_2) | instid1(VALU_DEP_3)
	v_sub_nc_u16 v115, v40, v41
	v_and_b32_e32 v41, 0x3030303, v48
	v_lshrrev_b32_e32 v48, 16, v63
	v_lshlrev_b16 v115, 8, v115
	s_delay_alu instid0(VALU_DEP_3) | instskip(NEXT) | instid1(VALU_DEP_1)
	v_lshrrev_b32_e32 v40, 16, v41
	v_sub_nc_u16 v40, v40, v48
	v_lshrrev_b16 v48, 8, v41
	v_sub_nc_u16 v41, v41, v63
	v_lshrrev_b16 v63, 8, v63
	s_delay_alu instid0(VALU_DEP_1) | instskip(SKIP_3) | instid1(VALU_DEP_4)
	v_sub_nc_u16 v48, v48, v63
	v_lshlrev_b32_e32 v63, 2, v64
	v_bfe_u32 v64, v52, 24, 2
	v_and_b32_e32 v52, 0x3030303, v52
	v_lshlrev_b16 v48, 8, v48
	s_delay_alu instid0(VALU_DEP_4) | instskip(NEXT) | instid1(VALU_DEP_1)
	v_and_b32_e32 v63, 0x4040404, v63
	v_lshrrev_b32_e32 v117, 24, v63
	v_lshrrev_b32_e32 v118, 16, v63
	s_delay_alu instid0(VALU_DEP_2) | instskip(SKIP_1) | instid1(VALU_DEP_2)
	v_sub_nc_u16 v64, v64, v117
	v_lshrrev_b32_e32 v117, 16, v52
	v_lshlrev_b16 v64, 8, v64
	s_delay_alu instid0(VALU_DEP_2) | instskip(SKIP_3) | instid1(VALU_DEP_1)
	v_sub_nc_u16 v117, v117, v118
	v_lshrrev_b16 v118, 8, v52
	v_sub_nc_u16 v52, v52, v63
	v_lshrrev_b16 v63, 8, v63
	v_sub_nc_u16 v63, v118, v63
	v_bfe_u32 v118, v53, 24, 2
	v_and_b32_e32 v53, 0x3030303, v53
	s_delay_alu instid0(VALU_DEP_3) | instskip(NEXT) | instid1(VALU_DEP_3)
	v_lshlrev_b16 v63, 8, v63
	v_sub_nc_u16 v118, v118, v119
	s_delay_alu instid0(VALU_DEP_3) | instskip(NEXT) | instid1(VALU_DEP_2)
	v_lshrrev_b32_e32 v119, 16, v53
	v_lshlrev_b16 v118, 8, v118
	s_delay_alu instid0(VALU_DEP_2) | instskip(SKIP_3) | instid1(VALU_DEP_1)
	v_sub_nc_u16 v119, v119, v122
	v_lshrrev_b16 v122, 8, v53
	v_sub_nc_u16 v53, v53, v65
	v_lshrrev_b16 v65, 8, v65
	v_sub_nc_u16 v65, v122, v65
	v_bfe_u32 v122, v54, 24, 2
	v_and_b32_e32 v54, 0x3030303, v54
	s_delay_alu instid0(VALU_DEP_3) | instskip(NEXT) | instid1(VALU_DEP_3)
	v_lshlrev_b16 v65, 8, v65
	v_sub_nc_u16 v122, v122, v124
	s_delay_alu instid0(VALU_DEP_3) | instskip(NEXT) | instid1(VALU_DEP_2)
	v_lshrrev_b32_e32 v124, 16, v54
	v_lshlrev_b16 v122, 8, v122
	s_delay_alu instid0(VALU_DEP_2) | instskip(SKIP_3) | instid1(VALU_DEP_1)
	v_sub_nc_u16 v124, v124, v125
	v_lshrrev_b16 v125, 8, v54
	v_sub_nc_u16 v54, v54, v66
	v_lshrrev_b16 v66, 8, v66
	v_sub_nc_u16 v66, v125, v66
	v_bfe_u32 v125, v55, 24, 2
	v_and_b32_e32 v55, 0x3030303, v55
	s_delay_alu instid0(VALU_DEP_3) | instskip(NEXT) | instid1(VALU_DEP_3)
	v_lshlrev_b16 v66, 8, v66
	v_sub_nc_u16 v125, v125, v126
	s_delay_alu instid0(VALU_DEP_3) | instskip(NEXT) | instid1(VALU_DEP_2)
	v_lshrrev_b32_e32 v126, 16, v55
	v_lshlrev_b16 v125, 8, v125
	s_delay_alu instid0(VALU_DEP_2) | instskip(SKIP_3) | instid1(VALU_DEP_1)
	v_sub_nc_u16 v126, v126, v127
	v_lshrrev_b16 v127, 8, v55
	v_sub_nc_u16 v55, v55, v69
	v_lshrrev_b16 v69, 8, v69
	v_sub_nc_u16 v69, v127, v69
	v_bfe_u32 v127, v56, 24, 2
	v_and_b32_e32 v56, 0x3030303, v56
	s_delay_alu instid0(VALU_DEP_3) | instskip(NEXT) | instid1(VALU_DEP_3)
	v_lshlrev_b16 v69, 8, v69
	v_sub_nc_u16 v127, v127, v131
	s_delay_alu instid0(VALU_DEP_3) | instskip(NEXT) | instid1(VALU_DEP_2)
	v_lshrrev_b32_e32 v131, 16, v56
	v_lshlrev_b16 v127, 8, v127
	s_delay_alu instid0(VALU_DEP_2) | instskip(SKIP_3) | instid1(VALU_DEP_1)
	v_sub_nc_u16 v131, v131, v132
	v_lshrrev_b16 v132, 8, v56
	v_sub_nc_u16 v56, v56, v81
	v_lshrrev_b16 v81, 8, v81
	v_sub_nc_u16 v81, v132, v81
	v_bfe_u32 v132, v57, 24, 2
	v_and_b32_e32 v57, 0x3030303, v57
	s_delay_alu instid0(VALU_DEP_3) | instskip(NEXT) | instid1(VALU_DEP_3)
	v_lshlrev_b16 v81, 8, v81
	v_sub_nc_u16 v132, v132, v133
	s_delay_alu instid0(VALU_DEP_3) | instskip(NEXT) | instid1(VALU_DEP_2)
	v_lshrrev_b32_e32 v133, 16, v57
	v_lshlrev_b16 v132, 8, v132
	s_delay_alu instid0(VALU_DEP_2) | instskip(SKIP_3) | instid1(VALU_DEP_1)
	v_sub_nc_u16 v133, v133, v135
	v_lshrrev_b16 v135, 8, v57
	v_sub_nc_u16 v57, v57, v82
	v_lshrrev_b16 v82, 8, v82
	v_sub_nc_u16 v82, v135, v82
	v_bfe_u32 v135, v58, 24, 2
	v_and_b32_e32 v58, 0x3030303, v58
	s_delay_alu instid0(VALU_DEP_3) | instskip(NEXT) | instid1(VALU_DEP_3)
	v_lshlrev_b16 v82, 8, v82
	v_sub_nc_u16 v135, v135, v137
	s_delay_alu instid0(VALU_DEP_3) | instskip(NEXT) | instid1(VALU_DEP_2)
	v_lshrrev_b32_e32 v137, 16, v58
	v_lshlrev_b16 v135, 8, v135
	s_delay_alu instid0(VALU_DEP_2) | instskip(SKIP_3) | instid1(VALU_DEP_1)
	v_sub_nc_u16 v137, v137, v139
	v_lshrrev_b16 v139, 8, v58
	v_sub_nc_u16 v58, v58, v83
	v_lshrrev_b16 v83, 8, v83
	v_sub_nc_u16 v83, v139, v83
	v_bfe_u32 v139, v59, 24, 2
	v_and_b32_e32 v59, 0x3030303, v59
	s_delay_alu instid0(VALU_DEP_3) | instskip(NEXT) | instid1(VALU_DEP_3)
	v_lshlrev_b16 v83, 8, v83
	v_sub_nc_u16 v139, v139, v140
	s_delay_alu instid0(VALU_DEP_3) | instskip(NEXT) | instid1(VALU_DEP_2)
	v_lshrrev_b32_e32 v140, 16, v59
	v_lshlrev_b16 v139, 8, v139
	s_delay_alu instid0(VALU_DEP_2) | instskip(SKIP_3) | instid1(VALU_DEP_1)
	v_sub_nc_u16 v140, v140, v141
	v_lshrrev_b16 v141, 8, v59
	v_sub_nc_u16 v59, v59, v85
	v_lshrrev_b16 v85, 8, v85
	v_sub_nc_u16 v85, v141, v85
	v_and_b32_e32 v141, 0xff, v38
	s_delay_alu instid0(VALU_DEP_2) | instskip(NEXT) | instid1(VALU_DEP_2)
	v_lshlrev_b16 v85, 8, v85
	v_or_b32_e32 v86, v141, v86
	v_and_b32_e32 v141, 0xff, v39
	s_delay_alu instid0(VALU_DEP_2) | instskip(NEXT) | instid1(VALU_DEP_2)
	v_perm_b32 v142, v86, v38, 0x5000c0c
	v_or_b32_e32 v28, v141, v28
	v_and_b32_e32 v141, 0xff, v42
	s_delay_alu instid0(VALU_DEP_1) | instskip(SKIP_1) | instid1(VALU_DEP_2)
	v_or_b32_e32 v46, v141, v46
	v_and_b32_e32 v141, 0xff, v43
	v_perm_b32 v143, v46, v42, 0x5000c0c
	s_delay_alu instid0(VALU_DEP_2) | instskip(SKIP_1) | instid1(VALU_DEP_1)
	v_or_b32_e32 v29, v141, v29
	v_and_b32_e32 v141, 0xff, v36
	v_or_b32_e32 v60, v141, v60
	v_and_b32_e32 v141, 0xff, v37
	s_delay_alu instid0(VALU_DEP_2) | instskip(NEXT) | instid1(VALU_DEP_2)
	v_perm_b32 v144, v60, v36, 0x5000c0c
	v_or_b32_e32 v30, v141, v30
	v_and_b32_e32 v141, 0xff, v34
	s_delay_alu instid0(VALU_DEP_1) | instskip(SKIP_1) | instid1(VALU_DEP_2)
	v_or_b32_e32 v88, v141, v88
	v_and_b32_e32 v141, 0xff, v35
	v_perm_b32 v145, v88, v34, 0x5000c0c
	s_delay_alu instid0(VALU_DEP_2) | instskip(SKIP_1) | instid1(VALU_DEP_1)
	v_or_b32_e32 v49, v141, v49
	v_and_b32_e32 v141, 0xff, v50
	;; [unrolled: 13-line block ×7, first 2 shown]
	v_or_b32_e32 v135, v141, v135
	v_and_b32_e32 v141, 0xff, v58
	s_delay_alu instid0(VALU_DEP_2) | instskip(NEXT) | instid1(VALU_DEP_2)
	v_perm_b32 v156, v135, v137, 0x5000c0c
	v_or_b32_e32 v83, v141, v83
	v_and_b32_e32 v141, 0xff, v140
	s_delay_alu instid0(VALU_DEP_1) | instskip(SKIP_1) | instid1(VALU_DEP_2)
	v_or_b32_e32 v139, v141, v139
	v_and_b32_e32 v141, 0xff, v59
	v_perm_b32 v157, v139, v140, 0x5000c0c
	s_delay_alu instid0(VALU_DEP_2) | instskip(SKIP_1) | instid1(VALU_DEP_1)
	v_or_b32_e32 v85, v141, v85
	v_perm_b32 v141, v28, v39, 0xc0c0500
	v_or_b32_e32 v141, v142, v141
	v_perm_b32 v142, v29, v43, 0xc0c0500
	s_delay_alu instid0(VALU_DEP_1) | instskip(SKIP_1) | instid1(VALU_DEP_1)
	v_or_b32_e32 v142, v143, v142
	v_perm_b32 v143, v30, v37, 0xc0c0500
	v_or_b32_e32 v143, v144, v143
	v_perm_b32 v144, v49, v35, 0xc0c0500
	s_delay_alu instid0(VALU_DEP_1) | instskip(SKIP_1) | instid1(VALU_DEP_1)
	v_or_b32_e32 v144, v145, v144
	v_perm_b32 v145, v93, v99, 0xc0c0500
	v_or_b32_e32 v145, v146, v145
	v_perm_b32 v146, v111, v109, 0xc0c0500
	s_delay_alu instid0(VALU_DEP_2) | instskip(NEXT) | instid1(VALU_DEP_2)
	v_dot4_i32_iu8 v158, v0, v145, 0 neg_lo:[1,1,0]
	v_or_b32_e32 v146, v147, v146
	v_perm_b32 v147, v47, v45, 0xc0c0500
	s_delay_alu instid0(VALU_DEP_2) | instskip(NEXT) | instid1(VALU_DEP_2)
	v_dot4_i32_iu8 v158, v1, v146, v158 neg_lo:[1,1,0]
	v_or_b32_e32 v147, v148, v147
	v_perm_b32 v148, v48, v41, 0xc0c0500
	s_delay_alu instid0(VALU_DEP_1) | instskip(SKIP_1) | instid1(VALU_DEP_1)
	v_or_b32_e32 v148, v149, v148
	v_perm_b32 v149, v63, v52, 0xc0c0500
	v_or_b32_e32 v149, v150, v149
	v_perm_b32 v150, v65, v53, 0xc0c0500
	s_delay_alu instid0(VALU_DEP_2) | instskip(NEXT) | instid1(VALU_DEP_2)
	v_dot4_i32_iu8 v159, v0, v149, 0 neg_lo:[1,1,0]
	v_or_b32_e32 v150, v151, v150
	v_perm_b32 v151, v66, v54, 0xc0c0500
	s_delay_alu instid0(VALU_DEP_2) | instskip(NEXT) | instid1(VALU_DEP_2)
	v_dot4_i32_iu8 v159, v1, v150, v159 neg_lo:[1,1,0]
	v_or_b32_e32 v151, v152, v151
	v_perm_b32 v152, v69, v55, 0xc0c0500
	s_delay_alu instid0(VALU_DEP_1) | instskip(SKIP_1) | instid1(VALU_DEP_1)
	v_or_b32_e32 v152, v153, v152
	v_perm_b32 v153, v81, v56, 0xc0c0500
	v_or_b32_e32 v153, v154, v153
	v_perm_b32 v154, v82, v57, 0xc0c0500
	s_delay_alu instid0(VALU_DEP_1) | instskip(SKIP_1) | instid1(VALU_DEP_1)
	v_or_b32_e32 v154, v155, v154
	v_perm_b32 v155, v83, v58, 0xc0c0500
	v_or_b32_e32 v155, v156, v155
	v_perm_b32 v156, v85, v59, 0xc0c0500
	s_delay_alu instid0(VALU_DEP_1) | instskip(SKIP_2) | instid1(VALU_DEP_2)
	v_or_b32_e32 v156, v157, v156
	v_dot4_i32_iu8 v157, v0, v141, 0 neg_lo:[1,1,0]
	v_dot4_i32_iu8 v0, v0, v153, 0 neg_lo:[1,1,0]
	;; [unrolled: 1-line block ×3, first 2 shown]
	s_delay_alu instid0(VALU_DEP_2) | instskip(NEXT) | instid1(VALU_DEP_2)
	v_dot4_i32_iu8 v0, v1, v154, v0 neg_lo:[1,1,0]
	v_dot4_i32_iu8 v1, v2, v143, v157 neg_lo:[1,1,0]
	;; [unrolled: 1-line block ×4, first 2 shown]
	s_delay_alu instid0(VALU_DEP_4)
	v_dot4_i32_iu8 v0, v2, v155, v0 neg_lo:[1,1,0]
	v_dot4_i32_iu8 v2, v4, v149, 0 neg_lo:[1,1,0]
	v_dot4_i32_iu8 v159, v3, v144, v1 neg_lo:[1,1,0]
	v_dot4_i32_iu8 v157, v3, v148, v157 neg_lo:[1,1,0]
	v_dot4_i32_iu8 v158, v3, v152, v158 neg_lo:[1,1,0]
	v_dot4_i32_iu8 v160, v3, v156, v0 neg_lo:[1,1,0]
	v_dot4_i32_iu8 v0, v4, v141, 0 neg_lo:[1,1,0]
	v_dot4_i32_iu8 v1, v4, v145, 0 neg_lo:[1,1,0]
	v_dot4_i32_iu8 v3, v4, v153, 0 neg_lo:[1,1,0]
	v_dot4_i32_iu8 v2, v5, v150, v2 neg_lo:[1,1,0]
	s_delay_alu instid0(VALU_DEP_4) | instskip(NEXT) | instid1(VALU_DEP_4)
	v_dot4_i32_iu8 v0, v5, v142, v0 neg_lo:[1,1,0]
	v_dot4_i32_iu8 v1, v5, v146, v1 neg_lo:[1,1,0]
	s_delay_alu instid0(VALU_DEP_4) | instskip(NEXT) | instid1(VALU_DEP_4)
	v_dot4_i32_iu8 v3, v5, v154, v3 neg_lo:[1,1,0]
	v_dot4_i32_iu8 v2, v6, v151, v2 neg_lo:[1,1,0]
	s_delay_alu instid0(VALU_DEP_4) | instskip(NEXT) | instid1(VALU_DEP_4)
	v_dot4_i32_iu8 v0, v6, v143, v0 neg_lo:[1,1,0]
	v_dot4_i32_iu8 v1, v6, v147, v1 neg_lo:[1,1,0]
	s_delay_alu instid0(VALU_DEP_4) | instskip(NEXT) | instid1(VALU_DEP_4)
	v_dot4_i32_iu8 v3, v6, v155, v3 neg_lo:[1,1,0]
	v_dot4_i32_iu8 v163, v7, v152, v2 neg_lo:[1,1,0]
	v_dot4_i32_iu8 v2, v8, v149, 0 neg_lo:[1,1,0]
	v_dot4_i32_iu8 v161, v7, v144, v0 neg_lo:[1,1,0]
	v_dot4_i32_iu8 v162, v7, v148, v1 neg_lo:[1,1,0]
	v_dot4_i32_iu8 v164, v7, v156, v3 neg_lo:[1,1,0]
	v_dot4_i32_iu8 v0, v8, v141, 0 neg_lo:[1,1,0]
	v_dot4_i32_iu8 v1, v8, v145, 0 neg_lo:[1,1,0]
	v_dot4_i32_iu8 v3, v8, v153, 0 neg_lo:[1,1,0]
	v_dot4_i32_iu8 v2, v9, v150, v2 neg_lo:[1,1,0]
	s_delay_alu instid0(VALU_DEP_4) | instskip(NEXT) | instid1(VALU_DEP_4)
	v_dot4_i32_iu8 v0, v9, v142, v0 neg_lo:[1,1,0]
	v_dot4_i32_iu8 v1, v9, v146, v1 neg_lo:[1,1,0]
	s_delay_alu instid0(VALU_DEP_4) | instskip(NEXT) | instid1(VALU_DEP_4)
	v_dot4_i32_iu8 v3, v9, v154, v3 neg_lo:[1,1,0]
	v_dot4_i32_iu8 v2, v10, v151, v2 neg_lo:[1,1,0]
	s_delay_alu instid0(VALU_DEP_4) | instskip(NEXT) | instid1(VALU_DEP_4)
	v_dot4_i32_iu8 v0, v10, v143, v0 neg_lo:[1,1,0]
	v_dot4_i32_iu8 v1, v10, v147, v1 neg_lo:[1,1,0]
	s_delay_alu instid0(VALU_DEP_4) | instskip(NEXT) | instid1(VALU_DEP_4)
	;; [unrolled: 20-line block ×5, first 2 shown]
	v_dot4_i32_iu8 v3, v22, v155, v3 neg_lo:[1,1,0]
	v_dot4_i32_iu8 v173, v23, v152, v2 neg_lo:[1,1,0]
	;; [unrolled: 1-line block ×10, first 2 shown]
	v_perm_b32 v22, v210, v225, 0xc0c0401
	v_dot4_i32_iu8 v0, v25, v142, v0 neg_lo:[1,1,0]
	v_dot4_i32_iu8 v1, v25, v146, v1 neg_lo:[1,1,0]
	;; [unrolled: 1-line block ×4, first 2 shown]
	v_perm_b32 v23, v211, v231, 0x4010c0c
	v_dot4_i32_iu8 v0, v26, v143, v0 neg_lo:[1,1,0]
	v_dot4_i32_iu8 v1, v26, v147, v1 neg_lo:[1,1,0]
	;; [unrolled: 1-line block ×4, first 2 shown]
	v_perm_b32 v24, v212, v136, 0xc0c0401
	v_dot4_i32_iu8 v12, v27, v144, v0 neg_lo:[1,1,0]
	v_dot4_i32_iu8 v18, v27, v148, v1 neg_lo:[1,1,0]
	;; [unrolled: 1-line block ×3, first 2 shown]
	ds_load_b128 v[0:3], v192
	ds_load_b128 v[4:7], v192 offset:16
	s_clause 0x1
	scratch_load_b32 v15, off, off
	scratch_load_b32 v19, off, off offset:4
	v_perm_b32 v25, v213, v224, 0x4010c0c
	v_perm_b32 v27, v218, v100, 0xc0c0401
	;; [unrolled: 1-line block ×3, first 2 shown]
	v_add_nc_u32_e32 v192, 32, v192
	s_waitcnt lgkmcnt(1)
	v_perm_b32 v13, v0, v0, 0x30201
	v_perm_b32 v14, v1, v1, 0x30201
	s_clause 0x1
	scratch_load_b32 v0, off, off offset:144
	scratch_load_b32 v1, off, off offset:136
	s_waitcnt lgkmcnt(0)
	v_perm_b32 v4, v4, v4, 0x30201
	v_perm_b32 v5, v5, v5, 0x30201
	;; [unrolled: 1-line block ×6, first 2 shown]
	s_waitcnt vmcnt(3)
	v_add_nc_u32_e32 v15, s20, v15
	s_waitcnt vmcnt(2)
	v_add_nc_u32_e32 v19, s20, v19
	ds_load_b32 v15, v15
	s_waitcnt vmcnt(1)
	v_add3_u32 v0, v0, s19, v33
	s_waitcnt vmcnt(0)
	v_add3_u32 v1, v1, s19, v33
	ds_load_b32 v19, v19
	ds_load_u16 v20, v0
	ds_load_u16 v21, v1
	ds_load_2addr_b32 v[0:1], v238 offset1:32
	v_perm_b32 v33, v219, v97, 0x4010c0c
	v_perm_b32 v97, v232, v120, 0xc0c0401
	s_add_i32 s19, s1, s16
	s_delay_alu instid0(SALU_CYCLE_1) | instskip(NEXT) | instid1(SALU_CYCLE_1)
	s_add_i32 s19, s19, 8
	s_cmp_lt_u32 s19, s18
	s_waitcnt lgkmcnt(0)
	v_mul_f32_e32 v142, v0, v194
	v_mul_f32_e32 v143, v0, v15
	v_mul_f32_e32 v144, v0, v195
	v_dual_mul_f32 v145, v0, v19 :: v_dual_mul_f32 v146, v194, v1
	v_mul_f32_e32 v147, v15, v1
	v_mul_f32_e32 v148, v195, v1
	v_mul_f32_e32 v149, v19, v1
	ds_load_2addr_b32 v[0:1], v238 offset0:64 offset1:96
	s_waitcnt lgkmcnt(0)
	v_mul_f32_e32 v150, v194, v0
	v_mul_f32_e32 v151, v15, v0
	v_mul_f32_e32 v152, v195, v0
	v_dual_mul_f32 v153, v19, v0 :: v_dual_mul_f32 v154, v194, v1
	v_mul_f32_e32 v155, v15, v1
	v_mul_f32_e32 v156, v195, v1
	v_mul_f32_e32 v175, v19, v1
	ds_load_2addr_b32 v[0:1], v238 offset0:128 offset1:160
	;; [unrolled: 9-line block ×3, first 2 shown]
	v_add_nc_u32_e32 v238, 4, v238
	s_waitcnt lgkmcnt(0)
	v_mul_f32_e32 v186, v194, v0
	v_dual_mul_f32 v187, v194, v1 :: v_dual_mul_f32 v188, v15, v0
	v_mul_f32_e32 v189, v15, v1
	v_mul_f32_e32 v190, v195, v0
	;; [unrolled: 1-line block ×5, first 2 shown]
	v_perm_b32 v0, v202, v247, 0xc0c0401
	v_perm_b32 v1, v203, v245, 0x4010c0c
	v_perm_b32 v15, v204, v251, 0xc0c0401
	v_perm_b32 v19, v205, v248, 0x4010c0c
	s_delay_alu instid0(VALU_DEP_3) | instskip(NEXT) | instid1(VALU_DEP_2)
	v_or_b32_e32 v0, v1, v0
	v_or_b32_e32 v1, v19, v15
	;; [unrolled: 1-line block ×8, first 2 shown]
	v_dot4_i32_iu8 v0, v0, v13, 0 neg_lo:[1,1,0]
	v_dot4_i32_iu8 v15, v15, v13, 0 neg_lo:[1,1,0]
	;; [unrolled: 1-line block ×4, first 2 shown]
	v_perm_b32 v24, v50, v93, 0xc0c0401
	v_dot4_i32_iu8 v0, v1, v14, v0 neg_lo:[1,1,0]
	v_dot4_i32_iu8 v1, v19, v14, v15 neg_lo:[1,1,0]
	;; [unrolled: 1-line block ×4, first 2 shown]
	v_perm_b32 v14, v38, v28, 0xc0c0401
	v_perm_b32 v19, v39, v86, 0x4010c0c
	;; [unrolled: 1-line block ×15, first 2 shown]
	v_or_b32_e32 v14, v19, v14
	v_or_b32_e32 v19, v23, v22
	;; [unrolled: 1-line block ×8, first 2 shown]
	v_dot4_i32_iu8 v14, v14, v4, 0 neg_lo:[1,1,0]
	v_dot4_i32_iu8 v22, v22, v4, 0 neg_lo:[1,1,0]
	;; [unrolled: 1-line block ×4, first 2 shown]
	v_perm_b32 v27, v214, v244, 0xc0c0401
	v_dot4_i32_iu8 v14, v19, v5, v14 neg_lo:[1,1,0]
	v_dot4_i32_iu8 v19, v23, v5, v22 neg_lo:[1,1,0]
	;; [unrolled: 1-line block ×4, first 2 shown]
	s_clause 0x3
	scratch_load_b32 v5, off, off offset:104
	scratch_load_b32 v25, off, off offset:108
	;; [unrolled: 1-line block ×4, first 2 shown]
	v_perm_b32 v28, v215, v242, 0x4010c0c
	v_perm_b32 v29, v222, v253, 0xc0c0401
	;; [unrolled: 1-line block ×3, first 2 shown]
	v_dual_mov_b32 v91, v68 :: v_dual_mov_b32 v68, v78
	scratch_load_b32 v78, off, off offset:40 ; 4-byte Folded Reload
	v_mov_b32_e32 v53, v79
	s_clause 0x2
	scratch_load_b32 v79, off, off offset:44
	scratch_load_b32 v61, off, off offset:24
	;; [unrolled: 1-line block ×3, first 2 shown]
	v_mov_b32_e32 v81, v193
	v_mov_b32_e32 v193, v123
	v_dual_mov_b32 v89, v71 :: v_dual_mov_b32 v86, v234
	v_mov_b32_e32 v84, v101
	v_mov_b32_e32 v56, v95
	v_dual_mov_b32 v52, v102 :: v_dual_mov_b32 v51, v108
	v_mov_b32_e32 v50, v110
	s_waitcnt vmcnt(7)
	v_perm_b32 v5, v198, v5, 0xc0c0401
	s_waitcnt vmcnt(6)
	v_perm_b32 v25, v207, v25, 0x4010c0c
	;; [unrolled: 2-line block ×4, first 2 shown]
	s_delay_alu instid0(VALU_DEP_2) | instskip(NEXT) | instid1(VALU_DEP_2)
	v_or_b32_e32 v5, v23, v5
	v_or_b32_e32 v23, v25, v24
	;; [unrolled: 1-line block ×4, first 2 shown]
	v_perm_b32 v27, v54, v122, 0x4010c0c
	v_dot4_i32_iu8 v0, v5, v2, v0 neg_lo:[1,1,0]
	v_dot4_i32_iu8 v1, v23, v2, v1 neg_lo:[1,1,0]
	;; [unrolled: 1-line block ×4, first 2 shown]
	v_perm_b32 v13, v36, v30, 0xc0c0401
	v_perm_b32 v15, v37, v60, 0x4010c0c
	;; [unrolled: 1-line block ×7, first 2 shown]
	v_or_b32_e32 v13, v15, v13
	v_or_b32_e32 v15, v24, v23
	;; [unrolled: 1-line block ×3, first 2 shown]
	v_mov_b32_e32 v54, v80
	v_or_b32_e32 v24, v29, v28
	scratch_load_b32 v80, off, off offset:48 ; 4-byte Folded Reload
	v_dot4_i32_iu8 v13, v13, v6, v14 neg_lo:[1,1,0]
	v_dot4_i32_iu8 v14, v15, v6, v19 neg_lo:[1,1,0]
	v_dot4_i32_iu8 v15, v23, v6, v22 neg_lo:[1,1,0]
	v_dot4_i32_iu8 v4, v24, v6, v4 neg_lo:[1,1,0]
	s_clause 0x5
	scratch_load_b32 v6, off, off offset:80
	scratch_load_b32 v22, off, off offset:88
	;; [unrolled: 1-line block ×6, first 2 shown]
	v_perm_b32 v27, v216, v243, 0xc0c0401
	v_perm_b32 v28, v217, v240, 0x4010c0c
	s_clause 0x1
	scratch_load_b32 v66, off, off offset:8
	scratch_load_b32 v58, off, off offset:12
	s_waitcnt vmcnt(7)
	v_perm_b32 v6, v196, v6, 0xc0c0401
	s_waitcnt vmcnt(6)
	v_perm_b32 v22, v200, v22, 0xc0c0401
	;; [unrolled: 2-line block ×6, first 2 shown]
	s_delay_alu instid0(VALU_DEP_2) | instskip(SKIP_1) | instid1(VALU_DEP_3)
	v_or_b32_e32 v6, v19, v6
	v_or_b32_e32 v19, v23, v22
	;; [unrolled: 1-line block ×4, first 2 shown]
	v_perm_b32 v24, v140, v85, 0xc0c0401
	v_dot4_i32_iu8 v0, v6, v3, v0 neg_lo:[1,1,0]
	v_dot4_i32_iu8 v19, v19, v3, v1 neg_lo:[1,1,0]
	;; [unrolled: 1-line block ×4, first 2 shown]
	v_perm_b32 v1, v34, v49, 0xc0c0401
	v_perm_b32 v2, v35, v88, 0x4010c0c
	;; [unrolled: 1-line block ×6, first 2 shown]
	v_or_b32_e32 v1, v2, v1
	v_perm_b32 v25, v59, v139, 0x4010c0c
	scratch_load_b32 v59, off, off offset:16 ; 4-byte Folded Reload
	v_or_b32_e32 v2, v5, v3
	v_or_b32_e32 v3, v23, v6
	v_dot4_i32_iu8 v6, v1, v7, v13 neg_lo:[1,1,0]
	v_lshrrev_b16 v1, 8, v20
	v_or_b32_e32 v5, v25, v24
	v_dot4_i32_iu8 v13, v2, v7, v14 neg_lo:[1,1,0]
	v_bfe_i32 v14, v20, 0, 8
	v_dot4_i32_iu8 v23, v3, v7, v15 neg_lo:[1,1,0]
	v_bfe_i32 v15, v1, 0, 8
	;; [unrolled: 2-line block ×3, first 2 shown]
	v_mul_lo_u32 v0, v0, v14
	v_bfe_i32 v25, v21, 0, 8
	v_dual_mov_b32 v49, v121 :: v_dual_mov_b32 v88, v235
	v_mov_b32_e32 v85, v230
	v_mov_b32_e32 v55, v87
	v_mad_u64_u32 v[1:2], null, v6, v15, v[0:1]
	v_mul_lo_u32 v0, v73, v14
	scratch_load_b32 v73, off, off offset:32 ; 4-byte Folded Reload
	v_mad_u64_u32 v[2:3], null, v159, v15, v[0:1]
	v_mul_lo_u32 v0, v98, v14
	s_delay_alu instid0(VALU_DEP_1) | instskip(SKIP_1) | instid1(VALU_DEP_1)
	v_mad_u64_u32 v[3:4], null, v161, v15, v[0:1]
	v_mul_lo_u32 v0, v107, v14
	v_mad_u64_u32 v[4:5], null, v8, v15, v[0:1]
	v_mul_lo_u32 v0, v134, v14
	s_delay_alu instid0(VALU_DEP_1) | instskip(SKIP_1) | instid1(VALU_DEP_1)
	v_mad_u64_u32 v[5:6], null, v9, v15, v[0:1]
	v_mul_lo_u32 v0, v75, v14
	;; [unrolled: 5-line block ×3, first 2 shown]
	v_mad_u64_u32 v[8:9], null, v12, v15, v[0:1]
	v_lshrrev_b16 v0, 8, v31
	s_delay_alu instid0(VALU_DEP_1) | instskip(SKIP_1) | instid1(VALU_DEP_1)
	v_bfe_i32 v24, v0, 0, 8
	v_mul_lo_u32 v0, v19, v20
	v_mad_u64_u32 v[9:10], null, v13, v24, v[0:1]
	v_mul_lo_u32 v0, v250, v20
	s_delay_alu instid0(VALU_DEP_1)
	v_mad_u64_u32 v[10:11], null, v157, v24, v[0:1]
	v_mul_lo_u32 v0, v77, v20
	s_clause 0x1
	scratch_load_b32 v77, off, off offset:36
	scratch_load_b32 v60, off, off offset:20
	v_mad_u64_u32 v[11:12], null, v162, v24, v[0:1]
	v_mul_lo_u32 v0, v96, v20
	s_delay_alu instid0(VALU_DEP_1) | instskip(SKIP_1) | instid1(VALU_DEP_1)
	v_mad_u64_u32 v[12:13], null, v165, v24, v[0:1]
	v_mul_lo_u32 v0, v106, v20
	v_mad_u64_u32 v[13:14], null, v168, v24, v[0:1]
	v_mul_lo_u32 v0, v130, v20
	s_delay_alu instid0(VALU_DEP_1) | instskip(SKIP_1) | instid1(VALU_DEP_1)
	v_mad_u64_u32 v[14:15], null, v16, v24, v[0:1]
	v_mul_lo_u32 v0, v74, v20
	v_mad_u64_u32 v[15:16], null, v17, v24, v[0:1]
	v_mul_lo_u32 v0, v236, v20
	s_delay_alu instid0(VALU_DEP_1) | instskip(SKIP_1) | instid1(VALU_DEP_1)
	v_mad_u64_u32 v[16:17], null, v18, v24, v[0:1]
	v_lshrrev_b16 v0, 8, v21
	v_bfe_i32 v29, v0, 0, 8
	v_mul_lo_u32 v0, v22, v25
	s_delay_alu instid0(VALU_DEP_1) | instskip(SKIP_1) | instid1(VALU_DEP_1)
	v_mad_u64_u32 v[17:18], null, v23, v29, v[0:1]
	v_mul_lo_u32 v0, v241, v25
	v_mad_u64_u32 v[18:19], null, v158, v29, v[0:1]
	v_mul_lo_u32 v0, v249, v25
	s_delay_alu instid0(VALU_DEP_1) | instskip(SKIP_1) | instid1(VALU_DEP_1)
	v_mad_u64_u32 v[19:20], null, v163, v29, v[0:1]
	v_mul_lo_u32 v0, v255, v25
	v_mad_u64_u32 v[20:21], null, v166, v29, v[0:1]
	;; [unrolled: 5-line block ×4, first 2 shown]
	v_lshrrev_b16 v0, 8, v32
	v_bfe_i32 v29, v32, 0, 8
	s_delay_alu instid0(VALU_DEP_2) | instskip(NEXT) | instid1(VALU_DEP_2)
	v_bfe_i32 v30, v0, 0, 8
	v_mul_lo_u32 v0, v27, v29
	s_delay_alu instid0(VALU_DEP_1)
	v_mad_u64_u32 v[25:26], null, v28, v30, v[0:1]
	v_mul_lo_u32 v0, v237, v29
	s_clause 0x1
	scratch_load_b32 v28, off, off offset:72
	scratch_load_b32 v121, off, off offset:68
	v_mad_u64_u32 v[26:27], null, v160, v30, v[0:1]
	v_mul_lo_u32 v0, v239, v29
	s_delay_alu instid0(VALU_DEP_1) | instskip(SKIP_1) | instid1(VALU_DEP_1)
	v_mad_u64_u32 v[31:32], null, v164, v30, v[0:1]
	v_mul_lo_u32 v0, v246, v29
	v_mad_u64_u32 v[32:33], null, v167, v30, v[0:1]
	v_mul_lo_u32 v0, v254, v29
	s_delay_alu instid0(VALU_DEP_1) | instskip(SKIP_1) | instid1(VALU_DEP_1)
	v_mad_u64_u32 v[33:34], null, v170, v30, v[0:1]
	v_mul_lo_u32 v0, v72, v29
	v_mad_u64_u32 v[34:35], null, v172, v30, v[0:1]
	v_mul_lo_u32 v0, v103, v29
	s_delay_alu instid0(VALU_DEP_1)
	v_mad_u64_u32 v[35:36], null, v174, v30, v[0:1]
	v_mul_lo_u32 v0, v116, v29
	s_clause 0x1
	scratch_load_b32 v29, off, off offset:56
	scratch_load_b32 v123, off, off offset:52
	v_mad_u64_u32 v[36:37], null, v141, v30, v[0:1]
	s_clause 0x1
	scratch_load_b32 v30, off, off offset:64
	scratch_load_b32 v136, off, off offset:60
	v_cvt_f32_i32_e32 v0, v1
	s_delay_alu instid0(VALU_DEP_1) | instskip(SKIP_1) | instid1(VALU_DEP_1)
	v_fmac_f32_e32 v128, v142, v0
	v_cvt_f32_i32_e32 v0, v9
	v_fmac_f32_e32 v67, v143, v0
	v_cvt_f32_i32_e32 v0, v17
	s_delay_alu instid0(VALU_DEP_1) | instskip(SKIP_1) | instid1(VALU_DEP_1)
	v_fmac_f32_e32 v92, v144, v0
	v_cvt_f32_i32_e32 v0, v25
	v_fmac_f32_e32 v70, v145, v0
	;; [unrolled: 5-line block ×8, first 2 shown]
	v_cvt_f32_i32_e32 v0, v5
	s_delay_alu instid0(VALU_DEP_1) | instskip(SKIP_2) | instid1(VALU_DEP_1)
	v_fmac_f32_e32 v193, v176, v0
	v_cvt_f32_i32_e32 v0, v13
	s_waitcnt vmcnt(0)
	v_fmac_f32_e32 v136, v177, v0
	v_cvt_f32_i32_e32 v0, v21
	s_delay_alu instid0(VALU_DEP_1) | instskip(SKIP_1) | instid1(VALU_DEP_1)
	v_fmac_f32_e32 v123, v178, v0
	v_cvt_f32_i32_e32 v0, v33
	v_fmac_f32_e32 v121, v181, v0
	v_cvt_f32_i32_e32 v0, v6
	s_delay_alu instid0(VALU_DEP_1) | instskip(SKIP_1) | instid1(VALU_DEP_1)
	v_fmac_f32_e32 v114, v182, v0
	v_cvt_f32_i32_e32 v0, v14
	;; [unrolled: 5-line block ×7, first 2 shown]
	v_fmac_f32_e32 v28, v195, v0
	s_cbranch_scc1 .LBB169_12
; %bb.13:                               ;   in Loop: Header=BB169_8 Depth=2
	s_waitcnt_vscnt null, 0x0
	s_barrier
	buffer_gl0_inv
	s_clause 0x9
	scratch_load_b32 v65, off, off
	scratch_load_b32 v87, off, off offset:4
	scratch_load_b32 v93, off, off offset:116
	;; [unrolled: 1-line block ×9, first 2 shown]
	s_add_i32 s1, s1, 16
	s_cmp_eq_u32 s14, 4
	s_cselect_b32 s15, -1, 0
	s_delay_alu instid0(SALU_CYCLE_1)
	s_and_b32 vcc_lo, exec_lo, s15
	s_cbranch_vccz .LBB169_8
	s_branch .LBB169_5
.LBB169_14:
	s_clause 0x2
	scratch_load_b32 v1, off, off offset:516
	scratch_load_b32 v0, off, off offset:152
	;; [unrolled: 1-line block ×3, first 2 shown]
.LBB169_15:
	s_mov_b32 s0, exec_lo
	s_waitcnt vmcnt(0)
	v_cmpx_gt_u32_e64 s4, v2
	s_cbranch_execz .LBB169_66
; %bb.16:
	v_add_nc_u32_e32 v0, s10, v0
	v_mul_lo_u32 v5, v2, s6
	s_delay_alu instid0(VALU_DEP_2)
	v_cmp_gt_u32_e32 vcc_lo, s6, v0
	s_and_saveexec_b32 s1, vcc_lo
	s_cbranch_execz .LBB169_18
; %bb.17:
	v_bfe_u32 v3, v128, 16, 1
	s_delay_alu instid0(VALU_DEP_3) | instskip(SKIP_1) | instid1(VALU_DEP_3)
	v_add_nc_u32_e32 v2, v0, v5
	v_cmp_o_f32_e64 s0, v128, v128
	v_add3_u32 v4, v128, v3, 0x7fff
	v_mov_b32_e32 v3, 0
	s_delay_alu instid0(VALU_DEP_2) | instskip(NEXT) | instid1(VALU_DEP_2)
	v_lshrrev_b32_e32 v4, 16, v4
	v_lshlrev_b64 v[2:3], 1, v[2:3]
	s_delay_alu instid0(VALU_DEP_2) | instskip(SKIP_1) | instid1(VALU_DEP_2)
	v_cndmask_b32_e64 v4, 0x7fc0, v4, s0
	s_waitcnt lgkmcnt(0)
	v_add_co_u32 v2, s0, s8, v2
	s_delay_alu instid0(VALU_DEP_1)
	v_add_co_ci_u32_e64 v3, s0, s9, v3, s0
	global_store_b16 v[2:3], v4, off
.LBB169_18:
	s_or_b32 exec_lo, exec_lo, s1
	v_add_nc_u32_e32 v2, 32, v0
	s_delay_alu instid0(VALU_DEP_1) | instskip(NEXT) | instid1(VALU_DEP_1)
	v_cmp_gt_u32_e64 s0, s6, v2
	s_and_saveexec_b32 s2, s0
	s_cbranch_execz .LBB169_20
; %bb.19:
	v_bfe_u32 v4, v67, 16, 1
	v_add_nc_u32_e32 v3, v2, v5
	v_cmp_o_f32_e64 s1, v67, v67
	s_delay_alu instid0(VALU_DEP_3) | instskip(SKIP_1) | instid1(VALU_DEP_2)
	v_add3_u32 v6, v67, v4, 0x7fff
	v_mov_b32_e32 v4, 0
	v_lshrrev_b32_e32 v6, 16, v6
	s_delay_alu instid0(VALU_DEP_2) | instskip(NEXT) | instid1(VALU_DEP_2)
	v_lshlrev_b64 v[3:4], 1, v[3:4]
	v_cndmask_b32_e64 v6, 0x7fc0, v6, s1
	s_waitcnt lgkmcnt(0)
	s_delay_alu instid0(VALU_DEP_2) | instskip(NEXT) | instid1(VALU_DEP_1)
	v_add_co_u32 v3, s1, s8, v3
	v_add_co_ci_u32_e64 v4, s1, s9, v4, s1
	global_store_b16 v[3:4], v6, off
.LBB169_20:
	s_or_b32 exec_lo, exec_lo, s2
	v_add_nc_u32_e32 v3, 64, v0
	s_delay_alu instid0(VALU_DEP_1) | instskip(NEXT) | instid1(VALU_DEP_1)
	v_cmp_gt_u32_e64 s1, s6, v3
	s_and_saveexec_b32 s3, s1
	s_cbranch_execz .LBB169_22
; %bb.21:
	v_bfe_u32 v4, v92, 16, 1
	v_dual_mov_b32 v7, 0 :: v_dual_add_nc_u32 v6, v3, v5
	v_cmp_o_f32_e64 s2, v92, v92
	s_delay_alu instid0(VALU_DEP_3) | instskip(NEXT) | instid1(VALU_DEP_3)
	v_add3_u32 v4, v92, v4, 0x7fff
	v_lshlrev_b64 v[6:7], 1, v[6:7]
	s_delay_alu instid0(VALU_DEP_2) | instskip(NEXT) | instid1(VALU_DEP_1)
	v_lshrrev_b32_e32 v4, 16, v4
	v_cndmask_b32_e64 v4, 0x7fc0, v4, s2
	s_waitcnt lgkmcnt(0)
	s_delay_alu instid0(VALU_DEP_3) | instskip(NEXT) | instid1(VALU_DEP_1)
	v_add_co_u32 v6, s2, s8, v6
	v_add_co_ci_u32_e64 v7, s2, s9, v7, s2
	global_store_b16 v[6:7], v4, off
.LBB169_22:
	s_or_b32 exec_lo, exec_lo, s3
	v_add_nc_u32_e32 v4, 0x60, v0
	s_delay_alu instid0(VALU_DEP_1) | instskip(NEXT) | instid1(VALU_DEP_1)
	v_cmp_gt_u32_e64 s2, s6, v4
	s_and_saveexec_b32 s5, s2
	s_cbranch_execz .LBB169_24
; %bb.23:
	v_bfe_u32 v6, v70, 16, 1
	v_add_nc_u32_e32 v5, v4, v5
	v_cmp_o_f32_e64 s3, v70, v70
	s_delay_alu instid0(VALU_DEP_3) | instskip(SKIP_1) | instid1(VALU_DEP_2)
	v_add3_u32 v7, v70, v6, 0x7fff
	v_mov_b32_e32 v6, 0
	v_lshrrev_b32_e32 v7, 16, v7
	s_delay_alu instid0(VALU_DEP_2) | instskip(NEXT) | instid1(VALU_DEP_2)
	v_lshlrev_b64 v[5:6], 1, v[5:6]
	v_cndmask_b32_e64 v7, 0x7fc0, v7, s3
	s_waitcnt lgkmcnt(0)
	s_delay_alu instid0(VALU_DEP_2) | instskip(NEXT) | instid1(VALU_DEP_1)
	v_add_co_u32 v5, s3, s8, v5
	v_add_co_ci_u32_e64 v6, s3, s9, v6, s3
	global_store_b16 v[5:6], v7, off
.LBB169_24:
	s_or_b32 exec_lo, exec_lo, s5
	v_add3_u32 v5, v1, s7, 8
	s_delay_alu instid0(VALU_DEP_1) | instskip(NEXT) | instid1(VALU_DEP_1)
	v_cmp_gt_u32_e64 s3, s4, v5
	s_and_b32 exec_lo, exec_lo, s3
	s_cbranch_execz .LBB169_66
; %bb.25:
	v_mul_lo_u32 v5, v5, s6
	s_and_saveexec_b32 s5, vcc_lo
	s_cbranch_execnz .LBB169_67
; %bb.26:
	s_or_b32 exec_lo, exec_lo, s5
	s_and_saveexec_b32 s5, s0
	s_cbranch_execnz .LBB169_68
.LBB169_27:
	s_or_b32 exec_lo, exec_lo, s5
	s_and_saveexec_b32 s5, s1
	s_cbranch_execnz .LBB169_69
.LBB169_28:
	s_or_b32 exec_lo, exec_lo, s5
	s_and_saveexec_b32 s5, s2
	s_cbranch_execz .LBB169_30
.LBB169_29:
	v_bfe_u32 v6, v89, 16, 1
	v_add_nc_u32_e32 v5, v5, v4
	v_cmp_o_f32_e64 s3, v89, v89
	s_delay_alu instid0(VALU_DEP_3) | instskip(SKIP_1) | instid1(VALU_DEP_2)
	v_add3_u32 v7, v89, v6, 0x7fff
	v_mov_b32_e32 v6, 0
	v_lshrrev_b32_e32 v7, 16, v7
	s_delay_alu instid0(VALU_DEP_2) | instskip(NEXT) | instid1(VALU_DEP_2)
	v_lshlrev_b64 v[5:6], 1, v[5:6]
	v_cndmask_b32_e64 v7, 0x7fc0, v7, s3
	s_waitcnt lgkmcnt(0)
	s_delay_alu instid0(VALU_DEP_2) | instskip(NEXT) | instid1(VALU_DEP_1)
	v_add_co_u32 v5, s3, s8, v5
	v_add_co_ci_u32_e64 v6, s3, s9, v6, s3
	global_store_b16 v[5:6], v7, off
.LBB169_30:
	s_or_b32 exec_lo, exec_lo, s5
	v_add3_u32 v5, v1, s7, 16
	s_delay_alu instid0(VALU_DEP_1) | instskip(NEXT) | instid1(VALU_DEP_1)
	v_cmp_gt_u32_e64 s3, s4, v5
	s_and_b32 exec_lo, exec_lo, s3
	s_cbranch_execz .LBB169_66
; %bb.31:
	v_mul_lo_u32 v5, v5, s6
	s_and_saveexec_b32 s5, vcc_lo
	s_cbranch_execnz .LBB169_70
; %bb.32:
	s_or_b32 exec_lo, exec_lo, s5
	s_and_saveexec_b32 s5, s0
	s_cbranch_execnz .LBB169_71
.LBB169_33:
	s_or_b32 exec_lo, exec_lo, s5
	s_and_saveexec_b32 s5, s1
	s_cbranch_execnz .LBB169_72
.LBB169_34:
	s_or_b32 exec_lo, exec_lo, s5
	s_and_saveexec_b32 s5, s2
	s_cbranch_execz .LBB169_36
.LBB169_35:
	v_bfe_u32 v6, v84, 16, 1
	v_add_nc_u32_e32 v5, v5, v4
	v_cmp_o_f32_e64 s3, v84, v84
	s_delay_alu instid0(VALU_DEP_3) | instskip(SKIP_1) | instid1(VALU_DEP_2)
	v_add3_u32 v7, v84, v6, 0x7fff
	v_mov_b32_e32 v6, 0
	v_lshrrev_b32_e32 v7, 16, v7
	s_delay_alu instid0(VALU_DEP_2) | instskip(NEXT) | instid1(VALU_DEP_2)
	v_lshlrev_b64 v[5:6], 1, v[5:6]
	v_cndmask_b32_e64 v7, 0x7fc0, v7, s3
	s_waitcnt lgkmcnt(0)
	s_delay_alu instid0(VALU_DEP_2) | instskip(NEXT) | instid1(VALU_DEP_1)
	v_add_co_u32 v5, s3, s8, v5
	v_add_co_ci_u32_e64 v6, s3, s9, v6, s3
	global_store_b16 v[5:6], v7, off
.LBB169_36:
	s_or_b32 exec_lo, exec_lo, s5
	v_add3_u32 v5, v1, s7, 24
	s_delay_alu instid0(VALU_DEP_1) | instskip(NEXT) | instid1(VALU_DEP_1)
	v_cmp_gt_u32_e64 s3, s4, v5
	s_and_b32 exec_lo, exec_lo, s3
	s_cbranch_execz .LBB169_66
; %bb.37:
	v_mul_lo_u32 v5, v5, s6
	s_and_saveexec_b32 s5, vcc_lo
	s_cbranch_execnz .LBB169_73
; %bb.38:
	s_or_b32 exec_lo, exec_lo, s5
	s_and_saveexec_b32 s5, s0
	s_cbranch_execnz .LBB169_74
.LBB169_39:
	s_or_b32 exec_lo, exec_lo, s5
	s_and_saveexec_b32 s5, s1
	s_cbranch_execnz .LBB169_75
.LBB169_40:
	s_or_b32 exec_lo, exec_lo, s5
	s_and_saveexec_b32 s5, s2
	s_cbranch_execz .LBB169_42
.LBB169_41:
	v_bfe_u32 v6, v76, 16, 1
	v_add_nc_u32_e32 v5, v5, v4
	v_cmp_o_f32_e64 s3, v76, v76
	s_delay_alu instid0(VALU_DEP_3) | instskip(SKIP_1) | instid1(VALU_DEP_2)
	v_add3_u32 v7, v76, v6, 0x7fff
	v_mov_b32_e32 v6, 0
	v_lshrrev_b32_e32 v7, 16, v7
	s_delay_alu instid0(VALU_DEP_2) | instskip(NEXT) | instid1(VALU_DEP_2)
	v_lshlrev_b64 v[5:6], 1, v[5:6]
	v_cndmask_b32_e64 v7, 0x7fc0, v7, s3
	s_waitcnt lgkmcnt(0)
	s_delay_alu instid0(VALU_DEP_2) | instskip(NEXT) | instid1(VALU_DEP_1)
	v_add_co_u32 v5, s3, s8, v5
	v_add_co_ci_u32_e64 v6, s3, s9, v6, s3
	global_store_b16 v[5:6], v7, off
.LBB169_42:
	s_or_b32 exec_lo, exec_lo, s5
	v_add3_u32 v5, v1, s7, 32
	s_delay_alu instid0(VALU_DEP_1) | instskip(NEXT) | instid1(VALU_DEP_1)
	v_cmp_gt_u32_e64 s3, s4, v5
	s_and_b32 exec_lo, exec_lo, s3
	s_cbranch_execz .LBB169_66
; %bb.43:
	v_mul_lo_u32 v5, v5, s6
	s_and_saveexec_b32 s5, vcc_lo
	s_cbranch_execnz .LBB169_76
; %bb.44:
	s_or_b32 exec_lo, exec_lo, s5
	s_and_saveexec_b32 s5, s0
	s_cbranch_execnz .LBB169_77
.LBB169_45:
	s_or_b32 exec_lo, exec_lo, s5
	s_and_saveexec_b32 s5, s1
	s_cbranch_execnz .LBB169_78
.LBB169_46:
	s_or_b32 exec_lo, exec_lo, s5
	s_and_saveexec_b32 s5, s2
	s_cbranch_execz .LBB169_48
.LBB169_47:
	v_bfe_u32 v6, v121, 16, 1
	v_add_nc_u32_e32 v5, v5, v4
	v_cmp_o_f32_e64 s3, v121, v121
	s_delay_alu instid0(VALU_DEP_3) | instskip(SKIP_1) | instid1(VALU_DEP_2)
	v_add3_u32 v7, v121, v6, 0x7fff
	v_mov_b32_e32 v6, 0
	v_lshrrev_b32_e32 v7, 16, v7
	s_delay_alu instid0(VALU_DEP_2) | instskip(NEXT) | instid1(VALU_DEP_2)
	v_lshlrev_b64 v[5:6], 1, v[5:6]
	v_cndmask_b32_e64 v7, 0x7fc0, v7, s3
	s_waitcnt lgkmcnt(0)
	s_delay_alu instid0(VALU_DEP_2) | instskip(NEXT) | instid1(VALU_DEP_1)
	v_add_co_u32 v5, s3, s8, v5
	v_add_co_ci_u32_e64 v6, s3, s9, v6, s3
	global_store_b16 v[5:6], v7, off
.LBB169_48:
	s_or_b32 exec_lo, exec_lo, s5
	v_add3_u32 v5, v1, s7, 40
	s_delay_alu instid0(VALU_DEP_1) | instskip(NEXT) | instid1(VALU_DEP_1)
	v_cmp_gt_u32_e64 s3, s4, v5
	s_and_b32 exec_lo, exec_lo, s3
	s_cbranch_execz .LBB169_66
; %bb.49:
	v_mul_lo_u32 v5, v5, s6
	s_and_saveexec_b32 s5, vcc_lo
	s_cbranch_execnz .LBB169_79
; %bb.50:
	s_or_b32 exec_lo, exec_lo, s5
	s_and_saveexec_b32 s5, s0
	s_cbranch_execnz .LBB169_80
.LBB169_51:
	s_or_b32 exec_lo, exec_lo, s5
	s_and_saveexec_b32 s5, s1
	s_cbranch_execnz .LBB169_81
.LBB169_52:
	s_or_b32 exec_lo, exec_lo, s5
	s_and_saveexec_b32 s5, s2
	s_cbranch_execz .LBB169_54
.LBB169_53:
	v_bfe_u32 v6, v54, 16, 1
	v_add_nc_u32_e32 v5, v5, v4
	v_cmp_o_f32_e64 s3, v54, v54
	s_delay_alu instid0(VALU_DEP_3) | instskip(SKIP_1) | instid1(VALU_DEP_2)
	v_add3_u32 v7, v54, v6, 0x7fff
	v_mov_b32_e32 v6, 0
	v_lshrrev_b32_e32 v7, 16, v7
	s_delay_alu instid0(VALU_DEP_2) | instskip(NEXT) | instid1(VALU_DEP_2)
	v_lshlrev_b64 v[5:6], 1, v[5:6]
	v_cndmask_b32_e64 v7, 0x7fc0, v7, s3
	s_waitcnt lgkmcnt(0)
	s_delay_alu instid0(VALU_DEP_2) | instskip(NEXT) | instid1(VALU_DEP_1)
	v_add_co_u32 v5, s3, s8, v5
	v_add_co_ci_u32_e64 v6, s3, s9, v6, s3
	global_store_b16 v[5:6], v7, off
.LBB169_54:
	s_or_b32 exec_lo, exec_lo, s5
	v_add3_u32 v5, v1, s7, 48
	s_delay_alu instid0(VALU_DEP_1) | instskip(NEXT) | instid1(VALU_DEP_1)
	v_cmp_gt_u32_e64 s3, s4, v5
	s_and_b32 exec_lo, exec_lo, s3
	s_cbranch_execz .LBB169_66
; %bb.55:
	v_mul_lo_u32 v5, v5, s6
	s_and_saveexec_b32 s5, vcc_lo
	s_cbranch_execnz .LBB169_82
; %bb.56:
	s_or_b32 exec_lo, exec_lo, s5
	s_and_saveexec_b32 s5, s0
	s_cbranch_execnz .LBB169_83
.LBB169_57:
	s_or_b32 exec_lo, exec_lo, s5
	s_and_saveexec_b32 s5, s1
	s_cbranch_execnz .LBB169_84
.LBB169_58:
	s_or_b32 exec_lo, exec_lo, s5
	s_and_saveexec_b32 s5, s2
	s_cbranch_execz .LBB169_60
.LBB169_59:
	v_bfe_u32 v6, v50, 16, 1
	v_add_nc_u32_e32 v5, v5, v4
	v_cmp_o_f32_e64 s3, v50, v50
	s_delay_alu instid0(VALU_DEP_3) | instskip(SKIP_1) | instid1(VALU_DEP_2)
	v_add3_u32 v7, v50, v6, 0x7fff
	v_mov_b32_e32 v6, 0
	v_lshrrev_b32_e32 v7, 16, v7
	s_delay_alu instid0(VALU_DEP_2) | instskip(NEXT) | instid1(VALU_DEP_2)
	v_lshlrev_b64 v[5:6], 1, v[5:6]
	v_cndmask_b32_e64 v7, 0x7fc0, v7, s3
	s_waitcnt lgkmcnt(0)
	s_delay_alu instid0(VALU_DEP_2) | instskip(NEXT) | instid1(VALU_DEP_1)
	v_add_co_u32 v5, s3, s8, v5
	v_add_co_ci_u32_e64 v6, s3, s9, v6, s3
	global_store_b16 v[5:6], v7, off
.LBB169_60:
	s_or_b32 exec_lo, exec_lo, s5
	v_add3_u32 v1, v1, s7, 56
	s_delay_alu instid0(VALU_DEP_1) | instskip(NEXT) | instid1(VALU_DEP_1)
	v_cmp_gt_u32_e64 s3, s4, v1
	s_and_b32 exec_lo, exec_lo, s3
	s_cbranch_execz .LBB169_66
; %bb.61:
	v_mul_lo_u32 v1, v1, s6
	s_and_saveexec_b32 s3, vcc_lo
	s_cbranch_execnz .LBB169_85
; %bb.62:
	s_or_b32 exec_lo, exec_lo, s3
	s_and_saveexec_b32 s3, s0
	s_cbranch_execnz .LBB169_86
.LBB169_63:
	s_or_b32 exec_lo, exec_lo, s3
	s_and_saveexec_b32 s0, s1
	s_cbranch_execnz .LBB169_87
.LBB169_64:
	s_or_b32 exec_lo, exec_lo, s0
	s_delay_alu instid0(SALU_CYCLE_1)
	s_and_b32 exec_lo, exec_lo, s2
	s_cbranch_execz .LBB169_66
.LBB169_65:
	v_bfe_u32 v2, v28, 16, 1
	v_dual_mov_b32 v1, 0 :: v_dual_add_nc_u32 v0, v1, v4
	v_cmp_o_f32_e32 vcc_lo, v28, v28
	s_delay_alu instid0(VALU_DEP_3) | instskip(NEXT) | instid1(VALU_DEP_3)
	v_add3_u32 v2, v28, v2, 0x7fff
	v_lshlrev_b64 v[0:1], 1, v[0:1]
	s_delay_alu instid0(VALU_DEP_2) | instskip(NEXT) | instid1(VALU_DEP_1)
	v_lshrrev_b32_e32 v2, 16, v2
	v_cndmask_b32_e32 v2, 0x7fc0, v2, vcc_lo
	s_waitcnt lgkmcnt(0)
	s_delay_alu instid0(VALU_DEP_3) | instskip(NEXT) | instid1(VALU_DEP_4)
	v_add_co_u32 v0, vcc_lo, s8, v0
	v_add_co_ci_u32_e32 v1, vcc_lo, s9, v1, vcc_lo
	global_store_b16 v[0:1], v2, off
.LBB169_66:
	s_endpgm
.LBB169_67:
	v_bfe_u32 v7, v91, 16, 1
	s_delay_alu instid0(VALU_DEP_2) | instskip(SKIP_1) | instid1(VALU_DEP_3)
	v_add_nc_u32_e32 v6, v5, v0
	v_cmp_o_f32_e64 s3, v91, v91
	v_add3_u32 v8, v91, v7, 0x7fff
	v_mov_b32_e32 v7, 0
	s_delay_alu instid0(VALU_DEP_2) | instskip(NEXT) | instid1(VALU_DEP_2)
	v_lshrrev_b32_e32 v8, 16, v8
	v_lshlrev_b64 v[6:7], 1, v[6:7]
	s_delay_alu instid0(VALU_DEP_2) | instskip(SKIP_1) | instid1(VALU_DEP_2)
	v_cndmask_b32_e64 v8, 0x7fc0, v8, s3
	s_waitcnt lgkmcnt(0)
	v_add_co_u32 v6, s3, s8, v6
	s_delay_alu instid0(VALU_DEP_1)
	v_add_co_ci_u32_e64 v7, s3, s9, v7, s3
	global_store_b16 v[6:7], v8, off
	s_or_b32 exec_lo, exec_lo, s5
	s_and_saveexec_b32 s5, s0
	s_cbranch_execz .LBB169_27
.LBB169_68:
	v_bfe_u32 v7, v90, 16, 1
	s_delay_alu instid0(VALU_DEP_2) | instskip(SKIP_1) | instid1(VALU_DEP_3)
	v_add_nc_u32_e32 v6, v5, v2
	v_cmp_o_f32_e64 s3, v90, v90
	v_add3_u32 v8, v90, v7, 0x7fff
	v_mov_b32_e32 v7, 0
	s_delay_alu instid0(VALU_DEP_2) | instskip(NEXT) | instid1(VALU_DEP_2)
	v_lshrrev_b32_e32 v8, 16, v8
	v_lshlrev_b64 v[6:7], 1, v[6:7]
	s_delay_alu instid0(VALU_DEP_2) | instskip(SKIP_1) | instid1(VALU_DEP_2)
	v_cndmask_b32_e64 v8, 0x7fc0, v8, s3
	s_waitcnt lgkmcnt(0)
	v_add_co_u32 v6, s3, s8, v6
	s_delay_alu instid0(VALU_DEP_1)
	v_add_co_ci_u32_e64 v7, s3, s9, v7, s3
	global_store_b16 v[6:7], v8, off
	s_or_b32 exec_lo, exec_lo, s5
	s_and_saveexec_b32 s5, s1
	s_cbranch_execz .LBB169_28
.LBB169_69:
	v_bfe_u32 v7, v68, 16, 1
	v_add_nc_u32_e32 v6, v5, v3
	v_cmp_o_f32_e64 s3, v68, v68
	s_delay_alu instid0(VALU_DEP_3) | instskip(SKIP_1) | instid1(VALU_DEP_2)
	v_add3_u32 v8, v68, v7, 0x7fff
	v_mov_b32_e32 v7, 0
	v_lshrrev_b32_e32 v8, 16, v8
	s_delay_alu instid0(VALU_DEP_2) | instskip(NEXT) | instid1(VALU_DEP_2)
	v_lshlrev_b64 v[6:7], 1, v[6:7]
	v_cndmask_b32_e64 v8, 0x7fc0, v8, s3
	s_waitcnt lgkmcnt(0)
	s_delay_alu instid0(VALU_DEP_2) | instskip(NEXT) | instid1(VALU_DEP_1)
	v_add_co_u32 v6, s3, s8, v6
	v_add_co_ci_u32_e64 v7, s3, s9, v7, s3
	global_store_b16 v[6:7], v8, off
	s_or_b32 exec_lo, exec_lo, s5
	s_and_saveexec_b32 s5, s2
	s_cbranch_execnz .LBB169_29
	s_branch .LBB169_30
.LBB169_70:
	v_bfe_u32 v7, v88, 16, 1
	s_delay_alu instid0(VALU_DEP_2) | instskip(SKIP_1) | instid1(VALU_DEP_3)
	v_add_nc_u32_e32 v6, v5, v0
	v_cmp_o_f32_e64 s3, v88, v88
	v_add3_u32 v8, v88, v7, 0x7fff
	v_mov_b32_e32 v7, 0
	s_delay_alu instid0(VALU_DEP_2) | instskip(NEXT) | instid1(VALU_DEP_2)
	v_lshrrev_b32_e32 v8, 16, v8
	v_lshlrev_b64 v[6:7], 1, v[6:7]
	s_delay_alu instid0(VALU_DEP_2) | instskip(SKIP_1) | instid1(VALU_DEP_2)
	v_cndmask_b32_e64 v8, 0x7fc0, v8, s3
	s_waitcnt lgkmcnt(0)
	v_add_co_u32 v6, s3, s8, v6
	s_delay_alu instid0(VALU_DEP_1)
	v_add_co_ci_u32_e64 v7, s3, s9, v7, s3
	global_store_b16 v[6:7], v8, off
	s_or_b32 exec_lo, exec_lo, s5
	s_and_saveexec_b32 s5, s0
	s_cbranch_execz .LBB169_33
.LBB169_71:
	v_bfe_u32 v7, v86, 16, 1
	s_delay_alu instid0(VALU_DEP_2) | instskip(SKIP_1) | instid1(VALU_DEP_3)
	v_add_nc_u32_e32 v6, v5, v2
	v_cmp_o_f32_e64 s3, v86, v86
	v_add3_u32 v8, v86, v7, 0x7fff
	v_mov_b32_e32 v7, 0
	s_delay_alu instid0(VALU_DEP_2) | instskip(NEXT) | instid1(VALU_DEP_2)
	v_lshrrev_b32_e32 v8, 16, v8
	v_lshlrev_b64 v[6:7], 1, v[6:7]
	s_delay_alu instid0(VALU_DEP_2) | instskip(SKIP_1) | instid1(VALU_DEP_2)
	v_cndmask_b32_e64 v8, 0x7fc0, v8, s3
	s_waitcnt lgkmcnt(0)
	v_add_co_u32 v6, s3, s8, v6
	s_delay_alu instid0(VALU_DEP_1)
	v_add_co_ci_u32_e64 v7, s3, s9, v7, s3
	global_store_b16 v[6:7], v8, off
	s_or_b32 exec_lo, exec_lo, s5
	s_and_saveexec_b32 s5, s1
	s_cbranch_execz .LBB169_34
.LBB169_72:
	v_bfe_u32 v7, v85, 16, 1
	v_add_nc_u32_e32 v6, v5, v3
	v_cmp_o_f32_e64 s3, v85, v85
	s_delay_alu instid0(VALU_DEP_3) | instskip(SKIP_1) | instid1(VALU_DEP_2)
	v_add3_u32 v8, v85, v7, 0x7fff
	v_mov_b32_e32 v7, 0
	v_lshrrev_b32_e32 v8, 16, v8
	s_delay_alu instid0(VALU_DEP_2) | instskip(NEXT) | instid1(VALU_DEP_2)
	v_lshlrev_b64 v[6:7], 1, v[6:7]
	v_cndmask_b32_e64 v8, 0x7fc0, v8, s3
	s_waitcnt lgkmcnt(0)
	s_delay_alu instid0(VALU_DEP_2) | instskip(NEXT) | instid1(VALU_DEP_1)
	v_add_co_u32 v6, s3, s8, v6
	v_add_co_ci_u32_e64 v7, s3, s9, v7, s3
	global_store_b16 v[6:7], v8, off
	s_or_b32 exec_lo, exec_lo, s5
	s_and_saveexec_b32 s5, s2
	s_cbranch_execnz .LBB169_35
	s_branch .LBB169_36
.LBB169_73:
	v_bfe_u32 v7, v229, 16, 1
	s_delay_alu instid0(VALU_DEP_2) | instskip(SKIP_1) | instid1(VALU_DEP_3)
	v_add_nc_u32_e32 v6, v5, v0
	v_cmp_o_f32_e64 s3, v229, v229
	v_add3_u32 v8, v229, v7, 0x7fff
	v_mov_b32_e32 v7, 0
	s_delay_alu instid0(VALU_DEP_2) | instskip(NEXT) | instid1(VALU_DEP_2)
	v_lshrrev_b32_e32 v8, 16, v8
	v_lshlrev_b64 v[6:7], 1, v[6:7]
	s_delay_alu instid0(VALU_DEP_2) | instskip(SKIP_1) | instid1(VALU_DEP_2)
	v_cndmask_b32_e64 v8, 0x7fc0, v8, s3
	s_waitcnt lgkmcnt(0)
	v_add_co_u32 v6, s3, s8, v6
	s_delay_alu instid0(VALU_DEP_1)
	v_add_co_ci_u32_e64 v7, s3, s9, v7, s3
	global_store_b16 v[6:7], v8, off
	s_or_b32 exec_lo, exec_lo, s5
	s_and_saveexec_b32 s5, s0
	s_cbranch_execz .LBB169_39
.LBB169_74:
	v_bfe_u32 v7, v227, 16, 1
	s_delay_alu instid0(VALU_DEP_2) | instskip(SKIP_1) | instid1(VALU_DEP_3)
	v_add_nc_u32_e32 v6, v5, v2
	v_cmp_o_f32_e64 s3, v227, v227
	v_add3_u32 v8, v227, v7, 0x7fff
	v_mov_b32_e32 v7, 0
	s_delay_alu instid0(VALU_DEP_2) | instskip(NEXT) | instid1(VALU_DEP_2)
	v_lshrrev_b32_e32 v8, 16, v8
	v_lshlrev_b64 v[6:7], 1, v[6:7]
	s_delay_alu instid0(VALU_DEP_2) | instskip(SKIP_1) | instid1(VALU_DEP_2)
	v_cndmask_b32_e64 v8, 0x7fc0, v8, s3
	s_waitcnt lgkmcnt(0)
	v_add_co_u32 v6, s3, s8, v6
	s_delay_alu instid0(VALU_DEP_1)
	v_add_co_ci_u32_e64 v7, s3, s9, v7, s3
	global_store_b16 v[6:7], v8, off
	s_or_b32 exec_lo, exec_lo, s5
	s_and_saveexec_b32 s5, s1
	s_cbranch_execz .LBB169_40
.LBB169_75:
	v_bfe_u32 v7, v81, 16, 1
	v_add_nc_u32_e32 v6, v5, v3
	v_cmp_o_f32_e64 s3, v81, v81
	s_delay_alu instid0(VALU_DEP_3) | instskip(SKIP_1) | instid1(VALU_DEP_2)
	v_add3_u32 v8, v81, v7, 0x7fff
	v_mov_b32_e32 v7, 0
	v_lshrrev_b32_e32 v8, 16, v8
	s_delay_alu instid0(VALU_DEP_2) | instskip(NEXT) | instid1(VALU_DEP_2)
	v_lshlrev_b64 v[6:7], 1, v[6:7]
	v_cndmask_b32_e64 v8, 0x7fc0, v8, s3
	s_waitcnt lgkmcnt(0)
	s_delay_alu instid0(VALU_DEP_2) | instskip(NEXT) | instid1(VALU_DEP_1)
	v_add_co_u32 v6, s3, s8, v6
	v_add_co_ci_u32_e64 v7, s3, s9, v7, s3
	global_store_b16 v[6:7], v8, off
	s_or_b32 exec_lo, exec_lo, s5
	s_and_saveexec_b32 s5, s2
	s_cbranch_execnz .LBB169_41
	s_branch .LBB169_42
.LBB169_76:
	v_bfe_u32 v7, v193, 16, 1
	s_delay_alu instid0(VALU_DEP_2) | instskip(SKIP_1) | instid1(VALU_DEP_3)
	v_add_nc_u32_e32 v6, v5, v0
	v_cmp_o_f32_e64 s3, v193, v193
	v_add3_u32 v8, v193, v7, 0x7fff
	v_mov_b32_e32 v7, 0
	s_delay_alu instid0(VALU_DEP_2) | instskip(NEXT) | instid1(VALU_DEP_2)
	v_lshrrev_b32_e32 v8, 16, v8
	v_lshlrev_b64 v[6:7], 1, v[6:7]
	s_delay_alu instid0(VALU_DEP_2) | instskip(SKIP_1) | instid1(VALU_DEP_2)
	v_cndmask_b32_e64 v8, 0x7fc0, v8, s3
	s_waitcnt lgkmcnt(0)
	v_add_co_u32 v6, s3, s8, v6
	s_delay_alu instid0(VALU_DEP_1)
	v_add_co_ci_u32_e64 v7, s3, s9, v7, s3
	global_store_b16 v[6:7], v8, off
	s_or_b32 exec_lo, exec_lo, s5
	s_and_saveexec_b32 s5, s0
	s_cbranch_execz .LBB169_45
.LBB169_77:
	v_bfe_u32 v7, v136, 16, 1
	s_delay_alu instid0(VALU_DEP_2) | instskip(SKIP_1) | instid1(VALU_DEP_3)
	v_add_nc_u32_e32 v6, v5, v2
	v_cmp_o_f32_e64 s3, v136, v136
	v_add3_u32 v8, v136, v7, 0x7fff
	v_mov_b32_e32 v7, 0
	s_delay_alu instid0(VALU_DEP_2) | instskip(NEXT) | instid1(VALU_DEP_2)
	v_lshrrev_b32_e32 v8, 16, v8
	v_lshlrev_b64 v[6:7], 1, v[6:7]
	s_delay_alu instid0(VALU_DEP_2) | instskip(SKIP_1) | instid1(VALU_DEP_2)
	v_cndmask_b32_e64 v8, 0x7fc0, v8, s3
	s_waitcnt lgkmcnt(0)
	v_add_co_u32 v6, s3, s8, v6
	s_delay_alu instid0(VALU_DEP_1)
	v_add_co_ci_u32_e64 v7, s3, s9, v7, s3
	global_store_b16 v[6:7], v8, off
	s_or_b32 exec_lo, exec_lo, s5
	s_and_saveexec_b32 s5, s1
	s_cbranch_execz .LBB169_46
.LBB169_78:
	v_bfe_u32 v7, v123, 16, 1
	v_add_nc_u32_e32 v6, v5, v3
	v_cmp_o_f32_e64 s3, v123, v123
	s_delay_alu instid0(VALU_DEP_3) | instskip(SKIP_1) | instid1(VALU_DEP_2)
	v_add3_u32 v8, v123, v7, 0x7fff
	v_mov_b32_e32 v7, 0
	v_lshrrev_b32_e32 v8, 16, v8
	s_delay_alu instid0(VALU_DEP_2) | instskip(NEXT) | instid1(VALU_DEP_2)
	v_lshlrev_b64 v[6:7], 1, v[6:7]
	v_cndmask_b32_e64 v8, 0x7fc0, v8, s3
	s_waitcnt lgkmcnt(0)
	s_delay_alu instid0(VALU_DEP_2) | instskip(NEXT) | instid1(VALU_DEP_1)
	v_add_co_u32 v6, s3, s8, v6
	v_add_co_ci_u32_e64 v7, s3, s9, v7, s3
	global_store_b16 v[6:7], v8, off
	s_or_b32 exec_lo, exec_lo, s5
	s_and_saveexec_b32 s5, s2
	s_cbranch_execnz .LBB169_47
	s_branch .LBB169_48
.LBB169_79:
	v_bfe_u32 v7, v114, 16, 1
	s_delay_alu instid0(VALU_DEP_2) | instskip(SKIP_1) | instid1(VALU_DEP_3)
	v_add_nc_u32_e32 v6, v5, v0
	v_cmp_o_f32_e64 s3, v114, v114
	v_add3_u32 v8, v114, v7, 0x7fff
	v_mov_b32_e32 v7, 0
	s_delay_alu instid0(VALU_DEP_2) | instskip(NEXT) | instid1(VALU_DEP_2)
	v_lshrrev_b32_e32 v8, 16, v8
	v_lshlrev_b64 v[6:7], 1, v[6:7]
	s_delay_alu instid0(VALU_DEP_2) | instskip(SKIP_1) | instid1(VALU_DEP_2)
	v_cndmask_b32_e64 v8, 0x7fc0, v8, s3
	s_waitcnt lgkmcnt(0)
	v_add_co_u32 v6, s3, s8, v6
	s_delay_alu instid0(VALU_DEP_1)
	v_add_co_ci_u32_e64 v7, s3, s9, v7, s3
	global_store_b16 v[6:7], v8, off
	s_or_b32 exec_lo, exec_lo, s5
	s_and_saveexec_b32 s5, s0
	s_cbranch_execz .LBB169_51
.LBB169_80:
	v_bfe_u32 v7, v56, 16, 1
	s_delay_alu instid0(VALU_DEP_2) | instskip(SKIP_1) | instid1(VALU_DEP_3)
	v_add_nc_u32_e32 v6, v5, v2
	v_cmp_o_f32_e64 s3, v56, v56
	v_add3_u32 v8, v56, v7, 0x7fff
	v_mov_b32_e32 v7, 0
	s_delay_alu instid0(VALU_DEP_2) | instskip(NEXT) | instid1(VALU_DEP_2)
	v_lshrrev_b32_e32 v8, 16, v8
	v_lshlrev_b64 v[6:7], 1, v[6:7]
	s_delay_alu instid0(VALU_DEP_2) | instskip(SKIP_1) | instid1(VALU_DEP_2)
	v_cndmask_b32_e64 v8, 0x7fc0, v8, s3
	s_waitcnt lgkmcnt(0)
	v_add_co_u32 v6, s3, s8, v6
	s_delay_alu instid0(VALU_DEP_1)
	v_add_co_ci_u32_e64 v7, s3, s9, v7, s3
	global_store_b16 v[6:7], v8, off
	s_or_b32 exec_lo, exec_lo, s5
	s_and_saveexec_b32 s5, s1
	s_cbranch_execz .LBB169_52
.LBB169_81:
	v_bfe_u32 v7, v55, 16, 1
	v_add_nc_u32_e32 v6, v5, v3
	v_cmp_o_f32_e64 s3, v55, v55
	s_delay_alu instid0(VALU_DEP_3) | instskip(SKIP_1) | instid1(VALU_DEP_2)
	v_add3_u32 v8, v55, v7, 0x7fff
	v_mov_b32_e32 v7, 0
	v_lshrrev_b32_e32 v8, 16, v8
	s_delay_alu instid0(VALU_DEP_2) | instskip(NEXT) | instid1(VALU_DEP_2)
	v_lshlrev_b64 v[6:7], 1, v[6:7]
	v_cndmask_b32_e64 v8, 0x7fc0, v8, s3
	s_waitcnt lgkmcnt(0)
	s_delay_alu instid0(VALU_DEP_2) | instskip(NEXT) | instid1(VALU_DEP_1)
	v_add_co_u32 v6, s3, s8, v6
	v_add_co_ci_u32_e64 v7, s3, s9, v7, s3
	global_store_b16 v[6:7], v8, off
	s_or_b32 exec_lo, exec_lo, s5
	s_and_saveexec_b32 s5, s2
	s_cbranch_execnz .LBB169_53
	s_branch .LBB169_54
.LBB169_82:
	v_bfe_u32 v7, v53, 16, 1
	s_delay_alu instid0(VALU_DEP_2) | instskip(SKIP_1) | instid1(VALU_DEP_3)
	v_add_nc_u32_e32 v6, v5, v0
	v_cmp_o_f32_e64 s3, v53, v53
	v_add3_u32 v8, v53, v7, 0x7fff
	v_mov_b32_e32 v7, 0
	s_delay_alu instid0(VALU_DEP_2) | instskip(NEXT) | instid1(VALU_DEP_2)
	v_lshrrev_b32_e32 v8, 16, v8
	v_lshlrev_b64 v[6:7], 1, v[6:7]
	s_delay_alu instid0(VALU_DEP_2) | instskip(SKIP_1) | instid1(VALU_DEP_2)
	v_cndmask_b32_e64 v8, 0x7fc0, v8, s3
	s_waitcnt lgkmcnt(0)
	v_add_co_u32 v6, s3, s8, v6
	s_delay_alu instid0(VALU_DEP_1)
	v_add_co_ci_u32_e64 v7, s3, s9, v7, s3
	global_store_b16 v[6:7], v8, off
	s_or_b32 exec_lo, exec_lo, s5
	s_and_saveexec_b32 s5, s0
	s_cbranch_execz .LBB169_57
.LBB169_83:
	v_bfe_u32 v7, v52, 16, 1
	s_delay_alu instid0(VALU_DEP_2) | instskip(SKIP_1) | instid1(VALU_DEP_3)
	v_add_nc_u32_e32 v6, v5, v2
	v_cmp_o_f32_e64 s3, v52, v52
	v_add3_u32 v8, v52, v7, 0x7fff
	v_mov_b32_e32 v7, 0
	s_delay_alu instid0(VALU_DEP_2) | instskip(NEXT) | instid1(VALU_DEP_2)
	v_lshrrev_b32_e32 v8, 16, v8
	v_lshlrev_b64 v[6:7], 1, v[6:7]
	s_delay_alu instid0(VALU_DEP_2) | instskip(SKIP_1) | instid1(VALU_DEP_2)
	v_cndmask_b32_e64 v8, 0x7fc0, v8, s3
	s_waitcnt lgkmcnt(0)
	v_add_co_u32 v6, s3, s8, v6
	s_delay_alu instid0(VALU_DEP_1)
	v_add_co_ci_u32_e64 v7, s3, s9, v7, s3
	global_store_b16 v[6:7], v8, off
	s_or_b32 exec_lo, exec_lo, s5
	s_and_saveexec_b32 s5, s1
	s_cbranch_execz .LBB169_58
.LBB169_84:
	v_bfe_u32 v7, v51, 16, 1
	v_add_nc_u32_e32 v6, v5, v3
	v_cmp_o_f32_e64 s3, v51, v51
	s_delay_alu instid0(VALU_DEP_3) | instskip(SKIP_1) | instid1(VALU_DEP_2)
	v_add3_u32 v8, v51, v7, 0x7fff
	v_mov_b32_e32 v7, 0
	v_lshrrev_b32_e32 v8, 16, v8
	s_delay_alu instid0(VALU_DEP_2) | instskip(NEXT) | instid1(VALU_DEP_2)
	v_lshlrev_b64 v[6:7], 1, v[6:7]
	v_cndmask_b32_e64 v8, 0x7fc0, v8, s3
	s_waitcnt lgkmcnt(0)
	s_delay_alu instid0(VALU_DEP_2) | instskip(NEXT) | instid1(VALU_DEP_1)
	v_add_co_u32 v6, s3, s8, v6
	v_add_co_ci_u32_e64 v7, s3, s9, v7, s3
	global_store_b16 v[6:7], v8, off
	s_or_b32 exec_lo, exec_lo, s5
	s_and_saveexec_b32 s5, s2
	s_cbranch_execnz .LBB169_59
	s_branch .LBB169_60
.LBB169_85:
	v_bfe_u32 v6, v49, 16, 1
	s_delay_alu instid0(VALU_DEP_2) | instskip(SKIP_1) | instid1(VALU_DEP_3)
	v_add_nc_u32_e32 v5, v1, v0
	v_cmp_o_f32_e32 vcc_lo, v49, v49
	v_add3_u32 v0, v49, v6, 0x7fff
	v_mov_b32_e32 v6, 0
	s_delay_alu instid0(VALU_DEP_2) | instskip(NEXT) | instid1(VALU_DEP_2)
	v_lshrrev_b32_e32 v0, 16, v0
	v_lshlrev_b64 v[5:6], 1, v[5:6]
	s_delay_alu instid0(VALU_DEP_2) | instskip(SKIP_1) | instid1(VALU_DEP_2)
	v_cndmask_b32_e32 v0, 0x7fc0, v0, vcc_lo
	s_waitcnt lgkmcnt(0)
	v_add_co_u32 v5, vcc_lo, s8, v5
	s_delay_alu instid0(VALU_DEP_3)
	v_add_co_ci_u32_e32 v6, vcc_lo, s9, v6, vcc_lo
	global_store_b16 v[5:6], v0, off
	s_or_b32 exec_lo, exec_lo, s3
	s_and_saveexec_b32 s3, s0
	s_cbranch_execz .LBB169_63
.LBB169_86:
	v_bfe_u32 v0, v30, 16, 1
	s_delay_alu instid0(VALU_DEP_2) | instskip(SKIP_1) | instid1(VALU_DEP_3)
	v_dual_mov_b32 v6, 0 :: v_dual_add_nc_u32 v5, v1, v2
	v_cmp_o_f32_e32 vcc_lo, v30, v30
	v_add3_u32 v0, v30, v0, 0x7fff
	s_delay_alu instid0(VALU_DEP_3) | instskip(NEXT) | instid1(VALU_DEP_2)
	v_lshlrev_b64 v[5:6], 1, v[5:6]
	v_lshrrev_b32_e32 v0, 16, v0
	s_delay_alu instid0(VALU_DEP_1) | instskip(SKIP_1) | instid1(VALU_DEP_3)
	v_cndmask_b32_e32 v0, 0x7fc0, v0, vcc_lo
	s_waitcnt lgkmcnt(0)
	v_add_co_u32 v5, vcc_lo, s8, v5
	s_delay_alu instid0(VALU_DEP_4)
	v_add_co_ci_u32_e32 v6, vcc_lo, s9, v6, vcc_lo
	global_store_b16 v[5:6], v0, off
	s_or_b32 exec_lo, exec_lo, s3
	s_and_saveexec_b32 s0, s1
	s_cbranch_execz .LBB169_64
.LBB169_87:
	v_bfe_u32 v0, v29, 16, 1
	v_dual_mov_b32 v3, 0 :: v_dual_add_nc_u32 v2, v1, v3
	v_cmp_o_f32_e32 vcc_lo, v29, v29
	s_delay_alu instid0(VALU_DEP_3) | instskip(NEXT) | instid1(VALU_DEP_3)
	v_add3_u32 v0, v29, v0, 0x7fff
	v_lshlrev_b64 v[2:3], 1, v[2:3]
	s_delay_alu instid0(VALU_DEP_2) | instskip(NEXT) | instid1(VALU_DEP_1)
	v_lshrrev_b32_e32 v0, 16, v0
	v_cndmask_b32_e32 v0, 0x7fc0, v0, vcc_lo
	s_waitcnt lgkmcnt(0)
	s_delay_alu instid0(VALU_DEP_3) | instskip(NEXT) | instid1(VALU_DEP_4)
	v_add_co_u32 v2, vcc_lo, s8, v2
	v_add_co_ci_u32_e32 v3, vcc_lo, s9, v3, vcc_lo
	global_store_b16 v[2:3], v0, off
	s_or_b32 exec_lo, exec_lo, s0
	s_delay_alu instid0(SALU_CYCLE_1)
	s_and_b32 exec_lo, exec_lo, s2
	s_cbranch_execnz .LBB169_65
	s_branch .LBB169_66
	.section	.rodata,"a",@progbits
	.p2align	6, 0x0
	.amdhsa_kernel _ZL12mul_mat_q3_KIN3c108BFloat16ELb0EEvPKvS3_PT_iiiii
		.amdhsa_group_segment_fixed_size 39840
		.amdhsa_private_segment_fixed_size 528
		.amdhsa_kernarg_size 44
		.amdhsa_user_sgpr_count 14
		.amdhsa_user_sgpr_dispatch_ptr 0
		.amdhsa_user_sgpr_queue_ptr 0
		.amdhsa_user_sgpr_kernarg_segment_ptr 1
		.amdhsa_user_sgpr_dispatch_id 0
		.amdhsa_user_sgpr_private_segment_size 0
		.amdhsa_wavefront_size32 1
		.amdhsa_uses_dynamic_stack 0
		.amdhsa_enable_private_segment 1
		.amdhsa_system_sgpr_workgroup_id_x 1
		.amdhsa_system_sgpr_workgroup_id_y 1
		.amdhsa_system_sgpr_workgroup_id_z 0
		.amdhsa_system_sgpr_workgroup_info 0
		.amdhsa_system_vgpr_workitem_id 1
		.amdhsa_next_free_vgpr 256
		.amdhsa_next_free_sgpr 23
		.amdhsa_reserve_vcc 1
		.amdhsa_float_round_mode_32 0
		.amdhsa_float_round_mode_16_64 0
		.amdhsa_float_denorm_mode_32 3
		.amdhsa_float_denorm_mode_16_64 3
		.amdhsa_dx10_clamp 1
		.amdhsa_ieee_mode 1
		.amdhsa_fp16_overflow 0
		.amdhsa_workgroup_processor_mode 1
		.amdhsa_memory_ordered 1
		.amdhsa_forward_progress 0
		.amdhsa_shared_vgpr_count 0
		.amdhsa_exception_fp_ieee_invalid_op 0
		.amdhsa_exception_fp_denorm_src 0
		.amdhsa_exception_fp_ieee_div_zero 0
		.amdhsa_exception_fp_ieee_overflow 0
		.amdhsa_exception_fp_ieee_underflow 0
		.amdhsa_exception_fp_ieee_inexact 0
		.amdhsa_exception_int_div_zero 0
	.end_amdhsa_kernel
	.section	.text._ZL12mul_mat_q3_KIN3c108BFloat16ELb0EEvPKvS3_PT_iiiii,"axG",@progbits,_ZL12mul_mat_q3_KIN3c108BFloat16ELb0EEvPKvS3_PT_iiiii,comdat
.Lfunc_end169:
	.size	_ZL12mul_mat_q3_KIN3c108BFloat16ELb0EEvPKvS3_PT_iiiii, .Lfunc_end169-_ZL12mul_mat_q3_KIN3c108BFloat16ELb0EEvPKvS3_PT_iiiii
                                        ; -- End function
	.section	.AMDGPU.csdata,"",@progbits
; Kernel info:
; codeLenInByte = 34972
; NumSgprs: 25
; NumVgprs: 256
; ScratchSize: 528
; MemoryBound: 0
; FloatMode: 240
; IeeeMode: 1
; LDSByteSize: 39840 bytes/workgroup (compile time only)
; SGPRBlocks: 3
; VGPRBlocks: 31
; NumSGPRsForWavesPerEU: 25
; NumVGPRsForWavesPerEU: 256
; Occupancy: 5
; WaveLimiterHint : 0
; COMPUTE_PGM_RSRC2:SCRATCH_EN: 1
; COMPUTE_PGM_RSRC2:USER_SGPR: 14
; COMPUTE_PGM_RSRC2:TRAP_HANDLER: 0
; COMPUTE_PGM_RSRC2:TGID_X_EN: 1
; COMPUTE_PGM_RSRC2:TGID_Y_EN: 1
; COMPUTE_PGM_RSRC2:TGID_Z_EN: 0
; COMPUTE_PGM_RSRC2:TIDIG_COMP_CNT: 1
	.section	.text._ZL12mul_mat_q3_KIN3c108BFloat16ELb1EEvPKvS3_PT_iiiii,"axG",@progbits,_ZL12mul_mat_q3_KIN3c108BFloat16ELb1EEvPKvS3_PT_iiiii,comdat
	.globl	_ZL12mul_mat_q3_KIN3c108BFloat16ELb1EEvPKvS3_PT_iiiii ; -- Begin function _ZL12mul_mat_q3_KIN3c108BFloat16ELb1EEvPKvS3_PT_iiiii
	.p2align	8
	.type	_ZL12mul_mat_q3_KIN3c108BFloat16ELb1EEvPKvS3_PT_iiiii,@function
_ZL12mul_mat_q3_KIN3c108BFloat16ELb1EEvPKvS3_PT_iiiii: ; @_ZL12mul_mat_q3_KIN3c108BFloat16ELb1EEvPKvS3_PT_iiiii
; %bb.0:
	s_clause 0x1
	s_load_b128 s[4:7], s[0:1], 0x18
	s_load_b32 s10, s[0:1], 0x28
	v_bfe_u32 v1, v0, 10, 10
	s_lshl_b32 s11, s15, 6
	scratch_store_b32 off, v1, off offset:580 ; 4-byte Folded Spill
	v_and_b32_e32 v1, 0x3ff, v0
	scratch_store_b32 off, v1, off offset:152 ; 4-byte Folded Spill
	s_waitcnt lgkmcnt(0)
	s_cmpk_gt_i32 s4, 0xff
	s_cbranch_scc1 .LBB170_2
; %bb.1:
	v_bfe_u32 v1, v0, 10, 10
	v_and_b32_e32 v0, 0x3ff, v0
	s_mov_b32 s2, 0
	s_mov_b32 s3, 0
	s_delay_alu instid0(VALU_DEP_2)
	v_add_nc_u32_e32 v2, s11, v1
	s_branch .LBB170_3
.LBB170_2:
	s_mov_b32 s2, -1
                                        ; implicit-def: $sgpr3
                                        ; implicit-def: $vgpr1
                                        ; implicit-def: $vgpr0
                                        ; implicit-def: $vgpr2
.LBB170_3:
	s_load_b64 s[8:9], s[0:1], 0x10
	v_dual_mov_b32 v112, s3 :: v_dual_mov_b32 v119, s3
	v_dual_mov_b32 v32, s3 :: v_dual_mov_b32 v125, s3
	;; [unrolled: 1-line block ×13, first 2 shown]
	v_mov_b32_e32 v31, s3
	v_mov_b32_e32 v115, s3
	;; [unrolled: 1-line block ×6, first 2 shown]
	s_and_not1_b32 vcc_lo, exec_lo, s2
	s_lshl_b32 s12, s14, 7
	s_cbranch_vccnz .LBB170_15
; %bb.4:
	s_clause 0x1
	scratch_load_b32 v29, off, off offset:152
	scratch_load_b32 v28, off, off offset:580
	s_load_b128 s[0:3], s[0:1], 0x0
	s_ashr_i32 s13, s4, 31
	s_ashr_i32 s14, s7, 31
	s_lshr_b32 s13, s13, 24
	v_mov_b32_e32 v123, 0
	s_add_i32 s4, s4, s13
	s_lshr_b32 s13, s14, 27
	s_ashr_i32 s4, s4, 8
	s_add_i32 s7, s7, s13
	s_mul_i32 s13, s4, s12
	s_ashr_i32 s14, s7, 5
	s_mul_i32 s7, s13, 0x6e
	s_mul_hi_i32 s13, s13, 0x6e
	v_dual_mov_b32 v89, 0 :: v_dual_mov_b32 v92, 0
	v_dual_mov_b32 v229, 0 :: v_dual_mov_b32 v94, 0
	;; [unrolled: 1-line block ×3, first 2 shown]
	v_mov_b32_e32 v115, 0
	s_waitcnt lgkmcnt(0)
	s_add_u32 s7, s0, s7
	s_addc_u32 s13, s1, s13
	s_not_b32 s0, s12
	v_mov_b32_e32 v122, 0
	s_add_i32 s0, s0, s5
	s_add_i32 s1, s6, -1
	v_mov_b32_e32 v125, 0
	s_mov_b32 s5, 0
	v_dual_mov_b32 v124, 0 :: v_dual_mov_b32 v91, 0
	v_dual_mov_b32 v116, 0 :: v_dual_mov_b32 v85, 0
	;; [unrolled: 1-line block ×3, first 2 shown]
	v_mov_b32_e32 v93, 0
	v_mov_b32_e32 v121, 0
	;; [unrolled: 1-line block ×4, first 2 shown]
	v_dual_mov_b32 v109, 0 :: v_dual_mov_b32 v234, 0
	v_dual_mov_b32 v119, 0 :: v_dual_mov_b32 v112, 0
	v_mov_b32_e32 v90, 0
	v_mov_b32_e32 v82, 0
	s_waitcnt vmcnt(1)
	v_lshlrev_b32_e32 v0, 2, v29
	s_waitcnt vmcnt(0)
	v_min_i32_e32 v2, s0, v28
	v_add_nc_u32_e32 v20, 8, v28
	v_and_b32_e32 v1, 15, v29
	v_add_nc_u32_e32 v21, 16, v28
	v_add_nc_u32_e32 v16, s11, v28
	v_mul_lo_u32 v5, v2, s4
	v_min_i32_e32 v3, s0, v20
	v_add_nc_u32_e32 v22, 24, v28
	v_min_i32_e32 v4, s0, v21
	v_add_nc_u32_e32 v23, 32, v28
	v_add_nc_u32_e32 v24, 40, v28
	;; [unrolled: 1-line block ×4, first 2 shown]
	s_clause 0x1
	scratch_store_b32 off, v5, off offset:248
	scratch_store_b32 off, v16, off offset:584
	v_mad_u64_u32 v[5:6], null, 0x84, v2, v[0:1]
	v_mul_lo_u32 v2, v3, s4
	v_lshlrev_b32_e32 v27, 4, v28
	v_lshrrev_b32_e32 v48, 1, v29
	v_lshrrev_b32_e32 v30, 4, v29
	v_cmp_lt_u32_e32 vcc_lo, 7, v1
	v_lshlrev_b32_e32 v31, 2, v1
	scratch_store_b64 off, v[5:6], off offset:252 ; 8-byte Folded Spill
	v_mad_u64_u32 v[5:6], null, 0x84, v3, v[0:1]
	scratch_store_b32 off, v2, off offset:260 ; 4-byte Folded Spill
	v_mul_lo_u32 v2, v4, s4
	v_min_i32_e32 v3, s0, v23
	v_add_nc_u32_e32 v11, 24, v16
	v_add_nc_u32_e32 v12, 32, v16
	;; [unrolled: 1-line block ×3, first 2 shown]
	scratch_store_b64 off, v[5:6], off offset:264 ; 8-byte Folded Spill
	v_mad_u64_u32 v[5:6], null, 0x84, v4, v[0:1]
	scratch_store_b32 off, v2, off offset:272 ; 4-byte Folded Spill
	v_min_i32_e32 v2, s0, v22
	v_add_nc_u32_e32 v15, 48, v16
	v_add_nc_u32_e32 v47, 56, v16
	v_and_b32_e32 v44, 7, v29
	v_lshl_add_u32 v71, v29, 4, v48
	v_mul_lo_u32 v4, v2, s4
	scratch_store_b64 off, v[5:6], off offset:276 ; 8-byte Folded Spill
	v_mul_u32_u24_e32 v72, 0x84, v29
	v_lshlrev_b32_e32 v32, 2, v44
	v_and_b32_e32 v100, 0xfc, v29
	scratch_store_b32 off, v4, off offset:284 ; 4-byte Folded Spill
	v_mad_u64_u32 v[4:5], null, 0x84, v2, v[0:1]
	v_mul_lo_u32 v2, v3, s4
	v_add_nc_u32_e32 v104, 0x8308, v100
	scratch_store_b64 off, v[4:5], off offset:288 ; 8-byte Folded Spill
	v_mad_u64_u32 v[4:5], null, 0x84, v3, v[0:1]
	scratch_store_b32 off, v2, off offset:296 ; 4-byte Folded Spill
	v_min_i32_e32 v2, s0, v24
	s_delay_alu instid0(VALU_DEP_1)
	v_mul_lo_u32 v3, v2, s4
	scratch_store_b64 off, v[4:5], off offset:300 ; 8-byte Folded Spill
	v_mad_u64_u32 v[4:5], null, 0x84, v2, v[0:1]
	v_min_i32_e32 v2, s0, v26
	scratch_store_b32 off, v3, off offset:308 ; 4-byte Folded Spill
	v_min_i32_e32 v3, s0, v25
	scratch_store_b64 off, v[4:5], off offset:312 ; 8-byte Folded Spill
	v_add_nc_u32_e32 v4, 64, v28
	v_mul_lo_u32 v5, v3, s4
	scratch_store_b32 off, v5, off offset:320 ; 4-byte Folded Spill
	v_mad_u64_u32 v[5:6], null, 0x84, v3, v[0:1]
	v_mul_lo_u32 v3, v2, s4
	scratch_store_b64 off, v[5:6], off offset:324 ; 8-byte Folded Spill
	v_mad_u64_u32 v[5:6], null, 0x84, v2, v[0:1]
	scratch_store_b32 off, v3, off offset:332 ; 4-byte Folded Spill
	v_min_i32_e32 v3, s0, v4
	v_add_nc_u32_e32 v4, 0x48, v28
	s_delay_alu instid0(VALU_DEP_2)
	v_mul_lo_u32 v2, v3, s4
	scratch_store_b64 off, v[5:6], off offset:336 ; 8-byte Folded Spill
	v_mad_u64_u32 v[6:7], null, 0x84, v3, v[0:1]
	v_add_nc_u32_e32 v5, v48, v27
	scratch_store_b32 off, v2, off offset:344 ; 4-byte Folded Spill
	v_min_i32_e32 v2, s0, v4
	v_add_nc_u32_e32 v4, 0x50, v28
	v_and_b32_e32 v5, 0x7f, v5
	s_delay_alu instid0(VALU_DEP_3)
	v_mul_lo_u32 v3, v2, s4
	scratch_store_b64 off, v[6:7], off offset:348 ; 8-byte Folded Spill
	v_mad_u64_u32 v[6:7], null, 0x84, v2, v[0:1]
	v_min_i32_e32 v5, s0, v5
	scratch_store_b32 off, v3, off offset:356 ; 4-byte Folded Spill
	v_min_i32_e32 v3, s0, v4
	v_add_nc_u32_e32 v4, 0x58, v28
	v_lshlrev_b32_e32 v50, 3, v5
	s_delay_alu instid0(VALU_DEP_3)
	v_mul_lo_u32 v2, v3, s4
	scratch_store_b64 off, v[6:7], off offset:360 ; 8-byte Folded Spill
	v_mad_u64_u32 v[6:7], null, 0x84, v3, v[0:1]
	scratch_store_b32 off, v2, off offset:368 ; 4-byte Folded Spill
	v_min_i32_e32 v2, s0, v4
	v_add_nc_u32_e32 v4, 0x60, v28
	s_delay_alu instid0(VALU_DEP_2)
	v_mul_lo_u32 v3, v2, s4
	scratch_store_b64 off, v[6:7], off offset:372 ; 8-byte Folded Spill
	v_mad_u64_u32 v[7:8], null, 0x84, v2, v[0:1]
	v_ashrrev_i32_e32 v6, 31, v5
	scratch_store_b32 off, v3, off offset:380 ; 4-byte Folded Spill
	v_min_i32_e32 v3, s0, v4
	v_add_nc_u32_e32 v4, 0x68, v28
	v_lshrrev_b32_e32 v6, 28, v6
	s_delay_alu instid0(VALU_DEP_3)
	v_mul_lo_u32 v2, v3, s4
	scratch_store_b64 off, v[7:8], off offset:384 ; 8-byte Folded Spill
	v_mad_u64_u32 v[7:8], null, 0x84, v3, v[0:1]
	v_add_nc_u32_e32 v6, v5, v6
	scratch_store_b32 off, v2, off offset:392 ; 4-byte Folded Spill
	v_min_i32_e32 v2, s0, v4
	v_add_nc_u32_e32 v4, 0x70, v28
	s_delay_alu instid0(VALU_DEP_2)
	v_mul_lo_u32 v3, v2, s4
	scratch_store_b64 off, v[7:8], off offset:396 ; 8-byte Folded Spill
	v_mad_u64_u32 v[7:8], null, 0x84, v2, v[0:1]
	scratch_store_b32 off, v3, off offset:404 ; 4-byte Folded Spill
	v_min_i32_e32 v3, s0, v4
	v_add_nc_u32_e32 v4, 0x78, v28
	s_delay_alu instid0(VALU_DEP_2)
	v_mul_lo_u32 v2, v3, s4
	scratch_store_b64 off, v[7:8], off offset:408 ; 8-byte Folded Spill
	v_mad_u64_u32 v[8:9], null, 0x84, v3, v[0:1]
	v_and_b32_e32 v7, 1, v29
	scratch_store_b32 off, v2, off offset:416 ; 4-byte Folded Spill
	v_min_i32_e32 v2, s0, v4
	v_ashrrev_i32_e32 v4, 4, v6
	v_lshl_add_u32 v6, v28, 1, v30
	scratch_store_b32 off, v7, off offset:420 ; 4-byte Folded Spill
	v_mul_lo_u32 v3, v2, s4
	scratch_store_b64 off, v[8:9], off offset:424 ; 8-byte Folded Spill
	v_mad_u64_u32 v[8:9], null, 0x84, v2, v[0:1]
	v_add_nc_u32_e32 v2, 16, v6
	v_cndmask_b32_e64 v1, 0, 1, vcc_lo
	v_add_nc_u32_e32 v10, 0x70, v6
	v_cmp_lt_u32_e32 vcc_lo, 3, v44
	scratch_store_b32 off, v3, off offset:432 ; 4-byte Folded Spill
	v_lshlrev_b32_e32 v3, 2, v4
	scratch_store_b64 off, v[8:9], off offset:436 ; 8-byte Folded Spill
	v_mul_lo_u32 v8, v5, s4
	v_lshlrev_b32_e32 v4, 2, v7
	v_min_i32_e32 v7, s0, v6
	v_min_i32_e32 v2, s0, v2
	;; [unrolled: 1-line block ×3, first 2 shown]
	v_and_b32_e32 v0, 28, v0
	v_add3_u32 v49, v3, v4, 0x9380
	v_add_nc_u32_e32 v4, 32, v6
	scratch_store_b32 off, v8, off offset:444 ; 4-byte Folded Spill
	v_mul_lo_u32 v5, v7, s4
	scratch_store_b32 off, v1, off offset:448 ; 4-byte Folded Spill
	v_lshrrev_b32_e32 v1, 31, v2
	v_lshrrev_b32_e32 v8, 31, v7
	v_min_i32_e32 v4, s0, v4
	v_lshlrev_b32_e32 v52, 6, v7
	v_lshlrev_b32_e32 v54, 6, v2
	v_add_lshl_u32 v1, v2, v1, 1
	v_add_lshl_u32 v3, v7, v8, 1
	v_add_nc_u32_e32 v7, 64, v6
	v_mul_lo_u32 v8, v2, s4
	scratch_store_b32 off, v5, off offset:456 ; 4-byte Folded Spill
	v_and_b32_e32 v1, -4, v1
	v_lshrrev_b32_e32 v5, 31, v4
	v_and_b32_e32 v3, -4, v3
	v_lshlrev_b32_e32 v56, 6, v4
	v_lshrrev_b32_e32 v18, 31, v45
	v_add3_u32 v53, v1, v31, 0x4200
	v_add_lshl_u32 v1, v4, v5, 1
	v_min_i32_e32 v5, s0, v7
	v_add_nc_u32_e32 v7, 0x50, v6
	v_add3_u32 v51, v3, v31, 0x4200
	v_add_nc_u32_e32 v3, 48, v6
	v_and_b32_e32 v1, -4, v1
	v_lshrrev_b32_e32 v2, 31, v5
	v_min_i32_e32 v17, s0, v7
	scratch_store_b32 off, v8, off offset:460 ; 4-byte Folded Spill
	v_min_i32_e32 v3, s0, v3
	v_add3_u32 v55, v1, v31, 0x4200
	v_add_lshl_u32 v1, v5, v2, 1
	v_lshrrev_b32_e32 v2, 31, v17
	v_lshlrev_b32_e32 v63, 6, v17
	v_lshrrev_b32_e32 v8, 31, v3
	v_lshlrev_b32_e32 v58, 6, v3
	v_and_b32_e32 v1, -4, v1
	v_add_lshl_u32 v2, v17, v2, 1
	v_lshlrev_b32_e32 v60, 6, v5
	v_add_lshl_u32 v7, v3, v8, 1
	v_mul_lo_u32 v8, v4, s4
	v_add3_u32 v59, v1, v31, 0x4200
	v_and_b32_e32 v1, -4, v2
	v_add_nc_u32_e32 v2, 0x60, v6
	v_mul_lo_u32 v4, v3, s4
	v_mul_lo_u32 v3, v5, s4
	v_and_b32_e32 v7, -4, v7
	v_add_nc_u32_e32 v5, 8, v16
	v_min_i32_e32 v19, s0, v2
	scratch_store_b32 off, v8, off offset:464 ; 4-byte Folded Spill
	v_add3_u32 v61, v1, v31, 0x4200
	v_add3_u32 v57, v7, v31, 0x4200
	s_clause 0x1
	scratch_store_b32 off, v4, off offset:468
	scratch_store_b32 off, v3, off offset:472
	v_lshrrev_b32_e32 v9, 31, v19
	v_mul_lo_u32 v3, v17, s4
	v_mul_lo_u32 v17, v19, s4
	v_add_nc_u32_e32 v7, 16, v16
	v_cvt_f64_i32_e32 v[1:2], s1
	v_add_lshl_u32 v13, v19, v9, 1
	v_cvt_f64_u32_e32 v[5:6], v5
	v_cvt_f64_u32_e32 v[9:10], v11
	;; [unrolled: 1-line block ×3, first 2 shown]
	s_clause 0x1
	scratch_store_b32 off, v3, off offset:476
	scratch_store_b32 off, v17, off offset:480
	v_cvt_f64_u32_e32 v[3:4], v16
	v_cvt_f64_u32_e32 v[11:12], v12
	v_and_b32_e32 v46, -4, v13
	v_cvt_f64_u32_e32 v[13:14], v14
	v_cvt_f64_u32_e32 v[15:16], v15
	v_add_lshl_u32 v62, v45, v18, 1
	v_cvt_f64_u32_e32 v[17:18], v47
	v_mul_lo_u32 v33, v45, s4
	v_add3_u32 v64, v46, v31, 0x4200
	v_lshrrev_b32_e32 v47, 3, v29
	v_and_b32_e32 v46, -4, v62
	v_lshlrev_b32_e32 v62, 6, v19
	v_and_b32_e32 v19, 3, v29
	s_clause 0x1
	scratch_store_b32 off, v33, off offset:484
	scratch_store_b32 off, v31, off offset:244
	v_add3_u32 v65, v46, v31, 0x4200
	v_lshlrev_b32_e32 v66, 6, v45
	v_add_nc_u16 v45, v19, -2
	v_cndmask_b32_e64 v31, 0, 1, vcc_lo
	v_cmp_gt_u32_e32 vcc_lo, 2, v19
	v_lshl_add_u32 v46, v28, 2, v47
	s_delay_alu instid0(VALU_DEP_4) | instskip(SKIP_1) | instid1(VALU_DEP_3)
	v_dual_mov_b32 v33, 0 :: v_dual_cndmask_b32 v44, v45, v19
	v_cmp_lt_u32_e32 vcc_lo, 1, v19
	v_min_i32_e32 v45, s0, v46
	v_add_nc_u32_e32 v67, 32, v46
	s_delay_alu instid0(VALU_DEP_4) | instskip(SKIP_1) | instid1(VALU_DEP_4)
	v_and_b32_e32 v44, 0xff, v44
	v_cndmask_b32_e64 v47, 0, 1, vcc_lo
	v_ashrrev_i32_e32 v68, 31, v45
	v_min_f64 v[5:6], v[5:6], v[1:2]
	v_min_f64 v[9:10], v[9:10], v[1:2]
	;; [unrolled: 1-line block ×3, first 2 shown]
	v_lshlrev_b32_e32 v69, 5, v45
	v_min_f64 v[3:4], v[3:4], v[1:2]
	v_min_f64 v[11:12], v[11:12], v[1:2]
	;; [unrolled: 1-line block ×5, first 2 shown]
	v_lshlrev_b32_e32 v17, 1, v19
	scratch_store_b32 off, v31, off offset:488 ; 4-byte Folded Spill
	v_lshlrev_b32_e32 v31, 2, v47
	v_min_i32_e32 v47, s0, v67
	scratch_store_b32 off, v31, off offset:492 ; 4-byte Folded Spill
	v_lshlrev_b32_e32 v31, 2, v44
	v_lshrrev_b32_e32 v44, 30, v68
	v_add_nc_u32_e32 v68, 64, v46
	v_ashrrev_i32_e32 v67, 31, v47
	v_add_nc_u32_e32 v46, 0x60, v46
	v_lshlrev_b32_e32 v70, 5, v47
	v_add_nc_u32_e32 v44, v45, v44
	v_min_i32_e32 v68, s0, v68
	v_lshrrev_b32_e32 v67, 30, v67
	s_delay_alu instid0(VALU_DEP_2) | instskip(NEXT) | instid1(VALU_DEP_1)
	v_ashrrev_i32_e32 v18, 31, v68
	v_lshrrev_b32_e32 v18, 30, v18
	v_cvt_i32_f64_e32 v5, v[5:6]
	v_mul_lo_u32 v6, v68, s4
	scratch_store_b32 off, v31, off offset:496 ; 4-byte Folded Spill
	v_mul_lo_u32 v31, v45, s4
	scratch_store_b32 off, v17, off offset:500 ; 4-byte Folded Spill
	v_cvt_i32_f64_e32 v3, v[3:4]
	v_and_b32_e32 v17, -4, v44
	v_min_i32_e32 v44, s0, v46
	v_add_nc_u32_e32 v46, v47, v67
	scratch_store_b32 off, v6, off offset:512 ; 4-byte Folded Spill
	v_lshrrev_b32_e32 v6, 2, v29
	scratch_store_b32 off, v31, off offset:504 ; 4-byte Folded Spill
	v_cvt_i32_f64_e32 v1, v[1:2]
	v_ashrrev_i32_e32 v67, 31, v44
	v_add_nc_u32_e32 v18, v68, v18
	v_cvt_i32_f64_e32 v7, v[7:8]
	v_lshl_add_u32 v6, v28, 3, v6
	v_mul_lo_u32 v31, v47, s4
	v_lshrrev_b32_e32 v45, 30, v67
	v_cvt_i32_f64_e32 v11, v[11:12]
	v_mul_lo_u32 v12, v44, s4
	v_and_b32_e32 v4, -4, v18
	v_and_b32_e32 v6, 63, v6
	v_add_nc_u32_e32 v18, v44, v45
	v_cvt_i32_f64_e32 v9, v[9:10]
	v_and_b32_e32 v46, -4, v46
	s_clause 0x2
	scratch_store_b32 off, v31, off offset:508
	scratch_store_b32 off, v12, off offset:516
	;; [unrolled: 1-line block ×3, first 2 shown]
	v_and_b32_e32 v8, -4, v18
	v_cvt_i32_f64_e32 v12, v[13:14]
	v_cvt_i32_f64_e32 v13, v[15:16]
	v_or_b32_e32 v2, s11, v6
	v_lshlrev_b32_e32 v16, 2, v19
	v_and_b32_e32 v15, 31, v29
	v_add_co_u32 v31, s0, s2, v0
	v_add3_u32 v17, v17, v32, 0x8300
	v_add3_u32 v67, v46, v32, 0x8300
	;; [unrolled: 1-line block ×4, first 2 shown]
	v_add_co_ci_u32_e64 v32, null, s3, 0, s0
	v_min_i32_e32 v0, s1, v2
	v_lshl_or_b32 v2, v6, 4, v16
	v_lshlrev_b32_e32 v15, 2, v15
	v_dual_mov_b32 v45, 0 :: v_dual_lshlrev_b32 v18, 7, v28
	v_lshlrev_b32_e32 v10, 5, v68
	s_movk_i32 s0, 0x1080
	v_mul_lo_u32 v1, s14, v1
	scratch_store_b64 off, v[31:32], off offset:156 ; 8-byte Folded Spill
	v_mad_u64_u32 v[31:32], null, v0, s14, v[19:20]
	v_add_nc_u32_e32 v0, 0x97a0, v2
	v_mul_lo_u32 v2, s14, v3
	v_or_b32_e32 v6, v18, v15
	v_mul_lo_u32 v3, s14, v5
	s_clause 0x1
	scratch_store_b32 off, v1, off offset:224
	scratch_store_b32 off, v0, off offset:164
	v_lshl_or_b32 v0, v20, 7, v15
	v_add_nc_u32_e32 v1, 64, v29
	v_lshlrev_b32_e32 v14, 5, v44
	scratch_store_b32 off, v2, off offset:168 ; 4-byte Folded Spill
	v_add_nc_u32_e32 v2, 0x6300, v6
	v_add_nc_u32_e32 v0, 0x6300, v0
	v_lshlrev_b32_e32 v6, 2, v30
	v_lshrrev_b32_e32 v5, 1, v1
	v_mad_u32_u24 v77, 0x84, v29, s0
	scratch_store_b32 off, v2, off offset:172 ; 4-byte Folded Spill
	v_lshl_or_b32 v2, v21, 7, v15
	s_movk_i32 s0, 0x2100
	v_lshlrev_b32_e32 v68, 5, v29
	v_mad_u32_u24 v80, 0x84, v29, s0
	s_movk_i32 s0, 0x3180
	v_add_nc_u32_e32 v2, 0x6300, v2
	scratch_store_b32 off, v3, off offset:176 ; 4-byte Folded Spill
	v_mul_lo_u32 v3, s14, v7
	scratch_store_b32 off, v0, off offset:180 ; 4-byte Folded Spill
	v_lshl_or_b32 v0, v22, 7, v15
	v_lshlrev_b32_e32 v7, 3, v29
	v_lshl_add_u32 v79, v1, 4, v5
	v_mad_u32_u24 v95, 0x84, v29, s0
	v_and_b32_e32 v98, 0x1fc, v1
	v_add_nc_u32_e32 v0, 0x6300, v0
	scratch_store_b32 off, v3, off offset:184 ; 4-byte Folded Spill
	v_mul_lo_u32 v3, s14, v9
	scratch_store_b32 off, v2, off offset:188 ; 4-byte Folded Spill
	v_lshl_or_b32 v2, v23, 7, v15
	v_add3_u32 v73, v6, v7, 0x9380
	v_mov_b32_e32 v46, 0
	v_add_nc_u32_e32 v102, 0x8b08, v98
	s_delay_alu instid0(VALU_DEP_4) | instskip(SKIP_4) | instid1(VALU_DEP_1)
	v_add_nc_u32_e32 v2, 0x6300, v2
	scratch_store_b32 off, v3, off offset:192 ; 4-byte Folded Spill
	v_mul_lo_u32 v3, s14, v11
	scratch_store_b32 off, v0, off offset:196 ; 4-byte Folded Spill
	v_lshl_or_b32 v0, v24, 7, v15
	v_add_nc_u32_e32 v0, 0x6300, v0
	scratch_store_b32 off, v3, off offset:200 ; 4-byte Folded Spill
	v_mul_lo_u32 v3, s14, v12
	scratch_store_b32 off, v2, off offset:204 ; 4-byte Folded Spill
	v_lshl_or_b32 v2, v25, 7, v15
	s_delay_alu instid0(VALU_DEP_1) | instskip(SKIP_4) | instid1(VALU_DEP_1)
	v_add_nc_u32_e32 v2, 0x6300, v2
	scratch_store_b32 off, v0, off offset:212 ; 4-byte Folded Spill
	v_mul_lo_u32 v0, s14, v13
	scratch_store_b32 off, v3, off offset:208 ; 4-byte Folded Spill
	v_add_nc_u32_e32 v3, 0x60, v29
	v_lshrrev_b32_e32 v11, 1, v3
	scratch_store_b32 off, v0, off offset:216 ; 4-byte Folded Spill
	v_lshl_or_b32 v0, v26, 7, v15
	v_and_b32_e32 v97, 0x1fc, v3
	v_lshl_add_u32 v83, v3, 4, v11
	s_delay_alu instid0(VALU_DEP_3)
	v_add_nc_u32_e32 v0, 0x6300, v0
	scratch_store_b32 off, v2, off offset:220 ; 4-byte Folded Spill
	v_add_nc_u32_e32 v2, 32, v29
	v_add_nc_u32_e32 v101, 0x8f08, v97
	scratch_store_b32 off, v0, off offset:228 ; 4-byte Folded Spill
	v_lshrrev_b32_e32 v0, 1, v2
	v_lshrrev_b32_e32 v9, 2, v2
	v_lshlrev_b32_e32 v7, 3, v2
	v_and_b32_e32 v99, 0x1fc, v2
	s_delay_alu instid0(VALU_DEP_4) | instskip(NEXT) | instid1(VALU_DEP_4)
	v_lshl_add_u32 v74, v2, 4, v0
	v_and_b32_e32 v6, 0x7c, v9
	v_lshrrev_b32_e32 v0, 2, v1
	s_delay_alu instid0(VALU_DEP_4) | instskip(NEXT) | instid1(VALU_DEP_3)
	v_add_nc_u32_e32 v103, 0x8708, v99
	v_add3_u32 v78, v7, v6, 0x9380
	s_delay_alu instid0(VALU_DEP_3) | instskip(SKIP_2) | instid1(VALU_DEP_2)
	v_and_b32_e32 v0, 0x7c, v0
	v_lshlrev_b32_e32 v7, 3, v1
	v_lshrrev_b32_e32 v6, 2, v3
	v_add3_u32 v81, v7, v0, 0x9380
	v_add_nc_u32_e32 v0, 0x97a0, v27
	scratch_store_b64 off, v[31:32], off offset:520 ; 8-byte Folded Spill
	v_and_b32_e32 v5, 0x7c, v6
	v_dual_mov_b32 v31, 0 :: v_dual_lshlrev_b32 v6, 3, v3
	scratch_store_b32 off, v0, off offset:232 ; 4-byte Folded Spill
	v_add_nc_u32_e32 v0, 0x6300, v18
	v_mov_b32_e32 v32, 0
	v_add3_u32 v96, v6, v5, 0x9380
	scratch_store_b32 off, v0, off offset:236 ; 4-byte Folded Spill
	v_add_nc_u32_e32 v0, v49, v50
	s_clause 0x1
	scratch_store_b32 off, v30, off offset:240
	scratch_store_b32 off, v0, off offset:528
	v_add_nc_u32_e32 v0, v51, v52
	scratch_store_b32 off, v0, off offset:532 ; 4-byte Folded Spill
	v_add_nc_u32_e32 v0, v53, v54
	scratch_store_b32 off, v0, off offset:536 ; 4-byte Folded Spill
	;; [unrolled: 2-line block ×7, first 2 shown]
	v_dual_mov_b32 v65, 0 :: v_dual_add_nc_u32 v0, v65, v66
	scratch_store_b32 off, v0, off offset:560 ; 4-byte Folded Spill
	v_add_nc_u32_e32 v0, v17, v69
	scratch_store_b32 off, v0, off offset:564 ; 4-byte Folded Spill
	v_add_nc_u32_e32 v0, v67, v70
	;; [unrolled: 2-line block ×4, first 2 shown]
	s_clause 0x15
	scratch_store_b32 off, v0, off offset:576
	scratch_store_b32 off, v68, off offset:8
	;; [unrolled: 1-line block ×20, first 2 shown]
	scratch_store_b32 off, v78, off
	scratch_store_b32 off, v96, off offset:4
	s_branch .LBB170_6
.LBB170_5:                              ;   in Loop: Header=BB170_6 Depth=1
	s_add_i32 s5, s5, 2
	s_delay_alu instid0(SALU_CYCLE_1)
	s_cmp_ge_i32 s5, s4
	s_cbranch_scc1 .LBB170_14
.LBB170_6:                              ; =>This Loop Header: Depth=1
                                        ;     Child Loop BB170_8 Depth 2
                                        ;       Child Loop BB170_10 Depth 3
                                        ;       Child Loop BB170_12 Depth 3
	s_clause 0x4
	scratch_load_b32 v2, off, off offset:240
	scratch_load_b32 v4, off, off offset:248
	;; [unrolled: 1-line block ×5, first 2 shown]
	s_mul_i32 s0, s5, 0x6e
	s_mul_hi_u32 s1, s5, 0x6e
	s_add_u32 s0, s7, s0
	s_addc_u32 s1, s13, s1
	s_mov_b32 s14, 0
	s_clause 0x3
	scratch_load_b32 v6, off, off offset:260
	scratch_load_b32 v10, off, off offset:284
	;; [unrolled: 1-line block ×4, first 2 shown]
	s_waitcnt vmcnt(8)
	v_mad_u64_u32 v[0:1], null, 0x6e, v2, s[0:1]
	scratch_load_b32 v2, off, off offset:244 ; 4-byte Folded Reload
	s_waitcnt vmcnt(0)
	v_add_co_u32 v0, vcc_lo, v0, v2
	v_add_co_ci_u32_e32 v1, vcc_lo, 0, v1, vcc_lo
	s_delay_alu instid0(VALU_DEP_2) | instskip(NEXT) | instid1(VALU_DEP_2)
	v_add_co_u32 v0, vcc_lo, v0, 32
	v_add_co_ci_u32_e32 v1, vcc_lo, 0, v1, vcc_lo
	s_delay_alu instid0(VALU_DEP_1)
	v_mad_i64_i32 v[2:3], null, 0x6e, v4, v[0:1]
	v_mad_i64_i32 v[4:5], null, 0x6e, v6, v[0:1]
	;; [unrolled: 1-line block ×8, first 2 shown]
	s_clause 0x7
	global_load_b32 v57, v[2:3], off
	global_load_b32 v58, v[4:5], off
	;; [unrolled: 1-line block ×8, first 2 shown]
	s_clause 0x12
	scratch_load_b32 v4, off, off offset:344
	scratch_load_b32 v6, off, off offset:356
	scratch_load_b32 v8, off, off offset:368
	scratch_load_b32 v10, off, off offset:380
	scratch_load_b32 v12, off, off offset:392
	scratch_load_b32 v16, off, off offset:404
	scratch_load_b32 v18, off, off offset:416
	scratch_load_b32 v22, off, off offset:432
	scratch_load_b32 v14, off, off offset:448
	scratch_load_b32 v26, off, off offset:464
	scratch_load_b32 v55, off, off offset:480
	scratch_load_b32 v20, off, off offset:444
	scratch_load_b32 v47, off, off offset:488
	scratch_load_b32 v51, off, off offset:472
	scratch_load_b32 v49, off, off offset:468
	scratch_load_b32 v66, off, off offset:484
	scratch_load_b32 v24, off, off offset:460
	scratch_load_b32 v53, off, off offset:476
	scratch_load_b32 v28, off, off offset:504
	s_waitcnt vmcnt(18)
	v_mad_i64_i32 v[2:3], null, 0x6e, v4, v[0:1]
	s_waitcnt vmcnt(17)
	v_mad_i64_i32 v[4:5], null, 0x6e, v6, v[0:1]
	;; [unrolled: 2-line block ×5, first 2 shown]
	s_waitcnt vmcnt(10)
	v_mad_u64_u32 v[12:13], null, 0x6e, v14, s[0:1]
	v_mad_i64_i32 v[14:15], null, 0x6e, v16, v[0:1]
	v_mad_i64_i32 v[16:17], null, 0x6e, v18, v[0:1]
	s_waitcnt vmcnt(7)
	v_mad_i64_i32 v[18:19], null, 0x6e, v20, s[0:1]
	scratch_load_b32 v20, off, off offset:452 ; 4-byte Folded Reload
	s_waitcnt vmcnt(0)
	v_add_co_u32 v12, vcc_lo, v12, v20
	v_mad_i64_i32 v[20:21], null, 0x6e, v22, v[0:1]
	scratch_load_b32 v22, off, off offset:420 ; 4-byte Folded Reload
	v_add_co_ci_u32_e32 v13, vcc_lo, 0, v13, vcc_lo
	s_waitcnt vmcnt(0)
	v_mad_u64_u32 v[0:1], null, 0x6e, v22, v[18:19]
	scratch_load_b32 v22, off, off offset:456 ; 4-byte Folded Reload
	s_waitcnt vmcnt(0)
	v_mad_i64_i32 v[18:19], null, 0x6e, v22, v[12:13]
	v_mad_i64_i32 v[22:23], null, 0x6e, v24, v[12:13]
	;; [unrolled: 1-line block ×3, first 2 shown]
	v_mad_u64_u32 v[26:27], null, 0x6e, v47, s[0:1]
	v_mad_i64_i32 v[47:48], null, 0x6e, v49, v[12:13]
	v_mad_i64_i32 v[49:50], null, 0x6e, v51, v[12:13]
	;; [unrolled: 1-line block ×3, first 2 shown]
	s_delay_alu instid0(VALU_DEP_4) | instskip(SKIP_3) | instid1(VALU_DEP_3)
	v_add_co_u32 v26, vcc_lo, 0x60, v26
	v_add_co_ci_u32_e32 v27, vcc_lo, 0, v27, vcc_lo
	v_mad_i64_i32 v[53:54], null, 0x6e, v55, v[12:13]
	v_mad_i64_i32 v[55:56], null, 0x6e, v66, v[12:13]
	;; [unrolled: 1-line block ×3, first 2 shown]
	s_clause 0x8
	global_load_u16 v75, v[0:1], off offset:108
	global_load_b32 v86, v[18:19], off
	global_load_b32 v87, v[22:23], off
	;; [unrolled: 1-line block ×8, first 2 shown]
	s_clause 0x3
	scratch_load_b32 v28, off, off offset:496
	scratch_load_b32 v22, off, off offset:508
	;; [unrolled: 1-line block ×4, first 2 shown]
	s_lshl_b32 s0, s5, 3
	s_mov_b32 s1, 0
	s_waitcnt vmcnt(3)
	v_add_co_u32 v0, vcc_lo, v12, v28
	s_waitcnt vmcnt(2)
	v_mad_i64_i32 v[18:19], null, 0x6e, v22, v[26:27]
	s_waitcnt vmcnt(1)
	v_mad_i64_i32 v[22:23], null, 0x6e, v24, v[26:27]
	;; [unrolled: 2-line block ×3, first 2 shown]
	v_add_co_ci_u32_e32 v1, vcc_lo, 0, v13, vcc_lo
	s_clause 0xc
	global_load_b32 v26, v[2:3], off
	global_load_b32 v27, v[4:5], off
	global_load_b32 v6, v[6:7], off
	global_load_b32 v7, v[8:9], off
	global_load_b32 v8, v[10:11], off
	global_load_b32 v9, v[14:15], off
	global_load_b32 v10, v[16:17], off
	global_load_b32 v11, v[20:21], off
	global_load_b32 v14, v[24:25], off offset:8
	global_load_b32 v15, v[22:23], off offset:8
	;; [unrolled: 1-line block ×3, first 2 shown]
	global_load_b32 v17, v[0:1], off
	global_load_b32 v12, v[12:13], off offset:8
	v_add_co_u32 v0, vcc_lo, v18, v28
	v_add_co_ci_u32_e32 v1, vcc_lo, 0, v19, vcc_lo
	v_add_co_u32 v2, vcc_lo, v22, v28
	v_add_co_ci_u32_e32 v3, vcc_lo, 0, v23, vcc_lo
	v_add_co_u32 v4, vcc_lo, v24, v28
	v_add_co_ci_u32_e32 v5, vcc_lo, 0, v25, vcc_lo
	s_clause 0x2
	global_load_b32 v0, v[0:1], off
	global_load_b32 v1, v[2:3], off
	;; [unrolled: 1-line block ×3, first 2 shown]
	s_clause 0x1
	scratch_load_b64 v[3:4], off, off offset:520
	scratch_load_b64 v[23:24], off, off offset:252
	s_waitcnt vmcnt(1)
	v_not_b32_e32 v4, v86
	v_not_b32_e32 v5, v87
	;; [unrolled: 1-line block ×8, first 2 shown]
	v_add_nc_u32_e32 v3, s0, v3
	s_waitcnt vmcnt(0)
	ds_store_b32 v23, v57
	scratch_load_b64 v[23:24], off, off offset:264 ; 8-byte Folded Reload
	scratch_store_b32 off, v3, off offset:148 ; 4-byte Folded Spill
	v_cvt_f32_f16_e32 v3, v75
	s_waitcnt vmcnt(0)
	ds_store_b32 v23, v58
	scratch_load_b64 v[23:24], off, off offset:276 ; 8-byte Folded Reload
	s_waitcnt vmcnt(0)
	ds_store_b32 v23, v59
	scratch_load_b64 v[23:24], off, off offset:288 ; 8-byte Folded Reload
	;; [unrolled: 3-line block ×11, first 2 shown]
	s_waitcnt vmcnt(0)
	ds_store_b32 v6, v8
	s_clause 0x1
	scratch_load_b64 v[6:7], off, off offset:408
	scratch_load_b32 v8, off, off offset:500
	s_waitcnt vmcnt(1)
	ds_store_b32 v6, v9
	scratch_load_b64 v[6:7], off, off offset:424 ; 8-byte Folded Reload
	s_waitcnt vmcnt(0)
	ds_store_b32 v6, v10
	s_clause 0x1
	scratch_load_b64 v[6:7], off, off offset:436
	scratch_load_b32 v7, off, off offset:492
	s_waitcnt vmcnt(1)
	ds_store_b32 v6, v11
	scratch_load_b32 v6, off, off offset:528 ; 4-byte Folded Reload
	s_waitcnt vmcnt(1)
	v_ashrrev_i32_e32 v0, v7, v0
	v_ashrrev_i32_e32 v1, v7, v1
	;; [unrolled: 1-line block ×3, first 2 shown]
	s_delay_alu instid0(VALU_DEP_3) | instskip(NEXT) | instid1(VALU_DEP_3)
	v_and_b32_e32 v0, 0xf0f0f0f, v0
	v_and_b32_e32 v1, 0xf0f0f0f, v1
	s_delay_alu instid0(VALU_DEP_3) | instskip(SKIP_4) | instid1(VALU_DEP_1)
	v_and_b32_e32 v2, 0xf0f0f0f, v2
	s_waitcnt vmcnt(0)
	ds_store_b32 v6, v3
	scratch_load_b32 v3, off, off offset:532 ; 4-byte Folded Reload
	v_ashrrev_i32_e32 v6, v8, v15
	v_lshlrev_b32_e32 v6, 4, v6
	s_delay_alu instid0(VALU_DEP_1) | instskip(NEXT) | instid1(VALU_DEP_1)
	v_and_or_b32 v1, 0x30303030, v6, v1
	v_and_b32_e32 v9, 0x3f00, v1
	s_waitcnt vmcnt(0)
	ds_store_b32 v3, v4
	scratch_load_b32 v3, off, off offset:536 ; 4-byte Folded Reload
	v_ashrrev_i32_e32 v4, v8, v12
	s_delay_alu instid0(VALU_DEP_1) | instskip(SKIP_4) | instid1(VALU_DEP_1)
	v_lshlrev_b32_e32 v4, 4, v4
	s_waitcnt vmcnt(0)
	ds_store_b32 v3, v5
	scratch_load_b32 v3, off, off offset:540 ; 4-byte Folded Reload
	v_ashrrev_i32_e32 v5, v8, v16
	v_lshlrev_b32_e32 v5, 4, v5
	s_delay_alu instid0(VALU_DEP_1) | instskip(NEXT) | instid1(VALU_DEP_1)
	v_and_or_b32 v0, 0x30303030, v5, v0
	v_lshrrev_b32_e32 v6, 16, v0
	s_waitcnt vmcnt(0)
	ds_store_b32 v3, v13
	scratch_load_b32 v3, off, off offset:544 ; 4-byte Folded Reload
	v_and_b32_e32 v13, 0x3f00, v6
	v_lshlrev_b16 v6, 8, v6
	s_delay_alu instid0(VALU_DEP_1)
	v_add_nc_u16 v6, v6, 0xe000
	s_waitcnt vmcnt(0)
	ds_store_b32 v3, v18
	scratch_load_b32 v3, off, off offset:548 ; 4-byte Folded Reload
	s_waitcnt vmcnt(0)
	ds_store_b32 v3, v19
	v_ashrrev_i32_e32 v3, v7, v17
	v_ashrrev_i32_e32 v7, v8, v14
	v_lshrrev_b32_e32 v8, 16, v1
	v_lshlrev_b16 v1, 8, v1
	s_delay_alu instid0(VALU_DEP_4) | instskip(NEXT) | instid1(VALU_DEP_4)
	v_and_b32_e32 v3, 0xf0f0f0f, v3
	v_lshlrev_b32_e32 v7, 4, v7
	s_delay_alu instid0(VALU_DEP_4)
	v_and_b32_e32 v14, 0x3f00, v8
	v_lshlrev_b16 v8, 8, v8
	v_add_nc_u16 v1, v1, 0xe000
	v_and_or_b32 v3, 0x30303030, v4, v3
	scratch_load_b32 v4, off, off offset:552 ; 4-byte Folded Reload
	v_and_or_b32 v2, 0x30303030, v7, v2
	v_add_nc_u16 v8, v8, 0xe000
	v_and_b32_e32 v7, 0x3f00, v0
	v_and_b32_e32 v5, 0x3f00, v3
	v_lshlrev_b16 v0, 8, v0
	v_lshrrev_b16 v1, 8, v1
	v_lshrrev_b32_e32 v10, 16, v2
	v_and_b32_e32 v11, 0x3f00, v2
	v_lshlrev_b16 v2, 8, v2
	v_add_nc_u16 v0, v0, 0xe000
	v_or_b32_e32 v1, v9, v1
	v_and_b32_e32 v15, 0x3f00, v10
	v_lshlrev_b16 v10, 8, v10
	v_add_nc_u16 v2, v2, 0xe000
	v_lshrrev_b16 v0, 8, v0
	v_add_nc_u16 v1, v1, 0xe000
	s_delay_alu instid0(VALU_DEP_4) | instskip(NEXT) | instid1(VALU_DEP_4)
	v_add_nc_u16 v10, v10, 0xe000
	v_lshrrev_b16 v2, 8, v2
	s_delay_alu instid0(VALU_DEP_4) | instskip(NEXT) | instid1(VALU_DEP_4)
	v_or_b32_e32 v0, v7, v0
	v_and_b32_e32 v1, 0xffff, v1
	s_delay_alu instid0(VALU_DEP_4) | instskip(NEXT) | instid1(VALU_DEP_4)
	v_lshrrev_b16 v7, 8, v10
	v_or_b32_e32 v2, v11, v2
	s_delay_alu instid0(VALU_DEP_4) | instskip(NEXT) | instid1(VALU_DEP_3)
	v_add_nc_u16 v0, v0, 0xe000
	v_or_b32_e32 v7, v15, v7
	s_delay_alu instid0(VALU_DEP_3) | instskip(NEXT) | instid1(VALU_DEP_3)
	v_add_nc_u16 v2, v2, 0xe000
	v_and_b32_e32 v0, 0xffff, v0
	s_delay_alu instid0(VALU_DEP_3) | instskip(NEXT) | instid1(VALU_DEP_3)
	v_add_nc_u16 v7, v7, 0xe000
	v_and_b32_e32 v2, 0xffff, v2
	s_delay_alu instid0(VALU_DEP_2) | instskip(NEXT) | instid1(VALU_DEP_1)
	v_lshlrev_b32_e32 v7, 16, v7
	v_or_b32_e32 v2, v2, v7
	s_waitcnt vmcnt(0)
	ds_store_b32 v4, v20
	v_lshrrev_b32_e32 v4, 16, v3
	v_lshlrev_b16 v3, 8, v3
	s_delay_alu instid0(VALU_DEP_2) | instskip(SKIP_1) | instid1(VALU_DEP_3)
	v_and_b32_e32 v12, 0x3f00, v4
	v_lshlrev_b16 v4, 8, v4
	v_add_nc_u16 v3, v3, 0xe000
	s_delay_alu instid0(VALU_DEP_2) | instskip(NEXT) | instid1(VALU_DEP_2)
	v_add_nc_u16 v4, v4, 0xe000
	v_lshrrev_b16 v3, 8, v3
	s_delay_alu instid0(VALU_DEP_2) | instskip(NEXT) | instid1(VALU_DEP_2)
	v_lshrrev_b16 v4, 8, v4
	v_or_b32_e32 v3, v5, v3
	v_lshrrev_b16 v5, 8, v6
	v_lshrrev_b16 v6, 8, v8
	scratch_load_b32 v8, off, off offset:556 ; 4-byte Folded Reload
	v_or_b32_e32 v4, v12, v4
	v_add_nc_u16 v3, v3, 0xe000
	v_or_b32_e32 v5, v13, v5
	v_or_b32_e32 v6, v14, v6
	s_delay_alu instid0(VALU_DEP_4) | instskip(NEXT) | instid1(VALU_DEP_4)
	v_add_nc_u16 v4, v4, 0xe000
	v_and_b32_e32 v3, 0xffff, v3
	s_delay_alu instid0(VALU_DEP_4) | instskip(NEXT) | instid1(VALU_DEP_4)
	v_add_nc_u16 v5, v5, 0xe000
	v_add_nc_u16 v6, v6, 0xe000
	s_delay_alu instid0(VALU_DEP_4) | instskip(NEXT) | instid1(VALU_DEP_3)
	v_lshlrev_b32_e32 v4, 16, v4
	v_lshlrev_b32_e32 v5, 16, v5
	s_delay_alu instid0(VALU_DEP_3) | instskip(NEXT) | instid1(VALU_DEP_3)
	v_lshlrev_b32_e32 v6, 16, v6
	v_or_b32_e32 v3, v3, v4
	scratch_load_b32 v4, off, off offset:560 ; 4-byte Folded Reload
	v_or_b32_e32 v0, v0, v5
	v_or_b32_e32 v1, v1, v6
	s_waitcnt vmcnt(1)
	ds_store_b32 v8, v21
	s_waitcnt vmcnt(0)
	ds_store_b32 v4, v22
	scratch_load_b32 v4, off, off offset:564 ; 4-byte Folded Reload
	s_waitcnt vmcnt(0)
	ds_store_b32 v4, v3
	scratch_load_b32 v3, off, off offset:568 ; 4-byte Folded Reload
	;; [unrolled: 3-line block ×4, first 2 shown]
	s_waitcnt vmcnt(0)
	ds_store_b32 v0, v2
	s_branch .LBB170_8
.LBB170_7:                              ;   in Loop: Header=BB170_8 Depth=2
                                        ; implicit-def: $sgpr14
                                        ; implicit-def: $sgpr1
	s_cbranch_execnz .LBB170_5
.LBB170_8:                              ;   Parent Loop BB170_6 Depth=1
                                        ; =>  This Loop Header: Depth=2
                                        ;       Child Loop BB170_10 Depth 3
                                        ;       Child Loop BB170_12 Depth 3
	s_lshr_b32 s15, s14, 1
	s_delay_alu instid0(SALU_CYCLE_1) | instskip(NEXT) | instid1(SALU_CYCLE_1)
	s_or_b32 s15, s15, s5
	s_cmp_lt_i32 s15, s4
	s_cbranch_scc0 .LBB170_7
; %bb.9:                                ;   in Loop: Header=BB170_8 Depth=2
	scratch_load_b32 v0, off, off offset:152 ; 4-byte Folded Reload
	s_or_b32 s16, s14, 1
	s_lshl_b32 s17, s14, 3
	s_mov_b32 s18, 0
	s_mov_b32 s19, 0
	s_lshl_b32 s15, s16, 3
	scratch_load_b64 v[19:20], off, off offset:156 ; 8-byte Folded Reload
	s_waitcnt vmcnt(1)
	v_lshl_add_u32 v0, s14, 5, v0
	s_delay_alu instid0(VALU_DEP_1) | instskip(NEXT) | instid1(VALU_DEP_1)
	v_lshrrev_b32_e32 v0, 3, v0
	v_add_nc_u32_e32 v12, s0, v0
	scratch_load_b32 v0, off, off offset:148 ; 4-byte Folded Reload
	s_waitcnt vmcnt(0)
	v_lshl_add_u32 v13, s14, 2, v0
	scratch_load_b32 v0, off, off offset:168 ; 4-byte Folded Reload
	s_waitcnt vmcnt(0)
	v_add_nc_u32_e32 v2, v12, v0
	scratch_load_b32 v0, off, off offset:176 ; 4-byte Folded Reload
	s_waitcnt vmcnt(0)
	v_add_nc_u32_e32 v4, v12, v0
	;; [unrolled: 3-line block ×7, first 2 shown]
	v_mad_i64_i32 v[0:1], null, v2, 36, v[19:20]
	v_mad_i64_i32 v[2:3], null, v4, 36, v[19:20]
	;; [unrolled: 1-line block ×5, first 2 shown]
	v_mad_u64_u32 v[10:11], null, v13, 36, s[2:3]
	scratch_load_b32 v13, off, off offset:224 ; 4-byte Folded Reload
	s_waitcnt vmcnt(0)
	v_add_nc_u32_e32 v18, v12, v13
	v_mad_i64_i32 v[12:13], null, v14, 36, v[19:20]
	v_mad_i64_i32 v[14:15], null, v16, 36, v[19:20]
	s_delay_alu instid0(VALU_DEP_3)
	v_mad_i64_i32 v[16:17], null, v18, 36, v[19:20]
	s_clause 0x8
	global_load_b32 v10, v[10:11], off
	global_load_b32 v2, v[2:3], off offset:4
	global_load_b32 v3, v[4:5], off offset:4
	;; [unrolled: 1-line block ×8, first 2 shown]
	s_clause 0x2
	scratch_load_b32 v192, off, off offset:236
	scratch_load_b32 v235, off, off offset:232
	scratch_load_b32 v9, off, off offset:180
	s_waitcnt vmcnt(11)
	v_cvt_f32_f16_e32 v1, v10
	s_waitcnt vmcnt(0)
	ds_store_b32 v9, v2
	scratch_load_b32 v2, off, off offset:188 ; 4-byte Folded Reload
	s_waitcnt vmcnt(0)
	ds_store_b32 v2, v3
	scratch_load_b32 v2, off, off offset:196 ; 4-byte Folded Reload
	;; [unrolled: 3-line block ×8, first 2 shown]
	s_waitcnt vmcnt(0)
	ds_store_b32 v0, v1
	s_waitcnt lgkmcnt(0)
	s_waitcnt_vscnt null, 0x0
	s_barrier
	buffer_gl0_inv
.LBB170_10:                             ;   Parent Loop BB170_6 Depth=1
                                        ;     Parent Loop BB170_8 Depth=2
                                        ; =>    This Inner Loop Header: Depth=3
	s_add_i32 s20, s1, s19
	scratch_store_b32 off, v90, off offset:52 ; 4-byte Folded Spill
	s_and_b32 s21, s20, 0x3ffffff8
	s_lshr_b32 s22, s20, 4
	s_lshl_b32 s21, s21, 2
	s_lshl_b32 s20, s22, 2
	s_waitcnt vmcnt(7)
	v_dual_mov_b32 v245, v92 :: v_dual_add_nc_u32 v4, s21, v72
	s_waitcnt vmcnt(4)
	v_add_nc_u32_e32 v178, s21, v77
	v_dual_mov_b32 v107, v33 :: v_dual_add_nc_u32 v6, s20, v73
	ds_load_2addr_b32 v[0:1], v4 offset1:1
	ds_load_2addr_b32 v[2:3], v4 offset0:2 offset1:3
	ds_load_2addr_b32 v[47:48], v4 offset0:4 offset1:5
	;; [unrolled: 1-line block ×3, first 2 shown]
	s_waitcnt vmcnt(3)
	v_dual_mov_b32 v225, v46 :: v_dual_add_nc_u32 v12, s21, v80
	v_dual_mov_b32 v236, v89 :: v_dual_add_nc_u32 v179, s21, v95
	s_lshl_b32 s21, s22, 3
	v_mov_b32_e32 v224, v45
	v_add_lshl_u32 v105, v74, s21, 2
	s_waitcnt vmcnt(0)
	v_add_lshl_u32 v137, v83, s21, 2
	v_mov_b32_e32 v230, v85
	v_mov_b32_e32 v96, v31
	;; [unrolled: 1-line block ×3, first 2 shown]
	s_waitcnt lgkmcnt(3)
	v_ashrrev_i32_e32 v5, s19, v0
	v_ashrrev_i32_e32 v4, s19, v1
	s_waitcnt lgkmcnt(2)
	v_ashrrev_i32_e32 v1, s19, v2
	v_ashrrev_i32_e32 v0, s19, v3
	ds_load_2addr_b32 v[2:3], v178 offset0:2 offset1:3
	ds_load_b32 v194, v6
	ds_load_2addr_b32 v[6:7], v178 offset1:1
	v_bfe_u32 v89, v5, 24, 2
	v_and_b32_e32 v5, 0x3030303, v5
	s_waitcnt lgkmcnt(2)
	v_ashrrev_i32_e32 v10, s19, v2
	v_ashrrev_i32_e32 v11, s19, v3
	s_waitcnt lgkmcnt(0)
	v_ashrrev_i32_e32 v8, s19, v6
	v_ashrrev_i32_e32 v9, s19, v7
	ds_load_2addr_b32 v[2:3], v12 offset1:1
	ds_load_2addr_b32 v[6:7], v12 offset0:2 offset1:3
	ds_load_2addr_b32 v[57:58], v12 offset0:4 offset1:5
	;; [unrolled: 1-line block ×3, first 2 shown]
	s_waitcnt lgkmcnt(3)
	v_ashrrev_i32_e32 v12, s19, v2
	s_waitcnt lgkmcnt(2)
	v_ashrrev_i32_e32 v14, s19, v6
	v_add_nc_u32_e32 v6, s20, v81
	v_ashrrev_i32_e32 v13, s19, v3
	v_ashrrev_i32_e32 v15, s19, v7
	ds_load_2addr_b32 v[2:3], v179 offset0:2 offset1:3
	ds_load_b32 v195, v6
	ds_load_2addr_b32 v[6:7], v179 offset1:1
	s_waitcnt lgkmcnt(2)
	v_ashrrev_i32_e32 v18, s19, v2
	v_add_lshl_u32 v2, v71, s21, 2
	v_ashrrev_i32_e32 v19, s19, v3
	s_waitcnt lgkmcnt(0)
	v_ashrrev_i32_e32 v16, s19, v6
	v_ashrrev_i32_e32 v17, s19, v7
	v_add_nc_u32_e32 v3, 0x4200, v2
	v_add_nc_u32_e32 v6, 0x4208, v2
	;; [unrolled: 1-line block ×4, first 2 shown]
	ds_load_2addr_b32 v[2:3], v3 offset1:1
	ds_load_2addr_b32 v[6:7], v6 offset1:1
	ds_load_2addr_b32 v[61:62], v20 offset1:1
	ds_load_2addr_b32 v[59:60], v21 offset1:1
	s_waitcnt lgkmcnt(3)
	v_ashrrev_i32_e32 v20, s18, v2
	v_ashrrev_i32_e32 v21, s18, v3
	s_waitcnt lgkmcnt(2)
	v_ashrrev_i32_e32 v22, s18, v6
	v_add_nc_u32_e32 v2, 0x4200, v105
	v_add_nc_u32_e32 v6, 0x4208, v105
	v_lshlrev_b32_e32 v20, 2, v20
	v_ashrrev_i32_e32 v23, s18, v7
	ds_load_2addr_b32 v[2:3], v2 offset1:1
	ds_load_2addr_b32 v[6:7], v6 offset1:1
	ds_load_2addr_b32 v[63:64], v178 offset0:6 offset1:7
	s_waitcnt lgkmcnt(4)
	v_ashrrev_i32_e32 v61, s18, v61
	v_and_b32_e32 v20, 0x4040404, v20
	v_ashrrev_i32_e32 v62, s18, v62
	s_waitcnt lgkmcnt(3)
	v_ashrrev_i32_e32 v60, s18, v60
	s_delay_alu instid0(VALU_DEP_3) | instskip(SKIP_2) | instid1(VALU_DEP_3)
	v_lshrrev_b32_e32 v90, 24, v20
	v_lshrrev_b32_e32 v92, 16, v20
	v_sub_nc_u16 v203, v5, v20
	v_sub_nc_u16 v89, v89, v90
	v_lshrrev_b32_e32 v90, 16, v5
	s_delay_alu instid0(VALU_DEP_1)
	v_sub_nc_u16 v202, v90, v92
	v_lshrrev_b16 v90, 8, v5
	v_lshrrev_b16 v5, 8, v20
	v_lshlrev_b32_e32 v20, 2, v21
	v_bfe_u32 v21, v4, 24, 2
	v_and_b32_e32 v4, 0x3030303, v4
	s_waitcnt lgkmcnt(2)
	v_ashrrev_i32_e32 v24, s18, v2
	v_sub_nc_u16 v5, v90, v5
	v_and_b32_e32 v20, 0x4040404, v20
	v_add_lshl_u32 v2, v79, s21, 2
	v_ashrrev_i32_e32 v25, s18, v3
	s_waitcnt lgkmcnt(1)
	v_ashrrev_i32_e32 v26, s18, v6
	v_ashrrev_i32_e32 v27, s18, v7
	v_lshrrev_b32_e32 v90, 24, v20
	v_lshrrev_b32_e32 v92, 16, v20
	v_sub_nc_u16 v205, v4, v20
	v_add_nc_u32_e32 v3, 0x4200, v2
	v_add_nc_u32_e32 v6, 0x4208, v2
	v_sub_nc_u16 v21, v21, v90
	v_lshrrev_b32_e32 v90, 16, v4
	v_add_nc_u32_e32 v51, 0x4210, v2
	v_add_nc_u32_e32 v52, 0x4218, v2
	ds_load_2addr_b32 v[2:3], v3 offset1:1
	ds_load_2addr_b32 v[6:7], v6 offset1:1
	;; [unrolled: 1-line block ×4, first 2 shown]
	v_sub_nc_u16 v204, v90, v92
	v_lshrrev_b16 v90, 8, v4
	v_lshrrev_b16 v4, 8, v20
	v_lshlrev_b32_e32 v20, 2, v22
	v_bfe_u32 v22, v1, 24, 2
	v_and_b32_e32 v1, 0x3030303, v1
	v_lshlrev_b16 v5, 8, v5
	v_sub_nc_u16 v4, v90, v4
	v_and_b32_e32 v20, 0x4040404, v20
	s_and_b32 s21, s17, -16
	s_waitcnt lgkmcnt(4)
	v_ashrrev_i32_e32 v63, s19, v63
	v_ashrrev_i32_e32 v64, s19, v64
	v_lshlrev_b16 v4, 8, v4
	v_lshrrev_b32_e32 v90, 24, v20
	v_lshrrev_b32_e32 v92, 16, v20
	v_sub_nc_u16 v199, v1, v20
	s_waitcnt lgkmcnt(3)
	v_ashrrev_i32_e32 v75, s18, v2
	v_ashrrev_i32_e32 v86, s18, v3
	v_sub_nc_u16 v22, v22, v90
	v_lshrrev_b32_e32 v90, 16, v1
	s_waitcnt lgkmcnt(2)
	v_ashrrev_i32_e32 v87, s18, v6
	v_add_nc_u32_e32 v2, 0x4200, v137
	v_add_nc_u32_e32 v6, 0x4208, v137
	v_ashrrev_i32_e32 v88, s18, v7
	v_sub_nc_u16 v198, v90, v92
	v_lshrrev_b16 v90, 8, v1
	v_lshrrev_b16 v1, 8, v20
	v_lshlrev_b32_e32 v20, 2, v23
	v_bfe_u32 v23, v0, 24, 2
	v_and_b32_e32 v0, 0x3030303, v0
	ds_load_2addr_b32 v[2:3], v2 offset1:1
	ds_load_2addr_b32 v[6:7], v6 offset1:1
	ds_load_2addr_b32 v[184:185], v179 offset0:6 offset1:7
	v_sub_nc_u16 v1, v90, v1
	v_and_b32_e32 v20, 0x4040404, v20
	s_add_i32 s17, s17, 2
	s_delay_alu instid0(VALU_DEP_2) | instskip(NEXT) | instid1(VALU_DEP_2)
	v_lshlrev_b16 v1, 8, v1
	v_lshrrev_b32_e32 v90, 24, v20
	v_lshrrev_b32_e32 v92, 16, v20
	v_sub_nc_u16 v197, v0, v20
	s_delay_alu instid0(VALU_DEP_3) | instskip(SKIP_1) | instid1(VALU_DEP_1)
	v_sub_nc_u16 v23, v23, v90
	v_lshrrev_b32_e32 v90, 16, v0
	v_sub_nc_u16 v196, v90, v92
	v_lshrrev_b16 v90, 8, v0
	v_lshrrev_b16 v0, 8, v20
	v_lshlrev_b32_e32 v20, 2, v24
	v_bfe_u32 v24, v8, 24, 2
	v_and_b32_e32 v8, 0x3030303, v8
	s_waitcnt lgkmcnt(2)
	v_ashrrev_i32_e32 v2, s18, v2
	v_sub_nc_u16 v0, v90, v0
	v_and_b32_e32 v20, 0x4040404, v20
	v_ashrrev_i32_e32 v3, s18, v3
	s_waitcnt lgkmcnt(1)
	v_ashrrev_i32_e32 v6, s18, v6
	v_lshlrev_b32_e32 v2, 2, v2
	v_ashrrev_i32_e32 v7, s18, v7
	v_lshrrev_b32_e32 v90, 24, v20
	v_lshrrev_b32_e32 v92, 16, v20
	v_sub_nc_u16 v211, v8, v20
	v_and_b32_e32 v2, 0x4040404, v2
	v_lshlrev_b32_e32 v3, 2, v3
	v_sub_nc_u16 v24, v24, v90
	v_lshrrev_b32_e32 v90, 16, v8
	v_lshlrev_b32_e32 v6, 2, v6
	v_lshlrev_b32_e32 v7, 2, v7
	v_and_b32_e32 v3, 0x4040404, v3
	v_lshlrev_b16 v0, 8, v0
	v_sub_nc_u16 v210, v90, v92
	v_lshrrev_b16 v90, 8, v8
	v_lshrrev_b16 v8, 8, v20
	v_lshlrev_b32_e32 v20, 2, v25
	v_bfe_u32 v25, v9, 24, 2
	v_and_b32_e32 v9, 0x3030303, v9
	v_and_b32_e32 v6, 0x4040404, v6
	v_sub_nc_u16 v8, v90, v8
	v_and_b32_e32 v20, 0x4040404, v20
	v_and_b32_e32 v7, 0x4040404, v7
	s_delay_alu instid0(VALU_DEP_2) | instskip(SKIP_2) | instid1(VALU_DEP_3)
	v_lshrrev_b32_e32 v90, 24, v20
	v_lshrrev_b32_e32 v92, 16, v20
	v_sub_nc_u16 v213, v9, v20
	v_sub_nc_u16 v25, v25, v90
	v_lshrrev_b32_e32 v90, 16, v9
	s_delay_alu instid0(VALU_DEP_1)
	v_sub_nc_u16 v212, v90, v92
	v_lshrrev_b16 v90, 8, v9
	v_lshrrev_b16 v9, 8, v20
	v_lshlrev_b32_e32 v20, 2, v26
	v_bfe_u32 v26, v10, 24, 2
	v_and_b32_e32 v10, 0x3030303, v10
	s_delay_alu instid0(VALU_DEP_4) | instskip(NEXT) | instid1(VALU_DEP_4)
	v_sub_nc_u16 v9, v90, v9
	v_and_b32_e32 v20, 0x4040404, v20
	s_delay_alu instid0(VALU_DEP_1) | instskip(SKIP_2) | instid1(VALU_DEP_3)
	v_lshrrev_b32_e32 v90, 24, v20
	v_lshrrev_b32_e32 v92, 16, v20
	v_sub_nc_u16 v207, v10, v20
	v_sub_nc_u16 v26, v26, v90
	v_lshrrev_b32_e32 v90, 16, v10
	s_delay_alu instid0(VALU_DEP_1)
	v_sub_nc_u16 v206, v90, v92
	v_lshrrev_b16 v90, 8, v10
	v_lshrrev_b16 v10, 8, v20
	v_lshlrev_b32_e32 v20, 2, v27
	v_bfe_u32 v27, v11, 24, 2
	v_and_b32_e32 v11, 0x3030303, v11
	s_delay_alu instid0(VALU_DEP_4) | instskip(NEXT) | instid1(VALU_DEP_4)
	v_sub_nc_u16 v10, v90, v10
	v_and_b32_e32 v20, 0x4040404, v20
	s_delay_alu instid0(VALU_DEP_1) | instskip(SKIP_2) | instid1(VALU_DEP_3)
	;; [unrolled: 16-line block ×4, first 2 shown]
	v_lshrrev_b32_e32 v90, 24, v20
	v_lshrrev_b32_e32 v92, 16, v20
	v_sub_nc_u16 v221, v13, v20
	v_sub_nc_u16 v90, v86, v90
	v_lshrrev_b32_e32 v86, 16, v13
	s_delay_alu instid0(VALU_DEP_1) | instskip(SKIP_3) | instid1(VALU_DEP_2)
	v_sub_nc_u16 v220, v86, v92
	v_lshrrev_b16 v86, 8, v13
	v_lshrrev_b16 v13, 8, v20
	v_lshlrev_b32_e32 v20, 2, v87
	v_sub_nc_u16 v13, v86, v13
	s_delay_alu instid0(VALU_DEP_2) | instskip(SKIP_2) | instid1(VALU_DEP_3)
	v_and_b32_e32 v20, 0x4040404, v20
	v_bfe_u32 v86, v14, 24, 2
	v_and_b32_e32 v14, 0x3030303, v14
	v_lshrrev_b32_e32 v87, 24, v20
	s_delay_alu instid0(VALU_DEP_2) | instskip(NEXT) | instid1(VALU_DEP_2)
	v_sub_nc_u16 v215, v14, v20
	v_sub_nc_u16 v92, v86, v87
	v_lshrrev_b32_e32 v86, 16, v14
	v_lshrrev_b32_e32 v87, 16, v20
	s_delay_alu instid0(VALU_DEP_1) | instskip(SKIP_3) | instid1(VALU_DEP_2)
	v_sub_nc_u16 v214, v86, v87
	v_lshrrev_b16 v86, 8, v14
	v_lshrrev_b16 v14, 8, v20
	v_lshlrev_b32_e32 v20, 2, v88
	v_sub_nc_u16 v14, v86, v14
	s_delay_alu instid0(VALU_DEP_2) | instskip(SKIP_2) | instid1(VALU_DEP_3)
	v_and_b32_e32 v20, 0x4040404, v20
	v_bfe_u32 v86, v15, 24, 2
	v_and_b32_e32 v15, 0x3030303, v15
	v_lshrrev_b32_e32 v87, 24, v20
	s_delay_alu instid0(VALU_DEP_2) | instskip(NEXT) | instid1(VALU_DEP_2)
	v_sub_nc_u16 v209, v15, v20
	v_sub_nc_u16 v88, v86, v87
	v_lshrrev_b32_e32 v86, 16, v15
	v_lshrrev_b32_e32 v87, 16, v20
	s_delay_alu instid0(VALU_DEP_1)
	v_sub_nc_u16 v208, v86, v87
	v_lshrrev_b16 v86, 8, v15
	v_lshrrev_b16 v15, 8, v20
	v_bfe_u32 v20, v16, 24, 2
	v_and_b32_e32 v16, 0x3030303, v16
	v_lshrrev_b32_e32 v87, 16, v2
	s_delay_alu instid0(VALU_DEP_4) | instskip(SKIP_1) | instid1(VALU_DEP_4)
	v_sub_nc_u16 v15, v86, v15
	v_lshrrev_b32_e32 v86, 24, v2
	v_sub_nc_u16 v228, v16, v2
	v_lshrrev_b16 v2, 8, v2
	s_delay_alu instid0(VALU_DEP_3) | instskip(SKIP_1) | instid1(VALU_DEP_1)
	v_sub_nc_u16 v20, v20, v86
	v_lshrrev_b32_e32 v86, 16, v16
	v_sub_nc_u16 v226, v86, v87
	v_lshrrev_b16 v86, 8, v16
	v_bfe_u32 v16, v17, 24, 2
	v_and_b32_e32 v17, 0x3030303, v17
	v_lshrrev_b32_e32 v87, 16, v3
	s_delay_alu instid0(VALU_DEP_4) | instskip(SKIP_1) | instid1(VALU_DEP_4)
	v_sub_nc_u16 v2, v86, v2
	v_lshrrev_b32_e32 v86, 24, v3
	v_sub_nc_u16 v233, v17, v3
	v_lshrrev_b16 v3, 8, v3
	s_delay_alu instid0(VALU_DEP_3) | instskip(SKIP_1) | instid1(VALU_DEP_1)
	v_sub_nc_u16 v16, v16, v86
	v_lshrrev_b32_e32 v86, 16, v17
	v_sub_nc_u16 v232, v86, v87
	;; [unrolled: 13-line block ×4, first 2 shown]
	v_lshrrev_b16 v86, 8, v19
	v_lshlrev_b16 v19, 8, v89
	s_delay_alu instid0(VALU_DEP_2) | instskip(SKIP_1) | instid1(VALU_DEP_1)
	v_sub_nc_u16 v7, v86, v7
	v_and_b32_e32 v86, 0xff, v202
	v_or_b32_e32 v28, v86, v19
	v_and_b32_e32 v19, 0xff, v203
	s_delay_alu instid0(VALU_DEP_1) | instskip(SKIP_2) | instid1(VALU_DEP_1)
	v_or_b32_e32 v247, v19, v5
	v_lshlrev_b16 v5, 8, v21
	v_and_b32_e32 v19, 0xff, v204
	v_or_b32_e32 v248, v19, v5
	v_and_b32_e32 v5, 0xff, v205
	s_delay_alu instid0(VALU_DEP_1) | instskip(SKIP_2) | instid1(VALU_DEP_1)
	v_or_b32_e32 v251, v5, v4
	v_lshlrev_b16 v4, 8, v22
	v_and_b32_e32 v5, 0xff, v198
	v_or_b32_e32 v19, v5, v4
	v_and_b32_e32 v4, 0xff, v199
	s_delay_alu instid0(VALU_DEP_1)
	v_or_b32_e32 v21, v4, v1
	v_lshlrev_b16 v1, 8, v23
	v_and_b32_e32 v4, 0xff, v196
	scratch_store_b32 off, v21, off offset:84 ; 4-byte Folded Spill
	v_or_b32_e32 v4, v4, v1
	v_and_b32_e32 v1, 0xff, v197
	s_delay_alu instid0(VALU_DEP_1)
	v_or_b32_e32 v5, v1, v0
	v_lshlrev_b16 v0, 8, v24
	v_and_b32_e32 v1, 0xff, v210
	scratch_store_b32 off, v4, off offset:56 ; 4-byte Folded Spill
	v_or_b32_e32 v255, v1, v0
	v_lshlrev_b16 v0, 8, v8
	v_and_b32_e32 v1, 0xff, v211
	s_delay_alu instid0(VALU_DEP_1) | instskip(SKIP_2) | instid1(VALU_DEP_1)
	v_or_b32_e32 v243, v1, v0
	v_lshlrev_b16 v0, 8, v25
	v_and_b32_e32 v1, 0xff, v212
	v_or_b32_e32 v244, v1, v0
	v_lshlrev_b16 v0, 8, v9
	v_and_b32_e32 v1, 0xff, v213
	s_delay_alu instid0(VALU_DEP_1) | instskip(SKIP_2) | instid1(VALU_DEP_1)
	v_or_b32_e32 v242, v1, v0
	v_lshlrev_b16 v0, 8, v26
	v_and_b32_e32 v1, 0xff, v206
	;; [unrolled: 7-line block ×3, first 2 shown]
	v_or_b32_e32 v8, v1, v0
	v_lshlrev_b16 v0, 8, v11
	v_and_b32_e32 v1, 0xff, v201
	scratch_store_b32 off, v5, off offset:60 ; 4-byte Folded Spill
	v_or_b32_e32 v9, v1, v0
	scratch_store_b32 off, v8, off offset:64 ; 4-byte Folded Spill
	v_lshlrev_b16 v0, 8, v75
	v_and_b32_e32 v1, 0xff, v218
	v_mov_b32_e32 v75, v82
	s_delay_alu instid0(VALU_DEP_2) | instskip(SKIP_2) | instid1(VALU_DEP_1)
	v_or_b32_e32 v240, v1, v0
	v_lshlrev_b16 v0, 8, v12
	v_and_b32_e32 v1, 0xff, v219
	v_or_b32_e32 v238, v1, v0
	v_lshlrev_b16 v0, 8, v90
	v_and_b32_e32 v1, 0xff, v220
	s_delay_alu instid0(VALU_DEP_1) | instskip(SKIP_2) | instid1(VALU_DEP_1)
	v_or_b32_e32 v87, v1, v0
	v_lshlrev_b16 v0, 8, v13
	v_and_b32_e32 v1, 0xff, v221
	v_or_b32_e32 v86, v1, v0
	v_lshlrev_b16 v0, 8, v92
	v_and_b32_e32 v1, 0xff, v214
	s_delay_alu instid0(VALU_DEP_1)
	v_or_b32_e32 v12, v1, v0
	v_lshlrev_b16 v0, 8, v14
	v_and_b32_e32 v1, 0xff, v215
	scratch_store_b32 off, v23, off offset:100 ; 4-byte Folded Spill
	v_or_b32_e32 v13, v1, v0
	scratch_store_b32 off, v12, off offset:104 ; 4-byte Folded Spill
	v_lshlrev_b16 v0, 8, v88
	v_dual_mov_b32 v88, v94 :: v_dual_and_b32 v1, 0xff, v208
	s_clause 0x1
	scratch_store_b32 off, v13, off offset:108
	scratch_store_b32 off, v28, off offset:112
	v_or_b32_e32 v10, v1, v0
	v_lshlrev_b16 v0, 8, v15
	v_and_b32_e32 v1, 0xff, v209
	scratch_store_b32 off, v9, off offset:68 ; 4-byte Folded Spill
	v_or_b32_e32 v11, v1, v0
	scratch_store_b32 off, v10, off offset:72 ; 4-byte Folded Spill
	v_lshlrev_b16 v0, 8, v20
	v_and_b32_e32 v1, 0xff, v226
	s_clause 0x1
	scratch_store_b32 off, v19, off offset:80
	scratch_store_b32 off, v11, off offset:76
	v_or_b32_e32 v94, v1, v0
	v_lshlrev_b16 v0, 8, v2
	v_and_b32_e32 v1, 0xff, v228
	s_delay_alu instid0(VALU_DEP_1) | instskip(SKIP_2) | instid1(VALU_DEP_1)
	v_or_b32_e32 v89, v1, v0
	v_lshlrev_b16 v0, 8, v16
	v_and_b32_e32 v1, 0xff, v232
	v_or_b32_e32 v99, v1, v0
	v_lshlrev_b16 v0, 8, v3
	v_and_b32_e32 v1, 0xff, v233
	s_delay_alu instid0(VALU_DEP_1) | instskip(SKIP_2) | instid1(VALU_DEP_1)
	v_or_b32_e32 v98, v1, v0
	v_lshlrev_b16 v0, 8, v17
	v_and_b32_e32 v1, 0xff, v222
	;; [unrolled: 7-line block ×3, first 2 shown]
	v_or_b32_e32 v2, v1, v0
	v_lshlrev_b16 v0, 8, v7
	v_and_b32_e32 v1, 0xff, v217
	s_delay_alu instid0(VALU_DEP_1)
	v_or_b32_e32 v3, v1, v0
	v_perm_b32 v0, v247, v203, 0xc0c0500
	v_perm_b32 v1, v28, v202, 0x5000c0c
	s_clause 0x2
	scratch_store_b32 off, v2, off offset:88
	scratch_store_b32 off, v22, off offset:96
	;; [unrolled: 1-line block ×3, first 2 shown]
	v_or_b32_e32 v114, v1, v0
	v_perm_b32 v0, v251, v205, 0xc0c0500
	v_perm_b32 v1, v248, v204, 0x5000c0c
	s_delay_alu instid0(VALU_DEP_1) | instskip(SKIP_2) | instid1(VALU_DEP_1)
	v_or_b32_e32 v126, v1, v0
	v_perm_b32 v0, v21, v199, 0xc0c0500
	v_perm_b32 v1, v19, v198, 0x5000c0c
	v_or_b32_e32 v133, v1, v0
	v_perm_b32 v0, v5, v197, 0xc0c0500
	v_perm_b32 v1, v4, v196, 0x5000c0c
	s_delay_alu instid0(VALU_DEP_1) | instskip(SKIP_2) | instid1(VALU_DEP_1)
	v_or_b32_e32 v136, v1, v0
	v_perm_b32 v0, v243, v211, 0xc0c0500
	v_perm_b32 v1, v255, v210, 0x5000c0c
	;; [unrolled: 7-line block ×4, first 2 shown]
	v_or_b32_e32 v190, v1, v0
	v_perm_b32 v0, v86, v221, 0xc0c0500
	v_perm_b32 v1, v87, v220, 0x5000c0c
	;; [unrolled: 1-line block ×4, first 2 shown]
	s_delay_alu instid0(VALU_DEP_3) | instskip(SKIP_2) | instid1(VALU_DEP_1)
	v_or_b32_e32 v82, v1, v0
	v_perm_b32 v0, v13, v215, 0xc0c0500
	v_perm_b32 v1, v12, v214, 0x5000c0c
	v_or_b32_e32 v111, v1, v0
	v_perm_b32 v0, v11, v209, 0xc0c0500
	v_perm_b32 v1, v10, v208, 0x5000c0c
	s_delay_alu instid0(VALU_DEP_1) | instskip(SKIP_4) | instid1(VALU_DEP_3)
	v_or_b32_e32 v85, v1, v0
	v_perm_b32 v0, v89, v228, 0xc0c0500
	v_perm_b32 v1, v94, v226, 0x5000c0c
	v_perm_b32 v89, v226, v89, 0xc0c0401
	v_perm_b32 v94, v228, v94, 0x4010c0c
	v_or_b32_e32 v28, v1, v0
	v_perm_b32 v0, v98, v233, 0xc0c0500
	v_perm_b32 v1, v99, v232, 0x5000c0c
	;; [unrolled: 1-line block ×4, first 2 shown]
	s_delay_alu instid0(VALU_DEP_3) | instskip(SKIP_2) | instid1(VALU_DEP_1)
	v_or_b32_e32 v29, v1, v0
	v_perm_b32 v0, v253, v223, 0xc0c0500
	v_perm_b32 v1, v252, v222, 0x5000c0c
	v_or_b32_e32 v30, v1, v0
	v_perm_b32 v0, v3, v217, 0xc0c0500
	v_perm_b32 v1, v2, v216, 0x5000c0c
	s_delay_alu instid0(VALU_DEP_1)
	v_or_b32_e32 v31, v1, v0
	ds_load_b128 v[4:7], v192 offset:1024
	ds_load_b128 v[0:3], v192 offset:1040
	s_waitcnt lgkmcnt(1)
	v_dot4_i32_iu8 v8, v4, v114, 0 neg_lo:[1,1,0]
	v_dot4_i32_iu8 v9, v4, v186, 0 neg_lo:[1,1,0]
	v_dot4_i32_iu8 v10, v4, v190, 0 neg_lo:[1,1,0]
	v_dot4_i32_iu8 v4, v4, v28, 0 neg_lo:[1,1,0]
	s_delay_alu instid0(VALU_DEP_4) | instskip(NEXT) | instid1(VALU_DEP_4)
	v_dot4_i32_iu8 v8, v5, v126, v8 neg_lo:[1,1,0]
	v_dot4_i32_iu8 v9, v5, v187, v9 neg_lo:[1,1,0]
	s_delay_alu instid0(VALU_DEP_4) | instskip(NEXT) | instid1(VALU_DEP_4)
	v_dot4_i32_iu8 v10, v5, v82, v10 neg_lo:[1,1,0]
	v_dot4_i32_iu8 v4, v5, v29, v4 neg_lo:[1,1,0]
	s_delay_alu instid0(VALU_DEP_4) | instskip(NEXT) | instid1(VALU_DEP_4)
	v_dot4_i32_iu8 v5, v6, v133, v8 neg_lo:[1,1,0]
	v_dot4_i32_iu8 v8, v6, v188, v9 neg_lo:[1,1,0]
	s_delay_alu instid0(VALU_DEP_4) | instskip(NEXT) | instid1(VALU_DEP_4)
	v_dot4_i32_iu8 v9, v6, v111, v10 neg_lo:[1,1,0]
	v_dot4_i32_iu8 v4, v6, v30, v4 neg_lo:[1,1,0]
	s_delay_alu instid0(VALU_DEP_4) | instskip(NEXT) | instid1(VALU_DEP_4)
	v_dot4_i32_iu8 v100, v7, v136, v5 neg_lo:[1,1,0]
	v_dot4_i32_iu8 v250, v7, v189, v8 neg_lo:[1,1,0]
	s_delay_alu instid0(VALU_DEP_4) | instskip(NEXT) | instid1(VALU_DEP_4)
	v_dot4_i32_iu8 v241, v7, v85, v9 neg_lo:[1,1,0]
	v_dot4_i32_iu8 v237, v7, v31, v4 neg_lo:[1,1,0]
	ds_load_b128 v[8:11], v192 offset:2048
	ds_load_b128 v[4:7], v192 offset:2064
	s_waitcnt lgkmcnt(1)
	v_dot4_i32_iu8 v12, v8, v114, 0 neg_lo:[1,1,0]
	v_dot4_i32_iu8 v13, v8, v186, 0 neg_lo:[1,1,0]
	v_dot4_i32_iu8 v14, v8, v190, 0 neg_lo:[1,1,0]
	v_dot4_i32_iu8 v8, v8, v28, 0 neg_lo:[1,1,0]
	s_delay_alu instid0(VALU_DEP_4) | instskip(NEXT) | instid1(VALU_DEP_4)
	v_dot4_i32_iu8 v12, v9, v126, v12 neg_lo:[1,1,0]
	v_dot4_i32_iu8 v13, v9, v187, v13 neg_lo:[1,1,0]
	s_delay_alu instid0(VALU_DEP_4) | instskip(NEXT) | instid1(VALU_DEP_4)
	v_dot4_i32_iu8 v14, v9, v82, v14 neg_lo:[1,1,0]
	v_dot4_i32_iu8 v8, v9, v29, v8 neg_lo:[1,1,0]
	s_delay_alu instid0(VALU_DEP_4) | instskip(NEXT) | instid1(VALU_DEP_4)
	v_dot4_i32_iu8 v9, v10, v133, v12 neg_lo:[1,1,0]
	v_dot4_i32_iu8 v12, v10, v188, v13 neg_lo:[1,1,0]
	s_delay_alu instid0(VALU_DEP_4) | instskip(NEXT) | instid1(VALU_DEP_4)
	v_dot4_i32_iu8 v13, v10, v111, v14 neg_lo:[1,1,0]
	v_dot4_i32_iu8 v8, v10, v30, v8 neg_lo:[1,1,0]
	s_delay_alu instid0(VALU_DEP_4) | instskip(NEXT) | instid1(VALU_DEP_4)
	v_dot4_i32_iu8 v97, v11, v136, v9 neg_lo:[1,1,0]
	v_dot4_i32_iu8 v110, v11, v189, v12 neg_lo:[1,1,0]
	s_delay_alu instid0(VALU_DEP_4) | instskip(NEXT) | instid1(VALU_DEP_4)
	v_dot4_i32_iu8 v249, v11, v85, v13 neg_lo:[1,1,0]
	v_dot4_i32_iu8 v239, v11, v31, v8 neg_lo:[1,1,0]
	;; [unrolled: 25-line block ×6, first 2 shown]
	ds_load_b128 v[180:183], v192 offset:7168
	ds_load_b128 v[24:27], v192 offset:7184
	s_waitcnt lgkmcnt(1)
	v_dot4_i32_iu8 v114, v180, v114, 0 neg_lo:[1,1,0]
	v_dot4_i32_iu8 v28, v180, v28, 0 neg_lo:[1,1,0]
	s_delay_alu instid0(VALU_DEP_2) | instskip(SKIP_1) | instid1(VALU_DEP_3)
	v_dot4_i32_iu8 v114, v181, v126, v114 neg_lo:[1,1,0]
	v_dot4_i32_iu8 v126, v180, v186, 0 neg_lo:[1,1,0]
	;; [unrolled: 1-line block ×4, first 2 shown]
	v_ashrrev_i32_e32 v180, s19, v55
	v_dot4_i32_iu8 v29, v182, v133, v114 neg_lo:[1,1,0]
	v_dot4_i32_iu8 v126, v181, v187, v126 neg_lo:[1,1,0]
	;; [unrolled: 1-line block ×4, first 2 shown]
	v_ashrrev_i32_e32 v30, s19, v49
	v_dot4_i32_iu8 v136, v183, v136, v29 neg_lo:[1,1,0]
	v_dot4_i32_iu8 v114, v182, v188, v126 neg_lo:[1,1,0]
	v_ashrrev_i32_e32 v29, s19, v48
	v_dot4_i32_iu8 v82, v182, v111, v82 neg_lo:[1,1,0]
	v_add_nc_u32_e32 v49, s19, v68
	v_ashrrev_i32_e32 v111, s19, v57
	v_dot4_i32_iu8 v133, v183, v189, v114 neg_lo:[1,1,0]
	v_dot4_i32_iu8 v114, v183, v31, v28 neg_lo:[1,1,0]
	v_ashrrev_i32_e32 v28, s19, v47
	ds_load_2addr_b32 v[47:48], v178 offset0:4 offset1:5
	v_dot4_i32_iu8 v126, v183, v85, v82 neg_lo:[1,1,0]
	v_ashrrev_i32_e32 v31, s19, v50
	v_add_nc_u32_e32 v50, 0x4218, v105
	v_ashrrev_i32_e32 v178, s19, v58
	v_ashrrev_i32_e32 v181, s19, v56
	;; [unrolled: 1-line block ×3, first 2 shown]
	v_add_nc_u32_e32 v52, 0x4218, v137
	v_ashrrev_i32_e32 v187, s18, v53
	v_ashrrev_i32_e32 v189, s18, v51
	;; [unrolled: 1-line block ×6, first 2 shown]
	s_waitcnt lgkmcnt(0)
	v_ashrrev_i32_e32 v82, s19, v47
	v_ashrrev_i32_e32 v85, s19, v48
	ds_load_2addr_b32 v[47:48], v179 offset0:4 offset1:5
	s_waitcnt lgkmcnt(0)
	v_ashrrev_i32_e32 v179, s19, v47
	scratch_load_b32 v47, off, off offset:124 ; 4-byte Folded Reload
	v_ashrrev_i32_e32 v182, s19, v48
	v_add_nc_u32_e32 v48, 0x4210, v105
	s_add_i32 s19, s19, 2
	s_waitcnt vmcnt(0)
	v_add3_u32 v47, v47, s21, v49
	ds_load_u16 v47, v47 offset:34560
	ds_load_2addr_b32 v[55:56], v48 offset1:1
	ds_load_2addr_b32 v[57:58], v50 offset1:1
	scratch_load_b32 v48, off, off offset:116 ; 4-byte Folded Reload
	v_add_nc_u32_e32 v50, 0x4210, v137
	s_waitcnt lgkmcnt(1)
	v_ashrrev_i32_e32 v105, s18, v55
	s_waitcnt lgkmcnt(0)
	v_ashrrev_i32_e32 v186, s18, v58
	v_ashrrev_i32_e32 v56, s18, v56
	;; [unrolled: 1-line block ×3, first 2 shown]
	s_delay_alu instid0(VALU_DEP_2) | instskip(NEXT) | instid1(VALU_DEP_1)
	v_lshlrev_b32_e32 v56, 2, v56
	v_and_b32_e32 v56, 0x4040404, v56
	s_waitcnt vmcnt(0)
	v_add3_u32 v48, v48, s21, v49
	ds_load_u16 v48, v48 offset:36608
	ds_load_2addr_b32 v[50:51], v50 offset1:1
	ds_load_2addr_b32 v[52:53], v52 offset1:1
	s_waitcnt lgkmcnt(1)
	v_ashrrev_i32_e32 v137, s18, v50
	v_lshlrev_b32_e32 v50, 2, v61
	v_ashrrev_i32_e32 v32, s18, v51
	s_waitcnt lgkmcnt(0)
	v_ashrrev_i32_e32 v33, s18, v52
	v_bfe_u32 v51, v28, 24, 2
	v_and_b32_e32 v28, 0x3030303, v28
	v_and_b32_e32 v50, 0x4040404, v50
	v_ashrrev_i32_e32 v34, s18, v53
	v_lshlrev_b32_e32 v137, 2, v137
	v_lshlrev_b32_e32 v32, 2, v32
	;; [unrolled: 1-line block ×3, first 2 shown]
	v_lshrrev_b32_e32 v52, 24, v50
	v_sub_nc_u16 v55, v28, v50
	v_and_b32_e32 v137, 0x4040404, v137
	v_and_b32_e32 v32, 0x4040404, v32
	;; [unrolled: 1-line block ×3, first 2 shown]
	v_sub_nc_u16 v35, v51, v52
	v_lshrrev_b32_e32 v51, 16, v28
	v_lshrrev_b32_e32 v52, 16, v50
	v_lshrrev_b32_e32 v141, 24, v137
	v_lshrrev_b32_e32 v142, 16, v137
	v_lshrrev_b32_e32 v143, 24, v32
	v_lshrrev_b32_e32 v144, 16, v32
	v_sub_nc_u16 v54, v51, v52
	v_lshrrev_b16 v51, 8, v28
	v_lshrrev_b16 v28, 8, v50
	v_lshlrev_b32_e32 v50, 2, v62
	v_lshrrev_b32_e32 v145, 24, v33
	v_lshrrev_b32_e32 v146, 16, v33
	v_lshlrev_b32_e32 v34, 2, v34
	v_sub_nc_u16 v28, v51, v28
	v_and_b32_e32 v50, 0x4040404, v50
	v_bfe_u32 v51, v29, 24, 2
	v_and_b32_e32 v29, 0x3030303, v29
	v_and_b32_e32 v34, 0x4040404, v34
	v_lshlrev_b16 v35, 8, v35
	v_lshrrev_b32_e32 v52, 24, v50
	v_lshlrev_b16 v28, 8, v28
	v_sub_nc_u16 v59, v29, v50
	v_lshrrev_b32_e32 v147, 24, v34
	v_lshrrev_b32_e32 v148, 16, v34
	v_sub_nc_u16 v62, v51, v52
	v_lshrrev_b32_e32 v51, 16, v29
	v_lshrrev_b32_e32 v52, 16, v50
	s_add_i32 s18, s18, 1
	s_delay_alu instid0(VALU_DEP_3) | instskip(NEXT) | instid1(VALU_DEP_2)
	v_lshlrev_b16 v62, 8, v62
	v_sub_nc_u16 v58, v51, v52
	v_lshrrev_b16 v51, 8, v29
	v_lshrrev_b16 v29, 8, v50
	v_lshlrev_b32_e32 v50, 2, v185
	s_delay_alu instid0(VALU_DEP_2) | instskip(NEXT) | instid1(VALU_DEP_2)
	v_sub_nc_u16 v29, v51, v29
	v_and_b32_e32 v50, 0x4040404, v50
	v_bfe_u32 v51, v30, 24, 2
	v_and_b32_e32 v30, 0x3030303, v30
	s_delay_alu instid0(VALU_DEP_4) | instskip(NEXT) | instid1(VALU_DEP_4)
	v_lshlrev_b16 v29, 8, v29
	v_lshrrev_b32_e32 v52, 24, v50
	s_delay_alu instid0(VALU_DEP_3) | instskip(NEXT) | instid1(VALU_DEP_2)
	v_sub_nc_u16 v53, v30, v50
	v_sub_nc_u16 v185, v51, v52
	v_lshrrev_b32_e32 v51, 16, v30
	v_lshrrev_b32_e32 v52, 16, v50
	s_delay_alu instid0(VALU_DEP_3) | instskip(NEXT) | instid1(VALU_DEP_2)
	v_lshlrev_b16 v185, 8, v185
	v_sub_nc_u16 v52, v51, v52
	v_lshrrev_b16 v51, 8, v30
	v_lshrrev_b16 v30, 8, v50
	v_lshlrev_b32_e32 v50, 2, v60
	s_delay_alu instid0(VALU_DEP_2) | instskip(NEXT) | instid1(VALU_DEP_2)
	v_sub_nc_u16 v30, v51, v30
	v_and_b32_e32 v60, 0x4040404, v50
	v_bfe_u32 v50, v31, 24, 2
	v_and_b32_e32 v31, 0x3030303, v31
	s_delay_alu instid0(VALU_DEP_4) | instskip(NEXT) | instid1(VALU_DEP_4)
	v_lshlrev_b16 v30, 8, v30
	v_lshrrev_b32_e32 v51, 24, v60
	s_delay_alu instid0(VALU_DEP_3) | instskip(NEXT) | instid1(VALU_DEP_2)
	v_lshrrev_b16 v61, 8, v31
	v_sub_nc_u16 v36, v50, v51
	v_lshrrev_b32_e32 v50, 16, v31
	v_lshrrev_b32_e32 v51, 16, v60
	s_delay_alu instid0(VALU_DEP_3) | instskip(NEXT) | instid1(VALU_DEP_2)
	v_lshlrev_b16 v36, 8, v36
	v_sub_nc_u16 v50, v50, v51
	v_sub_nc_u16 v51, v31, v60
	v_lshrrev_b16 v31, 8, v60
	v_lshlrev_b32_e32 v60, 2, v105
	s_delay_alu instid0(VALU_DEP_2) | instskip(NEXT) | instid1(VALU_DEP_2)
	v_sub_nc_u16 v31, v61, v31
	v_and_b32_e32 v60, 0x4040404, v60
	v_bfe_u32 v61, v82, 24, 2
	s_delay_alu instid0(VALU_DEP_3) | instskip(NEXT) | instid1(VALU_DEP_3)
	v_lshlrev_b16 v31, 8, v31
	v_lshrrev_b32_e32 v105, 24, v60
	v_lshrrev_b32_e32 v37, 16, v60
	s_delay_alu instid0(VALU_DEP_2) | instskip(SKIP_1) | instid1(VALU_DEP_2)
	v_sub_nc_u16 v105, v61, v105
	v_and_b32_e32 v61, 0x3030303, v82
	v_lshlrev_b16 v105, 8, v105
	s_delay_alu instid0(VALU_DEP_2) | instskip(SKIP_2) | instid1(VALU_DEP_3)
	v_lshrrev_b32_e32 v82, 16, v61
	v_sub_nc_u16 v38, v61, v60
	v_lshrrev_b16 v60, 8, v60
	v_sub_nc_u16 v37, v82, v37
	v_lshrrev_b16 v82, 8, v61
	v_lshrrev_b32_e32 v61, 24, v56
	s_delay_alu instid0(VALU_DEP_2) | instskip(SKIP_1) | instid1(VALU_DEP_2)
	v_sub_nc_u16 v82, v82, v60
	v_bfe_u32 v60, v85, 24, 2
	v_lshlrev_b16 v82, 8, v82
	s_delay_alu instid0(VALU_DEP_2) | instskip(SKIP_2) | instid1(VALU_DEP_3)
	v_sub_nc_u16 v39, v60, v61
	v_and_b32_e32 v60, 0x3030303, v85
	v_lshrrev_b32_e32 v85, 16, v56
	v_lshlrev_b16 v39, 8, v39
	s_delay_alu instid0(VALU_DEP_3) | instskip(SKIP_2) | instid1(VALU_DEP_3)
	v_lshrrev_b32_e32 v61, 16, v60
	v_sub_nc_u16 v40, v60, v56
	v_lshrrev_b16 v56, 8, v56
	v_sub_nc_u16 v85, v61, v85
	v_lshrrev_b16 v61, 8, v60
	s_delay_alu instid0(VALU_DEP_1) | instskip(SKIP_2) | instid1(VALU_DEP_3)
	v_sub_nc_u16 v41, v61, v56
	v_lshlrev_b32_e32 v56, 2, v57
	v_bfe_u32 v57, v63, 24, 2
	v_lshlrev_b16 v41, 8, v41
	s_delay_alu instid0(VALU_DEP_3) | instskip(NEXT) | instid1(VALU_DEP_1)
	v_and_b32_e32 v56, 0x4040404, v56
	v_lshrrev_b32_e32 v60, 24, v56
	v_lshrrev_b32_e32 v61, 16, v56
	s_delay_alu instid0(VALU_DEP_2) | instskip(SKIP_1) | instid1(VALU_DEP_2)
	v_sub_nc_u16 v42, v57, v60
	v_and_b32_e32 v57, 0x3030303, v63
	v_lshlrev_b16 v42, 8, v42
	s_delay_alu instid0(VALU_DEP_2) | instskip(SKIP_1) | instid1(VALU_DEP_2)
	v_lshrrev_b32_e32 v60, 16, v57
	v_lshrrev_b16 v63, 8, v57
	v_sub_nc_u16 v60, v60, v61
	v_sub_nc_u16 v61, v57, v56
	v_lshrrev_b16 v56, 8, v56
	s_delay_alu instid0(VALU_DEP_1) | instskip(SKIP_1) | instid1(VALU_DEP_2)
	v_sub_nc_u16 v63, v63, v56
	v_lshlrev_b32_e32 v56, 2, v186
	v_lshlrev_b16 v63, 8, v63
	s_delay_alu instid0(VALU_DEP_2) | instskip(SKIP_1) | instid1(VALU_DEP_2)
	v_and_b32_e32 v186, 0x4040404, v56
	v_bfe_u32 v56, v64, 24, 2
	v_lshrrev_b32_e32 v57, 24, v186
	s_delay_alu instid0(VALU_DEP_1) | instskip(SKIP_2) | instid1(VALU_DEP_3)
	v_sub_nc_u16 v43, v56, v57
	v_and_b32_e32 v57, 0x3030303, v64
	v_lshrrev_b32_e32 v64, 16, v186
	v_lshlrev_b16 v43, 8, v43
	s_delay_alu instid0(VALU_DEP_3) | instskip(NEXT) | instid1(VALU_DEP_1)
	v_lshrrev_b32_e32 v56, 16, v57
	v_sub_nc_u16 v56, v56, v64
	v_lshrrev_b16 v64, 8, v57
	v_sub_nc_u16 v57, v57, v186
	v_lshrrev_b16 v186, 8, v186
	s_delay_alu instid0(VALU_DEP_1) | instskip(SKIP_3) | instid1(VALU_DEP_4)
	v_sub_nc_u16 v64, v64, v186
	v_lshlrev_b32_e32 v186, 2, v187
	v_bfe_u32 v187, v111, 24, 2
	v_and_b32_e32 v111, 0x3030303, v111
	v_lshlrev_b16 v64, 8, v64
	s_delay_alu instid0(VALU_DEP_4) | instskip(NEXT) | instid1(VALU_DEP_1)
	v_and_b32_e32 v186, 0x4040404, v186
	v_lshrrev_b32_e32 v46, 24, v186
	v_lshrrev_b32_e32 v130, 16, v186
	s_delay_alu instid0(VALU_DEP_2) | instskip(SKIP_1) | instid1(VALU_DEP_2)
	v_sub_nc_u16 v46, v187, v46
	v_lshrrev_b32_e32 v187, 16, v111
	v_lshlrev_b16 v46, 8, v46
	s_delay_alu instid0(VALU_DEP_2) | instskip(SKIP_3) | instid1(VALU_DEP_1)
	v_sub_nc_u16 v130, v187, v130
	v_lshrrev_b16 v187, 8, v111
	v_sub_nc_u16 v111, v111, v186
	v_lshrrev_b16 v186, 8, v186
	v_sub_nc_u16 v186, v187, v186
	v_lshlrev_b32_e32 v187, 2, v188
	v_bfe_u32 v188, v178, 24, 2
	v_and_b32_e32 v178, 0x3030303, v178
	s_delay_alu instid0(VALU_DEP_4) | instskip(NEXT) | instid1(VALU_DEP_4)
	v_lshlrev_b16 v186, 8, v186
	v_and_b32_e32 v187, 0x4040404, v187
	s_delay_alu instid0(VALU_DEP_1) | instskip(SKIP_1) | instid1(VALU_DEP_2)
	v_lshrrev_b32_e32 v131, 24, v187
	v_lshrrev_b32_e32 v132, 16, v187
	v_sub_nc_u16 v131, v188, v131
	v_lshrrev_b32_e32 v188, 16, v178
	s_delay_alu instid0(VALU_DEP_2) | instskip(NEXT) | instid1(VALU_DEP_2)
	v_lshlrev_b16 v131, 8, v131
	v_sub_nc_u16 v132, v188, v132
	v_lshrrev_b16 v188, 8, v178
	v_sub_nc_u16 v178, v178, v187
	v_lshrrev_b16 v187, 8, v187
	s_delay_alu instid0(VALU_DEP_1) | instskip(SKIP_3) | instid1(VALU_DEP_4)
	v_sub_nc_u16 v187, v188, v187
	v_lshlrev_b32_e32 v188, 2, v189
	v_bfe_u32 v189, v180, 24, 2
	v_and_b32_e32 v180, 0x3030303, v180
	v_lshlrev_b16 v187, 8, v187
	s_delay_alu instid0(VALU_DEP_4) | instskip(NEXT) | instid1(VALU_DEP_1)
	v_and_b32_e32 v188, 0x4040404, v188
	v_lshrrev_b32_e32 v76, 24, v188
	v_lshrrev_b32_e32 v138, 16, v188
	s_delay_alu instid0(VALU_DEP_2) | instskip(SKIP_1) | instid1(VALU_DEP_2)
	v_sub_nc_u16 v76, v189, v76
	v_lshrrev_b32_e32 v189, 16, v180
	v_lshlrev_b16 v76, 8, v76
	s_delay_alu instid0(VALU_DEP_2) | instskip(SKIP_3) | instid1(VALU_DEP_1)
	v_sub_nc_u16 v138, v189, v138
	v_lshrrev_b16 v189, 8, v180
	v_sub_nc_u16 v180, v180, v188
	v_lshrrev_b16 v188, 8, v188
	v_sub_nc_u16 v188, v189, v188
	v_lshlrev_b32_e32 v189, 2, v190
	v_bfe_u32 v190, v181, 24, 2
	v_and_b32_e32 v181, 0x3030303, v181
	s_delay_alu instid0(VALU_DEP_4) | instskip(NEXT) | instid1(VALU_DEP_4)
	v_lshlrev_b16 v188, 8, v188
	v_and_b32_e32 v189, 0x4040404, v189
	s_delay_alu instid0(VALU_DEP_1) | instskip(SKIP_1) | instid1(VALU_DEP_2)
	v_lshrrev_b32_e32 v139, 24, v189
	v_lshrrev_b32_e32 v140, 16, v189
	v_sub_nc_u16 v139, v190, v139
	v_lshrrev_b32_e32 v190, 16, v181
	s_delay_alu instid0(VALU_DEP_2) | instskip(NEXT) | instid1(VALU_DEP_2)
	v_lshlrev_b16 v139, 8, v139
	v_sub_nc_u16 v140, v190, v140
	v_lshrrev_b16 v190, 8, v181
	v_sub_nc_u16 v181, v181, v189
	v_lshrrev_b16 v189, 8, v189
	s_delay_alu instid0(VALU_DEP_1) | instskip(SKIP_2) | instid1(VALU_DEP_3)
	v_sub_nc_u16 v189, v190, v189
	v_bfe_u32 v190, v179, 24, 2
	v_and_b32_e32 v179, 0x3030303, v179
	v_lshlrev_b16 v189, 8, v189
	s_delay_alu instid0(VALU_DEP_3) | instskip(NEXT) | instid1(VALU_DEP_3)
	v_sub_nc_u16 v141, v190, v141
	v_lshrrev_b32_e32 v190, 16, v179
	s_delay_alu instid0(VALU_DEP_2) | instskip(NEXT) | instid1(VALU_DEP_2)
	v_lshlrev_b16 v141, 8, v141
	v_sub_nc_u16 v142, v190, v142
	v_lshrrev_b16 v190, 8, v179
	v_sub_nc_u16 v179, v179, v137
	v_lshrrev_b16 v137, 8, v137
	s_delay_alu instid0(VALU_DEP_1) | instskip(SKIP_2) | instid1(VALU_DEP_3)
	v_sub_nc_u16 v137, v190, v137
	v_bfe_u32 v190, v182, 24, 2
	v_and_b32_e32 v182, 0x3030303, v182
	v_lshlrev_b16 v137, 8, v137
	s_delay_alu instid0(VALU_DEP_3) | instskip(NEXT) | instid1(VALU_DEP_3)
	;; [unrolled: 14-line block ×4, first 2 shown]
	v_sub_nc_u16 v147, v190, v147
	v_lshrrev_b32_e32 v190, 16, v184
	s_delay_alu instid0(VALU_DEP_2) | instskip(NEXT) | instid1(VALU_DEP_2)
	v_lshlrev_b16 v147, 8, v147
	v_sub_nc_u16 v148, v190, v148
	v_lshrrev_b16 v190, 8, v184
	v_sub_nc_u16 v184, v184, v34
	v_lshrrev_b16 v34, 8, v34
	s_delay_alu instid0(VALU_DEP_1) | instskip(SKIP_1) | instid1(VALU_DEP_2)
	v_sub_nc_u16 v34, v190, v34
	v_and_b32_e32 v190, 0xff, v54
	v_lshlrev_b16 v34, 8, v34
	s_delay_alu instid0(VALU_DEP_2) | instskip(SKIP_1) | instid1(VALU_DEP_2)
	v_or_b32_e32 v35, v190, v35
	v_and_b32_e32 v190, 0xff, v55
	v_perm_b32 v149, v35, v54, 0x5000c0c
	s_delay_alu instid0(VALU_DEP_2) | instskip(SKIP_1) | instid1(VALU_DEP_1)
	v_or_b32_e32 v28, v190, v28
	v_and_b32_e32 v190, 0xff, v58
	v_or_b32_e32 v62, v190, v62
	v_and_b32_e32 v190, 0xff, v59
	s_delay_alu instid0(VALU_DEP_2) | instskip(NEXT) | instid1(VALU_DEP_2)
	v_perm_b32 v150, v62, v58, 0x5000c0c
	v_or_b32_e32 v29, v190, v29
	v_and_b32_e32 v190, 0xff, v52
	s_delay_alu instid0(VALU_DEP_1) | instskip(SKIP_1) | instid1(VALU_DEP_2)
	v_or_b32_e32 v185, v190, v185
	v_and_b32_e32 v190, 0xff, v53
	v_perm_b32 v151, v185, v52, 0x5000c0c
	s_delay_alu instid0(VALU_DEP_2) | instskip(SKIP_1) | instid1(VALU_DEP_1)
	v_or_b32_e32 v30, v190, v30
	v_and_b32_e32 v190, 0xff, v50
	v_or_b32_e32 v36, v190, v36
	v_and_b32_e32 v190, 0xff, v51
	s_delay_alu instid0(VALU_DEP_2) | instskip(NEXT) | instid1(VALU_DEP_2)
	v_perm_b32 v152, v36, v50, 0x5000c0c
	v_or_b32_e32 v31, v190, v31
	v_and_b32_e32 v190, 0xff, v37
	s_delay_alu instid0(VALU_DEP_1) | instskip(SKIP_1) | instid1(VALU_DEP_2)
	;; [unrolled: 13-line block ×4, first 2 shown]
	v_or_b32_e32 v46, v190, v46
	v_and_b32_e32 v190, 0xff, v111
	v_perm_b32 v191, v46, v130, 0x5000c0c
	s_delay_alu instid0(VALU_DEP_2) | instskip(SKIP_1) | instid1(VALU_DEP_1)
	v_or_b32_e32 v186, v190, v186
	v_and_b32_e32 v190, 0xff, v132
	v_or_b32_e32 v131, v190, v131
	v_and_b32_e32 v190, 0xff, v178
	s_delay_alu instid0(VALU_DEP_2) | instskip(NEXT) | instid1(VALU_DEP_2)
	v_perm_b32 v44, v131, v132, 0x5000c0c
	v_or_b32_e32 v187, v190, v187
	v_and_b32_e32 v190, 0xff, v138
	s_delay_alu instid0(VALU_DEP_1) | instskip(SKIP_1) | instid1(VALU_DEP_1)
	v_or_b32_e32 v76, v190, v76
	v_and_b32_e32 v190, 0xff, v180
	v_or_b32_e32 v188, v190, v188
	v_and_b32_e32 v190, 0xff, v140
	s_delay_alu instid0(VALU_DEP_2) | instskip(NEXT) | instid1(VALU_DEP_2)
	v_perm_b32 v45, v188, v180, 0xc0c0500
	v_or_b32_e32 v139, v190, v139
	v_and_b32_e32 v190, 0xff, v181
	s_delay_alu instid0(VALU_DEP_2) | instskip(NEXT) | instid1(VALU_DEP_2)
	v_perm_b32 v169, v139, v140, 0x5000c0c
	v_or_b32_e32 v189, v190, v189
	v_and_b32_e32 v190, 0xff, v142
	s_delay_alu instid0(VALU_DEP_1) | instskip(SKIP_1) | instid1(VALU_DEP_2)
	v_or_b32_e32 v141, v190, v141
	v_and_b32_e32 v190, 0xff, v179
	v_perm_b32 v170, v141, v142, 0x5000c0c
	s_delay_alu instid0(VALU_DEP_2) | instskip(SKIP_1) | instid1(VALU_DEP_1)
	v_or_b32_e32 v137, v190, v137
	v_and_b32_e32 v190, 0xff, v144
	v_or_b32_e32 v143, v190, v143
	v_and_b32_e32 v190, 0xff, v182
	s_delay_alu instid0(VALU_DEP_2) | instskip(NEXT) | instid1(VALU_DEP_2)
	v_perm_b32 v171, v143, v144, 0x5000c0c
	v_or_b32_e32 v32, v190, v32
	v_and_b32_e32 v190, 0xff, v146
	s_delay_alu instid0(VALU_DEP_1) | instskip(SKIP_1) | instid1(VALU_DEP_2)
	v_or_b32_e32 v145, v190, v145
	v_and_b32_e32 v190, 0xff, v183
	v_perm_b32 v172, v145, v146, 0x5000c0c
	s_delay_alu instid0(VALU_DEP_2) | instskip(SKIP_1) | instid1(VALU_DEP_1)
	v_or_b32_e32 v33, v190, v33
	v_and_b32_e32 v190, 0xff, v148
	v_or_b32_e32 v147, v190, v147
	v_and_b32_e32 v190, 0xff, v184
	s_delay_alu instid0(VALU_DEP_2) | instskip(NEXT) | instid1(VALU_DEP_2)
	v_perm_b32 v174, v147, v148, 0x5000c0c
	v_or_b32_e32 v34, v190, v34
	v_perm_b32 v190, v28, v55, 0xc0c0500
	s_delay_alu instid0(VALU_DEP_1) | instskip(SKIP_1) | instid1(VALU_DEP_1)
	v_or_b32_e32 v149, v149, v190
	v_perm_b32 v190, v29, v59, 0xc0c0500
	v_or_b32_e32 v150, v150, v190
	v_perm_b32 v190, v30, v53, 0xc0c0500
	s_delay_alu instid0(VALU_DEP_1) | instskip(SKIP_1) | instid1(VALU_DEP_1)
	v_or_b32_e32 v151, v151, v190
	v_perm_b32 v190, v31, v51, 0xc0c0500
	v_or_b32_e32 v152, v152, v190
	v_perm_b32 v190, v82, v38, 0xc0c0500
	s_delay_alu instid0(VALU_DEP_1) | instskip(SKIP_1) | instid1(VALU_DEP_2)
	v_or_b32_e32 v153, v153, v190
	v_perm_b32 v190, v41, v40, 0xc0c0500
	v_dot4_i32_iu8 v175, v0, v153, 0 neg_lo:[1,1,0]
	s_delay_alu instid0(VALU_DEP_2) | instskip(SKIP_1) | instid1(VALU_DEP_2)
	v_or_b32_e32 v154, v154, v190
	v_perm_b32 v190, v63, v61, 0xc0c0500
	v_dot4_i32_iu8 v175, v1, v154, v175 neg_lo:[1,1,0]
	s_delay_alu instid0(VALU_DEP_2) | instskip(SKIP_1) | instid1(VALU_DEP_2)
	;; [unrolled: 4-line block ×7, first 2 shown]
	v_or_b32_e32 v169, v169, v191
	v_perm_b32 v191, v137, v179, 0xc0c0500
	v_dot4_i32_iu8 v176, v3, v169, v176 neg_lo:[1,1,0]
	s_delay_alu instid0(VALU_DEP_2) | instskip(SKIP_2) | instid1(VALU_DEP_2)
	v_or_b32_e32 v170, v170, v191
	v_perm_b32 v191, v32, v182, 0xc0c0500
	v_perm_b32 v32, v144, v32, 0xc0c0401
	v_or_b32_e32 v171, v171, v191
	v_perm_b32 v191, v33, v183, 0xc0c0500
	s_delay_alu instid0(VALU_DEP_1) | instskip(SKIP_1) | instid1(VALU_DEP_1)
	v_or_b32_e32 v172, v172, v191
	v_perm_b32 v191, v34, v184, 0xc0c0500
	v_or_b32_e32 v174, v174, v191
	v_dot4_i32_iu8 v191, v0, v149, 0 neg_lo:[1,1,0]
	v_dot4_i32_iu8 v0, v0, v170, 0 neg_lo:[1,1,0]
	s_delay_alu instid0(VALU_DEP_2) | instskip(NEXT) | instid1(VALU_DEP_2)
	v_dot4_i32_iu8 v191, v1, v150, v191 neg_lo:[1,1,0]
	v_dot4_i32_iu8 v0, v1, v171, v0 neg_lo:[1,1,0]
	s_delay_alu instid0(VALU_DEP_2) | instskip(NEXT) | instid1(VALU_DEP_2)
	v_dot4_i32_iu8 v1, v2, v151, v191 neg_lo:[1,1,0]
	v_dot4_i32_iu8 v0, v2, v172, v0 neg_lo:[1,1,0]
	;; [unrolled: 1-line block ×3, first 2 shown]
	s_delay_alu instid0(VALU_DEP_3) | instskip(NEXT) | instid1(VALU_DEP_3)
	v_dot4_i32_iu8 v191, v3, v152, v1 neg_lo:[1,1,0]
	v_dot4_i32_iu8 v177, v3, v174, v0 neg_lo:[1,1,0]
	v_dot4_i32_iu8 v0, v4, v149, 0 neg_lo:[1,1,0]
	v_dot4_i32_iu8 v1, v4, v153, 0 neg_lo:[1,1,0]
	v_dot4_i32_iu8 v3, v4, v170, 0 neg_lo:[1,1,0]
	v_dot4_i32_iu8 v2, v5, v44, v2 neg_lo:[1,1,0]
	s_delay_alu instid0(VALU_DEP_4) | instskip(NEXT) | instid1(VALU_DEP_4)
	v_dot4_i32_iu8 v0, v5, v150, v0 neg_lo:[1,1,0]
	v_dot4_i32_iu8 v1, v5, v154, v1 neg_lo:[1,1,0]
	s_delay_alu instid0(VALU_DEP_4) | instskip(NEXT) | instid1(VALU_DEP_4)
	v_dot4_i32_iu8 v3, v5, v171, v3 neg_lo:[1,1,0]
	v_dot4_i32_iu8 v2, v6, v45, v2 neg_lo:[1,1,0]
	s_delay_alu instid0(VALU_DEP_4) | instskip(NEXT) | instid1(VALU_DEP_4)
	v_dot4_i32_iu8 v0, v6, v151, v0 neg_lo:[1,1,0]
	v_dot4_i32_iu8 v1, v6, v168, v1 neg_lo:[1,1,0]
	s_delay_alu instid0(VALU_DEP_4) | instskip(NEXT) | instid1(VALU_DEP_4)
	v_dot4_i32_iu8 v3, v6, v172, v3 neg_lo:[1,1,0]
	v_dot4_i32_iu8 v157, v7, v169, v2 neg_lo:[1,1,0]
	v_dot4_i32_iu8 v2, v8, v190, 0 neg_lo:[1,1,0]
	v_dot4_i32_iu8 v155, v7, v152, v0 neg_lo:[1,1,0]
	v_dot4_i32_iu8 v156, v7, v173, v1 neg_lo:[1,1,0]
	v_dot4_i32_iu8 v158, v7, v174, v3 neg_lo:[1,1,0]
	v_dot4_i32_iu8 v0, v8, v149, 0 neg_lo:[1,1,0]
	v_dot4_i32_iu8 v1, v8, v153, 0 neg_lo:[1,1,0]
	v_dot4_i32_iu8 v3, v8, v170, 0 neg_lo:[1,1,0]
	v_dot4_i32_iu8 v2, v9, v44, v2 neg_lo:[1,1,0]
	s_delay_alu instid0(VALU_DEP_4) | instskip(NEXT) | instid1(VALU_DEP_4)
	v_dot4_i32_iu8 v0, v9, v150, v0 neg_lo:[1,1,0]
	v_dot4_i32_iu8 v1, v9, v154, v1 neg_lo:[1,1,0]
	s_delay_alu instid0(VALU_DEP_4) | instskip(NEXT) | instid1(VALU_DEP_4)
	v_dot4_i32_iu8 v3, v9, v171, v3 neg_lo:[1,1,0]
	v_dot4_i32_iu8 v2, v10, v45, v2 neg_lo:[1,1,0]
	s_delay_alu instid0(VALU_DEP_4) | instskip(NEXT) | instid1(VALU_DEP_4)
	v_dot4_i32_iu8 v0, v10, v151, v0 neg_lo:[1,1,0]
	v_dot4_i32_iu8 v1, v10, v168, v1 neg_lo:[1,1,0]
	s_delay_alu instid0(VALU_DEP_4) | instskip(NEXT) | instid1(VALU_DEP_4)
	v_dot4_i32_iu8 v3, v10, v172, v3 neg_lo:[1,1,0]
	v_dot4_i32_iu8 v160, v11, v169, v2 neg_lo:[1,1,0]
	v_dot4_i32_iu8 v2, v12, v190, 0 neg_lo:[1,1,0]
	v_dot4_i32_iu8 v8, v11, v152, v0 neg_lo:[1,1,0]
	;; [unrolled: 20-line block ×5, first 2 shown]
	v_dot4_i32_iu8 v17, v23, v173, v1 neg_lo:[1,1,0]
	v_dot4_i32_iu8 v227, v23, v174, v3 neg_lo:[1,1,0]
	;; [unrolled: 1-line block ×6, first 2 shown]
	v_perm_b32 v22, v210, v243, 0xc0c0401
	v_dot4_i32_iu8 v0, v25, v150, v0 neg_lo:[1,1,0]
	v_dot4_i32_iu8 v1, v25, v154, v1 neg_lo:[1,1,0]
	;; [unrolled: 1-line block ×4, first 2 shown]
	v_perm_b32 v23, v211, v255, 0x4010c0c
	v_dot4_i32_iu8 v0, v26, v151, v0 neg_lo:[1,1,0]
	v_dot4_i32_iu8 v1, v26, v168, v1 neg_lo:[1,1,0]
	;; [unrolled: 1-line block ×4, first 2 shown]
	v_perm_b32 v24, v212, v242, 0xc0c0401
	v_dot4_i32_iu8 v12, v27, v152, v0 neg_lo:[1,1,0]
	v_dot4_i32_iu8 v18, v27, v173, v1 neg_lo:[1,1,0]
	;; [unrolled: 1-line block ×3, first 2 shown]
	ds_load_b128 v[0:3], v192
	ds_load_b128 v[4:7], v192 offset:16
	s_clause 0x1
	scratch_load_b32 v15, off, off
	scratch_load_b32 v19, off, off offset:4
	v_perm_b32 v25, v213, v244, 0x4010c0c
	v_perm_b32 v27, v218, v238, 0xc0c0401
	v_add_nc_u32_e32 v192, 32, v192
	s_waitcnt lgkmcnt(1)
	v_perm_b32 v13, v0, v0, 0x30201
	v_perm_b32 v14, v1, v1, 0x30201
	s_clause 0x1
	scratch_load_b32 v0, off, off offset:128
	scratch_load_b32 v1, off, off offset:120
	s_waitcnt lgkmcnt(0)
	v_perm_b32 v4, v4, v4, 0x30201
	v_perm_b32 v5, v5, v5, 0x30201
	;; [unrolled: 1-line block ×6, first 2 shown]
	s_waitcnt vmcnt(3)
	v_add_nc_u32_e32 v15, s20, v15
	s_waitcnt vmcnt(2)
	v_add_nc_u32_e32 v19, s20, v19
	s_add_i32 s20, s1, s19
	s_delay_alu instid0(SALU_CYCLE_1)
	s_cmp_lt_u32 s20, s15
	ds_load_b32 v15, v15
	s_waitcnt vmcnt(1)
	v_add3_u32 v0, v0, s21, v49
	s_waitcnt vmcnt(0)
	v_add3_u32 v1, v1, s21, v49
	ds_load_b32 v19, v19
	ds_load_u16 v20, v0 offset:33536
	ds_load_u16 v21, v1 offset:35584
	ds_load_2addr_b32 v[0:1], v235 offset1:32
	v_perm_b32 v49, v219, v240, 0x4010c0c
	s_waitcnt lgkmcnt(0)
	v_mul_f32_e32 v45, v0, v194
	v_mul_f32_e32 v149, v0, v15
	v_mul_f32_e32 v150, v0, v195
	v_dual_mul_f32 v151, v0, v19 :: v_dual_mul_f32 v152, v194, v1
	v_mul_f32_e32 v153, v15, v1
	v_mul_f32_e32 v154, v195, v1
	v_mul_f32_e32 v168, v19, v1
	ds_load_2addr_b32 v[0:1], v235 offset0:64 offset1:96
	s_waitcnt lgkmcnt(0)
	v_mul_f32_e32 v169, v194, v0
	v_mul_f32_e32 v170, v15, v0
	v_mul_f32_e32 v171, v195, v0
	v_dual_mul_f32 v172, v19, v0 :: v_dual_mul_f32 v173, v194, v1
	v_mul_f32_e32 v174, v15, v1
	v_mul_f32_e32 v190, v195, v1
	v_mul_f32_e32 v66, v19, v1
	ds_load_2addr_b32 v[0:1], v235 offset0:128 offset1:160
	s_waitcnt lgkmcnt(0)
	v_mul_f32_e32 v67, v194, v0
	v_mul_f32_e32 v68, v15, v0
	v_mul_f32_e32 v69, v195, v0
	v_dual_mul_f32 v70, v19, v0 :: v_dual_mul_f32 v71, v194, v1
	v_mul_f32_e32 v72, v15, v1
	v_mul_f32_e32 v73, v195, v1
	v_mul_f32_e32 v74, v19, v1
	ds_load_2addr_b32 v[0:1], v235 offset0:192 offset1:224
	v_add_nc_u32_e32 v235, 4, v235
	s_waitcnt lgkmcnt(0)
	v_mul_f32_e32 v77, v194, v0
	v_mul_f32_e32 v194, v194, v1
	v_mul_f32_e32 v79, v15, v1
	v_mul_f32_e32 v80, v195, v0
	v_mul_f32_e32 v195, v195, v1
	v_mul_f32_e32 v83, v19, v1
	scratch_load_b32 v1, off, off offset:112 ; 4-byte Folded Reload
	v_mul_f32_e32 v78, v15, v0
	v_mul_f32_e32 v81, v19, v0
	v_perm_b32 v0, v202, v247, 0xc0c0401
	v_perm_b32 v15, v204, v251, 0xc0c0401
	;; [unrolled: 1-line block ×3, first 2 shown]
	s_waitcnt vmcnt(0)
	v_perm_b32 v1, v203, v1, 0x4010c0c
	s_delay_alu instid0(VALU_DEP_1) | instskip(NEXT) | instid1(VALU_DEP_3)
	v_or_b32_e32 v0, v1, v0
	v_or_b32_e32 v1, v19, v15
	;; [unrolled: 1-line block ×8, first 2 shown]
	v_dot4_i32_iu8 v0, v0, v13, 0 neg_lo:[1,1,0]
	v_dot4_i32_iu8 v15, v15, v13, 0 neg_lo:[1,1,0]
	;; [unrolled: 1-line block ×4, first 2 shown]
	v_perm_b32 v24, v37, v82, 0xc0c0401
	v_dot4_i32_iu8 v0, v1, v14, v0 neg_lo:[1,1,0]
	v_dot4_i32_iu8 v1, v19, v14, v15 neg_lo:[1,1,0]
	;; [unrolled: 1-line block ×4, first 2 shown]
	v_perm_b32 v14, v54, v28, 0xc0c0401
	v_perm_b32 v19, v55, v35, 0x4010c0c
	;; [unrolled: 1-line block ×14, first 2 shown]
	v_or_b32_e32 v14, v19, v14
	v_or_b32_e32 v19, v23, v22
	;; [unrolled: 1-line block ×8, first 2 shown]
	v_dot4_i32_iu8 v14, v14, v4, 0 neg_lo:[1,1,0]
	v_dot4_i32_iu8 v22, v22, v4, 0 neg_lo:[1,1,0]
	;; [unrolled: 1-line block ×4, first 2 shown]
	scratch_load_b32 v27, off, off offset:108 ; 4-byte Folded Reload
	v_dot4_i32_iu8 v14, v19, v5, v14 neg_lo:[1,1,0]
	v_dot4_i32_iu8 v19, v23, v5, v22 neg_lo:[1,1,0]
	;; [unrolled: 1-line block ×4, first 2 shown]
	s_clause 0x4
	scratch_load_b32 v28, off, off offset:104
	scratch_load_b32 v5, off, off offset:84
	;; [unrolled: 1-line block ×5, first 2 shown]
	v_perm_b32 v29, v222, v253, 0xc0c0401
	v_perm_b32 v32, v223, v252, 0x4010c0c
	v_mov_b32_e32 v94, v88
	v_mov_b32_e32 v89, v236
	v_dual_mov_b32 v85, v230 :: v_dual_mov_b32 v82, v75
	v_mov_b32_e32 v46, v225
	s_waitcnt vmcnt(5)
	v_perm_b32 v27, v214, v27, 0xc0c0401
	s_waitcnt vmcnt(4)
	v_perm_b32 v28, v215, v28, 0x4010c0c
	;; [unrolled: 2-line block ×6, first 2 shown]
	s_delay_alu instid0(VALU_DEP_2) | instskip(NEXT) | instid1(VALU_DEP_2)
	v_or_b32_e32 v5, v23, v5
	v_or_b32_e32 v23, v25, v24
	;; [unrolled: 1-line block ×4, first 2 shown]
	v_perm_b32 v27, v180, v76, 0x4010c0c
	v_dot4_i32_iu8 v0, v5, v2, v0 neg_lo:[1,1,0]
	v_dot4_i32_iu8 v1, v23, v2, v1 neg_lo:[1,1,0]
	;; [unrolled: 1-line block ×4, first 2 shown]
	v_perm_b32 v13, v52, v30, 0xc0c0401
	v_perm_b32 v15, v53, v185, 0x4010c0c
	;; [unrolled: 1-line block ×7, first 2 shown]
	v_or_b32_e32 v13, v15, v13
	v_or_b32_e32 v15, v24, v23
	;; [unrolled: 1-line block ×3, first 2 shown]
	scratch_load_b32 v27, off, off offset:92 ; 4-byte Folded Reload
	v_or_b32_e32 v24, v29, v28
	scratch_load_b32 v28, off, off offset:88 ; 4-byte Folded Reload
	v_dot4_i32_iu8 v13, v13, v6, v14 neg_lo:[1,1,0]
	v_dot4_i32_iu8 v14, v15, v6, v19 neg_lo:[1,1,0]
	;; [unrolled: 1-line block ×4, first 2 shown]
	s_clause 0x5
	scratch_load_b32 v6, off, off offset:60
	scratch_load_b32 v22, off, off offset:68
	;; [unrolled: 1-line block ×6, first 2 shown]
	v_dual_mov_b32 v33, v107 :: v_dual_mov_b32 v32, v102
	s_waitcnt vmcnt(7)
	v_perm_b32 v27, v216, v27, 0xc0c0401
	s_waitcnt vmcnt(6)
	v_perm_b32 v28, v217, v28, 0x4010c0c
	s_waitcnt vmcnt(5)
	v_perm_b32 v6, v196, v6, 0xc0c0401
	s_waitcnt vmcnt(4)
	v_perm_b32 v22, v200, v22, 0xc0c0401
	s_waitcnt vmcnt(3)
	v_perm_b32 v25, v209, v25, 0x4010c0c
	s_waitcnt vmcnt(2)
	v_perm_b32 v23, v201, v23, 0x4010c0c
	s_waitcnt vmcnt(1)
	v_perm_b32 v19, v197, v19, 0x4010c0c
	s_waitcnt vmcnt(0)
	v_perm_b32 v24, v208, v24, 0xc0c0401
	s_delay_alu instid0(VALU_DEP_2) | instskip(SKIP_1) | instid1(VALU_DEP_3)
	v_or_b32_e32 v6, v19, v6
	v_or_b32_e32 v19, v23, v22
	;; [unrolled: 1-line block ×4, first 2 shown]
	v_perm_b32 v24, v148, v34, 0xc0c0401
	v_dot4_i32_iu8 v0, v6, v3, v0 neg_lo:[1,1,0]
	v_dot4_i32_iu8 v19, v19, v3, v1 neg_lo:[1,1,0]
	;; [unrolled: 1-line block ×4, first 2 shown]
	v_perm_b32 v1, v50, v31, 0xc0c0401
	v_perm_b32 v2, v51, v36, 0x4010c0c
	;; [unrolled: 1-line block ×6, first 2 shown]
	v_or_b32_e32 v1, v2, v1
	v_perm_b32 v25, v184, v147, 0x4010c0c
	v_or_b32_e32 v2, v5, v3
	v_mov_b32_e32 v31, v96
	v_or_b32_e32 v3, v23, v6
	v_dot4_i32_iu8 v6, v1, v7, v13 neg_lo:[1,1,0]
	v_lshrrev_b16 v1, 8, v20
	v_dot4_i32_iu8 v13, v2, v7, v14 neg_lo:[1,1,0]
	v_bfe_i32 v14, v20, 0, 8
	v_dot4_i32_iu8 v23, v3, v7, v15 neg_lo:[1,1,0]
	v_or_b32_e32 v5, v25, v24
	v_bfe_i32 v15, v1, 0, 8
	v_bfe_i32 v20, v47, 0, 8
	v_mul_lo_u32 v0, v0, v14
	v_bfe_i32 v25, v21, 0, 8
	v_dot4_i32_iu8 v28, v5, v7, v4 neg_lo:[1,1,0]
	s_delay_alu instid0(VALU_DEP_3) | instskip(SKIP_1) | instid1(VALU_DEP_1)
	v_mad_u64_u32 v[1:2], null, v6, v15, v[0:1]
	v_mul_lo_u32 v0, v100, v14
	v_mad_u64_u32 v[2:3], null, v191, v15, v[0:1]
	v_mul_lo_u32 v0, v97, v14
	s_delay_alu instid0(VALU_DEP_1) | instskip(SKIP_1) | instid1(VALU_DEP_1)
	v_mad_u64_u32 v[3:4], null, v155, v15, v[0:1]
	v_mul_lo_u32 v0, v106, v14
	v_mad_u64_u32 v[4:5], null, v8, v15, v[0:1]
	v_mul_lo_u32 v0, v120, v14
	s_delay_alu instid0(VALU_DEP_1) | instskip(SKIP_1) | instid1(VALU_DEP_1)
	;; [unrolled: 5-line block ×3, first 2 shown]
	v_mad_u64_u32 v[7:8], null, v11, v15, v[0:1]
	v_mul_lo_u32 v0, v136, v14
	v_mad_u64_u32 v[8:9], null, v12, v15, v[0:1]
	v_lshrrev_b16 v0, 8, v47
	s_delay_alu instid0(VALU_DEP_1) | instskip(SKIP_1) | instid1(VALU_DEP_1)
	v_bfe_i32 v24, v0, 0, 8
	v_mul_lo_u32 v0, v19, v20
	v_mad_u64_u32 v[9:10], null, v13, v24, v[0:1]
	v_mul_lo_u32 v0, v250, v20
	s_delay_alu instid0(VALU_DEP_1) | instskip(SKIP_1) | instid1(VALU_DEP_1)
	v_mad_u64_u32 v[10:11], null, v175, v24, v[0:1]
	v_mul_lo_u32 v0, v110, v20
	v_mad_u64_u32 v[11:12], null, v156, v24, v[0:1]
	v_mul_lo_u32 v0, v90, v20
	s_delay_alu instid0(VALU_DEP_1) | instskip(SKIP_1) | instid1(VALU_DEP_1)
	v_mad_u64_u32 v[12:13], null, v159, v24, v[0:1]
	;; [unrolled: 5-line block ×4, first 2 shown]
	v_lshrrev_b16 v0, 8, v21
	v_bfe_i32 v29, v0, 0, 8
	v_mul_lo_u32 v0, v22, v25
	s_delay_alu instid0(VALU_DEP_1) | instskip(SKIP_1) | instid1(VALU_DEP_1)
	v_mad_u64_u32 v[17:18], null, v23, v29, v[0:1]
	v_mul_lo_u32 v0, v241, v25
	v_mad_u64_u32 v[18:19], null, v176, v29, v[0:1]
	v_mul_lo_u32 v0, v249, v25
	s_delay_alu instid0(VALU_DEP_1) | instskip(SKIP_1) | instid1(VALU_DEP_1)
	v_mad_u64_u32 v[19:20], null, v157, v29, v[0:1]
	v_mul_lo_u32 v0, v108, v25
	v_mad_u64_u32 v[20:21], null, v160, v29, v[0:1]
	v_mul_lo_u32 v0, v92, v25
	v_mov_b32_e32 v92, v245
	s_delay_alu instid0(VALU_DEP_2) | instskip(SKIP_1) | instid1(VALU_DEP_1)
	v_mad_u64_u32 v[21:22], null, v163, v29, v[0:1]
	v_mul_lo_u32 v0, v103, v25
	v_mad_u64_u32 v[22:23], null, v165, v29, v[0:1]
	v_mul_lo_u32 v0, v117, v25
	s_delay_alu instid0(VALU_DEP_1) | instskip(SKIP_1) | instid1(VALU_DEP_1)
	v_mad_u64_u32 v[23:24], null, v167, v29, v[0:1]
	v_mul_lo_u32 v0, v126, v25
	v_mad_u64_u32 v[24:25], null, v26, v29, v[0:1]
	v_lshrrev_b16 v0, 8, v48
	v_bfe_i32 v29, v48, 0, 8
	s_delay_alu instid0(VALU_DEP_2) | instskip(NEXT) | instid1(VALU_DEP_2)
	v_bfe_i32 v30, v0, 0, 8
	v_mul_lo_u32 v0, v27, v29
	s_delay_alu instid0(VALU_DEP_1) | instskip(SKIP_1) | instid1(VALU_DEP_1)
	v_mad_u64_u32 v[25:26], null, v28, v30, v[0:1]
	v_mul_lo_u32 v0, v237, v29
	v_mad_u64_u32 v[26:27], null, v177, v30, v[0:1]
	v_mul_lo_u32 v0, v239, v29
	s_delay_alu instid0(VALU_DEP_1) | instskip(SKIP_1) | instid1(VALU_DEP_1)
	v_mad_u64_u32 v[47:48], null, v158, v30, v[0:1]
	v_mul_lo_u32 v0, v246, v29
	v_mad_u64_u32 v[48:49], null, v161, v30, v[0:1]
	v_mul_lo_u32 v0, v254, v29
	s_delay_alu instid0(VALU_DEP_1)
	v_mad_u64_u32 v[49:50], null, v164, v30, v[0:1]
	v_mul_lo_u32 v0, v95, v29
	s_clause 0x1
	scratch_load_b32 v95, off, off offset:48
	scratch_load_b32 v90, off, off offset:52
	v_mad_u64_u32 v[50:51], null, v166, v30, v[0:1]
	v_mul_lo_u32 v0, v101, v29
	s_delay_alu instid0(VALU_DEP_1) | instskip(SKIP_1) | instid1(VALU_DEP_1)
	v_mad_u64_u32 v[51:52], null, v227, v30, v[0:1]
	v_mul_lo_u32 v0, v114, v29
	v_mad_u64_u32 v[52:53], null, v44, v30, v[0:1]
	v_cvt_f32_i32_e32 v0, v1
	s_delay_alu instid0(VALU_DEP_1) | instskip(SKIP_1) | instid1(VALU_DEP_1)
	v_fmac_f32_e32 v123, v45, v0
	v_cvt_f32_i32_e32 v0, v9
	v_dual_mov_b32 v45, v224 :: v_dual_fmac_f32 v94, v149, v0
	v_cvt_f32_i32_e32 v0, v17
	s_delay_alu instid0(VALU_DEP_1) | instskip(SKIP_1) | instid1(VALU_DEP_1)
	v_fmac_f32_e32 v93, v150, v0
	v_cvt_f32_i32_e32 v0, v25
	v_fmac_f32_e32 v109, v151, v0
	v_cvt_f32_i32_e32 v0, v2
	s_delay_alu instid0(VALU_DEP_1) | instskip(SKIP_1) | instid1(VALU_DEP_1)
	v_fmac_f32_e32 v92, v152, v0
	v_cvt_f32_i32_e32 v0, v10
	v_fmac_f32_e32 v91, v153, v0
	v_cvt_f32_i32_e32 v0, v18
	s_delay_alu instid0(VALU_DEP_1) | instskip(SKIP_2) | instid1(VALU_DEP_1)
	v_fmac_f32_e32 v231, v154, v0
	v_cvt_f32_i32_e32 v0, v26
	s_waitcnt vmcnt(0)
	v_fmac_f32_e32 v90, v168, v0
	v_cvt_f32_i32_e32 v0, v3
	s_delay_alu instid0(VALU_DEP_1) | instskip(SKIP_1) | instid1(VALU_DEP_1)
	v_fmac_f32_e32 v89, v169, v0
	v_cvt_f32_i32_e32 v0, v11
	v_fmac_f32_e32 v85, v170, v0
	v_cvt_f32_i32_e32 v0, v19
	s_delay_alu instid0(VALU_DEP_1) | instskip(SKIP_1) | instid1(VALU_DEP_1)
	v_fmac_f32_e32 v84, v171, v0
	v_cvt_f32_i32_e32 v0, v47
	;; [unrolled: 5-line block ×5, first 2 shown]
	v_fmac_f32_e32 v134, v68, v0
	v_cvt_f32_i32_e32 v0, v21
	scratch_load_b32 v68, off, off offset:8 ; 4-byte Folded Reload
	v_fmac_f32_e32 v129, v69, v0
	v_cvt_f32_i32_e32 v0, v49
	s_delay_alu instid0(VALU_DEP_1) | instskip(SKIP_1) | instid1(VALU_DEP_1)
	v_fmac_f32_e32 v125, v70, v0
	v_cvt_f32_i32_e32 v0, v6
	v_fmac_f32_e32 v124, v71, v0
	scratch_load_b32 v71, off, off offset:12 ; 4-byte Folded Reload
	v_cvt_f32_i32_e32 v0, v14
	s_delay_alu instid0(VALU_DEP_1) | instskip(SKIP_2) | instid1(VALU_DEP_1)
	v_fmac_f32_e32 v122, v72, v0
	scratch_load_b32 v72, off, off offset:16 ; 4-byte Folded Reload
	v_cvt_f32_i32_e32 v0, v22
	v_fmac_f32_e32 v121, v73, v0
	scratch_load_b32 v73, off, off offset:20 ; 4-byte Folded Reload
	v_cvt_f32_i32_e32 v0, v50
	s_delay_alu instid0(VALU_DEP_1) | instskip(SKIP_2) | instid1(VALU_DEP_1)
	v_fmac_f32_e32 v119, v74, v0
	scratch_load_b32 v74, off, off offset:24 ; 4-byte Folded Reload
	v_cvt_f32_i32_e32 v0, v7
	v_fmac_f32_e32 v115, v77, v0
	scratch_load_b32 v77, off, off offset:28 ; 4-byte Folded Reload
	v_cvt_f32_i32_e32 v0, v15
	s_delay_alu instid0(VALU_DEP_1) | instskip(SKIP_1) | instid1(VALU_DEP_1)
	v_fmac_f32_e32 v113, v78, v0
	v_cvt_f32_i32_e32 v0, v23
	v_fmac_f32_e32 v33, v80, v0
	v_cvt_f32_i32_e32 v0, v51
	scratch_load_b32 v80, off, off offset:36 ; 4-byte Folded Reload
	v_fmac_f32_e32 v32, v81, v0
	v_cvt_f32_i32_e32 v0, v8
	scratch_load_b32 v81, off, off offset:40 ; 4-byte Folded Reload
	v_fmac_f32_e32 v31, v194, v0
	v_cvt_f32_i32_e32 v0, v16
	s_delay_alu instid0(VALU_DEP_1) | instskip(SKIP_4) | instid1(VALU_DEP_1)
	v_fmac_f32_e32 v116, v79, v0
	v_cvt_f32_i32_e32 v0, v24
	scratch_load_b32 v79, off, off offset:32 ; 4-byte Folded Reload
	v_fmac_f32_e32 v234, v195, v0
	v_cvt_f32_i32_e32 v0, v52
	v_fmac_f32_e32 v112, v83, v0
	scratch_load_b32 v83, off, off offset:44 ; 4-byte Folded Reload
	s_cbranch_scc1 .LBB170_10
; %bb.11:                               ;   in Loop: Header=BB170_8 Depth=2
	scratch_load_b32 v0, off, off offset:152 ; 4-byte Folded Reload
	s_waitcnt vmcnt(0)
	s_waitcnt_vscnt null, 0x0
	s_barrier
	buffer_gl0_inv
	s_add_i32 s14, s14, 2
	s_mov_b32 s17, 4
	s_lshl_b32 s18, s14, 3
	scratch_load_b64 v[19:20], off, off offset:156 ; 8-byte Folded Reload
	v_lshl_add_u32 v0, s16, 5, v0
	s_delay_alu instid0(VALU_DEP_1) | instskip(NEXT) | instid1(VALU_DEP_1)
	v_lshrrev_b32_e32 v0, 3, v0
	v_add_nc_u32_e32 v12, s0, v0
	scratch_load_b32 v0, off, off offset:148 ; 4-byte Folded Reload
	s_waitcnt vmcnt(0)
	v_lshl_add_u32 v13, s16, 2, v0
	scratch_load_b32 v0, off, off offset:168 ; 4-byte Folded Reload
	s_mov_b32 s16, 0
	s_waitcnt vmcnt(0)
	v_add_nc_u32_e32 v2, v12, v0
	scratch_load_b32 v0, off, off offset:176 ; 4-byte Folded Reload
	s_waitcnt vmcnt(0)
	v_add_nc_u32_e32 v4, v12, v0
	scratch_load_b32 v0, off, off offset:184 ; 4-byte Folded Reload
	;; [unrolled: 3-line block ×4, first 2 shown]
	s_waitcnt vmcnt(0)
	v_add_nc_u32_e32 v10, v12, v0
	v_mad_i64_i32 v[0:1], null, v2, 36, v[19:20]
	v_mad_i64_i32 v[2:3], null, v4, 36, v[19:20]
	;; [unrolled: 1-line block ×5, first 2 shown]
	scratch_load_b32 v10, off, off offset:208 ; 4-byte Folded Reload
	s_waitcnt vmcnt(0)
	v_add_nc_u32_e32 v14, v12, v10
	scratch_load_b32 v10, off, off offset:216 ; 4-byte Folded Reload
	s_waitcnt vmcnt(0)
	v_add_nc_u32_e32 v16, v12, v10
	v_mad_u64_u32 v[10:11], null, v13, 36, s[2:3]
	scratch_load_b32 v13, off, off offset:224 ; 4-byte Folded Reload
	s_waitcnt vmcnt(0)
	v_add_nc_u32_e32 v18, v12, v13
	v_mad_i64_i32 v[12:13], null, v14, 36, v[19:20]
	v_mad_i64_i32 v[14:15], null, v16, 36, v[19:20]
	s_delay_alu instid0(VALU_DEP_3)
	v_mad_i64_i32 v[16:17], null, v18, 36, v[19:20]
	s_clause 0x8
	global_load_b32 v10, v[10:11], off
	global_load_b32 v2, v[2:3], off offset:4
	global_load_b32 v3, v[4:5], off offset:4
	global_load_b32 v4, v[6:7], off offset:4
	global_load_b32 v5, v[8:9], off offset:4
	global_load_b32 v6, v[12:13], off offset:4
	global_load_b32 v7, v[14:15], off offset:4
	global_load_b32 v8, v[16:17], off offset:4
	global_load_b32 v0, v[0:1], off offset:4
	s_clause 0x2
	scratch_load_b32 v192, off, off offset:236
	scratch_load_b32 v235, off, off offset:232
	;; [unrolled: 1-line block ×3, first 2 shown]
	s_waitcnt vmcnt(11)
	v_cvt_f32_f16_e32 v1, v10
	s_waitcnt vmcnt(0)
	ds_store_b32 v9, v2
	scratch_load_b32 v2, off, off offset:188 ; 4-byte Folded Reload
	s_waitcnt vmcnt(0)
	ds_store_b32 v2, v3
	scratch_load_b32 v2, off, off offset:196 ; 4-byte Folded Reload
	;; [unrolled: 3-line block ×8, first 2 shown]
	s_waitcnt vmcnt(0)
	ds_store_b32 v0, v1
	s_waitcnt lgkmcnt(0)
	s_barrier
	buffer_gl0_inv
.LBB170_12:                             ;   Parent Loop BB170_6 Depth=1
                                        ;     Parent Loop BB170_8 Depth=2
                                        ; =>    This Inner Loop Header: Depth=3
	s_add_i32 s20, s1, s16
	s_clause 0x4
	scratch_store_b32 off, v112, off offset:68
	scratch_store_b32 off, v109, off offset:64
	;; [unrolled: 1-line block ×5, first 2 shown]
	s_add_i32 s20, s20, 8
	v_mov_b32_e32 v109, v32
	s_and_b32 s19, s20, 0x3ffffff8
	s_lshr_b32 s21, s20, 4
	s_lshl_b32 s19, s19, 2
	s_lshl_b32 s20, s21, 2
	v_add_nc_u32_e32 v4, s19, v72
	v_dual_mov_b32 v107, v89 :: v_dual_add_nc_u32 v178, s19, v77
	v_dual_mov_b32 v231, v84 :: v_dual_add_nc_u32 v6, s20, v73
	ds_load_2addr_b32 v[0:1], v4 offset1:1
	ds_load_2addr_b32 v[2:3], v4 offset0:2 offset1:3
	ds_load_2addr_b32 v[47:48], v4 offset0:4 offset1:5
	;; [unrolled: 1-line block ×3, first 2 shown]
	v_add_nc_u32_e32 v12, s19, v80
	v_dual_mov_b32 v224, v31 :: v_dual_add_nc_u32 v179, s19, v95
	s_lshl_b32 s19, s21, 3
	v_mov_b32_e32 v84, v193
	v_mov_b32_e32 v193, v45
	v_add_lshl_u32 v105, v74, s19, 2
	v_add_lshl_u32 v137, v83, s19, 2
	v_mov_b32_e32 v225, v65
	v_mov_b32_e32 v108, v33
	;; [unrolled: 1-line block ×6, first 2 shown]
	s_waitcnt lgkmcnt(3)
	v_ashrrev_i32_e32 v5, s16, v0
	v_ashrrev_i32_e32 v4, s16, v1
	s_waitcnt lgkmcnt(2)
	v_ashrrev_i32_e32 v1, s16, v2
	v_ashrrev_i32_e32 v0, s16, v3
	ds_load_2addr_b32 v[2:3], v178 offset0:2 offset1:3
	ds_load_b32 v194, v6
	ds_load_2addr_b32 v[6:7], v178 offset1:1
	v_bfe_u32 v32, v5, 24, 2
	v_and_b32_e32 v5, 0x3030303, v5
	s_waitcnt lgkmcnt(2)
	v_ashrrev_i32_e32 v10, s16, v2
	v_ashrrev_i32_e32 v11, s16, v3
	s_waitcnt lgkmcnt(0)
	v_ashrrev_i32_e32 v8, s16, v6
	v_ashrrev_i32_e32 v9, s16, v7
	ds_load_2addr_b32 v[2:3], v12 offset1:1
	ds_load_2addr_b32 v[6:7], v12 offset0:2 offset1:3
	ds_load_2addr_b32 v[57:58], v12 offset0:4 offset1:5
	;; [unrolled: 1-line block ×3, first 2 shown]
	s_waitcnt lgkmcnt(3)
	v_ashrrev_i32_e32 v12, s16, v2
	s_waitcnt lgkmcnt(2)
	v_ashrrev_i32_e32 v14, s16, v6
	v_add_nc_u32_e32 v6, s20, v81
	v_ashrrev_i32_e32 v13, s16, v3
	v_ashrrev_i32_e32 v15, s16, v7
	ds_load_2addr_b32 v[2:3], v179 offset0:2 offset1:3
	ds_load_b32 v195, v6
	ds_load_2addr_b32 v[6:7], v179 offset1:1
	s_waitcnt lgkmcnt(2)
	v_ashrrev_i32_e32 v18, s16, v2
	v_add_lshl_u32 v2, v71, s19, 2
	v_ashrrev_i32_e32 v19, s16, v3
	s_waitcnt lgkmcnt(0)
	v_ashrrev_i32_e32 v16, s16, v6
	v_ashrrev_i32_e32 v17, s16, v7
	v_add_nc_u32_e32 v3, 0x4200, v2
	v_add_nc_u32_e32 v6, 0x4208, v2
	;; [unrolled: 1-line block ×4, first 2 shown]
	ds_load_2addr_b32 v[2:3], v3 offset1:1
	ds_load_2addr_b32 v[6:7], v6 offset1:1
	;; [unrolled: 1-line block ×4, first 2 shown]
	s_waitcnt lgkmcnt(3)
	v_ashrrev_i32_e32 v20, s17, v2
	v_ashrrev_i32_e32 v21, s17, v3
	s_waitcnt lgkmcnt(2)
	v_ashrrev_i32_e32 v22, s17, v6
	v_add_nc_u32_e32 v2, 0x4200, v105
	v_add_nc_u32_e32 v6, 0x4208, v105
	v_lshlrev_b32_e32 v20, 2, v20
	v_ashrrev_i32_e32 v23, s17, v7
	ds_load_2addr_b32 v[2:3], v2 offset1:1
	ds_load_2addr_b32 v[6:7], v6 offset1:1
	ds_load_2addr_b32 v[63:64], v178 offset0:6 offset1:7
	s_waitcnt lgkmcnt(3)
	v_ashrrev_i32_e32 v60, s17, v60
	v_and_b32_e32 v20, 0x4040404, v20
	s_delay_alu instid0(VALU_DEP_1) | instskip(SKIP_2) | instid1(VALU_DEP_3)
	v_lshrrev_b32_e32 v33, 24, v20
	v_lshrrev_b32_e32 v34, 16, v20
	v_sub_nc_u16 v203, v5, v20
	v_sub_nc_u16 v32, v32, v33
	v_lshrrev_b32_e32 v33, 16, v5
	s_delay_alu instid0(VALU_DEP_1)
	v_sub_nc_u16 v202, v33, v34
	v_lshrrev_b16 v33, 8, v5
	v_lshrrev_b16 v5, 8, v20
	v_lshlrev_b32_e32 v20, 2, v21
	v_bfe_u32 v21, v4, 24, 2
	v_and_b32_e32 v4, 0x3030303, v4
	s_waitcnt lgkmcnt(2)
	v_ashrrev_i32_e32 v24, s17, v2
	v_sub_nc_u16 v5, v33, v5
	v_and_b32_e32 v20, 0x4040404, v20
	v_ashrrev_i32_e32 v25, s17, v3
	s_waitcnt lgkmcnt(1)
	v_ashrrev_i32_e32 v26, s17, v6
	v_add_lshl_u32 v2, v79, s19, 2
	v_ashrrev_i32_e32 v27, s17, v7
	v_lshrrev_b32_e32 v33, 24, v20
	v_lshrrev_b32_e32 v34, 16, v20
	v_sub_nc_u16 v205, v4, v20
	v_add_nc_u32_e32 v3, 0x4200, v2
	v_add_nc_u32_e32 v6, 0x4208, v2
	v_sub_nc_u16 v21, v21, v33
	v_lshrrev_b32_e32 v33, 16, v4
	v_add_nc_u32_e32 v28, 0x4210, v2
	v_add_nc_u32_e32 v29, 0x4218, v2
	ds_load_2addr_b32 v[2:3], v3 offset1:1
	ds_load_2addr_b32 v[6:7], v6 offset1:1
	;; [unrolled: 1-line block ×4, first 2 shown]
	v_sub_nc_u16 v204, v33, v34
	v_lshrrev_b16 v33, 8, v4
	v_lshrrev_b16 v4, 8, v20
	v_lshlrev_b32_e32 v20, 2, v22
	v_bfe_u32 v22, v1, 24, 2
	v_and_b32_e32 v1, 0x3030303, v1
	v_lshlrev_b16 v5, 8, v5
	v_sub_nc_u16 v4, v33, v4
	v_and_b32_e32 v20, 0x4040404, v20
	s_and_b32 s19, s15, -16
	s_add_i32 s15, s15, 2
	s_delay_alu instid0(VALU_DEP_2) | instskip(NEXT) | instid1(VALU_DEP_2)
	v_lshlrev_b16 v4, 8, v4
	v_lshrrev_b32_e32 v33, 24, v20
	v_lshrrev_b32_e32 v34, 16, v20
	v_sub_nc_u16 v199, v1, v20
	s_waitcnt lgkmcnt(3)
	v_ashrrev_i32_e32 v28, s17, v2
	v_ashrrev_i32_e32 v29, s17, v3
	v_sub_nc_u16 v22, v22, v33
	v_lshrrev_b32_e32 v33, 16, v1
	s_waitcnt lgkmcnt(2)
	v_ashrrev_i32_e32 v30, s17, v6
	v_add_nc_u32_e32 v2, 0x4200, v137
	v_add_nc_u32_e32 v6, 0x4208, v137
	v_ashrrev_i32_e32 v31, s17, v7
	v_sub_nc_u16 v198, v33, v34
	v_lshrrev_b16 v33, 8, v1
	v_lshrrev_b16 v1, 8, v20
	v_lshlrev_b32_e32 v20, 2, v23
	v_bfe_u32 v23, v0, 24, 2
	v_and_b32_e32 v0, 0x3030303, v0
	ds_load_2addr_b32 v[2:3], v2 offset1:1
	ds_load_2addr_b32 v[6:7], v6 offset1:1
	ds_load_2addr_b32 v[184:185], v179 offset0:6 offset1:7
	v_sub_nc_u16 v1, v33, v1
	v_and_b32_e32 v20, 0x4040404, v20
	s_waitcnt lgkmcnt(3)
	v_ashrrev_i32_e32 v66, s17, v52
	v_add_nc_u32_e32 v52, 0x4218, v137
	v_ashrrev_i32_e32 v65, s17, v51
	v_lshlrev_b16 v1, 8, v1
	v_lshrrev_b32_e32 v33, 24, v20
	v_lshrrev_b32_e32 v34, 16, v20
	v_sub_nc_u16 v197, v0, v20
	v_lshlrev_b32_e32 v65, 2, v65
	v_lshlrev_b32_e32 v66, 2, v66
	v_sub_nc_u16 v23, v23, v33
	v_lshrrev_b32_e32 v33, 16, v0
	s_delay_alu instid0(VALU_DEP_4) | instskip(NEXT) | instid1(VALU_DEP_4)
	v_and_b32_e32 v65, 0x4040404, v65
	v_and_b32_e32 v66, 0x4040404, v66
	s_delay_alu instid0(VALU_DEP_3)
	v_sub_nc_u16 v196, v33, v34
	v_lshrrev_b16 v33, 8, v0
	v_lshrrev_b16 v0, 8, v20
	v_lshlrev_b32_e32 v20, 2, v24
	v_bfe_u32 v24, v8, 24, 2
	v_and_b32_e32 v8, 0x3030303, v8
	s_waitcnt lgkmcnt(2)
	v_ashrrev_i32_e32 v2, s17, v2
	v_sub_nc_u16 v0, v33, v0
	v_and_b32_e32 v20, 0x4040404, v20
	v_ashrrev_i32_e32 v3, s17, v3
	s_waitcnt lgkmcnt(1)
	v_ashrrev_i32_e32 v6, s17, v6
	v_lshlrev_b32_e32 v2, 2, v2
	v_ashrrev_i32_e32 v7, s17, v7
	v_lshrrev_b32_e32 v33, 24, v20
	v_lshrrev_b32_e32 v34, 16, v20
	v_sub_nc_u16 v211, v8, v20
	v_and_b32_e32 v2, 0x4040404, v2
	v_lshlrev_b32_e32 v3, 2, v3
	v_sub_nc_u16 v24, v24, v33
	v_lshrrev_b32_e32 v33, 16, v8
	v_lshlrev_b32_e32 v6, 2, v6
	v_lshlrev_b32_e32 v7, 2, v7
	v_and_b32_e32 v3, 0x4040404, v3
	v_lshlrev_b16 v0, 8, v0
	v_sub_nc_u16 v210, v33, v34
	v_lshrrev_b16 v33, 8, v8
	v_lshrrev_b16 v8, 8, v20
	v_lshlrev_b32_e32 v20, 2, v25
	v_bfe_u32 v25, v9, 24, 2
	v_and_b32_e32 v9, 0x3030303, v9
	v_and_b32_e32 v6, 0x4040404, v6
	v_sub_nc_u16 v8, v33, v8
	v_and_b32_e32 v20, 0x4040404, v20
	v_and_b32_e32 v7, 0x4040404, v7
	v_lshrrev_b32_e32 v111, 16, v65
	v_lshrrev_b32_e32 v130, 24, v66
	;; [unrolled: 1-line block ×5, first 2 shown]
	v_sub_nc_u16 v213, v9, v20
	s_delay_alu instid0(VALU_DEP_3) | instskip(SKIP_1) | instid1(VALU_DEP_1)
	v_sub_nc_u16 v25, v25, v33
	v_lshrrev_b32_e32 v33, 16, v9
	v_sub_nc_u16 v212, v33, v34
	v_lshrrev_b16 v33, 8, v9
	v_lshrrev_b16 v9, 8, v20
	v_lshlrev_b32_e32 v20, 2, v26
	v_bfe_u32 v26, v10, 24, 2
	v_and_b32_e32 v10, 0x3030303, v10
	s_delay_alu instid0(VALU_DEP_4) | instskip(NEXT) | instid1(VALU_DEP_4)
	v_sub_nc_u16 v9, v33, v9
	v_and_b32_e32 v20, 0x4040404, v20
	s_delay_alu instid0(VALU_DEP_1) | instskip(SKIP_2) | instid1(VALU_DEP_3)
	v_lshrrev_b32_e32 v33, 24, v20
	v_lshrrev_b32_e32 v34, 16, v20
	v_sub_nc_u16 v207, v10, v20
	v_sub_nc_u16 v26, v26, v33
	v_lshrrev_b32_e32 v33, 16, v10
	s_delay_alu instid0(VALU_DEP_1)
	v_sub_nc_u16 v206, v33, v34
	v_lshrrev_b16 v33, 8, v10
	v_lshrrev_b16 v10, 8, v20
	v_lshlrev_b32_e32 v20, 2, v27
	v_bfe_u32 v27, v11, 24, 2
	v_and_b32_e32 v11, 0x3030303, v11
	s_delay_alu instid0(VALU_DEP_4) | instskip(NEXT) | instid1(VALU_DEP_4)
	v_sub_nc_u16 v10, v33, v10
	v_and_b32_e32 v20, 0x4040404, v20
	s_delay_alu instid0(VALU_DEP_1) | instskip(SKIP_2) | instid1(VALU_DEP_3)
	v_lshrrev_b32_e32 v33, 24, v20
	v_lshrrev_b32_e32 v34, 16, v20
	v_sub_nc_u16 v201, v11, v20
	v_sub_nc_u16 v27, v27, v33
	v_lshrrev_b32_e32 v33, 16, v11
	s_delay_alu instid0(VALU_DEP_1)
	v_sub_nc_u16 v200, v33, v34
	v_lshrrev_b16 v33, 8, v11
	v_lshrrev_b16 v11, 8, v20
	v_lshlrev_b32_e32 v20, 2, v28
	v_bfe_u32 v28, v12, 24, 2
	v_and_b32_e32 v12, 0x3030303, v12
	s_delay_alu instid0(VALU_DEP_4) | instskip(NEXT) | instid1(VALU_DEP_4)
	v_sub_nc_u16 v11, v33, v11
	v_and_b32_e32 v20, 0x4040404, v20
	s_delay_alu instid0(VALU_DEP_1) | instskip(SKIP_2) | instid1(VALU_DEP_3)
	v_lshrrev_b32_e32 v33, 24, v20
	v_lshrrev_b32_e32 v34, 16, v20
	v_sub_nc_u16 v219, v12, v20
	v_sub_nc_u16 v28, v28, v33
	v_lshrrev_b32_e32 v33, 16, v12
	s_delay_alu instid0(VALU_DEP_1)
	v_sub_nc_u16 v218, v33, v34
	v_lshrrev_b16 v33, 8, v12
	v_lshrrev_b16 v12, 8, v20
	v_lshlrev_b32_e32 v20, 2, v29
	v_bfe_u32 v29, v13, 24, 2
	v_and_b32_e32 v13, 0x3030303, v13
	s_delay_alu instid0(VALU_DEP_4) | instskip(NEXT) | instid1(VALU_DEP_4)
	v_sub_nc_u16 v12, v33, v12
	v_and_b32_e32 v20, 0x4040404, v20
	s_delay_alu instid0(VALU_DEP_1) | instskip(SKIP_2) | instid1(VALU_DEP_3)
	v_lshrrev_b32_e32 v33, 24, v20
	v_lshrrev_b32_e32 v34, 16, v20
	v_sub_nc_u16 v221, v13, v20
	v_sub_nc_u16 v29, v29, v33
	v_lshrrev_b32_e32 v33, 16, v13
	s_delay_alu instid0(VALU_DEP_1)
	v_sub_nc_u16 v220, v33, v34
	v_lshrrev_b16 v33, 8, v13
	v_lshrrev_b16 v13, 8, v20
	v_lshlrev_b32_e32 v20, 2, v30
	v_bfe_u32 v30, v14, 24, 2
	v_and_b32_e32 v14, 0x3030303, v14
	s_delay_alu instid0(VALU_DEP_4) | instskip(NEXT) | instid1(VALU_DEP_4)
	v_sub_nc_u16 v13, v33, v13
	v_and_b32_e32 v20, 0x4040404, v20
	s_delay_alu instid0(VALU_DEP_1) | instskip(SKIP_2) | instid1(VALU_DEP_3)
	v_lshrrev_b32_e32 v33, 24, v20
	v_lshrrev_b32_e32 v34, 16, v20
	v_sub_nc_u16 v215, v14, v20
	v_sub_nc_u16 v30, v30, v33
	v_lshrrev_b32_e32 v33, 16, v14
	s_delay_alu instid0(VALU_DEP_1)
	v_sub_nc_u16 v214, v33, v34
	v_lshrrev_b16 v33, 8, v14
	v_lshrrev_b16 v14, 8, v20
	v_lshlrev_b32_e32 v20, 2, v31
	v_bfe_u32 v31, v15, 24, 2
	v_and_b32_e32 v15, 0x3030303, v15
	s_delay_alu instid0(VALU_DEP_4) | instskip(NEXT) | instid1(VALU_DEP_4)
	v_sub_nc_u16 v14, v33, v14
	v_and_b32_e32 v20, 0x4040404, v20
	s_delay_alu instid0(VALU_DEP_1) | instskip(SKIP_2) | instid1(VALU_DEP_3)
	v_lshrrev_b32_e32 v33, 24, v20
	v_lshrrev_b32_e32 v34, 16, v20
	v_sub_nc_u16 v209, v15, v20
	v_sub_nc_u16 v31, v31, v33
	v_lshrrev_b32_e32 v33, 16, v15
	s_delay_alu instid0(VALU_DEP_1)
	v_sub_nc_u16 v208, v33, v34
	v_lshrrev_b16 v33, 8, v15
	v_lshrrev_b16 v15, 8, v20
	v_bfe_u32 v20, v16, 24, 2
	v_and_b32_e32 v16, 0x3030303, v16
	v_lshrrev_b32_e32 v34, 16, v2
	s_delay_alu instid0(VALU_DEP_4) | instskip(SKIP_1) | instid1(VALU_DEP_4)
	v_sub_nc_u16 v15, v33, v15
	v_lshrrev_b32_e32 v33, 24, v2
	v_sub_nc_u16 v228, v16, v2
	v_lshrrev_b16 v2, 8, v2
	s_delay_alu instid0(VALU_DEP_3) | instskip(SKIP_1) | instid1(VALU_DEP_1)
	v_sub_nc_u16 v20, v20, v33
	v_lshrrev_b32_e32 v33, 16, v16
	v_sub_nc_u16 v226, v33, v34
	v_lshrrev_b16 v33, 8, v16
	v_bfe_u32 v16, v17, 24, 2
	v_and_b32_e32 v17, 0x3030303, v17
	v_lshrrev_b32_e32 v34, 16, v3
	s_delay_alu instid0(VALU_DEP_4) | instskip(SKIP_1) | instid1(VALU_DEP_4)
	v_sub_nc_u16 v2, v33, v2
	v_lshrrev_b32_e32 v33, 24, v3
	v_sub_nc_u16 v233, v17, v3
	v_lshrrev_b16 v3, 8, v3
	s_delay_alu instid0(VALU_DEP_3) | instskip(SKIP_1) | instid1(VALU_DEP_1)
	v_sub_nc_u16 v16, v16, v33
	v_lshrrev_b32_e32 v33, 16, v17
	v_sub_nc_u16 v232, v33, v34
	;; [unrolled: 13-line block ×4, first 2 shown]
	v_lshrrev_b16 v33, 8, v19
	v_lshlrev_b16 v19, 8, v32
	v_and_b32_e32 v32, 0xff, v202
	s_delay_alu instid0(VALU_DEP_3) | instskip(NEXT) | instid1(VALU_DEP_2)
	v_sub_nc_u16 v7, v33, v7
	v_or_b32_e32 v245, v32, v19
	v_and_b32_e32 v19, 0xff, v203
	s_delay_alu instid0(VALU_DEP_1) | instskip(SKIP_2) | instid1(VALU_DEP_1)
	v_or_b32_e32 v247, v19, v5
	v_lshlrev_b16 v5, 8, v21
	v_and_b32_e32 v19, 0xff, v204
	v_or_b32_e32 v248, v19, v5
	v_and_b32_e32 v5, 0xff, v205
	s_delay_alu instid0(VALU_DEP_1) | instskip(SKIP_2) | instid1(VALU_DEP_1)
	v_or_b32_e32 v251, v5, v4
	v_lshlrev_b16 v4, 8, v22
	v_and_b32_e32 v5, 0xff, v198
	v_or_b32_e32 v19, v5, v4
	v_and_b32_e32 v4, 0xff, v199
	s_delay_alu instid0(VALU_DEP_1)
	v_or_b32_e32 v21, v4, v1
	v_lshlrev_b16 v1, 8, v23
	v_and_b32_e32 v4, 0xff, v196
	scratch_store_b32 off, v21, off offset:100 ; 4-byte Folded Spill
	v_or_b32_e32 v4, v4, v1
	v_and_b32_e32 v1, 0xff, v197
	s_delay_alu instid0(VALU_DEP_1)
	v_or_b32_e32 v5, v1, v0
	v_lshlrev_b16 v0, 8, v24
	v_and_b32_e32 v1, 0xff, v210
	scratch_store_b32 off, v4, off offset:72 ; 4-byte Folded Spill
	v_or_b32_e32 v240, v1, v0
	v_lshlrev_b16 v0, 8, v8
	v_and_b32_e32 v1, 0xff, v211
	s_delay_alu instid0(VALU_DEP_1) | instskip(SKIP_2) | instid1(VALU_DEP_1)
	v_or_b32_e32 v238, v1, v0
	v_lshlrev_b16 v0, 8, v25
	v_and_b32_e32 v1, 0xff, v212
	v_or_b32_e32 v236, v1, v0
	v_lshlrev_b16 v0, 8, v9
	v_and_b32_e32 v1, 0xff, v213
	s_delay_alu instid0(VALU_DEP_1) | instskip(SKIP_2) | instid1(VALU_DEP_1)
	v_or_b32_e32 v227, v1, v0
	v_lshlrev_b16 v0, 8, v26
	v_and_b32_e32 v1, 0xff, v206
	v_or_b32_e32 v22, v1, v0
	v_lshlrev_b16 v0, 8, v10
	v_and_b32_e32 v1, 0xff, v207
	s_delay_alu instid0(VALU_DEP_1)
	v_or_b32_e32 v23, v1, v0
	v_lshlrev_b16 v0, 8, v27
	v_and_b32_e32 v1, 0xff, v200
	scratch_store_b32 off, v23, off offset:112 ; 4-byte Folded Spill
	v_or_b32_e32 v8, v1, v0
	v_lshlrev_b16 v0, 8, v11
	v_and_b32_e32 v1, 0xff, v201
	scratch_store_b32 off, v5, off offset:76 ; 4-byte Folded Spill
	v_or_b32_e32 v9, v1, v0
	scratch_store_b32 off, v8, off offset:80 ; 4-byte Folded Spill
	v_lshlrev_b16 v0, 8, v28
	v_and_b32_e32 v1, 0xff, v218
	s_delay_alu instid0(VALU_DEP_1) | instskip(SKIP_2) | instid1(VALU_DEP_1)
	v_or_b32_e32 v94, v1, v0
	v_lshlrev_b16 v0, 8, v12
	v_and_b32_e32 v1, 0xff, v219
	v_or_b32_e32 v98, v1, v0
	v_lshlrev_b16 v0, 8, v29
	v_and_b32_e32 v1, 0xff, v220
	s_delay_alu instid0(VALU_DEP_1) | instskip(SKIP_2) | instid1(VALU_DEP_1)
	v_or_b32_e32 v86, v1, v0
	v_lshlrev_b16 v0, 8, v13
	v_and_b32_e32 v1, 0xff, v221
	v_or_b32_e32 v75, v1, v0
	;; [unrolled: 7-line block ×3, first 2 shown]
	v_lshlrev_b16 v0, 8, v31
	v_and_b32_e32 v1, 0xff, v208
	s_delay_alu instid0(VALU_DEP_1)
	v_or_b32_e32 v10, v1, v0
	v_lshlrev_b16 v0, 8, v15
	v_and_b32_e32 v1, 0xff, v209
	scratch_store_b32 off, v9, off offset:84 ; 4-byte Folded Spill
	v_or_b32_e32 v11, v1, v0
	scratch_store_b32 off, v10, off offset:88 ; 4-byte Folded Spill
	v_lshlrev_b16 v0, 8, v20
	v_and_b32_e32 v1, 0xff, v226
	s_clause 0x1
	scratch_store_b32 off, v19, off offset:96
	scratch_store_b32 off, v11, off offset:92
	v_or_b32_e32 v89, v1, v0
	v_lshlrev_b16 v0, 8, v2
	v_and_b32_e32 v1, 0xff, v228
	s_delay_alu instid0(VALU_DEP_1) | instskip(SKIP_2) | instid1(VALU_DEP_1)
	v_or_b32_e32 v87, v1, v0
	v_lshlrev_b16 v0, 8, v16
	v_and_b32_e32 v1, 0xff, v232
	v_or_b32_e32 v112, v1, v0
	v_lshlrev_b16 v0, 8, v3
	v_and_b32_e32 v1, 0xff, v233
	s_delay_alu instid0(VALU_DEP_1) | instskip(SKIP_2) | instid1(VALU_DEP_1)
	v_or_b32_e32 v116, v1, v0
	v_lshlrev_b16 v0, 8, v17
	v_and_b32_e32 v1, 0xff, v222
	;; [unrolled: 7-line block ×3, first 2 shown]
	v_or_b32_e32 v2, v1, v0
	v_lshlrev_b16 v0, 8, v7
	v_and_b32_e32 v1, 0xff, v217
	s_clause 0x1
	scratch_store_b32 off, v22, off offset:108
	scratch_store_b32 off, v2, off offset:104
	v_or_b32_e32 v243, v1, v0
	v_perm_b32 v0, v247, v203, 0xc0c0500
	v_perm_b32 v1, v245, v202, 0x5000c0c
	s_delay_alu instid0(VALU_DEP_1) | instskip(SKIP_2) | instid1(VALU_DEP_1)
	v_or_b32_e32 v28, v1, v0
	v_perm_b32 v0, v251, v205, 0xc0c0500
	v_perm_b32 v1, v248, v204, 0x5000c0c
	v_or_b32_e32 v29, v1, v0
	v_perm_b32 v0, v21, v199, 0xc0c0500
	v_perm_b32 v1, v19, v198, 0x5000c0c
	s_delay_alu instid0(VALU_DEP_1) | instskip(SKIP_2) | instid1(VALU_DEP_1)
	v_or_b32_e32 v30, v1, v0
	v_perm_b32 v0, v5, v197, 0xc0c0500
	v_perm_b32 v1, v4, v196, 0x5000c0c
	;; [unrolled: 7-line block ×4, first 2 shown]
	v_or_b32_e32 v35, v1, v0
	v_perm_b32 v0, v98, v219, 0xc0c0500
	v_perm_b32 v1, v94, v218, 0x5000c0c
	s_delay_alu instid0(VALU_DEP_1) | instskip(SKIP_4) | instid1(VALU_DEP_3)
	v_or_b32_e32 v36, v1, v0
	v_perm_b32 v0, v75, v221, 0xc0c0500
	v_perm_b32 v1, v86, v220, 0x5000c0c
	;; [unrolled: 1-line block ×4, first 2 shown]
	v_or_b32_e32 v37, v1, v0
	v_perm_b32 v0, v244, v215, 0xc0c0500
	v_perm_b32 v1, v242, v214, 0x5000c0c
	s_delay_alu instid0(VALU_DEP_1) | instskip(SKIP_2) | instid1(VALU_DEP_1)
	v_or_b32_e32 v38, v1, v0
	v_perm_b32 v0, v11, v209, 0xc0c0500
	v_perm_b32 v1, v10, v208, 0x5000c0c
	v_or_b32_e32 v39, v1, v0
	v_perm_b32 v0, v87, v228, 0xc0c0500
	v_perm_b32 v1, v89, v226, 0x5000c0c
	;; [unrolled: 1-line block ×4, first 2 shown]
	s_delay_alu instid0(VALU_DEP_3) | instskip(SKIP_2) | instid1(VALU_DEP_1)
	v_or_b32_e32 v40, v1, v0
	v_perm_b32 v0, v116, v233, 0xc0c0500
	v_perm_b32 v1, v112, v232, 0x5000c0c
	v_or_b32_e32 v41, v1, v0
	v_perm_b32 v0, v253, v223, 0xc0c0500
	v_perm_b32 v1, v252, v222, 0x5000c0c
	s_delay_alu instid0(VALU_DEP_1) | instskip(SKIP_2) | instid1(VALU_DEP_1)
	v_or_b32_e32 v42, v1, v0
	v_perm_b32 v0, v243, v217, 0xc0c0500
	v_perm_b32 v1, v2, v216, 0x5000c0c
	v_or_b32_e32 v43, v1, v0
	ds_load_b128 v[4:7], v192 offset:1024
	ds_load_b128 v[0:3], v192 offset:1040
	s_waitcnt lgkmcnt(1)
	v_dot4_i32_iu8 v8, v4, v28, 0 neg_lo:[1,1,0]
	v_dot4_i32_iu8 v9, v4, v32, 0 neg_lo:[1,1,0]
	v_dot4_i32_iu8 v10, v4, v36, 0 neg_lo:[1,1,0]
	v_dot4_i32_iu8 v4, v4, v40, 0 neg_lo:[1,1,0]
	s_delay_alu instid0(VALU_DEP_4) | instskip(NEXT) | instid1(VALU_DEP_4)
	v_dot4_i32_iu8 v8, v5, v29, v8 neg_lo:[1,1,0]
	v_dot4_i32_iu8 v9, v5, v33, v9 neg_lo:[1,1,0]
	s_delay_alu instid0(VALU_DEP_4) | instskip(NEXT) | instid1(VALU_DEP_4)
	v_dot4_i32_iu8 v10, v5, v37, v10 neg_lo:[1,1,0]
	v_dot4_i32_iu8 v4, v5, v41, v4 neg_lo:[1,1,0]
	s_delay_alu instid0(VALU_DEP_4) | instskip(NEXT) | instid1(VALU_DEP_4)
	v_dot4_i32_iu8 v5, v6, v30, v8 neg_lo:[1,1,0]
	v_dot4_i32_iu8 v8, v6, v34, v9 neg_lo:[1,1,0]
	s_delay_alu instid0(VALU_DEP_4) | instskip(NEXT) | instid1(VALU_DEP_4)
	v_dot4_i32_iu8 v9, v6, v38, v10 neg_lo:[1,1,0]
	v_dot4_i32_iu8 v4, v6, v42, v4 neg_lo:[1,1,0]
	s_delay_alu instid0(VALU_DEP_4) | instskip(NEXT) | instid1(VALU_DEP_4)
	v_dot4_i32_iu8 v102, v7, v31, v5 neg_lo:[1,1,0]
	v_dot4_i32_iu8 v250, v7, v35, v8 neg_lo:[1,1,0]
	s_delay_alu instid0(VALU_DEP_4) | instskip(NEXT) | instid1(VALU_DEP_4)
	v_dot4_i32_iu8 v241, v7, v39, v9 neg_lo:[1,1,0]
	v_dot4_i32_iu8 v237, v7, v43, v4 neg_lo:[1,1,0]
	ds_load_b128 v[8:11], v192 offset:2048
	ds_load_b128 v[4:7], v192 offset:2064
	s_waitcnt lgkmcnt(1)
	v_dot4_i32_iu8 v12, v8, v28, 0 neg_lo:[1,1,0]
	v_dot4_i32_iu8 v13, v8, v32, 0 neg_lo:[1,1,0]
	v_dot4_i32_iu8 v14, v8, v36, 0 neg_lo:[1,1,0]
	v_dot4_i32_iu8 v8, v8, v40, 0 neg_lo:[1,1,0]
	s_delay_alu instid0(VALU_DEP_4) | instskip(NEXT) | instid1(VALU_DEP_4)
	v_dot4_i32_iu8 v12, v9, v29, v12 neg_lo:[1,1,0]
	v_dot4_i32_iu8 v13, v9, v33, v13 neg_lo:[1,1,0]
	s_delay_alu instid0(VALU_DEP_4) | instskip(NEXT) | instid1(VALU_DEP_4)
	v_dot4_i32_iu8 v14, v9, v37, v14 neg_lo:[1,1,0]
	v_dot4_i32_iu8 v8, v9, v41, v8 neg_lo:[1,1,0]
	s_delay_alu instid0(VALU_DEP_4) | instskip(NEXT) | instid1(VALU_DEP_4)
	v_dot4_i32_iu8 v9, v10, v30, v12 neg_lo:[1,1,0]
	v_dot4_i32_iu8 v12, v10, v34, v13 neg_lo:[1,1,0]
	s_delay_alu instid0(VALU_DEP_4) | instskip(NEXT) | instid1(VALU_DEP_4)
	v_dot4_i32_iu8 v13, v10, v38, v14 neg_lo:[1,1,0]
	v_dot4_i32_iu8 v8, v10, v42, v8 neg_lo:[1,1,0]
	s_delay_alu instid0(VALU_DEP_4) | instskip(NEXT) | instid1(VALU_DEP_4)
	v_dot4_i32_iu8 v97, v11, v31, v9 neg_lo:[1,1,0]
	v_dot4_i32_iu8 v110, v11, v35, v12 neg_lo:[1,1,0]
	s_delay_alu instid0(VALU_DEP_4) | instskip(NEXT) | instid1(VALU_DEP_4)
	v_dot4_i32_iu8 v249, v11, v39, v13 neg_lo:[1,1,0]
	v_dot4_i32_iu8 v239, v11, v43, v8 neg_lo:[1,1,0]
	;; [unrolled: 25-line block ×5, first 2 shown]
	ds_load_b128 v[24:27], v192 offset:6144
	ds_load_b128 v[20:23], v192 offset:6160
	s_waitcnt lgkmcnt(1)
	v_dot4_i32_iu8 v44, v24, v28, 0 neg_lo:[1,1,0]
	v_dot4_i32_iu8 v45, v24, v32, 0 neg_lo:[1,1,0]
	;; [unrolled: 1-line block ×4, first 2 shown]
	s_delay_alu instid0(VALU_DEP_4) | instskip(NEXT) | instid1(VALU_DEP_4)
	v_dot4_i32_iu8 v44, v25, v29, v44 neg_lo:[1,1,0]
	v_dot4_i32_iu8 v45, v25, v33, v45 neg_lo:[1,1,0]
	s_delay_alu instid0(VALU_DEP_4) | instskip(NEXT) | instid1(VALU_DEP_4)
	v_dot4_i32_iu8 v46, v25, v37, v46 neg_lo:[1,1,0]
	v_dot4_i32_iu8 v24, v25, v41, v24 neg_lo:[1,1,0]
	;; [unrolled: 3-line block ×4, first 2 shown]
	v_ashrrev_i32_e32 v46, s17, v59
	v_dot4_i32_iu8 v135, v27, v31, v25 neg_lo:[1,1,0]
	v_dot4_i32_iu8 v127, v27, v35, v44 neg_lo:[1,1,0]
	;; [unrolled: 1-line block ×4, first 2 shown]
	ds_load_b128 v[180:183], v192 offset:7168
	ds_load_b128 v[24:27], v192 offset:7184
	v_ashrrev_i32_e32 v44, s17, v61
	v_ashrrev_i32_e32 v45, s17, v62
	s_delay_alu instid0(VALU_DEP_2) | instskip(NEXT) | instid1(VALU_DEP_1)
	v_lshlrev_b32_e32 v44, 2, v44
	v_and_b32_e32 v44, 0x4040404, v44
	s_waitcnt lgkmcnt(1)
	v_dot4_i32_iu8 v28, v180, v28, 0 neg_lo:[1,1,0]
	s_delay_alu instid0(VALU_DEP_1) | instskip(SKIP_3) | instid1(VALU_DEP_4)
	v_dot4_i32_iu8 v28, v181, v29, v28 neg_lo:[1,1,0]
	v_dot4_i32_iu8 v29, v180, v32, 0 neg_lo:[1,1,0]
	;; [unrolled: 1-line block ×3, first 2 shown]
	v_ashrrev_i32_e32 v36, s16, v55
	v_dot4_i32_iu8 v28, v182, v30, v28 neg_lo:[1,1,0]
	s_delay_alu instid0(VALU_DEP_4)
	v_dot4_i32_iu8 v29, v181, v33, v29 neg_lo:[1,1,0]
	v_dot4_i32_iu8 v33, v180, v40, 0 neg_lo:[1,1,0]
	;; [unrolled: 1-line block ×3, first 2 shown]
	v_ashrrev_i32_e32 v37, s16, v56
	v_dot4_i32_iu8 v136, v183, v31, v28 neg_lo:[1,1,0]
	v_dot4_i32_iu8 v29, v182, v34, v29 neg_lo:[1,1,0]
	v_ashrrev_i32_e32 v28, s16, v47
	v_dot4_i32_iu8 v33, v181, v41, v33 neg_lo:[1,1,0]
	v_dot4_i32_iu8 v30, v182, v38, v32 neg_lo:[1,1,0]
	v_ashrrev_i32_e32 v31, s16, v50
	v_dot4_i32_iu8 v133, v183, v35, v29 neg_lo:[1,1,0]
	v_ashrrev_i32_e32 v29, s16, v48
	ds_load_2addr_b32 v[47:48], v178 offset0:4 offset1:5
	v_dot4_i32_iu8 v32, v182, v42, v33 neg_lo:[1,1,0]
	v_dot4_i32_iu8 v126, v183, v39, v30 neg_lo:[1,1,0]
	v_ashrrev_i32_e32 v30, s16, v49
	v_add_nc_u32_e32 v49, s16, v68
	v_add_nc_u32_e32 v50, 0x4218, v105
	v_dot4_i32_iu8 v114, v183, v43, v32 neg_lo:[1,1,0]
	v_ashrrev_i32_e32 v34, s16, v57
	v_ashrrev_i32_e32 v35, s16, v58
	;; [unrolled: 1-line block ×8, first 2 shown]
	s_delay_alu instid0(VALU_DEP_3)
	v_lshlrev_b32_e32 v64, 2, v64
	s_waitcnt lgkmcnt(0)
	v_ashrrev_i32_e32 v32, s16, v47
	v_ashrrev_i32_e32 v33, s16, v48
	ds_load_2addr_b32 v[47:48], v179 offset0:4 offset1:5
	v_and_b32_e32 v64, 0x4040404, v64
	s_delay_alu instid0(VALU_DEP_1)
	v_lshrrev_b32_e32 v83, 24, v64
	v_lshrrev_b32_e32 v85, 16, v64
	s_waitcnt lgkmcnt(0)
	v_ashrrev_i32_e32 v38, s16, v47
	scratch_load_b32 v47, off, off offset:140 ; 4-byte Folded Reload
	v_ashrrev_i32_e32 v39, s16, v48
	v_add_nc_u32_e32 v48, 0x4210, v105
	v_lshrrev_b32_e32 v105, 24, v65
	s_add_i32 s16, s16, 2
	s_waitcnt vmcnt(0)
	v_add3_u32 v47, v47, s19, v49
	ds_load_u16 v47, v47
	ds_load_2addr_b32 v[55:56], v48 offset1:1
	ds_load_2addr_b32 v[57:58], v50 offset1:1
	scratch_load_b32 v48, off, off offset:132 ; 4-byte Folded Reload
	v_add_nc_u32_e32 v50, 0x4210, v137
	s_waitcnt lgkmcnt(1)
	v_ashrrev_i32_e32 v61, s17, v55
	s_waitcnt lgkmcnt(0)
	v_ashrrev_i32_e32 v62, s17, v58
	v_ashrrev_i32_e32 v56, s17, v56
	;; [unrolled: 1-line block ×3, first 2 shown]
	s_delay_alu instid0(VALU_DEP_2) | instskip(NEXT) | instid1(VALU_DEP_1)
	v_lshlrev_b32_e32 v56, 2, v56
	v_and_b32_e32 v56, 0x4040404, v56
	s_waitcnt vmcnt(0)
	v_add3_u32 v48, v48, s19, v49
	ds_load_u16 v48, v48
	ds_load_2addr_b32 v[50:51], v50 offset1:1
	ds_load_2addr_b32 v[52:53], v52 offset1:1
	s_waitcnt lgkmcnt(1)
	v_ashrrev_i32_e32 v67, s17, v50
	v_ashrrev_i32_e32 v68, s17, v51
	v_bfe_u32 v50, v28, 24, 2
	v_lshrrev_b32_e32 v51, 24, v44
	v_and_b32_e32 v28, 0x3030303, v28
	s_waitcnt lgkmcnt(0)
	v_ashrrev_i32_e32 v69, s17, v52
	v_ashrrev_i32_e32 v70, s17, v53
	v_lshlrev_b32_e32 v67, 2, v67
	v_sub_nc_u16 v71, v50, v51
	v_lshrrev_b32_e32 v50, 16, v28
	v_lshrrev_b32_e32 v51, 16, v44
	v_sub_nc_u16 v55, v28, v44
	v_and_b32_e32 v67, 0x4040404, v67
	v_lshlrev_b32_e32 v68, 2, v68
	v_lshlrev_b32_e32 v69, 2, v69
	v_sub_nc_u16 v54, v50, v51
	v_lshrrev_b16 v50, 8, v28
	v_lshrrev_b16 v28, 8, v44
	v_lshlrev_b32_e32 v44, 2, v45
	v_bfe_u32 v45, v29, 24, 2
	v_and_b32_e32 v29, 0x3030303, v29
	v_lshrrev_b32_e32 v132, 24, v67
	v_sub_nc_u16 v28, v50, v28
	v_and_b32_e32 v44, 0x4040404, v44
	v_lshrrev_b32_e32 v137, 16, v67
	v_and_b32_e32 v68, 0x4040404, v68
	v_and_b32_e32 v69, 0x4040404, v69
	v_lshlrev_b32_e32 v70, 2, v70
	v_lshrrev_b32_e32 v50, 24, v44
	v_lshrrev_b32_e32 v51, 16, v44
	v_sub_nc_u16 v59, v29, v44
	v_lshrrev_b32_e32 v138, 24, v68
	v_lshrrev_b32_e32 v139, 16, v68
	v_sub_nc_u16 v45, v45, v50
	v_lshrrev_b32_e32 v50, 16, v29
	v_lshrrev_b32_e32 v140, 24, v69
	;; [unrolled: 1-line block ×3, first 2 shown]
	v_and_b32_e32 v70, 0x4040404, v70
	v_lshlrev_b16 v71, 8, v71
	v_sub_nc_u16 v58, v50, v51
	v_lshrrev_b16 v50, 8, v29
	v_lshrrev_b16 v29, 8, v44
	v_lshlrev_b32_e32 v44, 2, v46
	v_bfe_u32 v46, v30, 24, 2
	v_and_b32_e32 v30, 0x3030303, v30
	v_lshrrev_b32_e32 v142, 24, v70
	v_sub_nc_u16 v29, v50, v29
	v_and_b32_e32 v44, 0x4040404, v44
	v_lshrrev_b32_e32 v143, 16, v70
	v_lshlrev_b16 v28, 8, v28
	v_lshlrev_b16 v45, 8, v45
	;; [unrolled: 1-line block ×3, first 2 shown]
	v_lshrrev_b32_e32 v50, 24, v44
	v_lshrrev_b32_e32 v51, 16, v44
	v_sub_nc_u16 v53, v30, v44
	s_add_i32 s17, s17, 1
	s_delay_alu instid0(VALU_DEP_3) | instskip(SKIP_1) | instid1(VALU_DEP_2)
	v_sub_nc_u16 v46, v46, v50
	v_lshrrev_b32_e32 v50, 16, v30
	v_lshlrev_b16 v46, 8, v46
	s_delay_alu instid0(VALU_DEP_2) | instskip(SKIP_3) | instid1(VALU_DEP_2)
	v_sub_nc_u16 v52, v50, v51
	v_lshrrev_b16 v50, 8, v30
	v_lshrrev_b16 v30, 8, v44
	v_lshlrev_b32_e32 v44, 2, v60
	v_sub_nc_u16 v30, v50, v30
	s_delay_alu instid0(VALU_DEP_2) | instskip(SKIP_2) | instid1(VALU_DEP_4)
	v_and_b32_e32 v44, 0x4040404, v44
	v_bfe_u32 v50, v31, 24, 2
	v_and_b32_e32 v31, 0x3030303, v31
	v_lshlrev_b16 v30, 8, v30
	s_delay_alu instid0(VALU_DEP_4) | instskip(NEXT) | instid1(VALU_DEP_3)
	v_lshrrev_b32_e32 v51, 24, v44
	v_lshrrev_b16 v60, 8, v31
	s_delay_alu instid0(VALU_DEP_2) | instskip(SKIP_2) | instid1(VALU_DEP_3)
	v_sub_nc_u16 v72, v50, v51
	v_lshrrev_b32_e32 v50, 16, v31
	v_lshrrev_b32_e32 v51, 16, v44
	v_lshlrev_b16 v72, 8, v72
	s_delay_alu instid0(VALU_DEP_2) | instskip(SKIP_3) | instid1(VALU_DEP_2)
	v_sub_nc_u16 v50, v50, v51
	v_sub_nc_u16 v51, v31, v44
	v_lshrrev_b16 v31, 8, v44
	v_lshlrev_b32_e32 v44, 2, v61
	v_sub_nc_u16 v31, v60, v31
	s_delay_alu instid0(VALU_DEP_2) | instskip(SKIP_2) | instid1(VALU_DEP_4)
	v_and_b32_e32 v44, 0x4040404, v44
	v_bfe_u32 v60, v32, 24, 2
	v_and_b32_e32 v32, 0x3030303, v32
	v_lshlrev_b16 v31, 8, v31
	s_delay_alu instid0(VALU_DEP_4) | instskip(NEXT) | instid1(VALU_DEP_1)
	v_lshrrev_b32_e32 v61, 24, v44
	v_sub_nc_u16 v73, v60, v61
	s_delay_alu instid0(VALU_DEP_4) | instskip(SKIP_1) | instid1(VALU_DEP_3)
	v_lshrrev_b32_e32 v60, 16, v32
	v_lshrrev_b32_e32 v61, 16, v44
	v_lshlrev_b16 v73, 8, v73
	s_delay_alu instid0(VALU_DEP_2) | instskip(SKIP_4) | instid1(VALU_DEP_2)
	v_sub_nc_u16 v74, v60, v61
	v_lshrrev_b16 v60, 8, v32
	v_sub_nc_u16 v32, v32, v44
	v_lshrrev_b16 v44, 8, v44
	v_lshrrev_b32_e32 v61, 24, v56
	v_sub_nc_u16 v44, v60, v44
	v_bfe_u32 v60, v33, 24, 2
	v_and_b32_e32 v33, 0x3030303, v33
	s_delay_alu instid0(VALU_DEP_3) | instskip(NEXT) | instid1(VALU_DEP_3)
	v_lshlrev_b16 v44, 8, v44
	v_sub_nc_u16 v76, v60, v61
	s_delay_alu instid0(VALU_DEP_3) | instskip(SKIP_1) | instid1(VALU_DEP_3)
	v_lshrrev_b32_e32 v60, 16, v33
	v_lshrrev_b32_e32 v61, 16, v56
	v_lshlrev_b16 v76, 8, v76
	s_delay_alu instid0(VALU_DEP_2) | instskip(SKIP_3) | instid1(VALU_DEP_1)
	v_sub_nc_u16 v77, v60, v61
	v_lshrrev_b16 v60, 8, v33
	v_sub_nc_u16 v33, v33, v56
	v_lshrrev_b16 v56, 8, v56
	v_sub_nc_u16 v78, v60, v56
	v_lshlrev_b32_e32 v56, 2, v57
	v_bfe_u32 v57, v40, 24, 2
	v_and_b32_e32 v40, 0x3030303, v40
	s_delay_alu instid0(VALU_DEP_4) | instskip(NEXT) | instid1(VALU_DEP_4)
	v_lshlrev_b16 v78, 8, v78
	v_and_b32_e32 v56, 0x4040404, v56
	s_delay_alu instid0(VALU_DEP_1) | instskip(NEXT) | instid1(VALU_DEP_4)
	v_lshrrev_b32_e32 v60, 24, v56
	v_sub_nc_u16 v61, v40, v56
	s_delay_alu instid0(VALU_DEP_2) | instskip(SKIP_2) | instid1(VALU_DEP_3)
	v_sub_nc_u16 v79, v57, v60
	v_lshrrev_b32_e32 v57, 16, v40
	v_lshrrev_b32_e32 v60, 16, v56
	v_lshlrev_b16 v79, 8, v79
	s_delay_alu instid0(VALU_DEP_2) | instskip(SKIP_3) | instid1(VALU_DEP_2)
	v_sub_nc_u16 v60, v57, v60
	v_lshrrev_b16 v57, 8, v40
	v_lshrrev_b16 v40, 8, v56
	v_lshlrev_b32_e32 v56, 2, v62
	v_sub_nc_u16 v40, v57, v40
	s_delay_alu instid0(VALU_DEP_2) | instskip(SKIP_2) | instid1(VALU_DEP_4)
	v_and_b32_e32 v62, 0x4040404, v56
	v_bfe_u32 v56, v41, 24, 2
	v_and_b32_e32 v41, 0x3030303, v41
	v_lshlrev_b16 v40, 8, v40
	s_delay_alu instid0(VALU_DEP_4) | instskip(NEXT) | instid1(VALU_DEP_3)
	v_lshrrev_b32_e32 v57, 24, v62
	v_lshrrev_b16 v81, 8, v41
	s_delay_alu instid0(VALU_DEP_2) | instskip(SKIP_2) | instid1(VALU_DEP_3)
	v_sub_nc_u16 v80, v56, v57
	v_lshrrev_b32_e32 v56, 16, v41
	v_lshrrev_b32_e32 v57, 16, v62
	v_lshlrev_b16 v80, 8, v80
	s_delay_alu instid0(VALU_DEP_2)
	v_sub_nc_u16 v56, v56, v57
	v_sub_nc_u16 v57, v41, v62
	v_lshrrev_b16 v41, 8, v62
	v_lshlrev_b32_e32 v62, 2, v63
	v_bfe_u32 v63, v34, 24, 2
	v_and_b32_e32 v34, 0x3030303, v34
	s_delay_alu instid0(VALU_DEP_4) | instskip(NEXT) | instid1(VALU_DEP_4)
	v_sub_nc_u16 v41, v81, v41
	v_and_b32_e32 v62, 0x4040404, v62
	s_delay_alu instid0(VALU_DEP_2) | instskip(NEXT) | instid1(VALU_DEP_2)
	v_lshlrev_b16 v41, 8, v41
	v_lshrrev_b32_e32 v81, 24, v62
	v_lshrrev_b32_e32 v82, 16, v62
	s_delay_alu instid0(VALU_DEP_2) | instskip(SKIP_1) | instid1(VALU_DEP_2)
	v_sub_nc_u16 v63, v63, v81
	v_lshrrev_b32_e32 v81, 16, v34
	v_lshlrev_b16 v63, 8, v63
	s_delay_alu instid0(VALU_DEP_2) | instskip(SKIP_3) | instid1(VALU_DEP_1)
	v_sub_nc_u16 v81, v81, v82
	v_lshrrev_b16 v82, 8, v34
	v_sub_nc_u16 v34, v34, v62
	v_lshrrev_b16 v62, 8, v62
	v_sub_nc_u16 v62, v82, v62
	v_bfe_u32 v82, v35, 24, 2
	v_and_b32_e32 v35, 0x3030303, v35
	s_delay_alu instid0(VALU_DEP_3) | instskip(NEXT) | instid1(VALU_DEP_3)
	v_lshlrev_b16 v62, 8, v62
	v_sub_nc_u16 v82, v82, v83
	s_delay_alu instid0(VALU_DEP_3) | instskip(NEXT) | instid1(VALU_DEP_2)
	v_lshrrev_b32_e32 v83, 16, v35
	v_lshlrev_b16 v82, 8, v82
	s_delay_alu instid0(VALU_DEP_2) | instskip(SKIP_3) | instid1(VALU_DEP_1)
	v_sub_nc_u16 v83, v83, v85
	v_lshrrev_b16 v85, 8, v35
	v_sub_nc_u16 v35, v35, v64
	v_lshrrev_b16 v64, 8, v64
	v_sub_nc_u16 v64, v85, v64
	v_bfe_u32 v85, v36, 24, 2
	v_and_b32_e32 v36, 0x3030303, v36
	s_delay_alu instid0(VALU_DEP_3) | instskip(NEXT) | instid1(VALU_DEP_3)
	v_lshlrev_b16 v64, 8, v64
	v_sub_nc_u16 v85, v85, v105
	s_delay_alu instid0(VALU_DEP_3) | instskip(NEXT) | instid1(VALU_DEP_2)
	v_lshrrev_b32_e32 v105, 16, v36
	v_lshlrev_b16 v85, 8, v85
	s_delay_alu instid0(VALU_DEP_2) | instskip(SKIP_3) | instid1(VALU_DEP_1)
	v_sub_nc_u16 v105, v105, v111
	v_lshrrev_b16 v111, 8, v36
	v_sub_nc_u16 v36, v36, v65
	v_lshrrev_b16 v65, 8, v65
	v_sub_nc_u16 v65, v111, v65
	v_bfe_u32 v111, v37, 24, 2
	v_and_b32_e32 v37, 0x3030303, v37
	s_delay_alu instid0(VALU_DEP_3) | instskip(NEXT) | instid1(VALU_DEP_3)
	v_lshlrev_b16 v65, 8, v65
	v_sub_nc_u16 v111, v111, v130
	s_delay_alu instid0(VALU_DEP_3) | instskip(NEXT) | instid1(VALU_DEP_2)
	v_lshrrev_b32_e32 v130, 16, v37
	v_lshlrev_b16 v111, 8, v111
	s_delay_alu instid0(VALU_DEP_2) | instskip(SKIP_3) | instid1(VALU_DEP_1)
	v_sub_nc_u16 v130, v130, v131
	v_lshrrev_b16 v131, 8, v37
	v_sub_nc_u16 v37, v37, v66
	v_lshrrev_b16 v66, 8, v66
	v_sub_nc_u16 v66, v131, v66
	v_bfe_u32 v131, v38, 24, 2
	v_and_b32_e32 v38, 0x3030303, v38
	s_delay_alu instid0(VALU_DEP_3) | instskip(NEXT) | instid1(VALU_DEP_3)
	v_lshlrev_b16 v66, 8, v66
	v_sub_nc_u16 v131, v131, v132
	s_delay_alu instid0(VALU_DEP_3) | instskip(NEXT) | instid1(VALU_DEP_2)
	v_lshrrev_b32_e32 v132, 16, v38
	v_lshlrev_b16 v131, 8, v131
	s_delay_alu instid0(VALU_DEP_2) | instskip(SKIP_3) | instid1(VALU_DEP_1)
	v_sub_nc_u16 v132, v132, v137
	v_lshrrev_b16 v137, 8, v38
	v_sub_nc_u16 v38, v38, v67
	v_lshrrev_b16 v67, 8, v67
	v_sub_nc_u16 v67, v137, v67
	v_bfe_u32 v137, v39, 24, 2
	v_and_b32_e32 v39, 0x3030303, v39
	s_delay_alu instid0(VALU_DEP_3) | instskip(NEXT) | instid1(VALU_DEP_3)
	v_lshlrev_b16 v67, 8, v67
	v_sub_nc_u16 v137, v137, v138
	s_delay_alu instid0(VALU_DEP_3) | instskip(NEXT) | instid1(VALU_DEP_2)
	v_lshrrev_b32_e32 v138, 16, v39
	v_lshlrev_b16 v137, 8, v137
	s_delay_alu instid0(VALU_DEP_2) | instskip(SKIP_3) | instid1(VALU_DEP_1)
	v_sub_nc_u16 v138, v138, v139
	v_lshrrev_b16 v139, 8, v39
	v_sub_nc_u16 v39, v39, v68
	v_lshrrev_b16 v68, 8, v68
	v_sub_nc_u16 v68, v139, v68
	v_bfe_u32 v139, v42, 24, 2
	v_and_b32_e32 v42, 0x3030303, v42
	s_delay_alu instid0(VALU_DEP_3) | instskip(NEXT) | instid1(VALU_DEP_3)
	v_lshlrev_b16 v68, 8, v68
	v_sub_nc_u16 v139, v139, v140
	s_delay_alu instid0(VALU_DEP_3) | instskip(NEXT) | instid1(VALU_DEP_2)
	v_lshrrev_b32_e32 v140, 16, v42
	v_lshlrev_b16 v139, 8, v139
	s_delay_alu instid0(VALU_DEP_2) | instskip(SKIP_3) | instid1(VALU_DEP_1)
	v_sub_nc_u16 v140, v140, v141
	v_lshrrev_b16 v141, 8, v42
	v_sub_nc_u16 v42, v42, v69
	v_lshrrev_b16 v69, 8, v69
	v_sub_nc_u16 v69, v141, v69
	v_bfe_u32 v141, v43, 24, 2
	v_and_b32_e32 v43, 0x3030303, v43
	s_delay_alu instid0(VALU_DEP_3) | instskip(NEXT) | instid1(VALU_DEP_3)
	v_lshlrev_b16 v69, 8, v69
	v_sub_nc_u16 v141, v141, v142
	s_delay_alu instid0(VALU_DEP_3) | instskip(NEXT) | instid1(VALU_DEP_2)
	v_lshrrev_b32_e32 v142, 16, v43
	v_lshlrev_b16 v141, 8, v141
	s_delay_alu instid0(VALU_DEP_2) | instskip(SKIP_3) | instid1(VALU_DEP_1)
	v_sub_nc_u16 v142, v142, v143
	v_lshrrev_b16 v143, 8, v43
	v_sub_nc_u16 v43, v43, v70
	v_lshrrev_b16 v70, 8, v70
	v_sub_nc_u16 v70, v143, v70
	v_and_b32_e32 v143, 0xff, v54
	s_delay_alu instid0(VALU_DEP_2) | instskip(NEXT) | instid1(VALU_DEP_2)
	v_lshlrev_b16 v70, 8, v70
	v_or_b32_e32 v71, v143, v71
	v_and_b32_e32 v143, 0xff, v55
	s_delay_alu instid0(VALU_DEP_2) | instskip(NEXT) | instid1(VALU_DEP_2)
	v_perm_b32 v144, v71, v54, 0x5000c0c
	v_or_b32_e32 v28, v143, v28
	v_and_b32_e32 v143, 0xff, v58
	s_delay_alu instid0(VALU_DEP_1) | instskip(SKIP_1) | instid1(VALU_DEP_2)
	v_or_b32_e32 v45, v143, v45
	v_and_b32_e32 v143, 0xff, v59
	v_perm_b32 v145, v45, v58, 0x5000c0c
	s_delay_alu instid0(VALU_DEP_2) | instskip(SKIP_1) | instid1(VALU_DEP_1)
	v_or_b32_e32 v29, v143, v29
	v_and_b32_e32 v143, 0xff, v52
	v_or_b32_e32 v46, v143, v46
	v_and_b32_e32 v143, 0xff, v53
	s_delay_alu instid0(VALU_DEP_2) | instskip(NEXT) | instid1(VALU_DEP_2)
	v_perm_b32 v146, v46, v52, 0x5000c0c
	v_or_b32_e32 v30, v143, v30
	v_and_b32_e32 v143, 0xff, v50
	s_delay_alu instid0(VALU_DEP_1) | instskip(SKIP_1) | instid1(VALU_DEP_2)
	v_or_b32_e32 v72, v143, v72
	v_and_b32_e32 v143, 0xff, v51
	v_perm_b32 v147, v72, v50, 0x5000c0c
	s_delay_alu instid0(VALU_DEP_2) | instskip(SKIP_1) | instid1(VALU_DEP_1)
	v_or_b32_e32 v31, v143, v31
	v_and_b32_e32 v143, 0xff, v74
	;; [unrolled: 13-line block ×7, first 2 shown]
	v_or_b32_e32 v139, v143, v139
	v_and_b32_e32 v143, 0xff, v42
	s_delay_alu instid0(VALU_DEP_2) | instskip(NEXT) | instid1(VALU_DEP_2)
	v_perm_b32 v158, v139, v140, 0x5000c0c
	v_or_b32_e32 v69, v143, v69
	v_and_b32_e32 v143, 0xff, v142
	s_delay_alu instid0(VALU_DEP_1) | instskip(SKIP_1) | instid1(VALU_DEP_2)
	v_or_b32_e32 v141, v143, v141
	v_and_b32_e32 v143, 0xff, v43
	v_perm_b32 v159, v141, v142, 0x5000c0c
	s_delay_alu instid0(VALU_DEP_2) | instskip(SKIP_1) | instid1(VALU_DEP_1)
	v_or_b32_e32 v70, v143, v70
	v_perm_b32 v143, v28, v55, 0xc0c0500
	v_or_b32_e32 v143, v144, v143
	v_perm_b32 v144, v29, v59, 0xc0c0500
	s_delay_alu instid0(VALU_DEP_1) | instskip(SKIP_1) | instid1(VALU_DEP_1)
	v_or_b32_e32 v144, v145, v144
	v_perm_b32 v145, v30, v53, 0xc0c0500
	v_or_b32_e32 v145, v146, v145
	v_perm_b32 v146, v31, v51, 0xc0c0500
	s_delay_alu instid0(VALU_DEP_1) | instskip(SKIP_1) | instid1(VALU_DEP_1)
	v_or_b32_e32 v146, v147, v146
	v_perm_b32 v147, v44, v32, 0xc0c0500
	v_or_b32_e32 v147, v148, v147
	v_perm_b32 v148, v78, v33, 0xc0c0500
	s_delay_alu instid0(VALU_DEP_2) | instskip(NEXT) | instid1(VALU_DEP_2)
	v_dot4_i32_iu8 v160, v0, v147, 0 neg_lo:[1,1,0]
	v_or_b32_e32 v148, v149, v148
	v_perm_b32 v149, v40, v61, 0xc0c0500
	s_delay_alu instid0(VALU_DEP_2) | instskip(NEXT) | instid1(VALU_DEP_2)
	v_dot4_i32_iu8 v160, v1, v148, v160 neg_lo:[1,1,0]
	v_or_b32_e32 v149, v150, v149
	v_perm_b32 v150, v41, v57, 0xc0c0500
	s_delay_alu instid0(VALU_DEP_1) | instskip(SKIP_1) | instid1(VALU_DEP_1)
	v_or_b32_e32 v150, v151, v150
	v_perm_b32 v151, v62, v34, 0xc0c0500
	v_or_b32_e32 v151, v152, v151
	v_perm_b32 v152, v64, v35, 0xc0c0500
	s_delay_alu instid0(VALU_DEP_2) | instskip(NEXT) | instid1(VALU_DEP_2)
	v_dot4_i32_iu8 v161, v0, v151, 0 neg_lo:[1,1,0]
	v_or_b32_e32 v152, v153, v152
	v_perm_b32 v153, v65, v36, 0xc0c0500
	s_delay_alu instid0(VALU_DEP_2) | instskip(NEXT) | instid1(VALU_DEP_2)
	v_dot4_i32_iu8 v161, v1, v152, v161 neg_lo:[1,1,0]
	v_or_b32_e32 v153, v154, v153
	v_perm_b32 v154, v66, v37, 0xc0c0500
	s_delay_alu instid0(VALU_DEP_1) | instskip(SKIP_2) | instid1(VALU_DEP_2)
	v_or_b32_e32 v154, v155, v154
	v_perm_b32 v155, v67, v38, 0xc0c0500
	v_perm_b32 v38, v38, v131, 0x4010c0c
	v_or_b32_e32 v155, v156, v155
	v_perm_b32 v156, v68, v39, 0xc0c0500
	v_perm_b32 v39, v39, v137, 0x4010c0c
	s_delay_alu instid0(VALU_DEP_2) | instskip(SKIP_1) | instid1(VALU_DEP_1)
	v_or_b32_e32 v156, v157, v156
	v_perm_b32 v157, v69, v42, 0xc0c0500
	v_or_b32_e32 v157, v158, v157
	v_perm_b32 v158, v70, v43, 0xc0c0500
	s_delay_alu instid0(VALU_DEP_1) | instskip(SKIP_2) | instid1(VALU_DEP_2)
	v_or_b32_e32 v158, v159, v158
	v_dot4_i32_iu8 v159, v0, v143, 0 neg_lo:[1,1,0]
	v_dot4_i32_iu8 v0, v0, v155, 0 neg_lo:[1,1,0]
	v_dot4_i32_iu8 v159, v1, v144, v159 neg_lo:[1,1,0]
	s_delay_alu instid0(VALU_DEP_2) | instskip(NEXT) | instid1(VALU_DEP_2)
	v_dot4_i32_iu8 v0, v1, v156, v0 neg_lo:[1,1,0]
	v_dot4_i32_iu8 v1, v2, v145, v159 neg_lo:[1,1,0]
	;; [unrolled: 1-line block ×4, first 2 shown]
	s_delay_alu instid0(VALU_DEP_4)
	v_dot4_i32_iu8 v0, v2, v157, v0 neg_lo:[1,1,0]
	v_dot4_i32_iu8 v2, v4, v151, 0 neg_lo:[1,1,0]
	v_dot4_i32_iu8 v161, v3, v146, v1 neg_lo:[1,1,0]
	v_dot4_i32_iu8 v159, v3, v150, v159 neg_lo:[1,1,0]
	v_dot4_i32_iu8 v160, v3, v154, v160 neg_lo:[1,1,0]
	v_dot4_i32_iu8 v162, v3, v158, v0 neg_lo:[1,1,0]
	v_dot4_i32_iu8 v0, v4, v143, 0 neg_lo:[1,1,0]
	v_dot4_i32_iu8 v1, v4, v147, 0 neg_lo:[1,1,0]
	v_dot4_i32_iu8 v3, v4, v155, 0 neg_lo:[1,1,0]
	v_dot4_i32_iu8 v2, v5, v152, v2 neg_lo:[1,1,0]
	s_delay_alu instid0(VALU_DEP_4) | instskip(NEXT) | instid1(VALU_DEP_4)
	v_dot4_i32_iu8 v0, v5, v144, v0 neg_lo:[1,1,0]
	v_dot4_i32_iu8 v1, v5, v148, v1 neg_lo:[1,1,0]
	s_delay_alu instid0(VALU_DEP_4) | instskip(NEXT) | instid1(VALU_DEP_4)
	v_dot4_i32_iu8 v3, v5, v156, v3 neg_lo:[1,1,0]
	v_dot4_i32_iu8 v2, v6, v153, v2 neg_lo:[1,1,0]
	s_delay_alu instid0(VALU_DEP_4) | instskip(NEXT) | instid1(VALU_DEP_4)
	v_dot4_i32_iu8 v0, v6, v145, v0 neg_lo:[1,1,0]
	v_dot4_i32_iu8 v1, v6, v149, v1 neg_lo:[1,1,0]
	s_delay_alu instid0(VALU_DEP_4) | instskip(NEXT) | instid1(VALU_DEP_4)
	v_dot4_i32_iu8 v3, v6, v157, v3 neg_lo:[1,1,0]
	v_dot4_i32_iu8 v165, v7, v154, v2 neg_lo:[1,1,0]
	v_dot4_i32_iu8 v2, v8, v151, 0 neg_lo:[1,1,0]
	v_dot4_i32_iu8 v163, v7, v146, v0 neg_lo:[1,1,0]
	v_dot4_i32_iu8 v164, v7, v150, v1 neg_lo:[1,1,0]
	v_dot4_i32_iu8 v166, v7, v158, v3 neg_lo:[1,1,0]
	v_dot4_i32_iu8 v0, v8, v143, 0 neg_lo:[1,1,0]
	v_dot4_i32_iu8 v1, v8, v147, 0 neg_lo:[1,1,0]
	v_dot4_i32_iu8 v3, v8, v155, 0 neg_lo:[1,1,0]
	v_dot4_i32_iu8 v2, v9, v152, v2 neg_lo:[1,1,0]
	s_delay_alu instid0(VALU_DEP_4) | instskip(NEXT) | instid1(VALU_DEP_4)
	v_dot4_i32_iu8 v0, v9, v144, v0 neg_lo:[1,1,0]
	v_dot4_i32_iu8 v1, v9, v148, v1 neg_lo:[1,1,0]
	s_delay_alu instid0(VALU_DEP_4) | instskip(NEXT) | instid1(VALU_DEP_4)
	v_dot4_i32_iu8 v3, v9, v156, v3 neg_lo:[1,1,0]
	v_dot4_i32_iu8 v2, v10, v153, v2 neg_lo:[1,1,0]
	s_delay_alu instid0(VALU_DEP_4) | instskip(NEXT) | instid1(VALU_DEP_4)
	v_dot4_i32_iu8 v0, v10, v145, v0 neg_lo:[1,1,0]
	v_dot4_i32_iu8 v1, v10, v149, v1 neg_lo:[1,1,0]
	s_delay_alu instid0(VALU_DEP_4) | instskip(NEXT) | instid1(VALU_DEP_4)
	;; [unrolled: 20-line block ×5, first 2 shown]
	v_dot4_i32_iu8 v3, v22, v157, v3 neg_lo:[1,1,0]
	v_dot4_i32_iu8 v175, v23, v154, v2 neg_lo:[1,1,0]
	;; [unrolled: 1-line block ×10, first 2 shown]
	v_perm_b32 v22, v210, v238, 0xc0c0401
	v_dot4_i32_iu8 v0, v25, v144, v0 neg_lo:[1,1,0]
	v_dot4_i32_iu8 v1, v25, v148, v1 neg_lo:[1,1,0]
	v_dot4_i32_iu8 v3, v25, v156, v3 neg_lo:[1,1,0]
	v_dot4_i32_iu8 v2, v26, v153, v2 neg_lo:[1,1,0]
	v_perm_b32 v23, v211, v240, 0x4010c0c
	v_dot4_i32_iu8 v0, v26, v145, v0 neg_lo:[1,1,0]
	v_dot4_i32_iu8 v1, v26, v149, v1 neg_lo:[1,1,0]
	;; [unrolled: 1-line block ×4, first 2 shown]
	v_perm_b32 v24, v212, v227, 0xc0c0401
	v_dot4_i32_iu8 v12, v27, v146, v0 neg_lo:[1,1,0]
	v_dot4_i32_iu8 v18, v27, v150, v1 neg_lo:[1,1,0]
	;; [unrolled: 1-line block ×3, first 2 shown]
	ds_load_b128 v[0:3], v192
	ds_load_b128 v[4:7], v192 offset:16
	s_clause 0x1
	scratch_load_b32 v15, off, off
	scratch_load_b32 v19, off, off offset:4
	v_perm_b32 v25, v213, v236, 0x4010c0c
	v_perm_b32 v27, v218, v98, 0xc0c0401
	;; [unrolled: 1-line block ×3, first 2 shown]
	v_add_nc_u32_e32 v192, 32, v192
	s_waitcnt lgkmcnt(1)
	v_perm_b32 v13, v0, v0, 0x30201
	v_perm_b32 v14, v1, v1, 0x30201
	s_clause 0x1
	scratch_load_b32 v0, off, off offset:144
	scratch_load_b32 v1, off, off offset:136
	s_waitcnt lgkmcnt(0)
	v_perm_b32 v4, v4, v4, 0x30201
	v_perm_b32 v5, v5, v5, 0x30201
	;; [unrolled: 1-line block ×6, first 2 shown]
	s_waitcnt vmcnt(3)
	v_add_nc_u32_e32 v15, s20, v15
	s_waitcnt vmcnt(2)
	v_add_nc_u32_e32 v19, s20, v19
	ds_load_b32 v15, v15
	s_waitcnt vmcnt(1)
	v_add3_u32 v0, v0, s19, v49
	s_waitcnt vmcnt(0)
	v_add3_u32 v1, v1, s19, v49
	ds_load_b32 v19, v19
	ds_load_u16 v20, v0
	ds_load_u16 v21, v1
	ds_load_2addr_b32 v[0:1], v235 offset1:32
	v_perm_b32 v49, v219, v94, 0x4010c0c
	v_perm_b32 v94, v232, v116, 0xc0c0401
	s_add_i32 s19, s1, s16
	scratch_load_b32 v112, off, off offset:68 ; 4-byte Folded Reload
	s_add_i32 s19, s19, 8
	s_delay_alu instid0(SALU_CYCLE_1)
	s_cmp_lt_u32 s19, s18
	s_waitcnt lgkmcnt(0)
	v_mul_f32_e32 v144, v0, v194
	v_mul_f32_e32 v145, v0, v15
	v_mul_f32_e32 v146, v0, v195
	v_dual_mul_f32 v147, v0, v19 :: v_dual_mul_f32 v148, v194, v1
	v_mul_f32_e32 v149, v15, v1
	v_mul_f32_e32 v150, v195, v1
	v_mul_f32_e32 v151, v19, v1
	ds_load_2addr_b32 v[0:1], v235 offset0:64 offset1:96
	s_waitcnt lgkmcnt(0)
	v_mul_f32_e32 v152, v194, v0
	v_mul_f32_e32 v153, v15, v0
	v_mul_f32_e32 v154, v195, v0
	v_dual_mul_f32 v155, v19, v0 :: v_dual_mul_f32 v156, v194, v1
	v_mul_f32_e32 v157, v15, v1
	v_mul_f32_e32 v158, v195, v1
	v_mul_f32_e32 v177, v19, v1
	ds_load_2addr_b32 v[0:1], v235 offset0:128 offset1:160
	;; [unrolled: 9-line block ×3, first 2 shown]
	s_waitcnt lgkmcnt(0)
	v_dual_mul_f32 v186, v194, v0 :: v_dual_add_nc_u32 v235, 4, v235
	v_dual_mul_f32 v187, v194, v1 :: v_dual_mul_f32 v188, v15, v0
	v_mul_f32_e32 v189, v15, v1
	v_mul_f32_e32 v190, v195, v0
	;; [unrolled: 1-line block ×5, first 2 shown]
	v_perm_b32 v0, v202, v247, 0xc0c0401
	v_perm_b32 v1, v203, v245, 0x4010c0c
	;; [unrolled: 1-line block ×4, first 2 shown]
	s_delay_alu instid0(VALU_DEP_3) | instskip(NEXT) | instid1(VALU_DEP_2)
	v_or_b32_e32 v0, v1, v0
	v_or_b32_e32 v1, v19, v15
	;; [unrolled: 1-line block ×8, first 2 shown]
	v_dot4_i32_iu8 v0, v0, v13, 0 neg_lo:[1,1,0]
	v_dot4_i32_iu8 v15, v15, v13, 0 neg_lo:[1,1,0]
	;; [unrolled: 1-line block ×4, first 2 shown]
	v_perm_b32 v24, v74, v44, 0xc0c0401
	v_dot4_i32_iu8 v0, v1, v14, v0 neg_lo:[1,1,0]
	v_dot4_i32_iu8 v1, v19, v14, v15 neg_lo:[1,1,0]
	;; [unrolled: 1-line block ×4, first 2 shown]
	v_perm_b32 v14, v54, v28, 0xc0c0401
	v_perm_b32 v19, v55, v71, 0x4010c0c
	;; [unrolled: 1-line block ×13, first 2 shown]
	v_or_b32_e32 v14, v19, v14
	v_or_b32_e32 v19, v23, v22
	;; [unrolled: 1-line block ×8, first 2 shown]
	v_dot4_i32_iu8 v14, v14, v4, 0 neg_lo:[1,1,0]
	v_dot4_i32_iu8 v22, v22, v4, 0 neg_lo:[1,1,0]
	;; [unrolled: 1-line block ×4, first 2 shown]
	v_perm_b32 v27, v214, v244, 0xc0c0401
	v_dot4_i32_iu8 v14, v19, v5, v14 neg_lo:[1,1,0]
	v_dot4_i32_iu8 v19, v23, v5, v22 neg_lo:[1,1,0]
	;; [unrolled: 1-line block ×4, first 2 shown]
	s_clause 0x3
	scratch_load_b32 v5, off, off offset:100
	scratch_load_b32 v25, off, off offset:108
	;; [unrolled: 1-line block ×4, first 2 shown]
	v_perm_b32 v28, v215, v242, 0x4010c0c
	v_perm_b32 v29, v222, v253, 0xc0c0401
	;; [unrolled: 1-line block ×3, first 2 shown]
	scratch_load_b32 v71, off, off offset:12 ; 4-byte Folded Reload
	v_mov_b32_e32 v45, v193
	s_clause 0x3
	scratch_load_b32 v74, off, off offset:24
	scratch_load_b32 v77, off, off offset:28
	;; [unrolled: 1-line block ×4, first 2 shown]
	v_dual_mov_b32 v193, v84 :: v_dual_mov_b32 v84, v231
	v_dual_mov_b32 v94, v96 :: v_dual_mov_b32 v89, v107
	;; [unrolled: 1-line block ×3, first 2 shown]
	s_waitcnt vmcnt(8)
	v_perm_b32 v5, v198, v5, 0xc0c0401
	s_waitcnt vmcnt(7)
	v_perm_b32 v25, v207, v25, 0x4010c0c
	;; [unrolled: 2-line block ×4, first 2 shown]
	s_delay_alu instid0(VALU_DEP_2) | instskip(NEXT) | instid1(VALU_DEP_2)
	v_or_b32_e32 v5, v23, v5
	v_or_b32_e32 v23, v25, v24
	;; [unrolled: 1-line block ×4, first 2 shown]
	v_perm_b32 v27, v36, v85, 0x4010c0c
	v_dot4_i32_iu8 v0, v5, v2, v0 neg_lo:[1,1,0]
	v_dot4_i32_iu8 v1, v23, v2, v1 neg_lo:[1,1,0]
	;; [unrolled: 1-line block ×4, first 2 shown]
	v_perm_b32 v13, v52, v30, 0xc0c0401
	v_perm_b32 v15, v53, v46, 0x4010c0c
	;; [unrolled: 1-line block ×7, first 2 shown]
	v_or_b32_e32 v13, v15, v13
	v_or_b32_e32 v15, v24, v23
	;; [unrolled: 1-line block ×3, first 2 shown]
	v_perm_b32 v27, v216, v243, 0xc0c0401
	v_or_b32_e32 v24, v29, v28
	v_dot4_i32_iu8 v13, v13, v6, v14 neg_lo:[1,1,0]
	v_dot4_i32_iu8 v14, v15, v6, v19 neg_lo:[1,1,0]
	v_dot4_i32_iu8 v15, v23, v6, v22 neg_lo:[1,1,0]
	scratch_load_b32 v22, off, off offset:84 ; 4-byte Folded Reload
	v_dot4_i32_iu8 v4, v24, v6, v4 neg_lo:[1,1,0]
	s_clause 0x5
	scratch_load_b32 v6, off, off offset:76
	scratch_load_b32 v24, off, off offset:92
	;; [unrolled: 1-line block ×6, first 2 shown]
	v_mov_b32_e32 v32, v109
	scratch_load_b32 v79, off, off offset:32 ; 4-byte Folded Reload
	v_mov_b32_e32 v85, v234
	v_dual_mov_b32 v65, v225 :: v_dual_mov_b32 v46, v88
	s_waitcnt vmcnt(7)
	v_perm_b32 v22, v200, v22, 0xc0c0401
	s_waitcnt vmcnt(6)
	v_perm_b32 v6, v196, v6, 0xc0c0401
	;; [unrolled: 2-line block ×7, first 2 shown]
	s_delay_alu instid0(VALU_DEP_1) | instskip(NEXT) | instid1(VALU_DEP_3)
	v_or_b32_e32 v6, v19, v6
	v_or_b32_e32 v19, v23, v22
	;; [unrolled: 1-line block ×4, first 2 shown]
	v_perm_b32 v24, v142, v70, 0xc0c0401
	v_dot4_i32_iu8 v0, v6, v3, v0 neg_lo:[1,1,0]
	v_dot4_i32_iu8 v19, v19, v3, v1 neg_lo:[1,1,0]
	;; [unrolled: 1-line block ×4, first 2 shown]
	v_perm_b32 v1, v50, v31, 0xc0c0401
	v_perm_b32 v2, v51, v72, 0x4010c0c
	;; [unrolled: 1-line block ×4, first 2 shown]
	scratch_load_b32 v80, off, off offset:36 ; 4-byte Folded Reload
	v_perm_b32 v6, v130, v66, 0xc0c0401
	v_perm_b32 v23, v37, v111, 0x4010c0c
	v_or_b32_e32 v1, v2, v1
	v_or_b32_e32 v2, v5, v3
	v_perm_b32 v25, v43, v141, 0x4010c0c
	s_clause 0x1
	scratch_load_b32 v73, off, off offset:20
	scratch_load_b32 v72, off, off offset:16
	v_or_b32_e32 v3, v23, v6
	v_dot4_i32_iu8 v6, v1, v7, v13 neg_lo:[1,1,0]
	v_dot4_i32_iu8 v13, v2, v7, v14 neg_lo:[1,1,0]
	v_bfe_i32 v14, v20, 0, 8
	v_lshrrev_b16 v1, 8, v20
	v_dot4_i32_iu8 v23, v3, v7, v15 neg_lo:[1,1,0]
	v_or_b32_e32 v5, v25, v24
	v_bfe_i32 v20, v47, 0, 8
	v_mul_lo_u32 v0, v0, v14
	v_bfe_i32 v15, v1, 0, 8
	scratch_load_b32 v68, off, off offset:8 ; 4-byte Folded Reload
	v_dot4_i32_iu8 v28, v5, v7, v4 neg_lo:[1,1,0]
	v_bfe_i32 v25, v21, 0, 8
	v_mov_b32_e32 v31, v224
	v_mad_u64_u32 v[1:2], null, v6, v15, v[0:1]
	v_mul_lo_u32 v0, v102, v14
	s_delay_alu instid0(VALU_DEP_1) | instskip(SKIP_1) | instid1(VALU_DEP_1)
	v_mad_u64_u32 v[2:3], null, v161, v15, v[0:1]
	v_mul_lo_u32 v0, v97, v14
	v_mad_u64_u32 v[3:4], null, v163, v15, v[0:1]
	v_mul_lo_u32 v0, v106, v14
	s_delay_alu instid0(VALU_DEP_1) | instskip(SKIP_1) | instid1(VALU_DEP_1)
	v_mad_u64_u32 v[4:5], null, v8, v15, v[0:1]
	v_mul_lo_u32 v0, v120, v14
	;; [unrolled: 5-line block ×3, first 2 shown]
	v_mad_u64_u32 v[7:8], null, v11, v15, v[0:1]
	v_mul_lo_u32 v0, v136, v14
	s_delay_alu instid0(VALU_DEP_1) | instskip(SKIP_1) | instid1(VALU_DEP_1)
	v_mad_u64_u32 v[8:9], null, v12, v15, v[0:1]
	v_lshrrev_b16 v0, 8, v47
	v_bfe_i32 v24, v0, 0, 8
	v_mul_lo_u32 v0, v19, v20
	s_delay_alu instid0(VALU_DEP_1) | instskip(SKIP_1) | instid1(VALU_DEP_1)
	v_mad_u64_u32 v[9:10], null, v13, v24, v[0:1]
	v_mul_lo_u32 v0, v250, v20
	v_mad_u64_u32 v[10:11], null, v159, v24, v[0:1]
	v_mul_lo_u32 v0, v110, v20
	s_delay_alu instid0(VALU_DEP_1)
	v_mad_u64_u32 v[11:12], null, v164, v24, v[0:1]
	v_mul_lo_u32 v0, v95, v20
	s_clause 0x4
	scratch_load_b32 v95, off, off offset:48
	scratch_load_b32 v231, off, off offset:56
	;; [unrolled: 1-line block ×5, first 2 shown]
	v_mad_u64_u32 v[12:13], null, v167, v24, v[0:1]
	v_mul_lo_u32 v0, v104, v20
	s_delay_alu instid0(VALU_DEP_1) | instskip(SKIP_1) | instid1(VALU_DEP_1)
	v_mad_u64_u32 v[13:14], null, v170, v24, v[0:1]
	v_mul_lo_u32 v0, v118, v20
	v_mad_u64_u32 v[14:15], null, v16, v24, v[0:1]
	v_mul_lo_u32 v0, v127, v20
	s_delay_alu instid0(VALU_DEP_1) | instskip(SKIP_1) | instid1(VALU_DEP_1)
	v_mad_u64_u32 v[15:16], null, v17, v24, v[0:1]
	v_mul_lo_u32 v0, v133, v20
	v_mad_u64_u32 v[16:17], null, v18, v24, v[0:1]
	v_lshrrev_b16 v0, 8, v21
	s_delay_alu instid0(VALU_DEP_1) | instskip(SKIP_1) | instid1(VALU_DEP_1)
	v_bfe_i32 v29, v0, 0, 8
	v_mul_lo_u32 v0, v22, v25
	v_mad_u64_u32 v[17:18], null, v23, v29, v[0:1]
	v_mul_lo_u32 v0, v241, v25
	s_delay_alu instid0(VALU_DEP_1) | instskip(SKIP_1) | instid1(VALU_DEP_1)
	v_mad_u64_u32 v[18:19], null, v160, v29, v[0:1]
	v_mul_lo_u32 v0, v249, v25
	v_mad_u64_u32 v[19:20], null, v165, v29, v[0:1]
	v_mul_lo_u32 v0, v255, v25
	s_delay_alu instid0(VALU_DEP_1) | instskip(SKIP_1) | instid1(VALU_DEP_1)
	v_mad_u64_u32 v[20:21], null, v168, v29, v[0:1]
	;; [unrolled: 5-line block ×3, first 2 shown]
	v_mul_lo_u32 v0, v117, v25
	v_mad_u64_u32 v[23:24], null, v175, v29, v[0:1]
	v_mul_lo_u32 v0, v126, v25
	s_delay_alu instid0(VALU_DEP_1) | instskip(SKIP_2) | instid1(VALU_DEP_2)
	v_mad_u64_u32 v[24:25], null, v26, v29, v[0:1]
	v_lshrrev_b16 v0, 8, v48
	v_bfe_i32 v29, v48, 0, 8
	v_bfe_i32 v30, v0, 0, 8
	s_delay_alu instid0(VALU_DEP_2) | instskip(NEXT) | instid1(VALU_DEP_1)
	v_mul_lo_u32 v0, v27, v29
	v_mad_u64_u32 v[25:26], null, v28, v30, v[0:1]
	v_mul_lo_u32 v0, v237, v29
	s_delay_alu instid0(VALU_DEP_1) | instskip(SKIP_1) | instid1(VALU_DEP_1)
	v_mad_u64_u32 v[26:27], null, v162, v30, v[0:1]
	v_mul_lo_u32 v0, v239, v29
	v_mad_u64_u32 v[47:48], null, v166, v30, v[0:1]
	v_mul_lo_u32 v0, v246, v29
	s_delay_alu instid0(VALU_DEP_1) | instskip(SKIP_1) | instid1(VALU_DEP_1)
	v_mad_u64_u32 v[48:49], null, v169, v30, v[0:1]
	;; [unrolled: 5-line block ×4, first 2 shown]
	v_cvt_f32_i32_e32 v0, v1
	v_fmac_f32_e32 v123, v144, v0
	v_cvt_f32_i32_e32 v0, v9
	s_delay_alu instid0(VALU_DEP_1) | instskip(SKIP_1) | instid1(VALU_DEP_1)
	v_fmac_f32_e32 v94, v145, v0
	v_cvt_f32_i32_e32 v0, v17
	v_fmac_f32_e32 v93, v146, v0
	v_cvt_f32_i32_e32 v0, v25
	s_waitcnt vmcnt(1)
	s_delay_alu instid0(VALU_DEP_1) | instskip(SKIP_1) | instid1(VALU_DEP_1)
	v_fmac_f32_e32 v109, v147, v0
	v_cvt_f32_i32_e32 v0, v2
	v_fmac_f32_e32 v92, v148, v0
	v_cvt_f32_i32_e32 v0, v10
	s_delay_alu instid0(VALU_DEP_1) | instskip(SKIP_1) | instid1(VALU_DEP_1)
	v_fmac_f32_e32 v91, v149, v0
	v_cvt_f32_i32_e32 v0, v18
	v_fmac_f32_e32 v231, v150, v0
	v_cvt_f32_i32_e32 v0, v26
	;; [unrolled: 5-line block ×13, first 2 shown]
	s_waitcnt vmcnt(0)
	s_delay_alu instid0(VALU_DEP_1) | instskip(SKIP_1) | instid1(VALU_DEP_1)
	v_fmac_f32_e32 v116, v189, v0
	v_cvt_f32_i32_e32 v0, v24
	v_fmac_f32_e32 v234, v191, v0
	v_cvt_f32_i32_e32 v0, v52
	s_delay_alu instid0(VALU_DEP_1)
	v_fmac_f32_e32 v112, v195, v0
	s_cbranch_scc1 .LBB170_12
; %bb.13:                               ;   in Loop: Header=BB170_8 Depth=2
	s_waitcnt_vscnt null, 0x0
	s_barrier
	buffer_gl0_inv
	s_clause 0x9
	scratch_load_b32 v78, off, off
	scratch_load_b32 v96, off, off offset:4
	scratch_load_b32 v97, off, off offset:116
	;; [unrolled: 1-line block ×9, first 2 shown]
	s_add_i32 s1, s1, 16
	s_cmp_eq_u32 s14, 4
	s_cselect_b32 s15, -1, 0
	s_delay_alu instid0(SALU_CYCLE_1)
	s_and_b32 vcc_lo, exec_lo, s15
	s_cbranch_vccz .LBB170_8
	s_branch .LBB170_5
.LBB170_14:
	s_clause 0x2
	scratch_load_b32 v1, off, off offset:580
	scratch_load_b32 v0, off, off offset:152
	;; [unrolled: 1-line block ×3, first 2 shown]
.LBB170_15:
	s_mov_b32 s0, exec_lo
	s_waitcnt vmcnt(0)
	v_cmpx_gt_u32_e64 s6, v2
	s_cbranch_execz .LBB170_66
; %bb.16:
	v_add_nc_u32_e32 v0, s12, v0
	v_mul_lo_u32 v5, v2, s10
	s_delay_alu instid0(VALU_DEP_2)
	v_cmp_gt_u32_e32 vcc_lo, s10, v0
	s_and_saveexec_b32 s1, vcc_lo
	s_cbranch_execz .LBB170_18
; %bb.17:
	v_bfe_u32 v3, v123, 16, 1
	s_delay_alu instid0(VALU_DEP_3) | instskip(SKIP_1) | instid1(VALU_DEP_3)
	v_add_nc_u32_e32 v2, v0, v5
	v_cmp_o_f32_e64 s0, v123, v123
	v_add3_u32 v4, v123, v3, 0x7fff
	v_mov_b32_e32 v3, 0
	s_delay_alu instid0(VALU_DEP_2) | instskip(NEXT) | instid1(VALU_DEP_2)
	v_lshrrev_b32_e32 v4, 16, v4
	v_lshlrev_b64 v[2:3], 1, v[2:3]
	s_delay_alu instid0(VALU_DEP_2) | instskip(SKIP_1) | instid1(VALU_DEP_2)
	v_cndmask_b32_e64 v4, 0x7fc0, v4, s0
	s_waitcnt lgkmcnt(0)
	v_add_co_u32 v2, s0, s8, v2
	s_delay_alu instid0(VALU_DEP_1)
	v_add_co_ci_u32_e64 v3, s0, s9, v3, s0
	global_store_b16 v[2:3], v4, off
.LBB170_18:
	s_or_b32 exec_lo, exec_lo, s1
	v_add_nc_u32_e32 v2, 32, v0
	s_delay_alu instid0(VALU_DEP_1) | instskip(NEXT) | instid1(VALU_DEP_1)
	v_cmp_gt_u32_e64 s0, s10, v2
	s_and_saveexec_b32 s2, s0
	s_cbranch_execz .LBB170_20
; %bb.19:
	v_bfe_u32 v4, v94, 16, 1
	v_add_nc_u32_e32 v3, v2, v5
	v_cmp_o_f32_e64 s1, v94, v94
	s_delay_alu instid0(VALU_DEP_3) | instskip(SKIP_1) | instid1(VALU_DEP_2)
	v_add3_u32 v6, v94, v4, 0x7fff
	v_mov_b32_e32 v4, 0
	v_lshrrev_b32_e32 v6, 16, v6
	s_delay_alu instid0(VALU_DEP_2) | instskip(NEXT) | instid1(VALU_DEP_2)
	v_lshlrev_b64 v[3:4], 1, v[3:4]
	v_cndmask_b32_e64 v6, 0x7fc0, v6, s1
	s_waitcnt lgkmcnt(0)
	s_delay_alu instid0(VALU_DEP_2) | instskip(NEXT) | instid1(VALU_DEP_1)
	v_add_co_u32 v3, s1, s8, v3
	v_add_co_ci_u32_e64 v4, s1, s9, v4, s1
	global_store_b16 v[3:4], v6, off
.LBB170_20:
	s_or_b32 exec_lo, exec_lo, s2
	v_add_nc_u32_e32 v3, 64, v0
	s_delay_alu instid0(VALU_DEP_1) | instskip(NEXT) | instid1(VALU_DEP_1)
	v_cmp_gt_u32_e64 s1, s10, v3
	s_and_saveexec_b32 s3, s1
	s_cbranch_execz .LBB170_22
; %bb.21:
	v_bfe_u32 v4, v93, 16, 1
	v_dual_mov_b32 v7, 0 :: v_dual_add_nc_u32 v6, v3, v5
	v_cmp_o_f32_e64 s2, v93, v93
	s_delay_alu instid0(VALU_DEP_3) | instskip(NEXT) | instid1(VALU_DEP_3)
	v_add3_u32 v4, v93, v4, 0x7fff
	v_lshlrev_b64 v[6:7], 1, v[6:7]
	s_delay_alu instid0(VALU_DEP_2) | instskip(NEXT) | instid1(VALU_DEP_1)
	v_lshrrev_b32_e32 v4, 16, v4
	v_cndmask_b32_e64 v4, 0x7fc0, v4, s2
	s_waitcnt lgkmcnt(0)
	s_delay_alu instid0(VALU_DEP_3) | instskip(NEXT) | instid1(VALU_DEP_1)
	v_add_co_u32 v6, s2, s8, v6
	v_add_co_ci_u32_e64 v7, s2, s9, v7, s2
	global_store_b16 v[6:7], v4, off
.LBB170_22:
	s_or_b32 exec_lo, exec_lo, s3
	v_add_nc_u32_e32 v4, 0x60, v0
	s_delay_alu instid0(VALU_DEP_1) | instskip(NEXT) | instid1(VALU_DEP_1)
	v_cmp_gt_u32_e64 s2, s10, v4
	s_and_saveexec_b32 s4, s2
	s_cbranch_execz .LBB170_24
; %bb.23:
	v_bfe_u32 v6, v109, 16, 1
	v_add_nc_u32_e32 v5, v4, v5
	v_cmp_o_f32_e64 s3, v109, v109
	s_delay_alu instid0(VALU_DEP_3) | instskip(SKIP_1) | instid1(VALU_DEP_2)
	v_add3_u32 v7, v109, v6, 0x7fff
	v_mov_b32_e32 v6, 0
	v_lshrrev_b32_e32 v7, 16, v7
	s_delay_alu instid0(VALU_DEP_2) | instskip(NEXT) | instid1(VALU_DEP_2)
	v_lshlrev_b64 v[5:6], 1, v[5:6]
	v_cndmask_b32_e64 v7, 0x7fc0, v7, s3
	s_waitcnt lgkmcnt(0)
	s_delay_alu instid0(VALU_DEP_2) | instskip(NEXT) | instid1(VALU_DEP_1)
	v_add_co_u32 v5, s3, s8, v5
	v_add_co_ci_u32_e64 v6, s3, s9, v6, s3
	global_store_b16 v[5:6], v7, off
.LBB170_24:
	s_or_b32 exec_lo, exec_lo, s4
	v_add3_u32 v5, v1, s11, 8
	s_delay_alu instid0(VALU_DEP_1) | instskip(NEXT) | instid1(VALU_DEP_1)
	v_cmp_gt_u32_e64 s3, s6, v5
	s_and_b32 exec_lo, exec_lo, s3
	s_cbranch_execz .LBB170_66
; %bb.25:
	v_mul_lo_u32 v5, v5, s10
	s_and_saveexec_b32 s4, vcc_lo
	s_cbranch_execnz .LBB170_67
; %bb.26:
	s_or_b32 exec_lo, exec_lo, s4
	s_and_saveexec_b32 s4, s0
	s_cbranch_execnz .LBB170_68
.LBB170_27:
	s_or_b32 exec_lo, exec_lo, s4
	s_and_saveexec_b32 s4, s1
	s_cbranch_execnz .LBB170_69
.LBB170_28:
	s_or_b32 exec_lo, exec_lo, s4
	s_and_saveexec_b32 s4, s2
	s_cbranch_execz .LBB170_30
.LBB170_29:
	v_bfe_u32 v6, v90, 16, 1
	v_add_nc_u32_e32 v5, v5, v4
	v_cmp_o_f32_e64 s3, v90, v90
	s_delay_alu instid0(VALU_DEP_3) | instskip(SKIP_1) | instid1(VALU_DEP_2)
	v_add3_u32 v7, v90, v6, 0x7fff
	v_mov_b32_e32 v6, 0
	v_lshrrev_b32_e32 v7, 16, v7
	s_delay_alu instid0(VALU_DEP_2) | instskip(NEXT) | instid1(VALU_DEP_2)
	v_lshlrev_b64 v[5:6], 1, v[5:6]
	v_cndmask_b32_e64 v7, 0x7fc0, v7, s3
	s_waitcnt lgkmcnt(0)
	s_delay_alu instid0(VALU_DEP_2) | instskip(NEXT) | instid1(VALU_DEP_1)
	v_add_co_u32 v5, s3, s8, v5
	v_add_co_ci_u32_e64 v6, s3, s9, v6, s3
	global_store_b16 v[5:6], v7, off
.LBB170_30:
	s_or_b32 exec_lo, exec_lo, s4
	v_add3_u32 v5, v1, s11, 16
	s_delay_alu instid0(VALU_DEP_1) | instskip(NEXT) | instid1(VALU_DEP_1)
	v_cmp_gt_u32_e64 s3, s6, v5
	s_and_b32 exec_lo, exec_lo, s3
	s_cbranch_execz .LBB170_66
; %bb.31:
	v_mul_lo_u32 v5, v5, s10
	s_and_saveexec_b32 s4, vcc_lo
	s_cbranch_execnz .LBB170_70
; %bb.32:
	s_or_b32 exec_lo, exec_lo, s4
	s_and_saveexec_b32 s4, s0
	s_cbranch_execnz .LBB170_71
.LBB170_33:
	s_or_b32 exec_lo, exec_lo, s4
	s_and_saveexec_b32 s4, s1
	s_cbranch_execnz .LBB170_72
.LBB170_34:
	s_or_b32 exec_lo, exec_lo, s4
	s_and_saveexec_b32 s4, s2
	s_cbranch_execz .LBB170_36
.LBB170_35:
	v_bfe_u32 v6, v82, 16, 1
	v_add_nc_u32_e32 v5, v5, v4
	v_cmp_o_f32_e64 s3, v82, v82
	s_delay_alu instid0(VALU_DEP_3) | instskip(SKIP_1) | instid1(VALU_DEP_2)
	v_add3_u32 v7, v82, v6, 0x7fff
	v_mov_b32_e32 v6, 0
	v_lshrrev_b32_e32 v7, 16, v7
	s_delay_alu instid0(VALU_DEP_2) | instskip(NEXT) | instid1(VALU_DEP_2)
	v_lshlrev_b64 v[5:6], 1, v[5:6]
	v_cndmask_b32_e64 v7, 0x7fc0, v7, s3
	s_waitcnt lgkmcnt(0)
	s_delay_alu instid0(VALU_DEP_2) | instskip(NEXT) | instid1(VALU_DEP_1)
	v_add_co_u32 v5, s3, s8, v5
	v_add_co_ci_u32_e64 v6, s3, s9, v6, s3
	global_store_b16 v[5:6], v7, off
.LBB170_36:
	s_or_b32 exec_lo, exec_lo, s4
	v_add3_u32 v5, v1, s11, 24
	s_delay_alu instid0(VALU_DEP_1) | instskip(NEXT) | instid1(VALU_DEP_1)
	v_cmp_gt_u32_e64 s3, s6, v5
	s_and_b32 exec_lo, exec_lo, s3
	s_cbranch_execz .LBB170_66
; %bb.37:
	v_mul_lo_u32 v5, v5, s10
	s_and_saveexec_b32 s4, vcc_lo
	s_cbranch_execnz .LBB170_73
; %bb.38:
	s_or_b32 exec_lo, exec_lo, s4
	s_and_saveexec_b32 s4, s0
	s_cbranch_execnz .LBB170_74
.LBB170_39:
	s_or_b32 exec_lo, exec_lo, s4
	s_and_saveexec_b32 s4, s1
	s_cbranch_execnz .LBB170_75
.LBB170_40:
	s_or_b32 exec_lo, exec_lo, s4
	s_and_saveexec_b32 s4, s2
	s_cbranch_execz .LBB170_42
.LBB170_41:
	v_bfe_u32 v6, v45, 16, 1
	v_add_nc_u32_e32 v5, v5, v4
	v_cmp_o_f32_e64 s3, v45, v45
	s_delay_alu instid0(VALU_DEP_3) | instskip(SKIP_1) | instid1(VALU_DEP_2)
	v_add3_u32 v7, v45, v6, 0x7fff
	v_mov_b32_e32 v6, 0
	v_lshrrev_b32_e32 v7, 16, v7
	s_delay_alu instid0(VALU_DEP_2) | instskip(NEXT) | instid1(VALU_DEP_2)
	v_lshlrev_b64 v[5:6], 1, v[5:6]
	v_cndmask_b32_e64 v7, 0x7fc0, v7, s3
	s_waitcnt lgkmcnt(0)
	s_delay_alu instid0(VALU_DEP_2) | instskip(NEXT) | instid1(VALU_DEP_1)
	v_add_co_u32 v5, s3, s8, v5
	v_add_co_ci_u32_e64 v6, s3, s9, v6, s3
	global_store_b16 v[5:6], v7, off
.LBB170_42:
	s_or_b32 exec_lo, exec_lo, s4
	v_add3_u32 v5, v1, s11, 32
	s_delay_alu instid0(VALU_DEP_1) | instskip(NEXT) | instid1(VALU_DEP_1)
	v_cmp_gt_u32_e64 s3, s6, v5
	s_and_b32 exec_lo, exec_lo, s3
	s_cbranch_execz .LBB170_66
; %bb.43:
	v_mul_lo_u32 v5, v5, s10
	s_and_saveexec_b32 s4, vcc_lo
	s_cbranch_execnz .LBB170_76
; %bb.44:
	s_or_b32 exec_lo, exec_lo, s4
	s_and_saveexec_b32 s4, s0
	s_cbranch_execnz .LBB170_77
.LBB170_45:
	s_or_b32 exec_lo, exec_lo, s4
	s_and_saveexec_b32 s4, s1
	s_cbranch_execnz .LBB170_78
.LBB170_46:
	s_or_b32 exec_lo, exec_lo, s4
	s_and_saveexec_b32 s4, s2
	s_cbranch_execz .LBB170_48
.LBB170_47:
	v_bfe_u32 v6, v125, 16, 1
	v_add_nc_u32_e32 v5, v5, v4
	v_cmp_o_f32_e64 s3, v125, v125
	s_delay_alu instid0(VALU_DEP_3) | instskip(SKIP_1) | instid1(VALU_DEP_2)
	v_add3_u32 v7, v125, v6, 0x7fff
	v_mov_b32_e32 v6, 0
	v_lshrrev_b32_e32 v7, 16, v7
	s_delay_alu instid0(VALU_DEP_2) | instskip(NEXT) | instid1(VALU_DEP_2)
	v_lshlrev_b64 v[5:6], 1, v[5:6]
	v_cndmask_b32_e64 v7, 0x7fc0, v7, s3
	s_waitcnt lgkmcnt(0)
	s_delay_alu instid0(VALU_DEP_2) | instskip(NEXT) | instid1(VALU_DEP_1)
	v_add_co_u32 v5, s3, s8, v5
	v_add_co_ci_u32_e64 v6, s3, s9, v6, s3
	global_store_b16 v[5:6], v7, off
.LBB170_48:
	s_or_b32 exec_lo, exec_lo, s4
	v_add3_u32 v5, v1, s11, 40
	s_delay_alu instid0(VALU_DEP_1) | instskip(NEXT) | instid1(VALU_DEP_1)
	v_cmp_gt_u32_e64 s3, s6, v5
	s_and_b32 exec_lo, exec_lo, s3
	s_cbranch_execz .LBB170_66
; %bb.49:
	v_mul_lo_u32 v5, v5, s10
	s_and_saveexec_b32 s4, vcc_lo
	s_cbranch_execnz .LBB170_79
; %bb.50:
	s_or_b32 exec_lo, exec_lo, s4
	s_and_saveexec_b32 s4, s0
	s_cbranch_execnz .LBB170_80
.LBB170_51:
	s_or_b32 exec_lo, exec_lo, s4
	s_and_saveexec_b32 s4, s1
	s_cbranch_execnz .LBB170_81
.LBB170_52:
	s_or_b32 exec_lo, exec_lo, s4
	s_and_saveexec_b32 s4, s2
	s_cbranch_execz .LBB170_54
.LBB170_53:
	v_bfe_u32 v6, v119, 16, 1
	v_add_nc_u32_e32 v5, v5, v4
	v_cmp_o_f32_e64 s3, v119, v119
	s_delay_alu instid0(VALU_DEP_3) | instskip(SKIP_1) | instid1(VALU_DEP_2)
	v_add3_u32 v7, v119, v6, 0x7fff
	v_mov_b32_e32 v6, 0
	v_lshrrev_b32_e32 v7, 16, v7
	s_delay_alu instid0(VALU_DEP_2) | instskip(NEXT) | instid1(VALU_DEP_2)
	v_lshlrev_b64 v[5:6], 1, v[5:6]
	v_cndmask_b32_e64 v7, 0x7fc0, v7, s3
	s_waitcnt lgkmcnt(0)
	s_delay_alu instid0(VALU_DEP_2) | instskip(NEXT) | instid1(VALU_DEP_1)
	v_add_co_u32 v5, s3, s8, v5
	v_add_co_ci_u32_e64 v6, s3, s9, v6, s3
	global_store_b16 v[5:6], v7, off
.LBB170_54:
	s_or_b32 exec_lo, exec_lo, s4
	v_add3_u32 v5, v1, s11, 48
	s_delay_alu instid0(VALU_DEP_1) | instskip(NEXT) | instid1(VALU_DEP_1)
	v_cmp_gt_u32_e64 s3, s6, v5
	s_and_b32 exec_lo, exec_lo, s3
	s_cbranch_execz .LBB170_66
; %bb.55:
	v_mul_lo_u32 v5, v5, s10
	s_and_saveexec_b32 s4, vcc_lo
	s_cbranch_execnz .LBB170_82
; %bb.56:
	s_or_b32 exec_lo, exec_lo, s4
	s_and_saveexec_b32 s4, s0
	s_cbranch_execnz .LBB170_83
.LBB170_57:
	s_or_b32 exec_lo, exec_lo, s4
	s_and_saveexec_b32 s4, s1
	s_cbranch_execnz .LBB170_84
.LBB170_58:
	s_or_b32 exec_lo, exec_lo, s4
	s_and_saveexec_b32 s4, s2
	s_cbranch_execz .LBB170_60
.LBB170_59:
	v_bfe_u32 v6, v32, 16, 1
	v_add_nc_u32_e32 v5, v5, v4
	v_cmp_o_f32_e64 s3, v32, v32
	s_delay_alu instid0(VALU_DEP_3) | instskip(SKIP_1) | instid1(VALU_DEP_2)
	v_add3_u32 v7, v32, v6, 0x7fff
	v_mov_b32_e32 v6, 0
	v_lshrrev_b32_e32 v7, 16, v7
	s_delay_alu instid0(VALU_DEP_2) | instskip(NEXT) | instid1(VALU_DEP_2)
	v_lshlrev_b64 v[5:6], 1, v[5:6]
	v_cndmask_b32_e64 v7, 0x7fc0, v7, s3
	s_waitcnt lgkmcnt(0)
	s_delay_alu instid0(VALU_DEP_2) | instskip(NEXT) | instid1(VALU_DEP_1)
	v_add_co_u32 v5, s3, s8, v5
	v_add_co_ci_u32_e64 v6, s3, s9, v6, s3
	global_store_b16 v[5:6], v7, off
.LBB170_60:
	s_or_b32 exec_lo, exec_lo, s4
	v_add3_u32 v1, v1, s11, 56
	s_delay_alu instid0(VALU_DEP_1) | instskip(NEXT) | instid1(VALU_DEP_1)
	v_cmp_gt_u32_e64 s3, s6, v1
	s_and_b32 exec_lo, exec_lo, s3
	s_cbranch_execz .LBB170_66
; %bb.61:
	v_mul_lo_u32 v1, v1, s10
	s_and_saveexec_b32 s3, vcc_lo
	s_cbranch_execnz .LBB170_85
; %bb.62:
	s_or_b32 exec_lo, exec_lo, s3
	s_and_saveexec_b32 s3, s0
	s_cbranch_execnz .LBB170_86
.LBB170_63:
	s_or_b32 exec_lo, exec_lo, s3
	s_and_saveexec_b32 s0, s1
	s_cbranch_execnz .LBB170_87
.LBB170_64:
	s_or_b32 exec_lo, exec_lo, s0
	s_delay_alu instid0(SALU_CYCLE_1)
	s_and_b32 exec_lo, exec_lo, s2
	s_cbranch_execz .LBB170_66
.LBB170_65:
	v_bfe_u32 v2, v112, 16, 1
	v_dual_mov_b32 v1, 0 :: v_dual_add_nc_u32 v0, v1, v4
	v_cmp_o_f32_e32 vcc_lo, v112, v112
	s_delay_alu instid0(VALU_DEP_3) | instskip(NEXT) | instid1(VALU_DEP_3)
	v_add3_u32 v2, v112, v2, 0x7fff
	v_lshlrev_b64 v[0:1], 1, v[0:1]
	s_delay_alu instid0(VALU_DEP_2) | instskip(NEXT) | instid1(VALU_DEP_1)
	v_lshrrev_b32_e32 v2, 16, v2
	v_cndmask_b32_e32 v2, 0x7fc0, v2, vcc_lo
	s_waitcnt lgkmcnt(0)
	s_delay_alu instid0(VALU_DEP_3) | instskip(NEXT) | instid1(VALU_DEP_4)
	v_add_co_u32 v0, vcc_lo, s8, v0
	v_add_co_ci_u32_e32 v1, vcc_lo, s9, v1, vcc_lo
	global_store_b16 v[0:1], v2, off
.LBB170_66:
	s_endpgm
.LBB170_67:
	v_bfe_u32 v7, v92, 16, 1
	s_delay_alu instid0(VALU_DEP_2) | instskip(SKIP_1) | instid1(VALU_DEP_3)
	v_add_nc_u32_e32 v6, v5, v0
	v_cmp_o_f32_e64 s3, v92, v92
	v_add3_u32 v8, v92, v7, 0x7fff
	v_mov_b32_e32 v7, 0
	s_delay_alu instid0(VALU_DEP_2) | instskip(NEXT) | instid1(VALU_DEP_2)
	v_lshrrev_b32_e32 v8, 16, v8
	v_lshlrev_b64 v[6:7], 1, v[6:7]
	s_delay_alu instid0(VALU_DEP_2) | instskip(SKIP_1) | instid1(VALU_DEP_2)
	v_cndmask_b32_e64 v8, 0x7fc0, v8, s3
	s_waitcnt lgkmcnt(0)
	v_add_co_u32 v6, s3, s8, v6
	s_delay_alu instid0(VALU_DEP_1)
	v_add_co_ci_u32_e64 v7, s3, s9, v7, s3
	global_store_b16 v[6:7], v8, off
	s_or_b32 exec_lo, exec_lo, s4
	s_and_saveexec_b32 s4, s0
	s_cbranch_execz .LBB170_27
.LBB170_68:
	v_bfe_u32 v7, v91, 16, 1
	s_delay_alu instid0(VALU_DEP_2) | instskip(SKIP_1) | instid1(VALU_DEP_3)
	v_add_nc_u32_e32 v6, v5, v2
	v_cmp_o_f32_e64 s3, v91, v91
	v_add3_u32 v8, v91, v7, 0x7fff
	v_mov_b32_e32 v7, 0
	s_delay_alu instid0(VALU_DEP_2) | instskip(NEXT) | instid1(VALU_DEP_2)
	v_lshrrev_b32_e32 v8, 16, v8
	v_lshlrev_b64 v[6:7], 1, v[6:7]
	s_delay_alu instid0(VALU_DEP_2) | instskip(SKIP_1) | instid1(VALU_DEP_2)
	v_cndmask_b32_e64 v8, 0x7fc0, v8, s3
	s_waitcnt lgkmcnt(0)
	v_add_co_u32 v6, s3, s8, v6
	s_delay_alu instid0(VALU_DEP_1)
	v_add_co_ci_u32_e64 v7, s3, s9, v7, s3
	global_store_b16 v[6:7], v8, off
	s_or_b32 exec_lo, exec_lo, s4
	s_and_saveexec_b32 s4, s1
	s_cbranch_execz .LBB170_28
.LBB170_69:
	v_bfe_u32 v7, v231, 16, 1
	v_add_nc_u32_e32 v6, v5, v3
	v_cmp_o_f32_e64 s3, v231, v231
	s_delay_alu instid0(VALU_DEP_3) | instskip(SKIP_1) | instid1(VALU_DEP_2)
	v_add3_u32 v8, v231, v7, 0x7fff
	v_mov_b32_e32 v7, 0
	v_lshrrev_b32_e32 v8, 16, v8
	s_delay_alu instid0(VALU_DEP_2) | instskip(NEXT) | instid1(VALU_DEP_2)
	v_lshlrev_b64 v[6:7], 1, v[6:7]
	v_cndmask_b32_e64 v8, 0x7fc0, v8, s3
	s_waitcnt lgkmcnt(0)
	s_delay_alu instid0(VALU_DEP_2) | instskip(NEXT) | instid1(VALU_DEP_1)
	v_add_co_u32 v6, s3, s8, v6
	v_add_co_ci_u32_e64 v7, s3, s9, v7, s3
	global_store_b16 v[6:7], v8, off
	s_or_b32 exec_lo, exec_lo, s4
	s_and_saveexec_b32 s4, s2
	s_cbranch_execnz .LBB170_29
	s_branch .LBB170_30
.LBB170_70:
	v_bfe_u32 v7, v89, 16, 1
	s_delay_alu instid0(VALU_DEP_2) | instskip(SKIP_1) | instid1(VALU_DEP_3)
	v_add_nc_u32_e32 v6, v5, v0
	v_cmp_o_f32_e64 s3, v89, v89
	v_add3_u32 v8, v89, v7, 0x7fff
	v_mov_b32_e32 v7, 0
	s_delay_alu instid0(VALU_DEP_2) | instskip(NEXT) | instid1(VALU_DEP_2)
	v_lshrrev_b32_e32 v8, 16, v8
	v_lshlrev_b64 v[6:7], 1, v[6:7]
	s_delay_alu instid0(VALU_DEP_2) | instskip(SKIP_1) | instid1(VALU_DEP_2)
	v_cndmask_b32_e64 v8, 0x7fc0, v8, s3
	s_waitcnt lgkmcnt(0)
	v_add_co_u32 v6, s3, s8, v6
	s_delay_alu instid0(VALU_DEP_1)
	v_add_co_ci_u32_e64 v7, s3, s9, v7, s3
	global_store_b16 v[6:7], v8, off
	s_or_b32 exec_lo, exec_lo, s4
	s_and_saveexec_b32 s4, s0
	s_cbranch_execz .LBB170_33
.LBB170_71:
	v_bfe_u32 v7, v85, 16, 1
	s_delay_alu instid0(VALU_DEP_2) | instskip(SKIP_1) | instid1(VALU_DEP_3)
	v_add_nc_u32_e32 v6, v5, v2
	v_cmp_o_f32_e64 s3, v85, v85
	v_add3_u32 v8, v85, v7, 0x7fff
	v_mov_b32_e32 v7, 0
	s_delay_alu instid0(VALU_DEP_2) | instskip(NEXT) | instid1(VALU_DEP_2)
	v_lshrrev_b32_e32 v8, 16, v8
	v_lshlrev_b64 v[6:7], 1, v[6:7]
	s_delay_alu instid0(VALU_DEP_2) | instskip(SKIP_1) | instid1(VALU_DEP_2)
	v_cndmask_b32_e64 v8, 0x7fc0, v8, s3
	s_waitcnt lgkmcnt(0)
	v_add_co_u32 v6, s3, s8, v6
	s_delay_alu instid0(VALU_DEP_1)
	v_add_co_ci_u32_e64 v7, s3, s9, v7, s3
	global_store_b16 v[6:7], v8, off
	s_or_b32 exec_lo, exec_lo, s4
	s_and_saveexec_b32 s4, s1
	s_cbranch_execz .LBB170_34
.LBB170_72:
	v_bfe_u32 v7, v84, 16, 1
	v_add_nc_u32_e32 v6, v5, v3
	v_cmp_o_f32_e64 s3, v84, v84
	s_delay_alu instid0(VALU_DEP_3) | instskip(SKIP_1) | instid1(VALU_DEP_2)
	v_add3_u32 v8, v84, v7, 0x7fff
	v_mov_b32_e32 v7, 0
	v_lshrrev_b32_e32 v8, 16, v8
	s_delay_alu instid0(VALU_DEP_2) | instskip(NEXT) | instid1(VALU_DEP_2)
	v_lshlrev_b64 v[6:7], 1, v[6:7]
	v_cndmask_b32_e64 v8, 0x7fc0, v8, s3
	s_waitcnt lgkmcnt(0)
	s_delay_alu instid0(VALU_DEP_2) | instskip(NEXT) | instid1(VALU_DEP_1)
	v_add_co_u32 v6, s3, s8, v6
	v_add_co_ci_u32_e64 v7, s3, s9, v7, s3
	global_store_b16 v[6:7], v8, off
	s_or_b32 exec_lo, exec_lo, s4
	s_and_saveexec_b32 s4, s2
	s_cbranch_execnz .LBB170_35
	s_branch .LBB170_36
.LBB170_73:
	v_bfe_u32 v7, v229, 16, 1
	s_delay_alu instid0(VALU_DEP_2) | instskip(SKIP_1) | instid1(VALU_DEP_3)
	v_add_nc_u32_e32 v6, v5, v0
	v_cmp_o_f32_e64 s3, v229, v229
	v_add3_u32 v8, v229, v7, 0x7fff
	v_mov_b32_e32 v7, 0
	s_delay_alu instid0(VALU_DEP_2) | instskip(NEXT) | instid1(VALU_DEP_2)
	v_lshrrev_b32_e32 v8, 16, v8
	v_lshlrev_b64 v[6:7], 1, v[6:7]
	s_delay_alu instid0(VALU_DEP_2) | instskip(SKIP_1) | instid1(VALU_DEP_2)
	v_cndmask_b32_e64 v8, 0x7fc0, v8, s3
	s_waitcnt lgkmcnt(0)
	v_add_co_u32 v6, s3, s8, v6
	s_delay_alu instid0(VALU_DEP_1)
	v_add_co_ci_u32_e64 v7, s3, s9, v7, s3
	global_store_b16 v[6:7], v8, off
	s_or_b32 exec_lo, exec_lo, s4
	s_and_saveexec_b32 s4, s0
	s_cbranch_execz .LBB170_39
.LBB170_74:
	v_bfe_u32 v7, v65, 16, 1
	s_delay_alu instid0(VALU_DEP_2) | instskip(SKIP_1) | instid1(VALU_DEP_3)
	v_add_nc_u32_e32 v6, v5, v2
	v_cmp_o_f32_e64 s3, v65, v65
	v_add3_u32 v8, v65, v7, 0x7fff
	v_mov_b32_e32 v7, 0
	s_delay_alu instid0(VALU_DEP_2) | instskip(NEXT) | instid1(VALU_DEP_2)
	v_lshrrev_b32_e32 v8, 16, v8
	v_lshlrev_b64 v[6:7], 1, v[6:7]
	s_delay_alu instid0(VALU_DEP_2) | instskip(SKIP_1) | instid1(VALU_DEP_2)
	v_cndmask_b32_e64 v8, 0x7fc0, v8, s3
	s_waitcnt lgkmcnt(0)
	v_add_co_u32 v6, s3, s8, v6
	s_delay_alu instid0(VALU_DEP_1)
	v_add_co_ci_u32_e64 v7, s3, s9, v7, s3
	global_store_b16 v[6:7], v8, off
	s_or_b32 exec_lo, exec_lo, s4
	s_and_saveexec_b32 s4, s1
	s_cbranch_execz .LBB170_40
.LBB170_75:
	v_bfe_u32 v7, v46, 16, 1
	v_add_nc_u32_e32 v6, v5, v3
	v_cmp_o_f32_e64 s3, v46, v46
	s_delay_alu instid0(VALU_DEP_3) | instskip(SKIP_1) | instid1(VALU_DEP_2)
	v_add3_u32 v8, v46, v7, 0x7fff
	v_mov_b32_e32 v7, 0
	v_lshrrev_b32_e32 v8, 16, v8
	s_delay_alu instid0(VALU_DEP_2) | instskip(NEXT) | instid1(VALU_DEP_2)
	v_lshlrev_b64 v[6:7], 1, v[6:7]
	v_cndmask_b32_e64 v8, 0x7fc0, v8, s3
	s_waitcnt lgkmcnt(0)
	s_delay_alu instid0(VALU_DEP_2) | instskip(NEXT) | instid1(VALU_DEP_1)
	v_add_co_u32 v6, s3, s8, v6
	v_add_co_ci_u32_e64 v7, s3, s9, v7, s3
	global_store_b16 v[6:7], v8, off
	s_or_b32 exec_lo, exec_lo, s4
	s_and_saveexec_b32 s4, s2
	s_cbranch_execnz .LBB170_41
	s_branch .LBB170_42
.LBB170_76:
	v_bfe_u32 v7, v193, 16, 1
	s_delay_alu instid0(VALU_DEP_2) | instskip(SKIP_1) | instid1(VALU_DEP_3)
	v_add_nc_u32_e32 v6, v5, v0
	v_cmp_o_f32_e64 s3, v193, v193
	v_add3_u32 v8, v193, v7, 0x7fff
	v_mov_b32_e32 v7, 0
	s_delay_alu instid0(VALU_DEP_2) | instskip(NEXT) | instid1(VALU_DEP_2)
	v_lshrrev_b32_e32 v8, 16, v8
	v_lshlrev_b64 v[6:7], 1, v[6:7]
	s_delay_alu instid0(VALU_DEP_2) | instskip(SKIP_1) | instid1(VALU_DEP_2)
	v_cndmask_b32_e64 v8, 0x7fc0, v8, s3
	s_waitcnt lgkmcnt(0)
	v_add_co_u32 v6, s3, s8, v6
	s_delay_alu instid0(VALU_DEP_1)
	v_add_co_ci_u32_e64 v7, s3, s9, v7, s3
	global_store_b16 v[6:7], v8, off
	s_or_b32 exec_lo, exec_lo, s4
	s_and_saveexec_b32 s4, s0
	s_cbranch_execz .LBB170_45
.LBB170_77:
	v_bfe_u32 v7, v134, 16, 1
	s_delay_alu instid0(VALU_DEP_2) | instskip(SKIP_1) | instid1(VALU_DEP_3)
	v_add_nc_u32_e32 v6, v5, v2
	v_cmp_o_f32_e64 s3, v134, v134
	v_add3_u32 v8, v134, v7, 0x7fff
	v_mov_b32_e32 v7, 0
	s_delay_alu instid0(VALU_DEP_2) | instskip(NEXT) | instid1(VALU_DEP_2)
	v_lshrrev_b32_e32 v8, 16, v8
	v_lshlrev_b64 v[6:7], 1, v[6:7]
	s_delay_alu instid0(VALU_DEP_2) | instskip(SKIP_1) | instid1(VALU_DEP_2)
	v_cndmask_b32_e64 v8, 0x7fc0, v8, s3
	s_waitcnt lgkmcnt(0)
	v_add_co_u32 v6, s3, s8, v6
	s_delay_alu instid0(VALU_DEP_1)
	v_add_co_ci_u32_e64 v7, s3, s9, v7, s3
	global_store_b16 v[6:7], v8, off
	s_or_b32 exec_lo, exec_lo, s4
	s_and_saveexec_b32 s4, s1
	s_cbranch_execz .LBB170_46
.LBB170_78:
	v_bfe_u32 v7, v129, 16, 1
	v_add_nc_u32_e32 v6, v5, v3
	v_cmp_o_f32_e64 s3, v129, v129
	s_delay_alu instid0(VALU_DEP_3) | instskip(SKIP_1) | instid1(VALU_DEP_2)
	v_add3_u32 v8, v129, v7, 0x7fff
	v_mov_b32_e32 v7, 0
	v_lshrrev_b32_e32 v8, 16, v8
	s_delay_alu instid0(VALU_DEP_2) | instskip(NEXT) | instid1(VALU_DEP_2)
	v_lshlrev_b64 v[6:7], 1, v[6:7]
	v_cndmask_b32_e64 v8, 0x7fc0, v8, s3
	s_waitcnt lgkmcnt(0)
	s_delay_alu instid0(VALU_DEP_2) | instskip(NEXT) | instid1(VALU_DEP_1)
	v_add_co_u32 v6, s3, s8, v6
	v_add_co_ci_u32_e64 v7, s3, s9, v7, s3
	global_store_b16 v[6:7], v8, off
	s_or_b32 exec_lo, exec_lo, s4
	s_and_saveexec_b32 s4, s2
	s_cbranch_execnz .LBB170_47
	s_branch .LBB170_48
.LBB170_79:
	v_bfe_u32 v7, v124, 16, 1
	s_delay_alu instid0(VALU_DEP_2) | instskip(SKIP_1) | instid1(VALU_DEP_3)
	v_add_nc_u32_e32 v6, v5, v0
	v_cmp_o_f32_e64 s3, v124, v124
	v_add3_u32 v8, v124, v7, 0x7fff
	v_mov_b32_e32 v7, 0
	s_delay_alu instid0(VALU_DEP_2) | instskip(NEXT) | instid1(VALU_DEP_2)
	v_lshrrev_b32_e32 v8, 16, v8
	v_lshlrev_b64 v[6:7], 1, v[6:7]
	s_delay_alu instid0(VALU_DEP_2) | instskip(SKIP_1) | instid1(VALU_DEP_2)
	v_cndmask_b32_e64 v8, 0x7fc0, v8, s3
	s_waitcnt lgkmcnt(0)
	v_add_co_u32 v6, s3, s8, v6
	s_delay_alu instid0(VALU_DEP_1)
	v_add_co_ci_u32_e64 v7, s3, s9, v7, s3
	global_store_b16 v[6:7], v8, off
	s_or_b32 exec_lo, exec_lo, s4
	s_and_saveexec_b32 s4, s0
	s_cbranch_execz .LBB170_51
.LBB170_80:
	v_bfe_u32 v7, v122, 16, 1
	s_delay_alu instid0(VALU_DEP_2) | instskip(SKIP_1) | instid1(VALU_DEP_3)
	v_add_nc_u32_e32 v6, v5, v2
	v_cmp_o_f32_e64 s3, v122, v122
	v_add3_u32 v8, v122, v7, 0x7fff
	v_mov_b32_e32 v7, 0
	s_delay_alu instid0(VALU_DEP_2) | instskip(NEXT) | instid1(VALU_DEP_2)
	v_lshrrev_b32_e32 v8, 16, v8
	v_lshlrev_b64 v[6:7], 1, v[6:7]
	s_delay_alu instid0(VALU_DEP_2) | instskip(SKIP_1) | instid1(VALU_DEP_2)
	v_cndmask_b32_e64 v8, 0x7fc0, v8, s3
	s_waitcnt lgkmcnt(0)
	v_add_co_u32 v6, s3, s8, v6
	s_delay_alu instid0(VALU_DEP_1)
	v_add_co_ci_u32_e64 v7, s3, s9, v7, s3
	global_store_b16 v[6:7], v8, off
	s_or_b32 exec_lo, exec_lo, s4
	s_and_saveexec_b32 s4, s1
	s_cbranch_execz .LBB170_52
.LBB170_81:
	v_bfe_u32 v7, v121, 16, 1
	v_add_nc_u32_e32 v6, v5, v3
	v_cmp_o_f32_e64 s3, v121, v121
	s_delay_alu instid0(VALU_DEP_3) | instskip(SKIP_1) | instid1(VALU_DEP_2)
	v_add3_u32 v8, v121, v7, 0x7fff
	v_mov_b32_e32 v7, 0
	v_lshrrev_b32_e32 v8, 16, v8
	s_delay_alu instid0(VALU_DEP_2) | instskip(NEXT) | instid1(VALU_DEP_2)
	v_lshlrev_b64 v[6:7], 1, v[6:7]
	v_cndmask_b32_e64 v8, 0x7fc0, v8, s3
	s_waitcnt lgkmcnt(0)
	s_delay_alu instid0(VALU_DEP_2) | instskip(NEXT) | instid1(VALU_DEP_1)
	v_add_co_u32 v6, s3, s8, v6
	v_add_co_ci_u32_e64 v7, s3, s9, v7, s3
	global_store_b16 v[6:7], v8, off
	s_or_b32 exec_lo, exec_lo, s4
	s_and_saveexec_b32 s4, s2
	s_cbranch_execnz .LBB170_53
	s_branch .LBB170_54
.LBB170_82:
	v_bfe_u32 v7, v115, 16, 1
	s_delay_alu instid0(VALU_DEP_2) | instskip(SKIP_1) | instid1(VALU_DEP_3)
	v_add_nc_u32_e32 v6, v5, v0
	v_cmp_o_f32_e64 s3, v115, v115
	v_add3_u32 v8, v115, v7, 0x7fff
	v_mov_b32_e32 v7, 0
	s_delay_alu instid0(VALU_DEP_2) | instskip(NEXT) | instid1(VALU_DEP_2)
	v_lshrrev_b32_e32 v8, 16, v8
	v_lshlrev_b64 v[6:7], 1, v[6:7]
	s_delay_alu instid0(VALU_DEP_2) | instskip(SKIP_1) | instid1(VALU_DEP_2)
	v_cndmask_b32_e64 v8, 0x7fc0, v8, s3
	s_waitcnt lgkmcnt(0)
	v_add_co_u32 v6, s3, s8, v6
	s_delay_alu instid0(VALU_DEP_1)
	v_add_co_ci_u32_e64 v7, s3, s9, v7, s3
	global_store_b16 v[6:7], v8, off
	s_or_b32 exec_lo, exec_lo, s4
	s_and_saveexec_b32 s4, s0
	s_cbranch_execz .LBB170_57
.LBB170_83:
	v_bfe_u32 v7, v113, 16, 1
	s_delay_alu instid0(VALU_DEP_2) | instskip(SKIP_1) | instid1(VALU_DEP_3)
	v_add_nc_u32_e32 v6, v5, v2
	v_cmp_o_f32_e64 s3, v113, v113
	v_add3_u32 v8, v113, v7, 0x7fff
	v_mov_b32_e32 v7, 0
	s_delay_alu instid0(VALU_DEP_2) | instskip(NEXT) | instid1(VALU_DEP_2)
	v_lshrrev_b32_e32 v8, 16, v8
	v_lshlrev_b64 v[6:7], 1, v[6:7]
	s_delay_alu instid0(VALU_DEP_2) | instskip(SKIP_1) | instid1(VALU_DEP_2)
	v_cndmask_b32_e64 v8, 0x7fc0, v8, s3
	s_waitcnt lgkmcnt(0)
	v_add_co_u32 v6, s3, s8, v6
	s_delay_alu instid0(VALU_DEP_1)
	v_add_co_ci_u32_e64 v7, s3, s9, v7, s3
	global_store_b16 v[6:7], v8, off
	s_or_b32 exec_lo, exec_lo, s4
	s_and_saveexec_b32 s4, s1
	s_cbranch_execz .LBB170_58
.LBB170_84:
	v_bfe_u32 v7, v33, 16, 1
	v_add_nc_u32_e32 v6, v5, v3
	v_cmp_o_f32_e64 s3, v33, v33
	s_delay_alu instid0(VALU_DEP_3) | instskip(SKIP_1) | instid1(VALU_DEP_2)
	v_add3_u32 v8, v33, v7, 0x7fff
	v_mov_b32_e32 v7, 0
	v_lshrrev_b32_e32 v8, 16, v8
	s_delay_alu instid0(VALU_DEP_2) | instskip(NEXT) | instid1(VALU_DEP_2)
	v_lshlrev_b64 v[6:7], 1, v[6:7]
	v_cndmask_b32_e64 v8, 0x7fc0, v8, s3
	s_waitcnt lgkmcnt(0)
	s_delay_alu instid0(VALU_DEP_2) | instskip(NEXT) | instid1(VALU_DEP_1)
	v_add_co_u32 v6, s3, s8, v6
	v_add_co_ci_u32_e64 v7, s3, s9, v7, s3
	global_store_b16 v[6:7], v8, off
	s_or_b32 exec_lo, exec_lo, s4
	s_and_saveexec_b32 s4, s2
	s_cbranch_execnz .LBB170_59
	s_branch .LBB170_60
.LBB170_85:
	v_bfe_u32 v6, v31, 16, 1
	s_delay_alu instid0(VALU_DEP_2) | instskip(SKIP_1) | instid1(VALU_DEP_3)
	v_add_nc_u32_e32 v5, v1, v0
	v_cmp_o_f32_e32 vcc_lo, v31, v31
	v_add3_u32 v0, v31, v6, 0x7fff
	v_mov_b32_e32 v6, 0
	s_delay_alu instid0(VALU_DEP_2) | instskip(NEXT) | instid1(VALU_DEP_2)
	v_lshrrev_b32_e32 v0, 16, v0
	v_lshlrev_b64 v[5:6], 1, v[5:6]
	s_delay_alu instid0(VALU_DEP_2) | instskip(SKIP_1) | instid1(VALU_DEP_2)
	v_cndmask_b32_e32 v0, 0x7fc0, v0, vcc_lo
	s_waitcnt lgkmcnt(0)
	v_add_co_u32 v5, vcc_lo, s8, v5
	s_delay_alu instid0(VALU_DEP_3)
	v_add_co_ci_u32_e32 v6, vcc_lo, s9, v6, vcc_lo
	global_store_b16 v[5:6], v0, off
	s_or_b32 exec_lo, exec_lo, s3
	s_and_saveexec_b32 s3, s0
	s_cbranch_execz .LBB170_63
.LBB170_86:
	v_bfe_u32 v0, v116, 16, 1
	s_delay_alu instid0(VALU_DEP_2) | instskip(SKIP_1) | instid1(VALU_DEP_3)
	v_dual_mov_b32 v6, 0 :: v_dual_add_nc_u32 v5, v1, v2
	v_cmp_o_f32_e32 vcc_lo, v116, v116
	v_add3_u32 v0, v116, v0, 0x7fff
	s_delay_alu instid0(VALU_DEP_3) | instskip(NEXT) | instid1(VALU_DEP_2)
	v_lshlrev_b64 v[5:6], 1, v[5:6]
	v_lshrrev_b32_e32 v0, 16, v0
	s_delay_alu instid0(VALU_DEP_1) | instskip(SKIP_1) | instid1(VALU_DEP_3)
	v_cndmask_b32_e32 v0, 0x7fc0, v0, vcc_lo
	s_waitcnt lgkmcnt(0)
	v_add_co_u32 v5, vcc_lo, s8, v5
	s_delay_alu instid0(VALU_DEP_4)
	v_add_co_ci_u32_e32 v6, vcc_lo, s9, v6, vcc_lo
	global_store_b16 v[5:6], v0, off
	s_or_b32 exec_lo, exec_lo, s3
	s_and_saveexec_b32 s0, s1
	s_cbranch_execz .LBB170_64
.LBB170_87:
	v_bfe_u32 v0, v234, 16, 1
	v_dual_mov_b32 v3, 0 :: v_dual_add_nc_u32 v2, v1, v3
	v_cmp_o_f32_e32 vcc_lo, v234, v234
	s_delay_alu instid0(VALU_DEP_3) | instskip(NEXT) | instid1(VALU_DEP_3)
	v_add3_u32 v0, v234, v0, 0x7fff
	v_lshlrev_b64 v[2:3], 1, v[2:3]
	s_delay_alu instid0(VALU_DEP_2) | instskip(NEXT) | instid1(VALU_DEP_1)
	v_lshrrev_b32_e32 v0, 16, v0
	v_cndmask_b32_e32 v0, 0x7fc0, v0, vcc_lo
	s_waitcnt lgkmcnt(0)
	s_delay_alu instid0(VALU_DEP_3) | instskip(NEXT) | instid1(VALU_DEP_4)
	v_add_co_u32 v2, vcc_lo, s8, v2
	v_add_co_ci_u32_e32 v3, vcc_lo, s9, v3, vcc_lo
	global_store_b16 v[2:3], v0, off
	s_or_b32 exec_lo, exec_lo, s0
	s_delay_alu instid0(SALU_CYCLE_1)
	s_and_b32 exec_lo, exec_lo, s2
	s_cbranch_execnz .LBB170_65
	s_branch .LBB170_66
	.section	.rodata,"a",@progbits
	.p2align	6, 0x0
	.amdhsa_kernel _ZL12mul_mat_q3_KIN3c108BFloat16ELb1EEvPKvS3_PT_iiiii
		.amdhsa_group_segment_fixed_size 39840
		.amdhsa_private_segment_fixed_size 592
		.amdhsa_kernarg_size 44
		.amdhsa_user_sgpr_count 14
		.amdhsa_user_sgpr_dispatch_ptr 0
		.amdhsa_user_sgpr_queue_ptr 0
		.amdhsa_user_sgpr_kernarg_segment_ptr 1
		.amdhsa_user_sgpr_dispatch_id 0
		.amdhsa_user_sgpr_private_segment_size 0
		.amdhsa_wavefront_size32 1
		.amdhsa_uses_dynamic_stack 0
		.amdhsa_enable_private_segment 1
		.amdhsa_system_sgpr_workgroup_id_x 1
		.amdhsa_system_sgpr_workgroup_id_y 1
		.amdhsa_system_sgpr_workgroup_id_z 0
		.amdhsa_system_sgpr_workgroup_info 0
		.amdhsa_system_vgpr_workitem_id 1
		.amdhsa_next_free_vgpr 256
		.amdhsa_next_free_sgpr 23
		.amdhsa_reserve_vcc 1
		.amdhsa_float_round_mode_32 0
		.amdhsa_float_round_mode_16_64 0
		.amdhsa_float_denorm_mode_32 3
		.amdhsa_float_denorm_mode_16_64 3
		.amdhsa_dx10_clamp 1
		.amdhsa_ieee_mode 1
		.amdhsa_fp16_overflow 0
		.amdhsa_workgroup_processor_mode 1
		.amdhsa_memory_ordered 1
		.amdhsa_forward_progress 0
		.amdhsa_shared_vgpr_count 0
		.amdhsa_exception_fp_ieee_invalid_op 0
		.amdhsa_exception_fp_denorm_src 0
		.amdhsa_exception_fp_ieee_div_zero 0
		.amdhsa_exception_fp_ieee_overflow 0
		.amdhsa_exception_fp_ieee_underflow 0
		.amdhsa_exception_fp_ieee_inexact 0
		.amdhsa_exception_int_div_zero 0
	.end_amdhsa_kernel
	.section	.text._ZL12mul_mat_q3_KIN3c108BFloat16ELb1EEvPKvS3_PT_iiiii,"axG",@progbits,_ZL12mul_mat_q3_KIN3c108BFloat16ELb1EEvPKvS3_PT_iiiii,comdat
.Lfunc_end170:
	.size	_ZL12mul_mat_q3_KIN3c108BFloat16ELb1EEvPKvS3_PT_iiiii, .Lfunc_end170-_ZL12mul_mat_q3_KIN3c108BFloat16ELb1EEvPKvS3_PT_iiiii
                                        ; -- End function
	.section	.AMDGPU.csdata,"",@progbits
; Kernel info:
; codeLenInByte = 35240
; NumSgprs: 25
; NumVgprs: 256
; ScratchSize: 592
; MemoryBound: 0
; FloatMode: 240
; IeeeMode: 1
; LDSByteSize: 39840 bytes/workgroup (compile time only)
; SGPRBlocks: 3
; VGPRBlocks: 31
; NumSGPRsForWavesPerEU: 25
; NumVGPRsForWavesPerEU: 256
; Occupancy: 5
; WaveLimiterHint : 0
; COMPUTE_PGM_RSRC2:SCRATCH_EN: 1
; COMPUTE_PGM_RSRC2:USER_SGPR: 14
; COMPUTE_PGM_RSRC2:TRAP_HANDLER: 0
; COMPUTE_PGM_RSRC2:TGID_X_EN: 1
; COMPUTE_PGM_RSRC2:TGID_Y_EN: 1
; COMPUTE_PGM_RSRC2:TGID_Z_EN: 0
; COMPUTE_PGM_RSRC2:TIDIG_COMP_CNT: 1
	.section	.text._ZL12mul_mat_q4_KIN3c108BFloat16ELb0EEvPKvS3_PT_iiiii,"axG",@progbits,_ZL12mul_mat_q4_KIN3c108BFloat16ELb0EEvPKvS3_PT_iiiii,comdat
	.globl	_ZL12mul_mat_q4_KIN3c108BFloat16ELb0EEvPKvS3_PT_iiiii ; -- Begin function _ZL12mul_mat_q4_KIN3c108BFloat16ELb0EEvPKvS3_PT_iiiii
	.p2align	8
	.type	_ZL12mul_mat_q4_KIN3c108BFloat16ELb0EEvPKvS3_PT_iiiii,@function
_ZL12mul_mat_q4_KIN3c108BFloat16ELb0EEvPKvS3_PT_iiiii: ; @_ZL12mul_mat_q4_KIN3c108BFloat16ELb0EEvPKvS3_PT_iiiii
; %bb.0:
	s_clause 0x1
	s_load_b32 s11, s[0:1], 0x18
	s_load_b128 s[4:7], s[0:1], 0x20
	v_bfe_u32 v28, v0, 10, 10
	v_and_b32_e32 v1, 0x3ff, v0
	s_waitcnt lgkmcnt(0)
	s_lshl_b32 s7, s15, 6
	scratch_store_b32 off, v1, off offset:1284 ; 4-byte Folded Spill
	s_cmpk_gt_i32 s11, 0xff
	s_cbranch_scc1 .LBB171_2
; %bb.1:
	v_bfe_u32 v1, v0, 10, 10
	v_and_b32_e32 v0, 0x3ff, v0
	s_mov_b32 s2, 0
	s_mov_b32 s3, 0
	s_delay_alu instid0(VALU_DEP_2)
	v_add_nc_u32_e32 v2, s7, v1
	s_branch .LBB171_3
.LBB171_2:
	s_mov_b32 s2, -1
                                        ; implicit-def: $sgpr3
                                        ; implicit-def: $vgpr1
                                        ; implicit-def: $vgpr0
                                        ; implicit-def: $vgpr2
.LBB171_3:
	s_load_b64 s[8:9], s[0:1], 0x10
	v_dual_mov_b32 v30, s3 :: v_dual_mov_b32 v31, s3
	v_dual_mov_b32 v80, s3 :: v_dual_mov_b32 v253, s3
	;; [unrolled: 1-line block ×5, first 2 shown]
	v_mov_b32_e32 v10, s3
	v_mov_b32_e32 v72, s3
	s_and_not1_b32 vcc_lo, exec_lo, s2
	s_lshl_b32 s10, s14, 7
	s_clause 0x13
	scratch_store_b32 off, v30, off offset:1152
	scratch_store_b32 off, v30, off offset:1136
	;; [unrolled: 1-line block ×20, first 2 shown]
	s_cbranch_vccnz .LBB171_11
; %bb.4:
	scratch_load_b32 v29, off, off offset:1284 ; 4-byte Folded Reload
	s_load_b128 s[0:3], s[0:1], 0x0
	s_ashr_i32 s12, s11, 31
	s_ashr_i32 s13, s5, 31
	s_lshr_b32 s12, s12, 24
	s_lshr_b32 s13, s13, 27
	s_add_i32 s11, s11, s12
	s_add_i32 s12, s5, s13
	s_ashr_i32 s5, s11, 8
	s_ashr_i32 s13, s12, 5
	s_mul_i32 s11, s5, s10
	v_mov_b32_e32 v72, 0
	s_mul_i32 s12, s11, 0x90
	s_mul_hi_i32 s14, s11, 0x90
	v_add_nc_u32_e32 v15, s7, v28
	v_mul_i32_i24_e32 v32, s5, v28
	v_mov_b32_e32 v33, 0
	v_dual_mov_b32 v37, 0 :: v_dual_lshlrev_b32 v20, 5, v28
	s_delay_alu instid0(VALU_DEP_4)
	v_dual_mov_b32 v253, 0 :: v_dual_add_nc_u32 v10, 32, v15
	s_waitcnt lgkmcnt(0)
	s_add_u32 s11, s0, s12
	s_addc_u32 s12, s1, s14
	s_lshl_b32 s0, s5, 3
	s_add_i32 s1, s4, -1
	v_mad_i32_i24 v7, s5, v28, s0
	v_cvt_f64_i32_e32 v[2:3], s1
	v_add_nc_u32_e32 v12, 40, v15
	v_cvt_f64_u32_e32 v[0:1], v15
	v_add_nc_u32_e32 v8, 24, v15
	v_add_nc_u32_e32 v11, s0, v7
	scratch_store_b32 off, v7, off offset:1396 ; 4-byte Folded Spill
	v_dual_mov_b32 v35, 0 :: v_dual_add_nc_u32 v14, 48, v15
	v_add_nc_u32_e32 v17, 56, v15
	v_add_nc_u32_e32 v16, s0, v11
	scratch_store_b32 off, v11, off offset:1400 ; 4-byte Folded Spill
	v_cvt_f64_u32_e32 v[10:11], v10
	v_cvt_f64_u32_e32 v[12:13], v12
	;; [unrolled: 1-line block ×3, first 2 shown]
	v_add_nc_u32_e32 v18, s0, v16
	scratch_store_b32 off, v16, off offset:1404 ; 4-byte Folded Spill
	v_dual_mov_b32 v74, 0 :: v_dual_lshlrev_b32 v21, 3, v28
	v_mov_b32_e32 v34, 0
	v_add_nc_u32_e32 v24, s0, v18
	scratch_store_b32 off, v18, off offset:1408 ; 4-byte Folded Spill
	v_cvt_f64_u32_e32 v[17:18], v17
	v_mov_b32_e32 v80, 0
	scratch_store_b32 off, v24, off offset:1412 ; 4-byte Folded Spill
	v_add_nc_u32_e32 v27, s0, v24
	v_min_f64 v[0:1], v[0:1], v[2:3]
	v_min_f64 v[10:11], v[10:11], v[2:3]
	;; [unrolled: 1-line block ×4, first 2 shown]
	s_delay_alu instid0(VALU_DEP_4) | instskip(NEXT) | instid1(VALU_DEP_4)
	v_cvt_i32_f64_e32 v0, v[0:1]
	v_cvt_i32_f64_e32 v10, v[10:11]
	s_delay_alu instid0(VALU_DEP_4) | instskip(NEXT) | instid1(VALU_DEP_4)
	v_cvt_i32_f64_e32 v11, v[12:13]
	v_cvt_i32_f64_e32 v8, v[8:9]
	s_delay_alu instid0(VALU_DEP_4)
	v_mul_lo_u32 v0, s13, v0
	s_waitcnt vmcnt(0)
	v_lshlrev_b32_e32 v19, 2, v29
	v_and_b32_e32 v16, 3, v29
	v_lshrrev_b32_e32 v22, 2, v29
	v_lshrrev_b32_e32 v30, 5, v29
	v_lshlrev_b32_e32 v39, 4, v29
	v_and_b32_e32 v23, 0x7c, v19
	v_mad_u32_u24 v31, 0x84, v28, v19
	scratch_store_b32 off, v15, off offset:1580 ; 4-byte Folded Spill
	v_add_nc_u32_e32 v25, 0xfe, v16
	v_cmp_gt_u32_e32 vcc_lo, 2, v16
	s_clause 0x2
	scratch_store_b32 off, v23, off offset:1416
	scratch_store_b32 off, v32, off offset:1428
	;; [unrolled: 1-line block ×3, first 2 shown]
	v_add_nc_u32_e32 v32, 0x420, v31
	v_add_nc_u32_e32 v27, s0, v27
	;; [unrolled: 1-line block ×3, first 2 shown]
	v_and_b32_e32 v26, 4, v19
	v_add_nc_u32_e32 v6, 16, v15
	scratch_store_b32 off, v32, off offset:1436 ; 4-byte Folded Spill
	v_add_nc_u32_e32 v32, 0x840, v31
	v_cvt_f64_u32_e32 v[4:5], v4
	v_cvt_f64_u32_e32 v[14:15], v14
	;; [unrolled: 1-line block ×3, first 2 shown]
	v_add_nc_u32_e32 v23, v20, v29
	scratch_store_b32 off, v32, off offset:1440 ; 4-byte Folded Spill
	v_add_nc_u32_e32 v32, 0xc60, v31
	v_add_nc_u32_e32 v24, v22, v21
	v_add_nc_u16 v21, v22, v21
	v_lshlrev_b32_e32 v22, 2, v16
	scratch_store_b32 off, v32, off offset:1444 ; 4-byte Folded Spill
	v_add_nc_u32_e32 v32, 0x1080, v31
	s_clause 0x1
	scratch_store_b32 off, v32, off offset:1448
	scratch_store_b32 off, v27, off offset:1432
	v_add_nc_u32_e32 v32, 0x14a0, v31
	v_add_nc_u32_e32 v27, s0, v27
	scratch_store_b32 off, v32, off offset:1456 ; 4-byte Folded Spill
	v_add_nc_u32_e32 v32, 0x18c0, v31
	scratch_store_b32 off, v32, off offset:1460 ; 4-byte Folded Spill
	;; [unrolled: 2-line block ×3, first 2 shown]
	v_add_nc_u32_e32 v32, 0x2100, v31
	s_clause 0x1
	scratch_store_b32 off, v32, off offset:1468
	scratch_store_b32 off, v27, off offset:1452
	v_add_nc_u32_e32 v32, 0x2520, v31
	v_add_nc_u32_e32 v27, s0, v27
	v_min_f64 v[4:5], v[4:5], v[2:3]
	v_min_f64 v[6:7], v[6:7], v[2:3]
	;; [unrolled: 1-line block ×3, first 2 shown]
	s_clause 0x1
	scratch_store_b32 off, v32, off offset:1476
	scratch_store_b32 off, v27, off offset:1472
	v_add_nc_u32_e32 v32, 0x2940, v31
	v_add_nc_u32_e32 v27, s0, v27
	v_min_f64 v[2:3], v[17:18], v[2:3]
	v_cndmask_b32_e32 v17, v25, v16, vcc_lo
	v_cmp_ne_u32_e32 vcc_lo, 0, v16
	s_clause 0x1
	scratch_store_b32 off, v32, off offset:1484
	scratch_store_b32 off, v27, off offset:1480
	v_add_nc_u32_e32 v32, 0x2d60, v31
	v_add_nc_u32_e32 v27, s0, v27
	v_and_b32_e32 v17, 0xff, v17
	scratch_store_b32 off, v32, off offset:1488 ; 4-byte Folded Spill
	v_add_nc_u32_e32 v32, 0x3180, v31
	v_lshlrev_b32_e32 v12, 1, v17
	scratch_store_b32 off, v32, off offset:1496 ; 4-byte Folded Spill
	v_add_nc_u32_e32 v32, 0x35a0, v31
	scratch_store_b32 off, v32, off offset:1500 ; 4-byte Folded Spill
	v_add_nc_u32_e32 v32, 0x39c0, v31
	s_clause 0x1
	scratch_store_b32 off, v32, off offset:1504
	scratch_store_b32 off, v27, off offset:1492
	v_add_nc_u32_e32 v32, s0, v27
	v_and_b32_e32 v27, 0x7f, v23
	v_lshrrev_b32_e32 v23, 3, v23
	scratch_store_b32 off, v31, off offset:1420 ; 4-byte Folded Spill
	v_add_nc_u32_e32 v31, 0x3de0, v31
	v_cvt_i32_f64_e32 v4, v[4:5]
	v_lshrrev_b16 v5, 1, v21
	v_and_b32_e32 v18, 12, v23
	v_lshlrev_b32_e32 v23, 2, v27
	v_mul_i32_i24_e32 v27, s5, v27
	scratch_store_b32 off, v32, off offset:1508 ; 4-byte Folded Spill
	v_add_nc_u32_e32 v32, s0, v32
	scratch_store_b32 off, v31, off offset:1520 ; 4-byte Folded Spill
	v_add3_u32 v18, v23, v18, 0x6e40
	scratch_store_b32 off, v27, off offset:1524 ; 4-byte Folded Spill
	v_cvt_i32_f64_e32 v6, v[6:7]
	v_add_nc_u32_e32 v25, s0, v32
	s_clause 0x2
	scratch_store_b32 off, v32, off offset:1512
	scratch_store_b32 off, v18, off offset:1528
	;; [unrolled: 1-line block ×3, first 2 shown]
	v_add_nc_u32_e32 v18, s0, v25
	v_and_b32_e32 v5, 60, v5
	v_cvt_i32_f64_e32 v2, v[2:3]
	v_and_b32_e32 v3, 28, v19
	v_mov_b32_e32 v31, 0
	scratch_store_b32 off, v18, off offset:1532 ; 4-byte Folded Spill
	v_add_co_ci_u32_e32 v18, vcc_lo, 0, v17, vcc_lo
	v_cmp_lt_u32_e32 vcc_lo, 1, v16
	v_cndmask_b32_e32 v23, 0, v26, vcc_lo
	v_cndmask_b32_e64 v1, 0, 1, vcc_lo
	v_mov_b32_e32 v26, 0
	scratch_store_b32 off, v23, off offset:1536 ; 4-byte Folded Spill
	v_and_b32_e32 v23, 0x7f, v24
	s_delay_alu instid0(VALU_DEP_1) | instskip(SKIP_2) | instid1(VALU_DEP_3)
	v_lshl_or_b32 v7, v23, 4, v22
	v_mul_i32_i24_e32 v13, s5, v23
	v_xor_b32_e32 v9, 64, v23
	v_add3_u32 v5, v7, v5, 0x6200
	scratch_store_b32 off, v13, off offset:1544 ; 4-byte Folded Spill
	v_add_co_u32 v13, s0, s2, v3
	v_lshl_or_b32 v7, v9, 4, v22
	scratch_store_b32 off, v5, off offset:1548 ; 4-byte Folded Spill
	v_cvt_i32_f64_e32 v5, v[14:15]
	v_add_co_ci_u32_e64 v14, null, s3, 0, s0
	v_mul_lo_u32 v2, s13, v2
	scratch_store_b64 off, v[13:14], off offset:1288 ; 8-byte Folded Spill
	v_mul_lo_u32 v5, s13, v5
	s_clause 0x1
	scratch_store_b32 off, v0, off offset:1300
	scratch_store_b32 off, v12, off offset:1540
	v_lshrrev_b32_e32 v12, 1, v9
	v_mul_i32_i24_e32 v9, s5, v9
	scratch_store_b32 off, v5, off offset:1348 ; 4-byte Folded Spill
	v_and_b32_e32 v12, 60, v12
	s_delay_alu instid0(VALU_DEP_1)
	v_add3_u32 v7, v7, v12, 0x6200
	scratch_store_b32 off, v9, off offset:1552 ; 4-byte Folded Spill
	v_and_b32_e32 v9, 63, v24
	scratch_store_b32 off, v7, off offset:1556 ; 4-byte Folded Spill
	v_and_b32_e32 v7, 31, v29
	v_or_b32_e32 v12, s7, v9
	v_lshl_or_b32 v9, v9, 4, v22
	s_delay_alu instid0(VALU_DEP_3) | instskip(NEXT) | instid1(VALU_DEP_3)
	v_or_b32_e32 v13, v20, v7
	v_min_i32_e32 v3, s1, v12
	v_lshlrev_b32_e32 v12, 7, v28
	s_delay_alu instid0(VALU_DEP_3) | instskip(NEXT) | instid1(VALU_DEP_3)
	v_lshl_add_u32 v0, v13, 2, 0x4200
	v_mad_u64_u32 v[14:15], null, v3, s13, v[16:17]
	s_delay_alu instid0(VALU_DEP_3) | instskip(SKIP_1) | instid1(VALU_DEP_2)
	v_lshl_or_b32 v3, v7, 2, v12
	v_add_nc_u32_e32 v7, 0x6a40, v9
	v_add_nc_u32_e32 v5, 0x5a00, v3
	s_clause 0x1
	scratch_store_b32 off, v7, off offset:1296
	scratch_store_b32 off, v0, off offset:1304
	v_mul_lo_u32 v0, s13, v4
	scratch_store_b64 off, v[14:15], off offset:1560 ; 8-byte Folded Spill
	v_add_nc_u32_e32 v4, 64, v29
	scratch_store_b32 off, v5, off offset:1352 ; 4-byte Folded Spill
	v_lshrrev_b32_e32 v7, 3, v4
	scratch_store_b32 off, v0, off offset:1308 ; 4-byte Folded Spill
	v_add_nc_u32_e32 v0, 0x4600, v3
	v_and_b32_e32 v7, 60, v7
	scratch_store_b32 off, v0, off offset:1312 ; 4-byte Folded Spill
	v_mul_lo_u32 v0, s13, v6
	v_add_nc_u32_e32 v6, 0x60, v29
	scratch_store_b32 off, v0, off offset:1316 ; 4-byte Folded Spill
	v_add_nc_u32_e32 v0, 0x4a00, v3
	scratch_store_b32 off, v0, off offset:1320 ; 4-byte Folded Spill
	v_mul_lo_u32 v0, s13, v8
	v_lshrrev_b32_e32 v8, 3, v6
	s_delay_alu instid0(VALU_DEP_1)
	v_and_b32_e32 v8, 60, v8
	scratch_store_b32 off, v0, off offset:1324 ; 4-byte Folded Spill
	v_add_nc_u32_e32 v0, 0x4e00, v3
	scratch_store_b32 off, v0, off offset:1328 ; 4-byte Folded Spill
	v_mul_lo_u32 v0, s13, v10
	scratch_store_b32 off, v0, off offset:1332 ; 4-byte Folded Spill
	v_add_nc_u32_e32 v0, 0x5200, v3
	scratch_store_b32 off, v0, off offset:1336 ; 4-byte Folded Spill
	v_mul_lo_u32 v0, s13, v11
	s_mov_b32 s13, 0
	scratch_store_b32 off, v0, off offset:1340 ; 4-byte Folded Spill
	v_add_nc_u32_e32 v0, 0x5600, v3
	v_add_nc_u32_e32 v3, 0x5e00, v3
	scratch_store_b32 off, v0, off offset:1344 ; 4-byte Folded Spill
	v_add_nc_u32_e32 v0, 32, v29
	s_clause 0x1
	scratch_store_b32 off, v2, off offset:1356
	scratch_store_b32 off, v30, off offset:1392
	v_lshlrev_b32_e32 v2, 2, v30
	v_mov_b32_e32 v30, 0
	v_lshrrev_b32_e32 v5, 3, v0
	v_lshrrev_b32_e32 v0, 1, v0
	s_delay_alu instid0(VALU_DEP_4)
	v_add3_u32 v2, v2, v19, 0x6e40
	scratch_store_b32 off, v3, off offset:1360 ; 4-byte Folded Spill
	v_lshrrev_b32_e32 v3, 1, v4
	v_and_b32_e32 v5, 60, v5
	v_and_b32_e32 v73, 0xfc, v0
	scratch_store_b32 off, v2, off offset:1364 ; 4-byte Folded Spill
	v_lshlrev_b32_e32 v0, 2, v18
	v_lshrrev_b32_e32 v4, 1, v29
	v_add3_u32 v2, v19, v5, 0x6e40
	v_and_b32_e32 v75, 0xfc, v3
	s_delay_alu instid0(VALU_DEP_3)
	v_and_b32_e32 v40, 0x7c, v4
	scratch_store_b32 off, v2, off offset:1368 ; 4-byte Folded Spill
	v_add3_u32 v2, v19, v7, 0x6e40
	scratch_store_b32 off, v2, off offset:1372 ; 4-byte Folded Spill
	v_add3_u32 v2, v19, v8, 0x6e40
	scratch_store_b32 off, v2, off offset:1376 ; 4-byte Folded Spill
	v_mul_u32_u24_e32 v2, 0x84, v29
	s_clause 0x2
	scratch_store_b32 off, v2, off offset:1380
	scratch_store_b32 off, v28, off offset:1576
	;; [unrolled: 1-line block ×3, first 2 shown]
	v_lshlrev_b32_e32 v0, 2, v1
	v_lshl_add_u32 v2, v28, 4, 0x6a40
	v_mov_b32_e32 v28, 0
	scratch_store_b32 off, v0, off offset:1572 ; 4-byte Folded Spill
	v_mov_b32_e32 v0, 0
	scratch_store_b32 off, v0, off offset:1116 ; 4-byte Folded Spill
	;; [unrolled: 2-line block ×12, first 2 shown]
	v_add_nc_u32_e32 v2, 0x4200, v12
	scratch_store_b32 off, v0, off offset:1100 ; 4-byte Folded Spill
	v_mov_b32_e32 v0, 0
	scratch_store_b32 off, v2, off offset:1388 ; 4-byte Folded Spill
	v_lshrrev_b32_e32 v2, 1, v6
	scratch_store_b32 off, v0, off offset:1108 ; 4-byte Folded Spill
	v_mov_b32_e32 v0, 0
	v_and_b32_e32 v2, 0xfc, v2
	scratch_store_b32 off, v0, off offset:1124 ; 4-byte Folded Spill
	v_mov_b32_e32 v0, 0
	scratch_store_b32 off, v0, off offset:1140 ; 4-byte Folded Spill
	v_mov_b32_e32 v0, 0
	;; [unrolled: 2-line block ×3, first 2 shown]
	s_clause 0x1
	scratch_store_b32 off, v2, off offset:1264
	scratch_store_b32 off, v0, off offset:1096
	v_mov_b32_e32 v0, 0
	scratch_store_b32 off, v0, off offset:1104 ; 4-byte Folded Spill
	v_mov_b32_e32 v0, 0
	scratch_store_b32 off, v0, off offset:1120 ; 4-byte Folded Spill
	;; [unrolled: 2-line block ×3, first 2 shown]
	v_mov_b32_e32 v0, 0
	s_clause 0x4
	scratch_store_b32 off, v0, off offset:1152
	scratch_store_b32 off, v39, off offset:1260
	;; [unrolled: 1-line block ×5, first 2 shown]
.LBB171_5:                              ; =>This Loop Header: Depth=1
                                        ;     Child Loop BB171_6 Depth 2
                                        ;       Child Loop BB171_7 Depth 3
	s_clause 0x7
	scratch_load_b32 v2, off, off offset:1392
	scratch_load_b32 v6, off, off offset:1396
	;; [unrolled: 1-line block ×8, first 2 shown]
	s_mul_i32 s0, s13, 0x90
	s_mul_hi_u32 s1, s13, 0x90
	s_add_u32 s0, s11, s0
	s_addc_u32 s1, s12, s1
	s_mov_b32 s14, -1
	s_mov_b32 s15, 0
	s_clause 0x1
	scratch_load_b32 v4, off, off offset:1428
	scratch_load_b32 v20, off, off offset:1544
	s_waitcnt vmcnt(9)
	v_mad_u64_u32 v[0:1], null, 0x90, v2, s[0:1]
	scratch_load_b32 v2, off, off offset:1416 ; 4-byte Folded Reload
	s_waitcnt vmcnt(0)
	v_add_co_u32 v0, vcc_lo, v0, v2
	v_add_co_ci_u32_e32 v1, vcc_lo, 0, v1, vcc_lo
	s_delay_alu instid0(VALU_DEP_2) | instskip(NEXT) | instid1(VALU_DEP_2)
	v_add_co_u32 v0, vcc_lo, v0, 16
	v_add_co_ci_u32_e32 v1, vcc_lo, 0, v1, vcc_lo
	s_delay_alu instid0(VALU_DEP_1)
	v_mad_u64_u32 v[2:3], null, 0x90, v4, v[0:1]
	v_mad_u64_u32 v[4:5], null, 0x90, v6, v[0:1]
	;; [unrolled: 1-line block ×9, first 2 shown]
	s_clause 0x7
	global_load_b32 v20, v[2:3], off
	global_load_b32 v27, v[4:5], off
	;; [unrolled: 1-line block ×8, first 2 shown]
	s_clause 0x5
	scratch_load_b32 v4, off, off offset:1452
	scratch_load_b32 v6, off, off offset:1472
	;; [unrolled: 1-line block ×6, first 2 shown]
	v_add_co_u32 v12, vcc_lo, v18, 4
	v_add_co_ci_u32_e32 v13, vcc_lo, 0, v19, vcc_lo
	s_waitcnt vmcnt(5)
	v_mad_u64_u32 v[2:3], null, 0x90, v4, v[0:1]
	s_waitcnt vmcnt(4)
	v_mad_u64_u32 v[4:5], null, 0x90, v6, v[0:1]
	;; [unrolled: 2-line block ×4, first 2 shown]
	v_add_co_u32 v10, vcc_lo, v12, v16
	v_add_co_ci_u32_e32 v11, vcc_lo, 0, v13, vcc_lo
	s_delay_alu instid0(VALU_DEP_4) | instskip(SKIP_3) | instid1(VALU_DEP_4)
	v_add_co_u32 v14, vcc_lo, v6, 4
	v_add_co_ci_u32_e32 v15, vcc_lo, 0, v7, vcc_lo
	v_add_co_u32 v6, vcc_lo, v12, v17
	v_add_co_ci_u32_e32 v7, vcc_lo, 0, v13, vcc_lo
	v_add_co_u32 v12, vcc_lo, v14, v16
	s_delay_alu instid0(VALU_DEP_4)
	v_add_co_ci_u32_e32 v13, vcc_lo, 0, v15, vcc_lo
	v_add_co_u32 v14, vcc_lo, v14, v17
	v_add_co_ci_u32_e32 v15, vcc_lo, 0, v15, vcc_lo
	s_clause 0x2
	global_load_b32 v18, v[10:11], off
	global_load_b32 v19, v[6:7], off
	;; [unrolled: 1-line block ×3, first 2 shown]
	scratch_load_b32 v10, off, off offset:1492 ; 4-byte Folded Reload
	global_load_b32 v29, v[14:15], off
	s_clause 0x3
	scratch_load_b32 v12, off, off offset:1508
	scratch_load_b32 v14, off, off offset:1512
	;; [unrolled: 1-line block ×4, first 2 shown]
	s_waitcnt vmcnt(5)
	v_mad_u64_u32 v[6:7], null, 0x90, v10, v[0:1]
	s_waitcnt vmcnt(3)
	v_mad_u64_u32 v[10:11], null, 0x90, v12, v[0:1]
	;; [unrolled: 2-line block ×5, first 2 shown]
	scratch_load_b32 v38, off, off offset:1524 ; 4-byte Folded Reload
	s_waitcnt vmcnt(0)
	v_mad_u64_u32 v[0:1], null, 0x90, v38, s[0:1]
	s_clause 0x8
	global_load_b32 v2, v[2:3], off
	global_load_b32 v3, v[4:5], off
	;; [unrolled: 1-line block ×9, first 2 shown]
	s_clause 0x3
	scratch_load_b32 v10, off, off offset:1536
	scratch_load_b64 v[11:12], off, off offset:1560
	scratch_load_b32 v13, off, off offset:1420
	scratch_load_b32 v12, off, off offset:1540
	s_lshl_b32 s0, s13, 3
	s_waitcnt vmcnt(3)
	v_ashrrev_i32_e32 v1, v10, v18
	s_waitcnt vmcnt(2)
	v_add_nc_u32_e32 v11, s0, v11
	s_waitcnt vmcnt(1)
	ds_store_b32 v13, v20
	scratch_load_b32 v13, off, off offset:1436 ; 4-byte Folded Reload
	v_ashrrev_i32_e32 v10, v10, v41
	v_and_b32_e32 v1, 0xf0f0f0f, v1
	scratch_store_b32 off, v11, off offset:1280 ; 4-byte Folded Spill
	s_waitcnt vmcnt(1)
	v_ashrrev_i32_e32 v11, v12, v19
	v_ashrrev_i32_e32 v12, v12, v29
	v_and_b32_e32 v10, 0xf0f0f0f, v10
	s_delay_alu instid0(VALU_DEP_3)
	v_and_or_b32 v1, 0x30303030, v11, v1
	s_waitcnt vmcnt(0)
	ds_store_b32 v13, v27
	scratch_load_b32 v13, off, off offset:1440 ; 4-byte Folded Reload
	s_waitcnt vmcnt(0)
	ds_store_b32 v13, v36
	scratch_load_b32 v13, off, off offset:1444 ; 4-byte Folded Reload
	;; [unrolled: 3-line block ×8, first 2 shown]
	s_waitcnt vmcnt(0)
	ds_store_b32 v2, v3
	s_clause 0x1
	scratch_load_b32 v2, off, off offset:1484
	scratch_load_b32 v3, off, off offset:1504
	s_waitcnt vmcnt(1)
	ds_store_b32 v2, v4
	scratch_load_b32 v2, off, off offset:1488 ; 4-byte Folded Reload
	s_waitcnt vmcnt(1)
	ds_store_b32 v3, v8
	scratch_load_b32 v3, off, off offset:1520 ; 4-byte Folded Reload
	;; [unrolled: 3-line block ×5, first 2 shown]
	s_waitcnt vmcnt(0)
	ds_store_b32 v2, v7
	ds_store_b32 v3, v0
	scratch_load_b32 v0, off, off offset:1548 ; 4-byte Folded Reload
	v_and_or_b32 v2, 0x30303030, v12, v10
	s_waitcnt vmcnt(0)
	ds_store_b32 v0, v1
	scratch_load_b32 v0, off, off offset:1556 ; 4-byte Folded Reload
	s_waitcnt vmcnt(0)
	ds_store_b32 v0, v2
.LBB171_6:                              ;   Parent Loop BB171_5 Depth=1
                                        ; =>  This Loop Header: Depth=2
                                        ;       Child Loop BB171_7 Depth 3
	s_clause 0x3
	scratch_store_b32 off, v28, off offset:1080
	scratch_store_b32 off, v35, off offset:1076
	;; [unrolled: 1-line block ×4, first 2 shown]
	s_clause 0x1
	scratch_load_b32 v0, off, off offset:1284
	scratch_load_b64 v[19:20], off, off offset:1288
	s_lshl_b32 s1, s15, 4
	s_xor_b32 s14, s14, -1
	s_mov_b32 s16, 0
	s_waitcnt vmcnt(1)
	v_lshl_add_u32 v0, s15, 5, v0
	s_delay_alu instid0(VALU_DEP_1) | instskip(NEXT) | instid1(VALU_DEP_1)
	v_lshrrev_b32_e32 v0, 3, v0
	v_add_nc_u32_e32 v12, s0, v0
	scratch_load_b32 v0, off, off offset:1300 ; 4-byte Folded Reload
	s_waitcnt vmcnt(0)
	v_add_nc_u32_e32 v2, v12, v0
	scratch_load_b32 v0, off, off offset:1308 ; 4-byte Folded Reload
	s_waitcnt vmcnt(0)
	;; [unrolled: 3-line block ×7, first 2 shown]
	v_add_nc_u32_e32 v14, v12, v0
	v_mad_i64_i32 v[0:1], null, v2, 36, v[19:20]
	v_mad_i64_i32 v[2:3], null, v4, 36, v[19:20]
	;; [unrolled: 1-line block ×6, first 2 shown]
	scratch_load_b32 v13, off, off offset:1356 ; 4-byte Folded Reload
	s_waitcnt vmcnt(0)
	v_add_nc_u32_e32 v16, v12, v13
	scratch_load_b32 v12, off, off offset:1280 ; 4-byte Folded Reload
	s_waitcnt vmcnt(0)
	v_lshl_add_u32 v18, s15, 2, v12
	v_mad_i64_i32 v[12:13], null, v14, 36, v[19:20]
	v_mad_i64_i32 v[14:15], null, v16, 36, v[19:20]
	s_delay_alu instid0(VALU_DEP_3)
	v_mad_u64_u32 v[16:17], null, v18, 36, s[2:3]
	s_clause 0x8
	global_load_b32 v0, v[0:1], off offset:4
	global_load_b32 v1, v[2:3], off offset:4
	;; [unrolled: 1-line block ×8, first 2 shown]
	global_load_b32 v8, v[16:17], off
	scratch_load_b32 v9, off, off offset:1304 ; 4-byte Folded Reload
	s_waitcnt vmcnt(0)
	ds_store_b32 v9, v0
	scratch_load_b32 v0, off, off offset:1312 ; 4-byte Folded Reload
	s_waitcnt vmcnt(0)
	ds_store_b32 v0, v1
	;; [unrolled: 3-line block ×9, first 2 shown]
	s_waitcnt lgkmcnt(0)
	s_waitcnt_vscnt null, 0x0
	s_barrier
	buffer_gl0_inv
	s_clause 0x6
	scratch_load_b32 v0, off, off offset:1364
	scratch_load_b32 v1, off, off offset:1368
	;; [unrolled: 1-line block ×7, first 2 shown]
	s_waitcnt vmcnt(6)
	ds_load_b32 v0, v0
	s_waitcnt vmcnt(5)
	ds_load_b32 v1, v1 offset:128
	s_waitcnt vmcnt(4)
	ds_load_b32 v2, v2 offset:256
	;; [unrolled: 2-line block ×3, first 2 shown]
	s_waitcnt vmcnt(2)
	v_lshl_add_u32 v17, s15, 6, v4
	s_add_i32 s15, s1, 16
	s_waitcnt lgkmcnt(3)
	v_cvt_f32_f16_e32 v4, v0
	v_lshrrev_b32_e32 v0, 16, v0
	scratch_store_b32 off, v4, off offset:1240 ; 4-byte Folded Spill
	s_waitcnt lgkmcnt(2)
	v_cvt_f32_f16_e32 v4, v1
	v_lshrrev_b32_e32 v1, 16, v1
	v_cvt_f32_f16_e32 v0, v0
	scratch_store_b32 off, v4, off offset:1244 ; 4-byte Folded Spill
	s_waitcnt lgkmcnt(1)
	v_cvt_f32_f16_e32 v4, v2
	v_lshrrev_b32_e32 v2, 16, v2
	scratch_store_b32 off, v0, off offset:1088 ; 4-byte Folded Spill
	v_cvt_f32_f16_e32 v0, v1
	scratch_store_b32 off, v4, off offset:1084 ; 4-byte Folded Spill
	s_waitcnt lgkmcnt(0)
	v_lshrrev_b32_e32 v4, 16, v3
	v_cvt_f32_f16_e32 v3, v3
	scratch_store_b32 off, v0, off offset:1252 ; 4-byte Folded Spill
	v_cvt_f32_f16_e32 v0, v2
	s_clause 0x1
	scratch_store_b32 off, v3, off offset:1248
	scratch_store_b32 off, v0, off offset:1092
	v_cvt_f32_f16_e32 v0, v4
	scratch_store_b32 off, v0, off offset:1256 ; 4-byte Folded Spill
.LBB171_7:                              ;   Parent Loop BB171_5 Depth=1
                                        ;     Parent Loop BB171_6 Depth=2
                                        ; =>    This Inner Loop Header: Depth=3
	scratch_store_b32 off, v253, off offset:1204 ; 4-byte Folded Spill
	s_waitcnt vmcnt(1)
	scratch_store_b32 off, v18, off offset:208 ; 4-byte Folded Spill
	s_waitcnt vmcnt(0)
	s_clause 0x6
	scratch_store_b32 off, v5, off
	scratch_store_b32 off, v17, off offset:4
	scratch_store_b32 off, v80, off offset:1192
	;; [unrolled: 1-line block ×6, first 2 shown]
	scratch_load_b32 v4, off, off           ; 4-byte Folded Reload
	ds_load_b128 v[0:3], v5
	ds_load_2addr_b32 v[21:22], v17 offset0:2 offset1:3
	ds_load_2addr_b64 v[156:159], v18 offset1:16
	v_add_nc_u32_e32 v213, s16, v39
	s_lshr_b32 s17, s1, 2
	s_add_i32 s1, s1, 8
	s_and_b32 s17, s17, 0x3ffffffc
	s_add_i32 s16, s16, 2
	s_cmp_lt_u32 s1, s15
	s_waitcnt lgkmcnt(2)
	v_bfe_i32 v211, v0, 0, 8
	v_bfe_i32 v210, v0, 16, 8
	v_ashrrev_i32_e32 v209, 24, v0
	s_waitcnt lgkmcnt(1)
	v_and_b32_e32 v150, 15, v21
	v_bfe_u32 v149, v21, 8, 4
	v_bfe_i32 v174, v1, 0, 8
	v_bfe_i32 v205, v2, 0, 8
	;; [unrolled: 1-line block ×4, first 2 shown]
	v_and_b32_e32 v144, 15, v22
	v_bfe_i32 v207, v1, 16, 8
	v_ashrrev_i32_e32 v206, 24, v1
	v_bfe_i32 v204, v2, 8, 8
	v_bfe_i32 v203, v2, 16, 8
	v_mul_i32_i24_e32 v20, v144, v201
	v_ashrrev_i32_e32 v202, 24, v2
	v_bfe_i32 v200, v3, 8, 8
	v_bfe_i32 v199, v3, 16, 8
	v_ashrrev_i32_e32 v198, 24, v3
	v_bfe_u32 v143, v21, 16, 4
	v_bfe_u32 v145, v21, 24, 4
	;; [unrolled: 1-line block ×5, first 2 shown]
	v_mul_i32_i24_e32 v18, v143, v203
	v_mul_i32_i24_e32 v19, v145, v202
	;; [unrolled: 1-line block ×5, first 2 shown]
	v_ashrrev_i32_e32 v21, 4, v21
	s_clause 0x5
	scratch_store_b32 off, v149, off offset:684
	scratch_store_b32 off, v143, off offset:688
	;; [unrolled: 1-line block ×6, first 2 shown]
	s_waitcnt vmcnt(0)
	ds_load_b128 v[5:8], v4 offset:16
	scratch_load_b32 v4, off, off           ; 4-byte Folded Reload
	s_waitcnt lgkmcnt(0)
	v_bfe_i32 v197, v5, 0, 8
	v_bfe_i32 v196, v5, 8, 8
	;; [unrolled: 1-line block ×3, first 2 shown]
	v_ashrrev_i32_e32 v194, 24, v5
	v_bfe_i32 v193, v6, 0, 8
	v_bfe_i32 v192, v6, 8, 8
	;; [unrolled: 1-line block ×3, first 2 shown]
	v_ashrrev_i32_e32 v190, 24, v6
	ds_load_2addr_b32 v[5:6], v17 offset1:1
	v_bfe_i32 v189, v7, 0, 8
	v_bfe_i32 v188, v7, 8, 8
	v_mul_i32_i24_e32 v17, v149, v204
	v_bfe_i32 v187, v7, 16, 8
	v_ashrrev_i32_e32 v186, 24, v7
	v_bfe_i32 v185, v8, 0, 8
	v_bfe_i32 v184, v8, 8, 8
	v_bfe_i32 v183, v8, 16, 8
	v_ashrrev_i32_e32 v182, 24, v8
	v_add3_u32 v8, v40, s17, v213
	s_waitcnt lgkmcnt(0)
	v_bfe_u32 v135, v5, 24, 4
	v_and_b32_e32 v137, 15, v5
	v_bfe_u32 v138, v5, 8, 4
	v_and_b32_e32 v139, 15, v6
	v_bfe_u32 v136, v5, 16, 4
	v_bfe_u32 v142, v6, 8, 4
	;; [unrolled: 1-line block ×4, first 2 shown]
	v_ashrrev_i32_e32 v5, 4, v5
	v_ashrrev_i32_e32 v6, 4, v6
	s_clause 0x3
	scratch_store_b32 off, v141, off offset:312
	scratch_store_b32 off, v140, off offset:316
	;; [unrolled: 1-line block ×4, first 2 shown]
	v_bfe_u32 v7, v6, 8, 4
	s_waitcnt vmcnt(0)
	ds_load_b128 v[9:12], v4 offset:32
	scratch_load_b32 v4, off, off           ; 4-byte Folded Reload
	s_waitcnt vmcnt(0)
	ds_load_b128 v[13:16], v4 offset:48
	v_bfe_i32 v4, v0, 8, 8
	scratch_load_b32 v0, off, off offset:4  ; 4-byte Folded Reload
	s_waitcnt lgkmcnt(1)
	v_bfe_i32 v76, v10, 0, 8
	v_bfe_i32 v181, v9, 0, 8
	;; [unrolled: 1-line block ×4, first 2 shown]
	v_ashrrev_i32_e32 v178, 24, v9
	v_mul_i32_i24_e32 v9, v137, v211
	v_bfe_i32 v177, v10, 8, 8
	v_bfe_i32 v176, v10, 16, 8
	v_ashrrev_i32_e32 v175, 24, v10
	v_mul_i32_i24_e32 v10, v138, v4
	v_mad_i32_i24 v9, v139, v174, v9
	v_bfe_i32 v173, v11, 0, 8
	v_bfe_i32 v172, v11, 8, 8
	;; [unrolled: 1-line block ×3, first 2 shown]
	v_ashrrev_i32_e32 v170, 24, v11
	v_bfe_i32 v169, v12, 0, 8
	v_bfe_i32 v168, v12, 8, 8
	s_waitcnt lgkmcnt(0)
	v_bfe_i32 v153, v16, 0, 8
	v_bfe_i32 v152, v16, 8, 8
	;; [unrolled: 1-line block ×3, first 2 shown]
	v_ashrrev_i32_e32 v51, 24, v16
	v_mul_i32_i24_e32 v16, v150, v205
	v_bfe_i32 v167, v12, 16, 8
	v_ashrrev_i32_e32 v166, 24, v12
	v_mul_i32_i24_e32 v11, v136, v210
	v_mul_i32_i24_e32 v12, v135, v209
	v_add3_u32 v9, v9, v16, v10
	v_bfe_i32 v165, v13, 0, 8
	v_bfe_i32 v164, v13, 8, 8
	;; [unrolled: 1-line block ×3, first 2 shown]
	v_ashrrev_i32_e32 v162, 24, v13
	v_mul_i32_i24_e32 v13, v142, v208
	v_add3_u32 v9, v9, v11, v12
	v_bfe_i32 v161, v14, 0, 8
	v_bfe_i32 v160, v14, 8, 8
	;; [unrolled: 1-line block ×3, first 2 shown]
	v_ashrrev_i32_e32 v3, 24, v14
	v_bfe_i32 v2, v15, 0, 8
	v_bfe_i32 v1, v15, 8, 8
	;; [unrolled: 1-line block ×3, first 2 shown]
	v_ashrrev_i32_e32 v154, 24, v15
	v_mul_i32_i24_e32 v14, v141, v207
	v_mul_i32_i24_e32 v15, v140, v206
	v_add3_u32 v9, v9, v20, v13
	v_mul_i32_i24_e32 v47, v7, v177
	s_delay_alu instid0(VALU_DEP_2)
	v_add3_u32 v9, v9, v14, v15
	s_waitcnt vmcnt(0)
	ds_load_2addr_b32 v[26:27], v0 offset0:4 offset1:5
	s_waitcnt lgkmcnt(0)
	v_and_b32_e32 v0, 15, v26
	scratch_store_b32 off, v0, off offset:916 ; 4-byte Folded Spill
	v_mul_i32_i24_e32 v28, v0, v197
	v_bfe_u32 v0, v26, 8, 4
	s_delay_alu instid0(VALU_DEP_2)
	v_add3_u32 v9, v9, v28, v17
	scratch_store_b32 off, v0, off offset:920 ; 4-byte Folded Spill
	v_mul_i32_i24_e32 v29, v0, v196
	v_bfe_u32 v0, v26, 16, 4
	v_add3_u32 v9, v9, v18, v19
	scratch_store_b32 off, v0, off offset:936 ; 4-byte Folded Spill
	v_mul_i32_i24_e32 v30, v0, v195
	v_bfe_u32 v0, v26, 24, 4
	scratch_store_b32 off, v0, off offset:940 ; 4-byte Folded Spill
	v_mul_i32_i24_e32 v31, v0, v194
	v_and_b32_e32 v0, 15, v27
	scratch_store_b32 off, v0, off offset:700 ; 4-byte Folded Spill
	v_mul_i32_i24_e32 v32, v0, v193
	v_bfe_u32 v0, v27, 8, 4
	scratch_store_b32 off, v150, off offset:680 ; 4-byte Folded Spill
	v_add3_u32 v9, v9, v32, v23
	scratch_store_b32 off, v0, off offset:588 ; 4-byte Folded Spill
	v_mul_i32_i24_e32 v33, v0, v192
	v_bfe_u32 v0, v27, 16, 4
	v_add3_u32 v9, v9, v24, v25
	v_ashrrev_i32_e32 v25, 4, v22
	scratch_store_b32 off, v0, off offset:516 ; 4-byte Folded Spill
	v_mul_i32_i24_e32 v36, v0, v191
	v_bfe_u32 v0, v27, 24, 4
	s_clause 0x1
	scratch_store_b32 off, v135, off offset:384
	scratch_store_b32 off, v0, off offset:512
	v_mul_i32_i24_e32 v37, v0, v190
	scratch_load_b32 v0, off, off offset:4  ; 4-byte Folded Reload
	s_waitcnt vmcnt(0)
	ds_load_2addr_b32 v[34:35], v0 offset0:6 offset1:7
	v_ashrrev_i32_e32 v27, 4, v27
	s_waitcnt lgkmcnt(0)
	v_and_b32_e32 v0, 15, v34
	scratch_store_b32 off, v0, off offset:532 ; 4-byte Folded Spill
	v_mul_i32_i24_e32 v38, v0, v189
	v_bfe_u32 v0, v34, 8, 4
	s_delay_alu instid0(VALU_DEP_2)
	v_add3_u32 v9, v9, v38, v29
	scratch_store_b32 off, v0, off offset:560 ; 4-byte Folded Spill
	v_mul_i32_i24_e32 v39, v0, v188
	v_bfe_u32 v0, v34, 16, 4
	v_ashrrev_i32_e32 v29, 4, v26
	v_add3_u32 v9, v9, v30, v31
	scratch_store_b32 off, v0, off offset:564 ; 4-byte Folded Spill
	v_mul_i32_i24_e32 v40, v0, v187
	v_bfe_u32 v0, v34, 24, 4
	scratch_store_b32 off, v0, off offset:1040 ; 4-byte Folded Spill
	v_mul_i32_i24_e32 v41, v0, v186
	v_and_b32_e32 v0, 15, v35
	scratch_store_b32 off, v0, off offset:548 ; 4-byte Folded Spill
	v_mul_i32_i24_e32 v42, v0, v185
	v_bfe_u32 v0, v35, 8, 4
	s_delay_alu instid0(VALU_DEP_2)
	v_add3_u32 v9, v9, v42, v33
	scratch_store_b32 off, v0, off offset:552 ; 4-byte Folded Spill
	v_mul_i32_i24_e32 v43, v0, v184
	v_bfe_u32 v0, v35, 16, 4
	v_add3_u32 v9, v9, v36, v37
	v_ashrrev_i32_e32 v37, 4, v34
	scratch_store_b32 off, v0, off offset:556 ; 4-byte Folded Spill
	v_mul_i32_i24_e32 v45, v0, v183
	v_bfe_u32 v0, v35, 24, 4
	scratch_store_b32 off, v136, off offset:272 ; 4-byte Folded Spill
	v_add3_u32 v9, v9, v39, v40
	v_ashrrev_i32_e32 v35, 4, v35
	scratch_store_b32 off, v0, off offset:224 ; 4-byte Folded Spill
	ds_load_u16 v10, v8 offset:25088
	ds_load_u16 v28, v8 offset:25096
	v_mul_i32_i24_e32 v46, v0, v182
	v_and_b32_e32 v0, 15, v5
	v_add3_u32 v9, v9, v41, v43
	scratch_store_b32 off, v7, off offset:716 ; 4-byte Folded Spill
	v_bfe_u32 v7, v6, 16, 4
	v_bfe_u32 v38, v35, 24, 4
	scratch_store_b32 off, v0, off offset:228 ; 4-byte Folded Spill
	v_mul_i32_i24_e32 v43, v0, v181
	v_bfe_u32 v0, v5, 8, 4
	v_add3_u32 v9, v9, v45, v46
	scratch_store_b32 off, v7, off offset:396 ; 4-byte Folded Spill
	v_mul_i32_i24_e32 v48, v7, v176
	v_and_b32_e32 v7, 15, v21
	scratch_store_b32 off, v0, off offset:712 ; 4-byte Folded Spill
	v_mul_i32_i24_e32 v45, v0, v180
	v_bfe_u32 v0, v5, 16, 4
	scratch_store_b32 off, v7, off offset:924 ; 4-byte Folded Spill
	s_waitcnt lgkmcnt(1)
	v_and_b32_e32 v11, 0xff, v10
	v_mul_i32_i24_e32 v49, v7, v173
	scratch_store_b32 off, v0, off offset:708 ; 4-byte Folded Spill
	v_mul_i32_i24_e32 v46, v0, v179
	v_bfe_u32 v0, v5, 24, 4
	scratch_store_b32 off, v11, off offset:704 ; 4-byte Folded Spill
	v_bfe_u32 v7, v21, 8, 4
	v_mul_lo_u32 v9, v9, v11
	s_waitcnt lgkmcnt(0)
	v_cvt_f32_ubyte1_e32 v8, v28
	scratch_store_b32 off, v0, off offset:212 ; 4-byte Folded Spill
	v_mul_i32_i24_e32 v5, v0, v178
	scratch_store_b32 off, v7, off offset:216 ; 4-byte Folded Spill
	v_mul_i32_i24_e32 v50, v7, v172
	v_bfe_u32 v7, v21, 16, 4
	scratch_load_b32 v0, off, off offset:4  ; 4-byte Folded Reload
	v_cvt_f32_i32_e32 v9, v9
	v_lshrrev_b16 v32, 8, v10
	v_cvt_f32_ubyte0_e32 v10, v28
	scratch_store_b32 off, v7, off offset:536 ; 4-byte Folded Spill
	v_mul_i32_i24_e32 v52, v7, v171
	v_bfe_u32 v7, v21, 24, 4
	v_fma_mix_f32 v41, v156, v9, 0 op_sel_hi:[1,0,0]
	v_and_b32_e32 v9, 15, v6
	v_bfe_u32 v6, v6, 24, 4
	v_fma_mix_f32 v42, v156, v10, 0 op_sel:[1,0,0] op_sel_hi:[1,0,0]
	scratch_store_b32 off, v7, off offset:540 ; 4-byte Folded Spill
	v_mul_i32_i24_e32 v53, v7, v170
	v_and_b32_e32 v7, 15, v25
	v_mad_i32_i24 v43, v9, v76, v43
	scratch_store_b32 off, v6, off offset:400 ; 4-byte Folded Spill
	v_mul_i32_i24_e32 v6, v6, v175
	s_clause 0x1
	scratch_store_b32 off, v8, off offset:412
	scratch_store_b32 off, v7, off offset:416
	v_mul_i32_i24_e32 v54, v7, v169
	v_bfe_u32 v7, v25, 8, 4
	v_add3_u32 v43, v43, v49, v45
	scratch_store_b32 off, v7, off offset:420 ; 4-byte Folded Spill
	v_mul_i32_i24_e32 v55, v7, v168
	v_bfe_u32 v7, v25, 16, 4
	v_add3_u32 v5, v43, v46, v5
	scratch_store_b32 off, v7, off offset:424 ; 4-byte Folded Spill
	;; [unrolled: 4-line block ×3, first 2 shown]
	v_mul_i32_i24_e32 v57, v7, v166
	v_and_b32_e32 v7, 15, v29
	v_add3_u32 v5, v5, v48, v6
	v_fma_mix_f32 v6, v157, v8, v42 op_sel:[1,0,0] op_sel_hi:[1,0,0]
	scratch_store_b32 off, v7, off offset:732 ; 4-byte Folded Spill
	v_mul_i32_i24_e32 v58, v7, v165
	v_bfe_u32 v7, v29, 8, 4
	s_delay_alu instid0(VALU_DEP_2)
	v_add3_u32 v5, v5, v58, v50
	scratch_store_b32 off, v7, off offset:736 ; 4-byte Folded Spill
	v_mul_i32_i24_e32 v59, v7, v164
	v_bfe_u32 v7, v29, 16, 4
	scratch_load_b32 v58, off, off offset:1088 ; 4-byte Folded Reload
	v_add3_u32 v5, v5, v52, v53
	scratch_store_b32 off, v7, off offset:740 ; 4-byte Folded Spill
	v_mul_i32_i24_e32 v60, v7, v163
	v_bfe_u32 v7, v29, 24, 4
	scratch_store_b32 off, v7, off offset:428 ; 4-byte Folded Spill
	v_mul_i32_i24_e32 v61, v7, v162
	v_and_b32_e32 v7, 15, v27
	s_delay_alu instid0(VALU_DEP_1)
	v_mul_i32_i24_e32 v62, v7, v161
	scratch_store_b32 off, v7, off offset:432 ; 4-byte Folded Spill
	v_bfe_u32 v7, v27, 8, 4
	v_add3_u32 v5, v5, v62, v55
	v_and_b32_e32 v62, 0xffff, v32
	scratch_store_b32 off, v7, off offset:956 ; 4-byte Folded Spill
	v_mul_i32_i24_e32 v63, v7, v160
	v_bfe_u32 v7, v27, 16, 4
	v_add3_u32 v5, v5, v56, v57
	scratch_load_b32 v57, off, off offset:1240 ; 4-byte Folded Reload
	s_clause 0x1
	scratch_store_b32 off, v62, off offset:724
	scratch_store_b32 off, v7, off offset:960
	v_mul_i32_i24_e32 v64, v7, v44
	v_bfe_u32 v7, v27, 24, 4
	scratch_store_b32 off, v7, off offset:596 ; 4-byte Folded Spill
	v_mul_i32_i24_e32 v27, v7, v3
	v_and_b32_e32 v7, 15, v37
	scratch_store_b32 off, v7, off offset:220 ; 4-byte Folded Spill
	v_mul_i32_i24_e32 v65, v7, v2
	v_bfe_u32 v7, v37, 8, 4
	s_delay_alu instid0(VALU_DEP_2)
	v_add3_u32 v5, v5, v65, v59
	scratch_store_b32 off, v7, off offset:436 ; 4-byte Folded Spill
	v_mul_i32_i24_e32 v66, v7, v1
	v_bfe_u32 v7, v37, 16, 4
	v_add3_u32 v5, v5, v60, v61
	scratch_store_b32 off, v7, off offset:520 ; 4-byte Folded Spill
	v_mul_i32_i24_e32 v67, v7, v155
	v_bfe_u32 v7, v37, 24, 4
	scratch_store_b32 off, v7, off offset:524 ; 4-byte Folded Spill
	v_mul_i32_i24_e32 v68, v7, v154
	v_and_b32_e32 v7, 15, v35
	s_delay_alu instid0(VALU_DEP_1)
	v_mul_i32_i24_e32 v69, v7, v153
	scratch_store_b32 off, v7, off offset:608 ; 4-byte Folded Spill
	v_bfe_u32 v7, v35, 8, 4
	v_add3_u32 v5, v5, v69, v63
	scratch_store_b32 off, v7, off offset:528 ; 4-byte Folded Spill
	v_mul_i32_i24_e32 v70, v7, v152
	v_bfe_u32 v7, v35, 16, 4
	v_add3_u32 v5, v5, v64, v27
	v_mul_i32_i24_e32 v35, v38, v51
	s_delay_alu instid0(VALU_DEP_3) | instskip(NEXT) | instid1(VALU_DEP_3)
	v_mul_i32_i24_e32 v71, v7, v126
	v_add3_u32 v5, v5, v66, v67
	scratch_store_b32 off, v7, off offset:720 ; 4-byte Folded Spill
	v_add3_u32 v5, v5, v68, v70
	s_delay_alu instid0(VALU_DEP_1) | instskip(NEXT) | instid1(VALU_DEP_1)
	v_add3_u32 v5, v5, v71, v35
	v_mul_lo_u32 v5, v5, v62
	s_delay_alu instid0(VALU_DEP_1) | instskip(NEXT) | instid1(VALU_DEP_1)
	v_cvt_f32_i32_e32 v5, v5
	v_fma_mix_f32 v5, v157, v5, v41 op_sel_hi:[1,0,0]
	s_waitcnt vmcnt(1)
	v_mul_f32_e32 v6, v6, v58
	v_add3_u32 v27, v73, s17, v213
	s_waitcnt vmcnt(0)
	s_delay_alu instid0(VALU_DEP_2) | instskip(NEXT) | instid1(VALU_DEP_1)
	v_fma_f32 v5, v5, v57, -v6
	v_dual_add_f32 v72, v72, v5 :: v_dual_add_nc_u32 v5, 0x1080, v0
	scratch_store_b32 off, v72, off offset:1196 ; 4-byte Folded Spill
	ds_load_2addr_b32 v[5:6], v5 offset1:1
	s_waitcnt lgkmcnt(0)
	v_and_b32_e32 v0, 15, v5
	v_and_b32_e32 v13, 15, v6
	scratch_store_b32 off, v0, off offset:932 ; 4-byte Folded Spill
	v_mul_i32_i24_e32 v28, v0, v211
	v_bfe_u32 v0, v5, 8, 4
	s_delay_alu instid0(VALU_DEP_2)
	v_mad_i32_i24 v28, v13, v174, v28
	scratch_store_b32 off, v0, off offset:276 ; 4-byte Folded Spill
	v_mul_i32_i24_e32 v32, v0, v4
	v_bfe_u32 v0, v5, 16, 4
	scratch_store_b32 off, v0, off offset:928 ; 4-byte Folded Spill
	v_mul_i32_i24_e32 v47, v0, v210
	v_bfe_u32 v0, v5, 24, 4
	v_ashrrev_i32_e32 v5, 4, v5
	scratch_store_b32 off, v0, off offset:600 ; 4-byte Folded Spill
	v_mul_i32_i24_e32 v48, v0, v209
	v_bfe_u32 v0, v6, 8, 4
	v_bfe_u32 v25, v5, 8, 4
	scratch_store_b32 off, v0, off offset:952 ; 4-byte Folded Spill
	v_mul_i32_i24_e32 v50, v0, v208
	v_bfe_u32 v0, v6, 16, 4
	v_mul_i32_i24_e32 v117, v25, v180
	scratch_store_b32 off, v0, off offset:972 ; 4-byte Folded Spill
	v_mul_i32_i24_e32 v55, v0, v207
	v_bfe_u32 v0, v6, 24, 4
	v_ashrrev_i32_e32 v6, 4, v6
	s_delay_alu instid0(VALU_DEP_2)
	v_mul_i32_i24_e32 v72, v0, v206
	v_mov_b32_e32 v67, v0
	scratch_load_b32 v0, off, off offset:4  ; 4-byte Folded Reload
	v_bfe_u32 v24, v6, 16, 4
	v_bfe_u32 v61, v6, 8, 4
	;; [unrolled: 1-line block ×3, first 2 shown]
	s_delay_alu instid0(VALU_DEP_3) | instskip(NEXT) | instid1(VALU_DEP_3)
	v_mul_i32_i24_e32 v218, v24, v176
	v_mul_i32_i24_e32 v217, v61, v177
	s_waitcnt vmcnt(0)
	v_add_nc_u32_e32 v35, 0x1088, v0
	ds_load_2addr_b32 v[53:54], v35 offset1:1
	s_waitcnt lgkmcnt(0)
	v_and_b32_e32 v0, 15, v53
	scratch_store_b32 off, v0, off offset:112 ; 4-byte Folded Spill
	v_mul_i32_i24_e32 v73, v0, v205
	v_bfe_u32 v0, v53, 8, 4
	s_delay_alu instid0(VALU_DEP_2)
	v_add3_u32 v28, v28, v73, v32
	scratch_store_b32 off, v0, off offset:136 ; 4-byte Folded Spill
	v_mul_i32_i24_e32 v78, v0, v204
	v_bfe_u32 v0, v53, 16, 4
	v_bfe_u32 v73, v5, 16, 4
	v_add3_u32 v28, v28, v47, v48
	scratch_store_b32 off, v0, off offset:152 ; 4-byte Folded Spill
	v_mul_i32_i24_e32 v79, v0, v203
	v_bfe_u32 v0, v53, 24, 4
	v_mul_i32_i24_e32 v212, v73, v179
	scratch_store_b32 off, v0, off offset:124 ; 4-byte Folded Spill
	v_mul_i32_i24_e32 v84, v0, v202
	v_and_b32_e32 v0, 15, v54
	scratch_store_b32 off, v0, off offset:116 ; 4-byte Folded Spill
	v_mul_i32_i24_e32 v85, v0, v201
	v_bfe_u32 v0, v54, 8, 4
	s_delay_alu instid0(VALU_DEP_2)
	v_add3_u32 v28, v28, v85, v50
	scratch_store_b32 off, v0, off offset:568 ; 4-byte Folded Spill
	v_mul_i32_i24_e32 v86, v0, v200
	v_bfe_u32 v0, v54, 16, 4
	v_add3_u32 v28, v28, v55, v72
	scratch_store_b32 off, v0, off offset:944 ; 4-byte Folded Spill
	v_mul_i32_i24_e32 v87, v0, v199
	v_bfe_u32 v0, v54, 24, 4
	scratch_store_b32 off, v0, off offset:144 ; 4-byte Folded Spill
	v_mul_i32_i24_e32 v88, v0, v198
	scratch_load_b32 v0, off, off offset:4  ; 4-byte Folded Reload
	s_waitcnt vmcnt(0)
	v_add_nc_u32_e32 v35, 0x1090, v0
	ds_load_2addr_b32 v[97:98], v35 offset1:1
	s_waitcnt lgkmcnt(0)
	v_and_b32_e32 v0, 15, v97
	scratch_store_b32 off, v0, off offset:948 ; 4-byte Folded Spill
	v_mul_i32_i24_e32 v89, v0, v197
	v_bfe_u32 v0, v97, 8, 4
	s_delay_alu instid0(VALU_DEP_2)
	v_add3_u32 v28, v28, v89, v78
	scratch_store_b32 off, v0, off offset:320 ; 4-byte Folded Spill
	v_mul_i32_i24_e32 v90, v0, v196
	v_bfe_u32 v0, v97, 16, 4
	v_add3_u32 v28, v28, v79, v84
	scratch_store_b32 off, v0, off offset:12 ; 4-byte Folded Spill
	v_mul_i32_i24_e32 v91, v0, v195
	v_bfe_u32 v0, v97, 24, 4
	scratch_store_b32 off, v0, off offset:572 ; 4-byte Folded Spill
	v_mul_i32_i24_e32 v92, v0, v194
	v_and_b32_e32 v0, 15, v98
	scratch_store_b32 off, v0, off offset:592 ; 4-byte Folded Spill
	v_mul_i32_i24_e32 v93, v0, v193
	v_bfe_u32 v0, v98, 8, 4
	s_delay_alu instid0(VALU_DEP_2)
	v_add3_u32 v28, v28, v93, v86
	scratch_store_b32 off, v0, off offset:964 ; 4-byte Folded Spill
	v_mul_i32_i24_e32 v94, v0, v192
	v_bfe_u32 v0, v98, 16, 4
	v_add3_u32 v28, v28, v87, v88
	scratch_store_b32 off, v0, off offset:16 ; 4-byte Folded Spill
	v_mul_i32_i24_e32 v95, v0, v191
	v_bfe_u32 v0, v98, 24, 4
	scratch_store_b32 off, v0, off offset:544 ; 4-byte Folded Spill
	v_mul_i32_i24_e32 v96, v0, v190
	scratch_load_b32 v0, off, off offset:4  ; 4-byte Folded Reload
	s_waitcnt vmcnt(0)
	v_add_nc_u32_e32 v46, 0x1098, v0
	ds_load_2addr_b32 v[105:106], v46 offset1:1
	s_waitcnt lgkmcnt(0)
	v_and_b32_e32 v0, 15, v105
	v_bfe_u32 v33, v106, 24, 4
	v_ashrrev_i32_e32 v115, 4, v106
	scratch_store_b32 off, v0, off offset:968 ; 4-byte Folded Spill
	v_mul_i32_i24_e32 v99, v0, v189
	v_bfe_u32 v0, v105, 8, 4
	s_clause 0x1
	scratch_store_b32 off, v33, off offset:368
	scratch_store_b32 off, v10, off offset:376
	v_mul_i32_i24_e32 v113, v33, v182
	v_add3_u32 v28, v28, v99, v90
	scratch_store_b32 off, v0, off offset:984 ; 4-byte Folded Spill
	v_mul_i32_i24_e32 v100, v0, v188
	v_bfe_u32 v0, v105, 16, 4
	v_bfe_u32 v15, v115, 8, 4
	v_add3_u32 v28, v28, v91, v92
	v_and_b32_e32 v90, 15, v115
	scratch_store_b32 off, v0, off offset:580 ; 4-byte Folded Spill
	v_mul_i32_i24_e32 v101, v0, v187
	v_bfe_u32 v0, v105, 24, 4
	v_mul_i32_i24_e32 v237, v90, v153
	v_mul_i32_i24_e32 v238, v15, v152
	scratch_store_b32 off, v0, off offset:584 ; 4-byte Folded Spill
	v_mul_i32_i24_e32 v102, v0, v186
	v_and_b32_e32 v0, 15, v106
	scratch_store_b32 off, v0, off offset:128 ; 4-byte Folded Spill
	v_mul_i32_i24_e32 v103, v0, v185
	v_bfe_u32 v0, v106, 8, 4
	s_delay_alu instid0(VALU_DEP_2)
	v_add3_u32 v28, v28, v103, v94
	scratch_store_b32 off, v0, off offset:132 ; 4-byte Folded Spill
	v_mul_i32_i24_e32 v104, v0, v184
	v_bfe_u32 v0, v106, 16, 4
	v_add3_u32 v28, v28, v95, v96
	scratch_store_b32 off, v0, off offset:576 ; 4-byte Folded Spill
	ds_load_u16 v32, v27 offset:25600
	ds_load_u16 v47, v27 offset:25608
	v_add3_u32 v28, v28, v100, v101
	v_mul_i32_i24_e32 v107, v0, v183
	v_and_b32_e32 v0, 15, v5
	s_clause 0x1
	scratch_store_b32 off, v25, off offset:364
	scratch_store_b32 off, v24, off offset:360
	v_add3_u32 v28, v28, v102, v104
	s_clause 0x1
	scratch_store_b32 off, v15, off offset:160
	scratch_store_b32 off, v0, off offset:8
	v_mul_i32_i24_e32 v116, v0, v181
	v_bfe_u32 v0, v5, 24, 4
	v_add3_u32 v28, v28, v107, v113
	scratch_store_b32 off, v0, off offset:120 ; 4-byte Folded Spill
	v_mul_i32_i24_e32 v5, v0, v178
	v_and_b32_e32 v0, 15, v6
	v_mul_i32_i24_e32 v6, v69, v175
	s_waitcnt lgkmcnt(1)
	v_and_b32_e32 v29, 0xff, v32
	s_waitcnt lgkmcnt(0)
	v_cvt_f32_ubyte0_e32 v20, v47
	v_lshrrev_b16 v50, 8, v32
	v_mov_b32_e32 v92, v0
	v_mul_lo_u32 v27, v28, v29
	v_ashrrev_i32_e32 v28, 4, v53
	v_fma_mix_f32 v55, v156, v20, 0 op_sel:[1,0,0] op_sel_hi:[1,0,0]
	v_and_b32_e32 v12, 0xffff, v50
	s_clause 0x1
	scratch_store_b32 off, v29, off offset:344
	scratch_store_b32 off, v20, off offset:148
	v_and_b32_e32 v23, 15, v28
	v_bfe_u32 v7, v28, 8, 4
	v_bfe_u32 v89, v28, 16, 4
	;; [unrolled: 1-line block ×3, first 2 shown]
	v_ashrrev_i32_e32 v28, 4, v54
	v_mul_i32_i24_e32 v53, v23, v173
	scratch_store_b32 off, v7, off offset:176 ; 4-byte Folded Spill
	v_mul_i32_i24_e32 v219, v7, v172
	v_mul_i32_i24_e32 v220, v89, v171
	v_and_b32_e32 v7, 15, v28
	v_bfe_u32 v21, v28, 16, 4
	v_bfe_u32 v103, v28, 24, 4
	v_mul_i32_i24_e32 v221, v22, v170
	v_cvt_f32_i32_e32 v27, v27
	scratch_store_b32 off, v7, off offset:164 ; 4-byte Folded Spill
	v_mul_i32_i24_e32 v54, v7, v169
	v_bfe_u32 v7, v28, 8, 4
	v_ashrrev_i32_e32 v28, 4, v97
	v_mul_i32_i24_e32 v223, v21, v167
	v_mul_i32_i24_e32 v224, v103, v166
	v_fma_mix_f32 v32, v156, v27, 0 op_sel_hi:[1,0,0]
	scratch_store_b32 off, v7, off offset:140 ; 4-byte Folded Spill
	v_mul_i32_i24_e32 v222, v7, v168
	v_and_b32_e32 v7, 15, v28
	v_bfe_u32 v19, v28, 8, 4
	v_bfe_u32 v86, v28, 16, 4
	s_clause 0x2
	scratch_store_b32 off, v23, off offset:352
	scratch_store_b32 off, v22, off offset:356
	;; [unrolled: 1-line block ×3, first 2 shown]
	v_mul_i32_i24_e32 v225, v7, v165
	v_bfe_u32 v7, v28, 24, 4
	v_ashrrev_i32_e32 v28, 4, v98
	v_mul_i32_i24_e32 v226, v19, v164
	v_mul_i32_i24_e32 v227, v86, v163
	s_clause 0x2
	scratch_store_b32 off, v21, off offset:280
	scratch_store_b32 off, v19, off offset:284
	;; [unrolled: 1-line block ×3, first 2 shown]
	v_mul_i32_i24_e32 v228, v7, v162
	v_and_b32_e32 v7, 15, v28
	v_bfe_u32 v18, v28, 8, 4
	s_clause 0x1
	scratch_store_b32 off, v92, off offset:108
	scratch_store_b32 off, v7, off offset:92
	v_mul_i32_i24_e32 v229, v7, v161
	v_bfe_u32 v7, v28, 16, 4
	v_mul_i32_i24_e32 v230, v18, v160
	scratch_store_b32 off, v7, off offset:96 ; 4-byte Folded Spill
	v_mul_i32_i24_e32 v231, v7, v44
	v_bfe_u32 v7, v28, 24, 4
	v_ashrrev_i32_e32 v28, 4, v105
	v_bfe_u32 v105, v115, 16, 4
	scratch_store_b32 off, v7, off offset:100 ; 4-byte Folded Spill
	v_mul_i32_i24_e32 v232, v7, v3
	v_bfe_u32 v7, v28, 16, 4
	v_and_b32_e32 v17, 15, v28
	v_bfe_u32 v104, v28, 8, 4
	v_bfe_u32 v16, v28, 24, 4
	v_mul_i32_i24_e32 v239, v105, v126
	scratch_store_b32 off, v7, off offset:104 ; 4-byte Folded Spill
	v_mul_i32_i24_e32 v235, v7, v155
	v_bfe_u32 v7, v115, 24, 4
	v_mul_i32_i24_e32 v233, v17, v2
	v_mul_i32_i24_e32 v234, v104, v1
	;; [unrolled: 1-line block ×3, first 2 shown]
	s_clause 0x1
	scratch_store_b32 off, v18, off offset:292
	scratch_store_b32 off, v7, off offset:172
	v_mul_i32_i24_e32 v240, v7, v51
	v_mov_b32_e32 v7, v76
	s_delay_alu instid0(VALU_DEP_1) | instskip(SKIP_2) | instid1(VALU_DEP_3)
	v_mad_i32_i24 v116, v0, v7, v116
	v_cvt_f32_ubyte1_e32 v0, v47
	v_dual_mov_b32 v14, v7 :: v_dual_mov_b32 v59, v13
	v_add3_u32 v53, v116, v53, v117
	scratch_store_b32 off, v0, off offset:20 ; 4-byte Folded Spill
	v_fma_mix_f32 v47, v157, v0, v55 op_sel:[1,0,0] op_sel_hi:[1,0,0]
	scratch_load_b32 v0, off, off offset:4  ; 4-byte Folded Reload
	v_add3_u32 v5, v53, v212, v5
	s_delay_alu instid0(VALU_DEP_1) | instskip(NEXT) | instid1(VALU_DEP_1)
	v_add3_u32 v5, v5, v54, v217
	v_add3_u32 v5, v5, v218, v6
	scratch_load_b32 v6, off, off offset:1244 ; 4-byte Folded Reload
	v_add3_u32 v5, v5, v225, v219
	s_delay_alu instid0(VALU_DEP_1) | instskip(NEXT) | instid1(VALU_DEP_1)
	v_add3_u32 v5, v5, v220, v221
	v_add3_u32 v5, v5, v229, v222
	s_delay_alu instid0(VALU_DEP_1) | instskip(SKIP_2) | instid1(VALU_DEP_1)
	v_add3_u32 v5, v5, v223, v224
	scratch_load_b32 v223, off, off offset:1252 ; 4-byte Folded Reload
	v_add3_u32 v5, v5, v233, v226
	v_add3_u32 v5, v5, v227, v228
	s_delay_alu instid0(VALU_DEP_1) | instskip(NEXT) | instid1(VALU_DEP_1)
	v_add3_u32 v5, v5, v237, v230
	v_add3_u32 v5, v5, v231, v232
	s_delay_alu instid0(VALU_DEP_1) | instskip(NEXT) | instid1(VALU_DEP_1)
	;; [unrolled: 3-line block ×3, first 2 shown]
	v_add3_u32 v5, v5, v239, v240
	v_mul_lo_u32 v5, v5, v12
	s_delay_alu instid0(VALU_DEP_1) | instskip(NEXT) | instid1(VALU_DEP_1)
	v_cvt_f32_i32_e32 v5, v5
	v_fma_mix_f32 v32, v157, v5, v32 op_sel_hi:[1,0,0]
	s_waitcnt vmcnt(0)
	v_mul_f32_e32 v47, v47, v223
	s_delay_alu instid0(VALU_DEP_1) | instskip(SKIP_1) | instid1(VALU_DEP_2)
	v_fma_f32 v32, v32, v6, -v47
	v_add_nc_u32_e32 v47, 0x2100, v0
	v_add_f32_e32 v74, v74, v32
	ds_load_2addr_b32 v[53:54], v47 offset1:1
	v_add3_u32 v32, v75, s17, v213
	scratch_store_b32 off, v74, off offset:1200 ; 4-byte Folded Spill
	s_waitcnt lgkmcnt(0)
	v_and_b32_e32 v0, 15, v53
	v_and_b32_e32 v13, 15, v54
	v_bfe_u32 v220, v54, 16, 4
	v_bfe_u32 v221, v54, 24, 4
	s_delay_alu instid0(VALU_DEP_4)
	v_mul_i32_i24_e32 v47, v0, v211
	v_mov_b32_e32 v224, v0
	v_bfe_u32 v0, v53, 8, 4
	v_mul_i32_i24_e32 v228, v220, v207
	v_mul_i32_i24_e32 v229, v221, v206
	v_mad_i32_i24 v47, v13, v174, v47
	v_mov_b32_e32 v93, v13
	v_mul_i32_i24_e32 v50, v0, v4
	v_mov_b32_e32 v226, v0
	v_bfe_u32 v0, v53, 16, 4
	scratch_store_b32 off, v93, off offset:844 ; 4-byte Folded Spill
	v_mul_i32_i24_e32 v55, v0, v210
	v_mov_b32_e32 v222, v0
	v_bfe_u32 v0, v53, 24, 4
	s_delay_alu instid0(VALU_DEP_1)
	v_mul_i32_i24_e32 v212, v0, v209
	v_mov_b32_e32 v91, v0
	v_bfe_u32 v0, v54, 8, 4
	scratch_store_b32 off, v91, off offset:868 ; 4-byte Folded Spill
	v_mul_i32_i24_e32 v227, v0, v208
	v_mov_b32_e32 v219, v0
	scratch_load_b32 v0, off, off offset:4  ; 4-byte Folded Reload
	s_waitcnt vmcnt(0)
	v_add_nc_u32_e32 v116, 0x2108, v0
	ds_load_2addr_b32 v[240:241], v116 offset1:1
	s_waitcnt lgkmcnt(0)
	v_and_b32_e32 v0, 15, v240
	s_delay_alu instid0(VALU_DEP_1)
	v_mul_i32_i24_e32 v230, v0, v205
	v_mov_b32_e32 v95, v0
	v_bfe_u32 v0, v240, 8, 4
	scratch_store_b32 off, v16, off offset:388 ; 4-byte Folded Spill
	v_add3_u32 v47, v47, v230, v50
	v_mul_i32_i24_e32 v231, v0, v204
	v_mov_b32_e32 v97, v0
	v_bfe_u32 v0, v240, 16, 4
	s_delay_alu instid0(VALU_DEP_4) | instskip(SKIP_4) | instid1(VALU_DEP_1)
	v_add3_u32 v47, v47, v55, v212
	scratch_store_b32 off, v12, off offset:404 ; 4-byte Folded Spill
	v_mul_i32_i24_e32 v232, v0, v203
	v_mov_b32_e32 v99, v0
	v_bfe_u32 v0, v240, 24, 4
	v_mul_i32_i24_e32 v233, v0, v202
	v_mov_b32_e32 v94, v0
	v_and_b32_e32 v0, 15, v241
	scratch_store_b32 off, v94, off offset:796 ; 4-byte Folded Spill
	v_mul_i32_i24_e32 v234, v0, v201
	v_mov_b32_e32 v100, v0
	v_bfe_u32 v0, v241, 8, 4
	s_delay_alu instid0(VALU_DEP_3) | instskip(SKIP_1) | instid1(VALU_DEP_3)
	v_add3_u32 v47, v47, v234, v227
	v_mov_b32_e32 v227, v59
	v_mul_i32_i24_e32 v235, v0, v200
	v_mov_b32_e32 v101, v0
	v_bfe_u32 v0, v241, 16, 4
	v_add3_u32 v47, v47, v228, v229
	scratch_store_b32 off, v17, off offset:296 ; 4-byte Folded Spill
	v_mul_i32_i24_e32 v236, v0, v199
	v_mov_b32_e32 v106, v0
	v_bfe_u32 v0, v241, 24, 4
	s_delay_alu instid0(VALU_DEP_1)
	v_mul_i32_i24_e32 v237, v0, v198
	v_mov_b32_e32 v107, v0
	scratch_load_b32 v0, off, off offset:4  ; 4-byte Folded Reload
	s_waitcnt vmcnt(0)
	v_add_nc_u32_e32 v116, 0x2110, v0
	ds_load_2addr_b32 v[248:249], v116 offset1:1
	s_waitcnt lgkmcnt(0)
	v_and_b32_e32 v0, 15, v248
	s_delay_alu instid0(VALU_DEP_1) | instskip(SKIP_2) | instid1(VALU_DEP_3)
	v_mul_i32_i24_e32 v238, v0, v197
	v_mov_b32_e32 v113, v0
	v_bfe_u32 v0, v248, 8, 4
	v_add3_u32 v47, v47, v238, v231
	s_delay_alu instid0(VALU_DEP_2) | instskip(SKIP_2) | instid1(VALU_DEP_4)
	v_mul_i32_i24_e32 v239, v0, v196
	v_mov_b32_e32 v115, v0
	v_bfe_u32 v0, v248, 16, 4
	v_add3_u32 v47, v47, v232, v233
	s_delay_alu instid0(VALU_DEP_2) | instskip(SKIP_2) | instid1(VALU_DEP_1)
	v_mul_i32_i24_e32 v242, v0, v195
	v_mov_b32_e32 v217, v0
	v_bfe_u32 v0, v248, 24, 4
	v_mul_i32_i24_e32 v243, v0, v194
	v_mov_b32_e32 v102, v0
	v_and_b32_e32 v0, 15, v249
	s_clause 0x1
	scratch_store_b32 off, v102, off offset:816
	scratch_store_b32 off, v0, off offset:812
	v_mul_i32_i24_e32 v244, v0, v193
	v_bfe_u32 v0, v249, 8, 4
	s_delay_alu instid0(VALU_DEP_2)
	v_add3_u32 v47, v47, v244, v235
	scratch_store_b32 off, v0, off offset:820 ; 4-byte Folded Spill
	v_mul_i32_i24_e32 v245, v0, v192
	v_bfe_u32 v0, v249, 16, 4
	scratch_store_b32 off, v224, off offset:476 ; 4-byte Folded Spill
	v_add3_u32 v47, v47, v236, v237
	scratch_store_b32 off, v0, off offset:472 ; 4-byte Folded Spill
	v_mul_i32_i24_e32 v246, v0, v191
	v_bfe_u32 v0, v249, 24, 4
	scratch_store_b32 off, v0, off offset:824 ; 4-byte Folded Spill
	v_mul_i32_i24_e32 v247, v0, v190
	scratch_load_b32 v0, off, off offset:4  ; 4-byte Folded Reload
	s_waitcnt vmcnt(0)
	v_add_nc_u32_e32 v116, 0x2118, v0
	ds_load_2addr_b32 v[116:117], v116 offset1:1
	s_waitcnt lgkmcnt(0)
	v_and_b32_e32 v0, 15, v116
	scratch_store_b32 off, v0, off offset:828 ; 4-byte Folded Spill
	v_mul_i32_i24_e32 v250, v0, v189
	v_bfe_u32 v0, v116, 8, 4
	s_delay_alu instid0(VALU_DEP_2)
	v_add3_u32 v47, v47, v250, v239
	scratch_store_b32 off, v0, off offset:832 ; 4-byte Folded Spill
	v_mul_i32_i24_e32 v251, v0, v188
	v_bfe_u32 v0, v116, 16, 4
	v_add3_u32 v47, v47, v242, v243
	scratch_store_b32 off, v0, off offset:836 ; 4-byte Folded Spill
	v_mul_i32_i24_e32 v252, v0, v187
	v_bfe_u32 v0, v116, 24, 4
	s_delay_alu instid0(VALU_DEP_1)
	v_mul_i32_i24_e32 v253, v0, v186
	v_mov_b32_e32 v218, v0
	v_and_b32_e32 v0, 15, v117
	s_clause 0x1
	scratch_store_b32 off, v218, off offset:848
	scratch_store_b32 off, v0, off offset:840
	v_mul_i32_i24_e32 v254, v0, v185
	v_bfe_u32 v0, v117, 8, 4
	s_delay_alu instid0(VALU_DEP_2)
	v_add3_u32 v47, v47, v254, v245
	scratch_store_b32 off, v0, off offset:604 ; 4-byte Folded Spill
	v_mul_i32_i24_e32 v255, v0, v184
	v_bfe_u32 v0, v117, 16, 4
	v_add3_u32 v47, v47, v246, v247
	scratch_store_b32 off, v0, off offset:976 ; 4-byte Folded Spill
	v_mul_i32_i24_e32 v214, v0, v183
	v_bfe_u32 v0, v117, 24, 4
	v_add3_u32 v47, v47, v251, v252
	v_mov_b32_e32 v252, v6
	scratch_store_b32 off, v0, off offset:980 ; 4-byte Folded Spill
	ds_load_u16 v50, v32 offset:26112
	ds_load_u16 v55, v32 offset:26120
	v_mul_i32_i24_e32 v74, v0, v182
	v_add3_u32 v47, v47, v253, v255
	s_delay_alu instid0(VALU_DEP_1)
	v_add3_u32 v47, v47, v214, v74
	s_waitcnt lgkmcnt(1)
	v_and_b32_e32 v228, 0xff, v50
	v_lshrrev_b16 v74, 8, v50
	s_waitcnt lgkmcnt(0)
	v_cvt_f32_ubyte0_e32 v85, v55
	v_cvt_f32_ubyte1_e32 v5, v55
	v_mul_lo_u32 v32, v47, v228
	v_and_b32_e32 v35, 0xffff, v74
	scratch_store_b32 off, v228, off offset:856 ; 4-byte Folded Spill
	v_fma_mix_f32 v75, v156, v85, 0 op_sel:[1,0,0] op_sel_hi:[1,0,0]
	scratch_store_b32 off, v35, off offset:196 ; 4-byte Folded Spill
	v_cvt_f32_i32_e32 v32, v32
	v_fma_mix_f32 v75, v157, v5, v75 op_sel:[1,0,0] op_sel_hi:[1,0,0]
	s_delay_alu instid0(VALU_DEP_2) | instskip(SKIP_2) | instid1(VALU_DEP_2)
	v_fma_mix_f32 v214, v156, v32, 0 op_sel_hi:[1,0,0]
	v_ashrrev_i32_e32 v32, 4, v53
	v_ashrrev_i32_e32 v53, 4, v117
	v_and_b32_e32 v254, 15, v32
	v_bfe_u32 v225, v32, 8, 4
	v_bfe_u32 v84, v32, 16, 4
	;; [unrolled: 1-line block ×3, first 2 shown]
	v_ashrrev_i32_e32 v32, 4, v54
	v_mul_i32_i24_e32 v76, v254, v181
	v_mul_i32_i24_e32 v77, v225, v180
	;; [unrolled: 1-line block ×4, first 2 shown]
	v_and_b32_e32 v34, 15, v32
	v_bfe_u32 v216, v32, 8, 4
	v_bfe_u32 v151, v32, 16, 4
	;; [unrolled: 1-line block ×3, first 2 shown]
	v_ashrrev_i32_e32 v32, 4, v240
	v_mad_i32_i24 v76, v34, v7, v76
	v_mul_i32_i24_e32 v54, v216, v177
	v_mul_i32_i24_e32 v82, v151, v176
	;; [unrolled: 1-line block ×3, first 2 shown]
	v_and_b32_e32 v87, 15, v32
	v_bfe_u32 v79, v32, 8, 4
	v_bfe_u32 v78, v32, 16, 4
	;; [unrolled: 1-line block ×3, first 2 shown]
	v_ashrrev_i32_e32 v32, 4, v241
	v_mul_i32_i24_e32 v114, v87, v173
	v_mul_i32_i24_e32 v108, v79, v172
	;; [unrolled: 1-line block ×4, first 2 shown]
	v_and_b32_e32 v70, 15, v32
	v_add3_u32 v76, v76, v114, v77
	v_bfe_u32 v68, v32, 8, 4
	v_bfe_u32 v64, v32, 16, 4
	;; [unrolled: 1-line block ×3, first 2 shown]
	v_mul_i32_i24_e32 v111, v70, v169
	v_ashrrev_i32_e32 v32, 4, v248
	v_add3_u32 v76, v76, v80, v81
	v_mul_i32_i24_e32 v112, v68, v168
	v_mul_i32_i24_e32 v118, v64, v167
	;; [unrolled: 1-line block ×3, first 2 shown]
	v_and_b32_e32 v60, 15, v32
	v_add3_u32 v54, v76, v111, v54
	v_bfe_u32 v52, v32, 8, 4
	v_bfe_u32 v50, v32, 16, 4
	;; [unrolled: 1-line block ×3, first 2 shown]
	v_mul_i32_i24_e32 v120, v60, v165
	v_ashrrev_i32_e32 v32, 4, v249
	v_add3_u32 v54, v54, v82, v83
	v_mul_i32_i24_e32 v121, v52, v164
	v_mul_i32_i24_e32 v122, v50, v163
	;; [unrolled: 1-line block ×3, first 2 shown]
	v_and_b32_e32 v48, 15, v32
	v_add3_u32 v54, v54, v120, v108
	v_bfe_u32 v47, v32, 8, 4
	v_bfe_u32 v46, v32, 16, 4
	;; [unrolled: 1-line block ×3, first 2 shown]
	v_mul_i32_i24_e32 v124, v48, v161
	v_ashrrev_i32_e32 v32, 4, v116
	v_add3_u32 v54, v54, v109, v110
	v_and_b32_e32 v39, 15, v53
	v_mul_i32_i24_e32 v125, v47, v160
	v_mul_i32_i24_e32 v127, v46, v44
	v_and_b32_e32 v43, 15, v32
	v_add3_u32 v54, v54, v124, v112
	v_mul_i32_i24_e32 v117, v39, v153
	v_mul_i32_i24_e32 v128, v45, v3
	v_bfe_u32 v42, v32, 8, 4
	v_mul_i32_i24_e32 v116, v43, v2
	v_add3_u32 v54, v54, v118, v119
	v_bfe_u32 v41, v32, 16, 4
	v_bfe_u32 v40, v32, 24, 4
	v_mul_i32_i24_e32 v129, v42, v1
	v_bfe_u32 v26, v53, 8, 4
	v_add3_u32 v54, v54, v116, v121
	v_mul_i32_i24_e32 v130, v41, v155
	v_mul_i32_i24_e32 v131, v40, v154
	v_bfe_u32 v37, v53, 16, 4
	v_mul_i32_i24_e32 v132, v26, v152
	v_add3_u32 v54, v54, v122, v123
	v_bfe_u32 v36, v53, 24, 4
	s_clause 0x1
	scratch_store_b32 off, v85, off offset:860
	scratch_store_b32 off, v225, off offset:864
	v_mul_i32_i24_e32 v133, v37, v126
	v_add3_u32 v54, v54, v117, v125
	v_mul_i32_i24_e32 v134, v36, v51
	s_clause 0x5
	scratch_store_b32 off, v254, off offset:872
	scratch_store_b32 off, v215, off offset:900
	;; [unrolled: 1-line block ×6, first 2 shown]
	v_add3_u32 v54, v54, v127, v128
	s_clause 0x4
	scratch_store_b32 off, v84, off offset:896
	scratch_store_b32 off, v87, off offset:480
	;; [unrolled: 1-line block ×5, first 2 shown]
	v_add3_u32 v54, v54, v129, v130
	s_clause 0x3
	scratch_store_b32 off, v68, off offset:496
	scratch_store_b32 off, v64, off offset:500
	scratch_store_b32 off, v63, off offset:232
	scratch_store_b32 off, v60, off offset:644
	v_add3_u32 v54, v54, v131, v132
	s_clause 0x3
	scratch_store_b32 off, v52, off offset:184
	scratch_store_b32 off, v49, off offset:188
	scratch_store_b32 off, v48, off offset:192
	scratch_store_b32 off, v50, off offset:28
	;; [unrolled: 6-line block ×3, first 2 shown]
	v_mul_lo_u32 v74, v76, v35
	s_clause 0x6
	scratch_store_b32 off, v42, off offset:1012
	scratch_store_b32 off, v41, off offset:1016
	;; [unrolled: 1-line block ×7, first 2 shown]
	v_cvt_f32_i32_e32 v74, v74
	scratch_store_b32 off, v34, off offset:876 ; 4-byte Folded Spill
	v_dual_mov_b32 v241, v38 :: v_dual_mov_b32 v38, v67
	v_fma_mix_f32 v74, v157, v74, v214 op_sel_hi:[1,0,0]
	s_clause 0x6
	scratch_load_b32 v214, off, off offset:1112
	scratch_load_b32 v66, off, off offset:1116
	;; [unrolled: 1-line block ×7, first 2 shown]
	scratch_store_b32 off, v5, off offset:180 ; 4-byte Folded Spill
	s_waitcnt vmcnt(1)
	v_dual_mul_f32 v75, v75, v65 :: v_dual_mov_b32 v234, v56
	s_delay_alu instid0(VALU_DEP_1) | instskip(SKIP_1) | instid1(VALU_DEP_1)
	v_fma_f32 v74, v74, v56, -v75
	s_waitcnt vmcnt(0)
	v_add_f32_e32 v0, v0, v74
	scratch_store_b32 off, v0, off offset:1080 ; 4-byte Folded Spill
	scratch_load_b32 v0, off, off offset:1264 ; 4-byte Folded Reload
	s_waitcnt vmcnt(0)
	v_add3_u32 v74, v0, s17, v213
	scratch_load_b32 v0, off, off offset:4  ; 4-byte Folded Reload
	s_waitcnt vmcnt(0)
	v_add_nc_u32_e32 v75, 0x3180, v0
	ds_load_2addr_b32 v[116:117], v75 offset1:1
	s_waitcnt lgkmcnt(0)
	v_bfe_u32 v0, v117, 8, 4
	v_and_b32_e32 v237, 15, v116
	v_bfe_u32 v238, v116, 8, 4
	v_and_b32_e32 v239, 15, v117
	v_bfe_u32 v236, v116, 16, 4
	scratch_store_b32 off, v0, off offset:60 ; 4-byte Folded Spill
	v_mul_i32_i24_e32 v80, v0, v208
	v_bfe_u32 v0, v117, 16, 4
	v_mul_i32_i24_e32 v75, v237, v211
	v_mul_i32_i24_e32 v4, v238, v4
	v_bfe_u32 v213, v116, 24, 4
	v_mul_i32_i24_e32 v76, v236, v210
	scratch_store_b32 off, v0, off offset:68 ; 4-byte Folded Spill
	v_mul_i32_i24_e32 v81, v0, v207
	v_bfe_u32 v0, v117, 24, 4
	v_mad_i32_i24 v75, v239, v174, v75
	v_mul_i32_i24_e32 v77, v213, v209
	s_clause 0x3
	scratch_store_b32 off, v237, off offset:444
	scratch_store_b32 off, v236, off offset:448
	;; [unrolled: 1-line block ×4, first 2 shown]
	v_mul_i32_i24_e32 v82, v0, v206
	scratch_load_b32 v0, off, off offset:4  ; 4-byte Folded Reload
	s_clause 0x1
	scratch_store_b32 off, v238, off offset:784
	scratch_store_b32 off, v239, off offset:236
	s_waitcnt vmcnt(0)
	v_add_nc_u32_e32 v83, 0x3188, v0
	ds_load_2addr_b32 v[206:207], v83 offset1:1
	s_waitcnt lgkmcnt(0)
	v_and_b32_e32 v0, 15, v206
	scratch_store_b32 off, v0, off offset:32 ; 4-byte Folded Spill
	v_mul_i32_i24_e32 v83, v0, v205
	v_bfe_u32 v0, v206, 8, 4
	s_delay_alu instid0(VALU_DEP_2)
	v_add3_u32 v4, v75, v83, v4
	scratch_store_b32 off, v0, off offset:40 ; 4-byte Folded Spill
	v_mul_i32_i24_e32 v108, v0, v204
	v_bfe_u32 v0, v206, 16, 4
	v_add3_u32 v4, v4, v76, v77
	scratch_store_b32 off, v0, off offset:44 ; 4-byte Folded Spill
	v_mul_i32_i24_e32 v109, v0, v203
	v_bfe_u32 v0, v206, 24, 4
	scratch_store_b32 off, v0, off offset:48 ; 4-byte Folded Spill
	v_mul_i32_i24_e32 v110, v0, v202
	v_and_b32_e32 v0, 15, v207
	scratch_store_b32 off, v0, off offset:36 ; 4-byte Folded Spill
	v_mul_i32_i24_e32 v111, v0, v201
	v_bfe_u32 v0, v207, 8, 4
	s_delay_alu instid0(VALU_DEP_2)
	v_add3_u32 v4, v4, v111, v80
	scratch_store_b32 off, v0, off offset:52 ; 4-byte Folded Spill
	v_mul_i32_i24_e32 v112, v0, v200
	v_bfe_u32 v0, v207, 16, 4
	v_add3_u32 v4, v4, v81, v82
	v_ashrrev_i32_e32 v82, 4, v117
	scratch_store_b32 off, v0, off offset:56 ; 4-byte Folded Spill
	v_mul_i32_i24_e32 v114, v0, v199
	v_bfe_u32 v0, v207, 24, 4
	v_and_b32_e32 v13, 15, v82
	scratch_store_b32 off, v0, off offset:64 ; 4-byte Folded Spill
	v_mul_i32_i24_e32 v118, v0, v198
	scratch_load_b32 v0, off, off offset:4  ; 4-byte Folded Reload
	s_waitcnt vmcnt(0)
	v_add_nc_u32_e32 v119, 0x3190, v0
	ds_load_2addr_b32 v[198:199], v119 offset1:1
	s_waitcnt lgkmcnt(0)
	v_and_b32_e32 v0, 15, v198
	scratch_store_b32 off, v0, off offset:76 ; 4-byte Folded Spill
	v_mul_i32_i24_e32 v119, v0, v197
	v_bfe_u32 v0, v198, 8, 4
	s_delay_alu instid0(VALU_DEP_2)
	v_add3_u32 v4, v4, v119, v108
	scratch_store_b32 off, v0, off offset:80 ; 4-byte Folded Spill
	v_mul_i32_i24_e32 v120, v0, v196
	v_bfe_u32 v0, v198, 16, 4
	v_ashrrev_i32_e32 v119, 4, v198
	v_add3_u32 v4, v4, v109, v110
	v_ashrrev_i32_e32 v109, 4, v206
	scratch_store_b32 off, v0, off offset:84 ; 4-byte Folded Spill
	v_mul_i32_i24_e32 v121, v0, v195
	v_bfe_u32 v0, v198, 24, 4
	scratch_store_b32 off, v0, off offset:244 ; 4-byte Folded Spill
	v_mul_i32_i24_e32 v122, v0, v194
	v_and_b32_e32 v0, 15, v199
	scratch_store_b32 off, v0, off offset:240 ; 4-byte Folded Spill
	v_mul_i32_i24_e32 v123, v0, v193
	v_bfe_u32 v0, v199, 8, 4
	s_delay_alu instid0(VALU_DEP_2)
	v_add3_u32 v4, v4, v123, v112
	scratch_store_b32 off, v0, off offset:248 ; 4-byte Folded Spill
	v_mul_i32_i24_e32 v124, v0, v192
	v_bfe_u32 v0, v199, 16, 4
	v_ashrrev_i32_e32 v123, 4, v199
	v_add3_u32 v4, v4, v114, v118
	v_ashrrev_i32_e32 v114, 4, v207
	scratch_store_b32 off, v0, off offset:252 ; 4-byte Folded Spill
	v_mul_i32_i24_e32 v125, v0, v191
	v_bfe_u32 v0, v199, 24, 4
	scratch_store_b32 off, v0, off offset:256 ; 4-byte Folded Spill
	v_mul_i32_i24_e32 v127, v0, v190
	scratch_load_b32 v0, off, off offset:4  ; 4-byte Folded Reload
	s_waitcnt vmcnt(0)
	v_add_nc_u32_e32 v128, 0x3198, v0
	ds_load_2addr_b32 v[190:191], v128 offset1:1
	s_waitcnt lgkmcnt(0)
	v_and_b32_e32 v0, 15, v190
	v_bfe_u32 v251, v190, 24, 4
	v_bfe_u32 v211, v190, 16, 4
	;; [unrolled: 1-line block ×4, first 2 shown]
	scratch_store_b32 off, v0, off offset:260 ; 4-byte Folded Spill
	v_mul_i32_i24_e32 v128, v0, v189
	v_bfe_u32 v0, v190, 8, 4
	v_bfe_u32 v244, v191, 24, 4
	s_clause 0x1
	scratch_store_b32 off, v211, off offset:648
	scratch_store_b32 off, v251, off offset:268
	v_add3_u32 v4, v4, v128, v120
	scratch_store_b32 off, v0, off offset:264 ; 4-byte Folded Spill
	v_mul_i32_i24_e32 v129, v0, v188
	v_and_b32_e32 v0, 15, v191
	s_clause 0x2
	scratch_store_b32 off, v248, off offset:1044
	scratch_store_b32 off, v245, off offset:1048
	;; [unrolled: 1-line block ×3, first 2 shown]
	v_add3_u32 v4, v4, v121, v122
	v_mul_i32_i24_e32 v132, v0, v185
	scratch_store_b32 off, v0, off offset:612 ; 4-byte Folded Spill
	ds_load_u16 v75, v74 offset:26624
	ds_load_u16 v74, v74 offset:26632
	v_mul_i32_i24_e32 v130, v211, v187
	v_mul_i32_i24_e32 v131, v251, v186
	v_add3_u32 v4, v4, v132, v124
	v_mul_i32_i24_e32 v133, v248, v184
	v_mul_i32_i24_e32 v134, v245, v183
	;; [unrolled: 1-line block ×3, first 2 shown]
	s_clause 0x3
	scratch_load_b32 v253, off, off offset:708
	scratch_load_b32 v247, off, off offset:712
	;; [unrolled: 1-line block ×4, first 2 shown]
	v_add3_u32 v4, v4, v125, v127
	s_clause 0x1
	scratch_load_b32 v56, off, off offset:276
	scratch_load_b32 v96, off, off offset:320
	v_ashrrev_i32_e32 v128, 4, v190
	v_ashrrev_i32_e32 v132, 4, v191
	v_add3_u32 v4, v4, v129, v130
	s_clause 0x2
	scratch_load_b32 v246, off, off offset:1040
	scratch_load_b32 v229, off, off offset:176
	;; [unrolled: 1-line block ×3, first 2 shown]
	s_waitcnt lgkmcnt(1)
	v_and_b32_e32 v243, 0xff, v75
	v_add3_u32 v4, v4, v131, v133
	v_lshrrev_b16 v76, 8, v75
	s_waitcnt lgkmcnt(0)
	v_cvt_f32_ubyte0_e32 v7, v74
	v_ashrrev_i32_e32 v75, 4, v116
	s_clause 0x2
	scratch_load_b32 v27, off, off offset:112
	scratch_load_b32 v72, off, off offset:124
	scratch_load_b32 v98, off, off offset:128
	v_add3_u32 v4, v4, v134, v182
	v_fma_mix_f32 v0, v156, v7, 0 op_sel:[1,0,0] op_sel_hi:[1,0,0]
	s_clause 0x2
	scratch_load_b32 v55, off, off offset:136
	scratch_load_b32 v28, off, off offset:144
	;; [unrolled: 1-line block ×3, first 2 shown]
	v_mul_lo_u32 v4, v4, v243
	s_clause 0xa
	scratch_load_b32 v59, off, off offset:152
	scratch_load_b32 v54, off, off offset:132
	;; [unrolled: 1-line block ×11, first 2 shown]
	v_cvt_f32_i32_e32 v4, v4
	s_clause 0x1
	scratch_load_b32 v250, off, off offset:20
	scratch_load_b32 v6, off, off offset:692
	s_clause 0x1
	scratch_store_b32 off, v38, off offset:336
	scratch_store_b32 off, v61, off offset:340
	v_fma_mix_f32 v4, v156, v4, 0 op_sel_hi:[1,0,0]
	v_dual_mov_b32 v156, v7 :: v_dual_and_b32 v7, 15, v75
	s_clause 0x4
	scratch_store_b32 off, v243, off offset:1056
	scratch_store_b32 off, v227, off offset:300
	scratch_store_b32 off, v104, off offset:304
	scratch_store_b32 off, v69, off offset:348
	scratch_store_b32 off, v7, off offset:620
	v_mul_i32_i24_e32 v77, v7, v181
	v_bfe_u32 v7, v75, 8, 4
	s_clause 0x4
	scratch_store_b32 off, v73, off offset:308
	scratch_store_b32 off, v90, off offset:392
	scratch_store_b32 off, v89, off offset:408
	scratch_store_b32 off, v86, off offset:288
	scratch_store_b32 off, v7, off offset:616
	v_mul_i32_i24_e32 v80, v7, v180
	v_bfe_u32 v7, v75, 16, 4
	;; [unrolled: 8-line block ×3, first 2 shown]
	scratch_store_b32 off, v7, off offset:632 ; 4-byte Folded Spill
	v_mul_i32_i24_e32 v75, v7, v178
	v_bfe_u32 v7, v82, 8, 4
	scratch_store_b32 off, v7, off offset:628 ; 4-byte Folded Spill
	v_mul_i32_i24_e32 v83, v7, v177
	v_bfe_u32 v7, v82, 16, 4
	scratch_store_b32 off, v7, off offset:636 ; 4-byte Folded Spill
	v_mul_i32_i24_e32 v108, v7, v176
	v_bfe_u32 v7, v82, 24, 4
	scratch_store_b32 off, v7, off offset:640 ; 4-byte Folded Spill
	v_mul_i32_i24_e32 v82, v7, v175
	v_and_b32_e32 v7, 15, v109
	scratch_store_b32 off, v7, off offset:1228 ; 4-byte Folded Spill
	v_mul_i32_i24_e32 v110, v7, v173
	v_bfe_u32 v7, v109, 8, 4
	scratch_store_b32 off, v7, off offset:1224 ; 4-byte Folded Spill
	v_mul_i32_i24_e32 v111, v7, v172
	v_bfe_u32 v7, v109, 16, 4
	scratch_store_b32 off, v7, off offset:1232 ; 4-byte Folded Spill
	v_mul_i32_i24_e32 v112, v7, v171
	v_bfe_u32 v7, v109, 24, 4
	scratch_store_b32 off, v7, off offset:1236 ; 4-byte Folded Spill
	v_mul_i32_i24_e32 v109, v7, v170
	v_and_b32_e32 v7, 15, v114
	;; [unrolled: 12-line block ×4, first 2 shown]
	scratch_store_b32 off, v7, off offset:764 ; 4-byte Folded Spill
	v_mul_i32_i24_e32 v124, v7, v161
	v_bfe_u32 v7, v123, 8, 4
	scratch_store_b32 off, v7, off offset:760 ; 4-byte Folded Spill
	v_mul_i32_i24_e32 v125, v7, v160
	v_bfe_u32 v7, v123, 16, 4
	s_delay_alu instid0(VALU_DEP_1)
	v_mul_i32_i24_e32 v127, v7, v44
	v_mad_i32_i24 v44, v13, v14, v77
	scratch_store_b32 off, v7, off offset:768 ; 4-byte Folded Spill
	v_bfe_u32 v7, v123, 24, 4
	scratch_load_b32 v14, off, off offset:1256 ; 4-byte Folded Reload
	v_add3_u32 v44, v44, v110, v80
	scratch_store_b32 off, v7, off offset:772 ; 4-byte Folded Spill
	v_mul_i32_i24_e32 v123, v7, v3
	v_and_b32_e32 v3, 15, v128
	v_add3_u32 v44, v44, v81, v75
	s_delay_alu instid0(VALU_DEP_2) | instskip(NEXT) | instid1(VALU_DEP_2)
	v_mul_i32_i24_e32 v129, v3, v2
	v_add3_u32 v44, v44, v116, v83
	v_bfe_u32 v2, v128, 8, 4
	s_delay_alu instid0(VALU_DEP_2) | instskip(NEXT) | instid1(VALU_DEP_2)
	v_add3_u32 v44, v44, v108, v82
	v_mul_i32_i24_e32 v130, v2, v1
	v_bfe_u32 v1, v128, 16, 4
	s_clause 0x1
	scratch_store_b32 off, v3, off offset:748
	scratch_store_b32 off, v2, off offset:744
	v_add3_u32 v44, v44, v120, v111
	scratch_load_b32 v2, off, off offset:916 ; 4-byte Folded Reload
	scratch_store_b32 off, v1, off offset:752 ; 4-byte Folded Spill
	v_mul_i32_i24_e32 v131, v1, v155
	v_bfe_u32 v1, v128, 24, 4
	v_add3_u32 v44, v44, v112, v109
	scratch_store_b32 off, v1, off offset:756 ; 4-byte Folded Spill
	v_add3_u32 v44, v44, v124, v117
	v_mul_i32_i24_e32 v128, v1, v154
	v_and_b32_e32 v1, 15, v132
	s_delay_alu instid0(VALU_DEP_3) | instskip(NEXT) | instid1(VALU_DEP_2)
	v_add3_u32 v44, v44, v118, v114
	v_mul_i32_i24_e32 v133, v1, v153
	scratch_store_b32 off, v1, off offset:652 ; 4-byte Folded Spill
	v_bfe_u32 v1, v132, 8, 4
	v_add3_u32 v44, v44, v129, v121
	scratch_store_b32 off, v1, off offset:656 ; 4-byte Folded Spill
	v_add3_u32 v44, v44, v122, v119
	v_mul_i32_i24_e32 v134, v1, v152
	v_bfe_u32 v1, v132, 16, 4
	s_delay_alu instid0(VALU_DEP_3)
	v_add3_u32 v44, v44, v133, v125
	scratch_store_b32 off, v1, off offset:660 ; 4-byte Folded Spill
	v_mul_i32_i24_e32 v126, v1, v126
	v_bfe_u32 v1, v132, 24, 4
	v_add3_u32 v44, v44, v127, v123
	v_mov_b32_e32 v132, v13
	scratch_load_b32 v13, off, off offset:1248 ; 4-byte Folded Reload
	scratch_store_b32 off, v156, off offset:1060 ; 4-byte Folded Spill
	v_mul_i32_i24_e32 v51, v1, v51
	v_add3_u32 v44, v44, v130, v131
	s_clause 0x1
	scratch_store_b32 off, v132, off offset:1064
	scratch_store_b32 off, v1, off offset:664
	v_and_b32_e32 v1, 0xffff, v76
	v_add3_u32 v44, v44, v128, v134
	s_delay_alu instid0(VALU_DEP_2) | instskip(NEXT) | instid1(VALU_DEP_2)
	v_mov_b32_e32 v110, v1
	v_add3_u32 v44, v44, v126, v51
	s_delay_alu instid0(VALU_DEP_1) | instskip(SKIP_1) | instid1(VALU_DEP_1)
	v_mul_lo_u32 v44, v44, v1
	v_cvt_f32_ubyte1_e32 v1, v74
	v_fma_mix_f32 v0, v157, v1, v0 op_sel:[1,0,0] op_sel_hi:[1,0,0]
	v_mov_b32_e32 v109, v1
	scratch_load_b32 v1, off, off offset:1076 ; 4-byte Folded Reload
	v_cvt_f32_i32_e32 v44, v44
	s_delay_alu instid0(VALU_DEP_1)
	v_fma_mix_f32 v4, v157, v44, v4 op_sel_hi:[1,0,0]
	s_waitcnt vmcnt(3)
	v_mul_f32_e32 v0, v0, v14
	v_mov_b32_e32 v112, v14
	scratch_load_b32 v14, off, off offset:700 ; 4-byte Folded Reload
	s_waitcnt vmcnt(2)
	v_fma_f32 v0, v4, v13, -v0
	v_mov_b32_e32 v111, v13
	scratch_load_b32 v13, off, off offset:400 ; 4-byte Folded Reload
	s_waitcnt vmcnt(2)
	v_add_f32_e32 v1, v1, v0
	scratch_load_b32 v0, off, off           ; 4-byte Folded Reload
	scratch_store_b32 off, v1, off offset:1076 ; 4-byte Folded Spill
	s_waitcnt vmcnt(0)
	ds_load_b128 v[152:155], v0 offset:1024
	scratch_load_b32 v0, off, off           ; 4-byte Folded Reload
	s_waitcnt lgkmcnt(0)
	v_bfe_i32 v208, v152, 0, 8
	v_bfe_i32 v207, v152, 8, 8
	;; [unrolled: 1-line block ×3, first 2 shown]
	v_ashrrev_i32_e32 v210, 24, v152
	v_bfe_i32 v190, v153, 0, 8
	v_mul_i32_i24_e32 v74, v208, v137
	v_bfe_i32 v187, v153, 8, 8
	v_mul_i32_i24_e32 v75, v209, v136
	v_mul_i32_i24_e32 v76, v210, v135
	v_bfe_i32 v188, v153, 16, 8
	v_mad_i32_i24 v74, v207, v138, v74
	v_ashrrev_i32_e32 v189, 24, v153
	v_bfe_i32 v183, v154, 0, 8
	v_bfe_i32 v184, v154, 8, 8
	;; [unrolled: 1-line block ×3, first 2 shown]
	v_ashrrev_i32_e32 v186, 24, v154
	v_bfe_i32 v167, v155, 0, 8
	v_bfe_i32 v180, v155, 8, 8
	;; [unrolled: 1-line block ×3, first 2 shown]
	v_ashrrev_i32_e32 v182, 24, v155
	v_add3_u32 v74, v74, v75, v76
	v_mul_i32_i24_e32 v75, v190, v139
	v_mul_i32_i24_e32 v76, v187, v142
	;; [unrolled: 1-line block ×4, first 2 shown]
	v_mov_b32_e32 v137, v138
	v_mov_b32_e32 v138, v142
	v_add3_u32 v74, v74, v75, v76
	v_mul_i32_i24_e32 v75, v183, v150
	v_mul_i32_i24_e32 v76, v184, v149
	s_clause 0x1
	scratch_load_b32 v141, off, off offset:416
	scratch_load_b32 v142, off, off offset:420
	v_add3_u32 v74, v74, v77, v80
	v_mul_i32_i24_e32 v77, v185, v143
	v_mul_i32_i24_e32 v80, v186, v145
	s_clause 0x1
	scratch_load_b32 v143, off, off offset:424
	scratch_load_b32 v145, off, off offset:436
	;; [unrolled: 6-line block ×4, first 2 shown]
	v_add3_u32 v74, v74, v75, v76
	scratch_load_b32 v136, off, off offset:120 ; 4-byte Folded Reload
	v_mov_b32_e32 v149, v106
	s_clause 0x1
	scratch_load_b32 v106, off, off offset:820
	scratch_load_b32 v150, off, off offset:840
	v_add3_u32 v74, v74, v77, v80
	v_mov_b32_e32 v135, v139
	s_clause 0x1
	scratch_load_b32 v139, off, off offset:272
	scratch_load_b32 v140, off, off offset:312
	s_clause 0x2
	scratch_store_b32 off, v137, off offset:668
	scratch_store_b32 off, v138, off offset:672
	;; [unrolled: 1-line block ×3, first 2 shown]
	s_waitcnt vmcnt(13)
	ds_load_b128 v[152:155], v0 offset:1040
	scratch_load_b32 v0, off, off           ; 4-byte Folded Reload
	s_waitcnt lgkmcnt(0)
	v_bfe_i32 v203, v152, 0, 8
	v_bfe_i32 v204, v152, 8, 8
	;; [unrolled: 1-line block ×3, first 2 shown]
	v_ashrrev_i32_e32 v206, 24, v152
	v_bfe_i32 v200, v153, 8, 8
	v_mul_i32_i24_e32 v75, v203, v2
	scratch_load_b32 v2, off, off offset:920 ; 4-byte Folded Reload
	v_bfe_i32 v201, v153, 16, 8
	v_ashrrev_i32_e32 v202, 24, v153
	v_bfe_i32 v199, v153, 0, 8
	v_bfe_i32 v195, v154, 0, 8
	;; [unrolled: 1-line block ×6, first 2 shown]
	v_ashrrev_i32_e32 v198, 24, v154
	v_bfe_i32 v193, v155, 16, 8
	v_ashrrev_i32_e32 v194, 24, v155
	s_waitcnt vmcnt(1)
	ds_load_b128 v[152:155], v0 offset:1056
	scratch_load_b32 v0, off, off           ; 4-byte Folded Reload
	s_waitcnt lgkmcnt(0)
	v_bfe_i32 v177, v152, 0, 8
	v_ashrrev_i32_e32 v179, 24, v152
	v_bfe_i32 v176, v152, 8, 8
	v_bfe_i32 v178, v152, 16, 8
	;; [unrolled: 1-line block ×3, first 2 shown]
	s_waitcnt vmcnt(1)
	v_mul_i32_i24_e32 v76, v204, v2
	scratch_load_b32 v2, off, off offset:936 ; 4-byte Folded Reload
	v_bfe_i32 v172, v153, 8, 8
	v_bfe_i32 v171, v154, 0, 8
	;; [unrolled: 1-line block ×3, first 2 shown]
	v_add3_u32 v74, v74, v75, v76
	v_mul_i32_i24_e32 v75, v199, v14
	v_bfe_i32 v173, v153, 16, 8
	v_ashrrev_i32_e32 v174, 24, v153
	v_bfe_i32 v169, v154, 16, 8
	v_ashrrev_i32_e32 v170, 24, v154
	v_bfe_i32 v166, v155, 0, 8
	v_bfe_i32 v163, v155, 8, 8
	v_mul_i32_i24_e32 v82, v174, v13
	v_bfe_i32 v164, v155, 16, 8
	v_ashrrev_i32_e32 v165, 24, v155
	s_waitcnt vmcnt(1)
	ds_load_b128 v[152:155], v0 offset:1072
	s_waitcnt lgkmcnt(0)
	v_ashrrev_i32_e32 v161, 24, v152
	v_bfe_i32 v162, v152, 0, 8
	v_bfe_i32 v108, v152, 8, 8
	;; [unrolled: 1-line block ×4, first 2 shown]
	s_waitcnt vmcnt(0)
	v_mul_i32_i24_e32 v77, v205, v2
	scratch_load_b32 v2, off, off offset:940 ; 4-byte Folded Reload
	v_bfe_i32 v160, v152, 16, 8
	v_bfe_i32 v3, v153, 16, 8
	v_ashrrev_i32_e32 v7, 24, v153
	v_bfe_i32 v153, v154, 0, 8
	v_bfe_i32 v4, v154, 16, 8
	v_ashrrev_i32_e32 v152, 24, v154
	v_bfe_i32 v126, v154, 8, 8
	v_bfe_i32 v0, v155, 0, 8
	;; [unrolled: 1-line block ×4, first 2 shown]
	v_ashrrev_i32_e32 v51, 24, v155
	s_waitcnt vmcnt(0)
	v_mul_i32_i24_e32 v80, v206, v2
	scratch_load_b32 v2, off, off offset:588 ; 4-byte Folded Reload
	v_add3_u32 v74, v74, v77, v80
	s_waitcnt vmcnt(0)
	v_mul_i32_i24_e32 v76, v200, v2
	scratch_load_b32 v2, off, off offset:516 ; 4-byte Folded Reload
	v_add3_u32 v74, v74, v75, v76
	s_waitcnt vmcnt(0)
	v_mul_i32_i24_e32 v77, v201, v2
	scratch_load_b32 v2, off, off offset:512 ; 4-byte Folded Reload
	s_waitcnt vmcnt(0)
	v_mul_i32_i24_e32 v80, v202, v2
	scratch_load_b32 v2, off, off offset:532 ; 4-byte Folded Reload
	v_add3_u32 v74, v74, v77, v80
	v_mul_i32_i24_e32 v80, v198, v246
	s_waitcnt vmcnt(0)
	v_mul_i32_i24_e32 v75, v195, v2
	scratch_load_b32 v2, off, off offset:560 ; 4-byte Folded Reload
	s_waitcnt vmcnt(0)
	v_mul_i32_i24_e32 v76, v196, v2
	scratch_load_b32 v2, off, off offset:564 ; 4-byte Folded Reload
	v_add3_u32 v74, v74, v75, v76
	s_waitcnt vmcnt(0)
	v_mul_i32_i24_e32 v77, v197, v2
	scratch_load_b32 v2, off, off offset:548 ; 4-byte Folded Reload
	v_add3_u32 v74, v74, v77, v80
	s_waitcnt vmcnt(0)
	v_mul_i32_i24_e32 v75, v191, v2
	scratch_load_b32 v2, off, off offset:552 ; 4-byte Folded Reload
	s_waitcnt vmcnt(0)
	v_mul_i32_i24_e32 v76, v192, v2
	scratch_load_b32 v2, off, off offset:556 ; 4-byte Folded Reload
	v_add3_u32 v74, v74, v75, v76
	v_fma_mix_f32 v75, v10, v158, 0 op_sel:[0,1,0] op_sel_hi:[0,1,0]
	scratch_load_b32 v10, off, off offset:716 ; 4-byte Folded Reload
	v_fma_mix_f32 v75, v8, v159, v75 op_sel:[0,1,0] op_sel_hi:[0,1,0]
	s_delay_alu instid0(VALU_DEP_1)
	v_mul_f32_e32 v75, v75, v58
	s_waitcnt vmcnt(1)
	v_mul_i32_i24_e32 v77, v193, v2
	scratch_load_b32 v2, off, off offset:224 ; 4-byte Folded Reload
	s_waitcnt vmcnt(1)
	v_mov_b32_e32 v8, v10
	s_waitcnt vmcnt(0)
	v_mul_i32_i24_e32 v80, v194, v2
	scratch_load_b32 v2, off, off offset:228 ; 4-byte Folded Reload
	v_add3_u32 v74, v74, v77, v80
	v_mul_i32_i24_e32 v77, v178, v253
	s_delay_alu instid0(VALU_DEP_2) | instskip(SKIP_2) | instid1(VALU_DEP_1)
	v_mul_lo_u32 v74, v74, v11
	scratch_load_b32 v11, off, off offset:396 ; 4-byte Folded Reload
	v_cvt_f32_i32_e32 v74, v74
	v_fma_mix_f32 v74, v158, v74, 0 op_sel_hi:[1,0,0]
	s_waitcnt vmcnt(1)
	v_mul_i32_i24_e32 v76, v177, v2
	scratch_load_b32 v2, off, off offset:212 ; 4-byte Folded Reload
	v_mad_i32_i24 v76, v176, v247, v76
	s_waitcnt vmcnt(1)
	v_mul_i32_i24_e32 v81, v173, v11
	s_waitcnt vmcnt(0)
	v_mul_i32_i24_e32 v80, v179, v2
	scratch_load_b32 v2, off, off offset:924 ; 4-byte Folded Reload
	v_add3_u32 v76, v76, v77, v80
	v_mul_i32_i24_e32 v77, v175, v9
	v_mul_i32_i24_e32 v80, v172, v10
	v_mov_b32_e32 v10, v13
	scratch_load_b32 v13, off, off offset:528 ; 4-byte Folded Reload
	v_add3_u32 v76, v76, v77, v80
	s_delay_alu instid0(VALU_DEP_1)
	v_add3_u32 v76, v76, v81, v82
	s_waitcnt vmcnt(1)
	v_mul_i32_i24_e32 v77, v171, v2
	scratch_load_b32 v2, off, off offset:216 ; 4-byte Folded Reload
	s_waitcnt vmcnt(0)
	v_mul_i32_i24_e32 v80, v168, v2
	scratch_load_b32 v2, off, off offset:536 ; 4-byte Folded Reload
	v_add3_u32 v76, v76, v77, v80
	v_mul_i32_i24_e32 v77, v166, v141
	v_mul_i32_i24_e32 v80, v163, v142
	s_waitcnt vmcnt(0)
	v_mul_i32_i24_e32 v81, v169, v2
	scratch_load_b32 v2, off, off offset:540 ; 4-byte Folded Reload
	s_waitcnt vmcnt(0)
	v_mul_i32_i24_e32 v82, v170, v2
	scratch_load_b32 v2, off, off offset:428 ; 4-byte Folded Reload
	v_add3_u32 v76, v76, v81, v82
	v_mul_i32_i24_e32 v81, v164, v143
	v_mul_i32_i24_e32 v82, v165, v144
	s_delay_alu instid0(VALU_DEP_3) | instskip(SKIP_2) | instid1(VALU_DEP_3)
	v_add3_u32 v76, v76, v77, v80
	v_mul_i32_i24_e32 v77, v162, v146
	v_mul_i32_i24_e32 v80, v108, v147
	v_add3_u32 v76, v76, v81, v82
	v_mul_i32_i24_e32 v81, v160, v148
	s_delay_alu instid0(VALU_DEP_2)
	v_add3_u32 v76, v76, v77, v80
	s_waitcnt vmcnt(0)
	v_mul_i32_i24_e32 v82, v161, v2
	scratch_load_b32 v2, off, off offset:432 ; 4-byte Folded Reload
	v_add3_u32 v76, v76, v81, v82
	s_waitcnt vmcnt(0)
	v_mul_i32_i24_e32 v77, v83, v2
	scratch_load_b32 v2, off, off offset:956 ; 4-byte Folded Reload
	s_waitcnt vmcnt(0)
	v_mul_i32_i24_e32 v80, v114, v2
	scratch_load_b32 v2, off, off offset:960 ; 4-byte Folded Reload
	v_add3_u32 v76, v76, v77, v80
	v_mul_i32_i24_e32 v80, v126, v145
	s_waitcnt vmcnt(0)
	v_mul_i32_i24_e32 v81, v3, v2
	scratch_load_b32 v2, off, off offset:596 ; 4-byte Folded Reload
	s_waitcnt vmcnt(0)
	v_mul_i32_i24_e32 v82, v7, v2
	scratch_load_b32 v2, off, off offset:220 ; 4-byte Folded Reload
	v_add3_u32 v76, v76, v81, v82
	s_waitcnt vmcnt(0)
	v_mul_i32_i24_e32 v77, v153, v2
	scratch_load_b32 v2, off, off offset:520 ; 4-byte Folded Reload
	v_add3_u32 v76, v76, v77, v80
	s_waitcnt vmcnt(0)
	v_mul_i32_i24_e32 v81, v4, v2
	scratch_load_b32 v2, off, off offset:524 ; 4-byte Folded Reload
	s_waitcnt vmcnt(0)
	v_mul_i32_i24_e32 v82, v152, v2
	scratch_load_b32 v2, off, off offset:608 ; 4-byte Folded Reload
	v_add3_u32 v76, v76, v81, v82
	v_mul_i32_i24_e32 v81, v44, v242
	v_mul_i32_i24_e32 v82, v51, v241
	s_waitcnt vmcnt(0)
	v_mul_i32_i24_e32 v77, v0, v2
	scratch_load_b32 v2, off, off offset:528 ; 4-byte Folded Reload
	s_waitcnt vmcnt(0)
	v_mul_i32_i24_e32 v80, v1, v2
	scratch_load_b32 v2, off, off offset:1072 ; 4-byte Folded Reload
	v_add3_u32 v76, v76, v77, v80
	v_mul_i32_i24_e32 v80, v189, v38
	s_delay_alu instid0(VALU_DEP_2)
	v_add3_u32 v76, v76, v81, v82
	v_mul_i32_i24_e32 v81, v173, v24
	v_mul_i32_i24_e32 v82, v174, v69
	scratch_load_b32 v24, off, off offset:412 ; 4-byte Folded Reload
	v_mul_lo_u32 v76, v76, v62
	scratch_load_b32 v62, off, off offset:8 ; 4-byte Folded Reload
	v_cvt_f32_i32_e32 v76, v76
	s_delay_alu instid0(VALU_DEP_1) | instskip(NEXT) | instid1(VALU_DEP_1)
	v_fma_mix_f32 v74, v159, v76, v74 op_sel_hi:[1,0,0]
	v_fma_f32 v74, v74, v57, -v75
	s_waitcnt vmcnt(2)
	s_delay_alu instid0(VALU_DEP_1)
	v_add_f32_e32 v2, v2, v74
	scratch_store_b32 off, v2, off offset:1072 ; 4-byte Folded Spill
	scratch_load_b32 v2, off, off offset:932 ; 4-byte Folded Reload
	s_waitcnt vmcnt(0)
	v_mul_i32_i24_e32 v74, v208, v2
	scratch_load_b32 v2, off, off offset:928 ; 4-byte Folded Reload
	v_mad_i32_i24 v74, v207, v56, v74
	s_waitcnt vmcnt(0)
	v_mul_i32_i24_e32 v75, v209, v2
	scratch_load_b32 v2, off, off offset:600 ; 4-byte Folded Reload
	s_waitcnt vmcnt(0)
	v_mul_i32_i24_e32 v76, v210, v2
	scratch_load_b32 v2, off, off offset:952 ; 4-byte Folded Reload
	v_add3_u32 v74, v74, v75, v76
	v_mul_i32_i24_e32 v75, v190, v227
	s_waitcnt vmcnt(0)
	v_mul_i32_i24_e32 v76, v187, v2
	scratch_load_b32 v2, off, off offset:972 ; 4-byte Folded Reload
	v_add3_u32 v74, v74, v75, v76
	v_mul_i32_i24_e32 v75, v183, v27
	v_mul_i32_i24_e32 v76, v184, v55
	s_waitcnt vmcnt(0)
	v_mul_i32_i24_e32 v77, v188, v2
	scratch_load_b32 v2, off, off offset:568 ; 4-byte Folded Reload
	v_add3_u32 v74, v74, v77, v80
	v_mul_i32_i24_e32 v77, v185, v59
	v_mul_i32_i24_e32 v80, v186, v72
	s_delay_alu instid0(VALU_DEP_3) | instskip(SKIP_1) | instid1(VALU_DEP_2)
	v_add3_u32 v74, v74, v75, v76
	v_mul_i32_i24_e32 v75, v167, v67
	v_add3_u32 v74, v74, v77, v80
	v_mul_i32_i24_e32 v80, v182, v28
	s_waitcnt vmcnt(0)
	v_mul_i32_i24_e32 v76, v180, v2
	scratch_load_b32 v2, off, off offset:944 ; 4-byte Folded Reload
	v_add3_u32 v74, v74, v75, v76
	v_mul_i32_i24_e32 v76, v204, v96
	s_waitcnt vmcnt(0)
	v_mul_i32_i24_e32 v77, v181, v2
	scratch_load_b32 v2, off, off offset:948 ; 4-byte Folded Reload
	;; [unrolled: 5-line block ×3, first 2 shown]
	v_add3_u32 v74, v74, v75, v76
	s_waitcnt vmcnt(0)
	v_mul_i32_i24_e32 v80, v206, v2
	scratch_load_b32 v2, off, off offset:592 ; 4-byte Folded Reload
	v_add3_u32 v74, v74, v77, v80
	v_mul_i32_i24_e32 v77, v201, v53
	s_waitcnt vmcnt(0)
	v_mul_i32_i24_e32 v75, v199, v2
	scratch_load_b32 v2, off, off offset:964 ; 4-byte Folded Reload
	s_waitcnt vmcnt(0)
	v_mul_i32_i24_e32 v76, v200, v2
	scratch_load_b32 v2, off, off offset:544 ; 4-byte Folded Reload
	v_add3_u32 v74, v74, v75, v76
	s_waitcnt vmcnt(0)
	v_mul_i32_i24_e32 v80, v202, v2
	scratch_load_b32 v2, off, off offset:968 ; 4-byte Folded Reload
	v_add3_u32 v74, v74, v77, v80
	s_waitcnt vmcnt(0)
	v_mul_i32_i24_e32 v75, v195, v2
	scratch_load_b32 v2, off, off offset:984 ; 4-byte Folded Reload
	s_waitcnt vmcnt(0)
	v_mul_i32_i24_e32 v76, v196, v2
	scratch_load_b32 v2, off, off offset:580 ; 4-byte Folded Reload
	v_add3_u32 v74, v74, v75, v76
	v_mul_i32_i24_e32 v75, v191, v98
	v_mul_i32_i24_e32 v76, v192, v54
	s_waitcnt vmcnt(0)
	v_mul_i32_i24_e32 v77, v197, v2
	scratch_load_b32 v2, off, off offset:584 ; 4-byte Folded Reload
	s_waitcnt vmcnt(0)
	v_mul_i32_i24_e32 v80, v198, v2
	scratch_load_b32 v2, off, off offset:576 ; 4-byte Folded Reload
	v_add3_u32 v74, v74, v77, v80
	v_mul_i32_i24_e32 v80, v194, v33
	scratch_load_b32 v33, off, off offset:216 ; 4-byte Folded Reload
	v_add3_u32 v74, v74, v75, v76
	v_mul_i32_i24_e32 v76, v177, v62
	v_fma_mix_f32 v75, v20, v158, 0 op_sel:[0,1,0] op_sel_hi:[0,1,0]
	scratch_load_b32 v20, off, off offset:928 ; 4-byte Folded Reload
	v_mad_i32_i24 v76, v176, v25, v76
	v_fma_mix_f32 v75, v250, v159, v75 op_sel:[0,1,0] op_sel_hi:[0,1,0]
	v_mov_b32_e32 v25, v57
	scratch_load_b32 v57, off, off offset:360 ; 4-byte Folded Reload
	v_mul_f32_e32 v75, v75, v223
	s_waitcnt vmcnt(3)
	v_mul_i32_i24_e32 v77, v193, v2
	scratch_load_b32 v2, off, off offset:1068 ; 4-byte Folded Reload
	v_add3_u32 v74, v74, v77, v80
	v_mul_i32_i24_e32 v77, v178, v73
	v_mul_i32_i24_e32 v80, v179, v136
	s_delay_alu instid0(VALU_DEP_3)
	v_mul_lo_u32 v74, v74, v29
	scratch_load_b32 v29, off, off offset:140 ; 4-byte Folded Reload
	v_add3_u32 v76, v76, v77, v80
	v_mul_i32_i24_e32 v77, v175, v92
	v_mul_i32_i24_e32 v80, v172, v61
	v_dual_mov_b32 v92, v97 :: v_dual_mov_b32 v97, v107
	scratch_load_b32 v107, off, off offset:472 ; 4-byte Folded Reload
	v_cvt_f32_i32_e32 v74, v74
	v_add3_u32 v76, v76, v77, v80
	v_mul_i32_i24_e32 v77, v171, v23
	v_mul_i32_i24_e32 v80, v168, v229
	scratch_load_b32 v23, off, off offset:512 ; 4-byte Folded Reload
	v_fma_mix_f32 v74, v158, v74, 0 op_sel_hi:[1,0,0]
	v_add3_u32 v76, v76, v81, v82
	v_mul_i32_i24_e32 v81, v169, v89
	v_mul_i32_i24_e32 v82, v170, v22
	scratch_load_b32 v22, off, off offset:516 ; 4-byte Folded Reload
	scratch_store_b32 off, v92, off offset:460 ; 4-byte Folded Spill
	v_add3_u32 v76, v76, v77, v80
	v_mul_i32_i24_e32 v77, v166, v230
	scratch_store_b32 off, v97, off offset:468 ; 4-byte Folded Spill
	v_add3_u32 v76, v76, v81, v82
	v_mul_i32_i24_e32 v81, v164, v21
	v_mul_i32_i24_e32 v82, v165, v103
	scratch_load_b32 v21, off, off offset:588 ; 4-byte Folded Reload
	s_waitcnt vmcnt(4)
	v_mul_i32_i24_e32 v80, v163, v29
	s_delay_alu instid0(VALU_DEP_1)
	v_add3_u32 v76, v76, v77, v80
	v_mul_i32_i24_e32 v77, v162, v231
	v_mul_i32_i24_e32 v80, v108, v19
	scratch_load_b32 v19, off, off offset:428 ; 4-byte Folded Reload
	v_add3_u32 v76, v76, v81, v82
	v_mul_i32_i24_e32 v81, v160, v86
	v_mul_i32_i24_e32 v82, v161, v232
	s_delay_alu instid0(VALU_DEP_3)
	v_add3_u32 v76, v76, v77, v80
	v_mul_i32_i24_e32 v77, v83, v255
	v_mul_i32_i24_e32 v80, v114, v18
	v_mov_b32_e32 v18, v242
	scratch_load_b32 v242, off, off offset:724 ; 4-byte Folded Reload
	v_add3_u32 v76, v76, v81, v82
	v_mul_i32_i24_e32 v81, v3, v233
	v_mul_i32_i24_e32 v82, v7, v240
	s_delay_alu instid0(VALU_DEP_3)
	v_add3_u32 v76, v76, v77, v80
	v_mul_i32_i24_e32 v77, v153, v17
	v_mul_i32_i24_e32 v80, v126, v104
	scratch_load_b32 v17, off, off offset:940 ; 4-byte Folded Reload
	v_add3_u32 v76, v76, v81, v82
	v_mul_i32_i24_e32 v81, v4, v235
	v_mul_i32_i24_e32 v82, v152, v16
	scratch_load_b32 v16, off, off offset:432 ; 4-byte Folded Reload
	v_add3_u32 v76, v76, v77, v80
	v_mul_i32_i24_e32 v77, v0, v90
	v_mul_i32_i24_e32 v80, v1, v15
	v_mov_b32_e32 v15, v9
	v_mov_b32_e32 v9, v11
	v_add3_u32 v76, v76, v81, v82
	v_mul_i32_i24_e32 v81, v44, v105
	v_mul_i32_i24_e32 v82, v51, v249
	scratch_load_b32 v11, off, off offset:924 ; 4-byte Folded Reload
	scratch_store_b32 off, v15, off offset:904 ; 4-byte Folded Spill
	v_add3_u32 v76, v76, v77, v80
	v_mul_i32_i24_e32 v77, v188, v220
	v_mul_i32_i24_e32 v80, v189, v221
	s_delay_alu instid0(VALU_DEP_3)
	v_add3_u32 v76, v76, v81, v82
	v_mul_i32_i24_e32 v81, v173, v151
	v_mul_i32_i24_e32 v82, v174, v88
	s_clause 0x1
	scratch_load_b32 v151, off, off offset:956
	scratch_load_b32 v88, off, off offset:108
	v_mul_lo_u32 v76, v76, v12
	scratch_load_b32 v12, off, off offset:696 ; 4-byte Folded Reload
	v_cvt_f32_i32_e32 v76, v76
	s_delay_alu instid0(VALU_DEP_1)
	v_fma_mix_f32 v74, v159, v76, v74 op_sel_hi:[1,0,0]
	v_mul_i32_i24_e32 v76, v210, v91
	v_mov_b32_e32 v91, v95
	v_mov_b32_e32 v95, v101
	;; [unrolled: 1-line block ×3, first 2 shown]
	v_fma_f32 v74, v74, v252, -v75
	scratch_load_b32 v217, off, off offset:836 ; 4-byte Folded Reload
	s_clause 0x2
	scratch_store_b32 off, v91, off offset:456
	scratch_store_b32 off, v95, off offset:464
	;; [unrolled: 1-line block ×3, first 2 shown]
	v_add_f32_e32 v2, v2, v74
	v_mul_i32_i24_e32 v74, v208, v224
	v_mov_b32_e32 v224, v222
	v_mov_b32_e32 v222, v226
	;; [unrolled: 1-line block ×5, first 2 shown]
	v_mul_i32_i24_e32 v75, v209, v224
	v_mad_i32_i24 v74, v207, v222, v74
	scratch_load_b32 v113, off, off offset:824 ; 4-byte Folded Reload
	scratch_store_b32 off, v2, off offset:1068 ; 4-byte Folded Spill
	scratch_load_b32 v2, off, off offset:604 ; 4-byte Folded Reload
	scratch_store_b32 off, v226, off offset:908 ; 4-byte Folded Spill
	v_add3_u32 v74, v74, v75, v76
	v_mul_i32_i24_e32 v75, v190, v93
	v_mul_i32_i24_e32 v76, v187, v226
	scratch_store_b32 off, v149, off offset:800 ; 4-byte Folded Spill
	v_mov_b32_e32 v93, v224
	scratch_load_b32 v224, off, off offset:184 ; 4-byte Folded Reload
	v_add3_u32 v74, v74, v75, v76
	v_mul_i32_i24_e32 v75, v183, v91
	v_mul_i32_i24_e32 v76, v184, v92
	scratch_store_b32 off, v93, off offset:852 ; 4-byte Folded Spill
	v_add3_u32 v74, v74, v77, v80
	v_mul_i32_i24_e32 v77, v185, v219
	v_mul_i32_i24_e32 v80, v186, v94
	v_mov_b32_e32 v94, v100
	v_mov_b32_e32 v100, v115
	scratch_store_b32 off, v99, off offset:804 ; 4-byte Folded Spill
	v_add3_u32 v74, v74, v75, v76
	v_mul_i32_i24_e32 v76, v180, v95
	v_mul_i32_i24_e32 v75, v167, v94
	scratch_store_b32 off, v100, off offset:808 ; 4-byte Folded Spill
	scratch_load_b32 v115, off, off offset:828 ; 4-byte Folded Reload
	v_add3_u32 v74, v74, v77, v80
	v_mul_i32_i24_e32 v77, v181, v149
	v_mul_i32_i24_e32 v80, v182, v97
	s_clause 0x1
	scratch_store_b32 off, v219, off offset:788
	scratch_store_b32 off, v94, off offset:792
	v_add3_u32 v74, v74, v75, v76
	v_mul_i32_i24_e32 v75, v203, v99
	v_mul_i32_i24_e32 v76, v204, v100
	s_delay_alu instid0(VALU_DEP_3)
	v_add3_u32 v74, v74, v77, v80
	v_mul_i32_i24_e32 v80, v206, v102
	scratch_load_b32 v102, off, off offset:812 ; 4-byte Folded Reload
	v_mul_i32_i24_e32 v77, v205, v101
	v_add3_u32 v74, v74, v75, v76
	v_mul_i32_i24_e32 v76, v200, v106
	s_delay_alu instid0(VALU_DEP_2)
	v_add3_u32 v74, v74, v77, v80
	s_waitcnt vmcnt(17)
	v_mul_i32_i24_e32 v77, v201, v107
	s_waitcnt vmcnt(4)
	v_mul_i32_i24_e32 v80, v202, v113
	;; [unrolled: 2-line block ×3, first 2 shown]
	s_delay_alu instid0(VALU_DEP_1) | instskip(SKIP_2) | instid1(VALU_DEP_3)
	v_add3_u32 v74, v74, v75, v76
	v_mul_i32_i24_e32 v75, v195, v115
	v_mul_i32_i24_e32 v76, v196, v212
	v_add3_u32 v74, v74, v77, v80
	v_mul_i32_i24_e32 v77, v197, v217
	v_mul_i32_i24_e32 v80, v198, v218
	scratch_load_b32 v218, off, off offset:844 ; 4-byte Folded Reload
	v_add3_u32 v74, v74, v75, v76
	v_mul_i32_i24_e32 v76, v192, v2
	scratch_load_b32 v2, off, off offset:976 ; 4-byte Folded Reload
	v_mul_i32_i24_e32 v75, v191, v150
	v_add3_u32 v74, v74, v77, v80
	s_delay_alu instid0(VALU_DEP_1)
	v_add3_u32 v74, v74, v75, v76
	v_fma_mix_f32 v75, v85, v158, 0 op_sel:[0,1,0] op_sel_hi:[0,1,0]
	v_mul_i32_i24_e32 v76, v177, v254
	s_clause 0x1
	scratch_load_b32 v85, off, off offset:992
	scratch_load_b32 v254, off, off offset:332
	v_fma_mix_f32 v75, v5, v159, v75 op_sel:[0,1,0] op_sel_hi:[0,1,0]
	v_mad_i32_i24 v76, v176, v225, v76
	s_clause 0x1
	scratch_load_b32 v5, off, off offset:620
	scratch_load_b32 v225, off, off offset:600
	v_mul_f32_e32 v75, v75, v65
	s_waitcnt vmcnt(4)
	v_mul_i32_i24_e32 v77, v193, v2
	scratch_load_b32 v2, off, off offset:980 ; 4-byte Folded Reload
	s_waitcnt vmcnt(0)
	v_mul_i32_i24_e32 v80, v194, v2
	scratch_load_b32 v2, off, off offset:60 ; 4-byte Folded Reload
	v_add3_u32 v74, v74, v77, v80
	v_mul_i32_i24_e32 v77, v178, v84
	v_mul_i32_i24_e32 v80, v179, v215
	s_clause 0x1
	scratch_load_b32 v84, off, off offset:780
	scratch_load_b32 v215, off, off offset:960
	v_mul_lo_u32 v74, v74, v228
	scratch_load_b32 v228, off, off offset:984 ; 4-byte Folded Reload
	v_add3_u32 v76, v76, v77, v80
	v_mul_i32_i24_e32 v77, v175, v34
	v_mul_i32_i24_e32 v80, v172, v216
	s_clause 0x1
	scratch_load_b32 v216, off, off offset:596
	scratch_load_b32 v34, off, off offset:220
	v_cvt_f32_i32_e32 v74, v74
	v_add3_u32 v76, v76, v77, v80
	v_mul_i32_i24_e32 v77, v171, v87
	v_mul_i32_i24_e32 v80, v168, v79
	scratch_load_b32 v87, off, off offset:996 ; 4-byte Folded Reload
	v_fma_mix_f32 v74, v158, v74, 0 op_sel_hi:[1,0,0]
	v_add3_u32 v76, v76, v81, v82
	v_mul_i32_i24_e32 v81, v169, v78
	v_mul_i32_i24_e32 v82, v170, v71
	s_clause 0x1
	scratch_load_b32 v71, off, off offset:584
	scratch_load_b32 v78, off, off offset:368
	v_add3_u32 v76, v76, v77, v80
	v_mul_i32_i24_e32 v77, v166, v70
	v_mul_i32_i24_e32 v80, v163, v68
	s_clause 0x1
	scratch_load_b32 v68, off, off offset:952
	scratch_load_b32 v70, off, off offset:580
	;; [unrolled: 6-line block ×8, first 2 shown]
	v_add3_u32 v76, v76, v81, v82
	v_mul_i32_i24_e32 v81, v4, v41
	v_mul_i32_i24_e32 v82, v152, v40
	scratch_load_b32 v40, off, off offset:540 ; 4-byte Folded Reload
	v_mov_b32_e32 v41, v58
	v_add3_u32 v76, v76, v77, v80
	v_mul_i32_i24_e32 v77, v0, v39
	v_mul_i32_i24_e32 v80, v1, v26
	s_clause 0x1
	scratch_load_b32 v39, off, off offset:536
	scratch_load_b32 v26, off, off offset:932
	v_add3_u32 v76, v76, v81, v82
	v_mul_i32_i24_e32 v81, v44, v37
	v_mul_i32_i24_e32 v82, v51, v36
	s_clause 0x1
	scratch_load_b32 v36, off, off offset:920
	scratch_load_b32 v37, off, off offset:936
	v_add3_u32 v76, v76, v77, v80
	s_clause 0x1
	scratch_load_b32 v58, off, off offset:356
	scratch_load_b32 v79, off, off offset:344
	v_add3_u32 v76, v76, v81, v82
	s_delay_alu instid0(VALU_DEP_1) | instskip(SKIP_2) | instid1(VALU_DEP_1)
	v_mul_lo_u32 v76, v76, v35
	scratch_load_b32 v35, off, off offset:916 ; 4-byte Folded Reload
	v_cvt_f32_i32_e32 v76, v76
	v_fma_mix_f32 v74, v159, v76, v74 op_sel_hi:[1,0,0]
	v_mul_i32_i24_e32 v76, v210, v213
	s_clause 0x1
	scratch_load_b32 v210, off, off offset:776
	scratch_load_b32 v213, off, off offset:704
	v_fma_f32 v74, v74, v234, -v75
	v_mul_i32_i24_e32 v75, v209, v236
	s_clause 0x1
	scratch_load_b32 v209, off, off offset:772
	scratch_load_b32 v236, off, off offset:380
	v_add_f32_e32 v31, v31, v74
	v_mul_i32_i24_e32 v74, v208, v237
	s_clause 0x1
	scratch_load_b32 v208, off, off offset:768
	scratch_load_b32 v237, off, off offset:608
	scratch_store_b32 off, v31, off offset:1100 ; 4-byte Folded Spill
	v_mad_i32_i24 v74, v207, v238, v74
	s_clause 0x2
	scratch_load_b32 v207, off, off offset:760
	scratch_load_b32 v238, off, off offset:384
	;; [unrolled: 1-line block ×3, first 2 shown]
	v_add3_u32 v74, v74, v75, v76
	v_mul_i32_i24_e32 v75, v190, v239
	s_clause 0x1
	scratch_load_b32 v190, off, off offset:1224
	scratch_load_b32 v239, off, off offset:316
	s_waitcnt vmcnt(41)
	v_mul_i32_i24_e32 v76, v187, v2
	s_clause 0x1
	scratch_load_b32 v2, off, off offset:68
	scratch_load_b32 v187, off, off offset:1216
	v_add3_u32 v74, v74, v75, v76
	s_waitcnt vmcnt(1)
	v_mul_i32_i24_e32 v77, v188, v2
	s_clause 0x1
	scratch_load_b32 v2, off, off offset:72
	scratch_load_b32 v188, off, off offset:1220
	s_waitcnt vmcnt(1)
	v_mul_i32_i24_e32 v80, v189, v2
	s_clause 0x1
	scratch_load_b32 v2, off, off offset:32
	scratch_load_b32 v189, off, off offset:1232
	v_add3_u32 v74, v74, v77, v80
	s_waitcnt vmcnt(1)
	v_mul_i32_i24_e32 v75, v183, v2
	scratch_load_b32 v2, off, off offset:40 ; 4-byte Folded Reload
	s_waitcnt vmcnt(0)
	v_mul_i32_i24_e32 v76, v184, v2
	scratch_load_b32 v2, off, off offset:44 ; 4-byte Folded Reload
	v_add3_u32 v74, v74, v75, v76
	s_waitcnt vmcnt(0)
	v_mul_i32_i24_e32 v77, v185, v2
	scratch_load_b32 v2, off, off offset:48 ; 4-byte Folded Reload
	s_waitcnt vmcnt(0)
	v_mul_i32_i24_e32 v80, v186, v2
	scratch_load_b32 v2, off, off offset:36 ; 4-byte Folded Reload
	;; [unrolled: 7-line block ×4, first 2 shown]
	v_add3_u32 v74, v74, v77, v80
	s_waitcnt vmcnt(0)
	v_mul_i32_i24_e32 v75, v203, v2
	s_clause 0x1
	scratch_load_b32 v2, off, off offset:80
	scratch_load_b32 v203, off, off offset:744
	s_waitcnt vmcnt(1)
	v_mul_i32_i24_e32 v76, v204, v2
	s_clause 0x1
	scratch_load_b32 v2, off, off offset:84
	scratch_load_b32 v204, off, off offset:752
	v_add3_u32 v74, v74, v75, v76
	s_waitcnt vmcnt(1)
	v_mul_i32_i24_e32 v77, v205, v2
	s_clause 0x1
	scratch_load_b32 v2, off, off offset:244
	scratch_load_b32 v205, off, off offset:756
	s_waitcnt vmcnt(2)
	v_mul_i32_i24_e32 v4, v4, v204
	s_waitcnt vmcnt(1)
	v_mul_i32_i24_e32 v80, v206, v2
	s_clause 0x1
	scratch_load_b32 v2, off, off offset:240
	scratch_load_b32 v206, off, off offset:764
	v_add3_u32 v74, v74, v77, v80
	s_waitcnt vmcnt(1)
	v_mul_i32_i24_e32 v75, v199, v2
	s_clause 0x1
	scratch_load_b32 v2, off, off offset:248
	scratch_load_b32 v199, off, off offset:656
	s_waitcnt vmcnt(1)
	v_mul_i32_i24_e32 v76, v200, v2
	s_clause 0x1
	scratch_load_b32 v2, off, off offset:252
	scratch_load_b32 v200, off, off offset:660
	s_waitcnt vmcnt(2)
	v_mul_i32_i24_e32 v1, v1, v199
	v_add3_u32 v74, v74, v75, v76
	s_waitcnt vmcnt(1)
	v_mul_i32_i24_e32 v77, v201, v2
	s_clause 0x1
	scratch_load_b32 v2, off, off offset:256
	scratch_load_b32 v201, off, off offset:664
	s_waitcnt vmcnt(2)
	v_mul_i32_i24_e32 v44, v44, v200
	s_waitcnt vmcnt(1)
	v_mul_i32_i24_e32 v80, v202, v2
	s_clause 0x1
	scratch_load_b32 v2, off, off offset:260
	scratch_load_b32 v202, off, off offset:748
	s_waitcnt vmcnt(2)
	v_mul_i32_i24_e32 v51, v51, v201
	v_add3_u32 v74, v74, v77, v80
	v_mul_i32_i24_e32 v77, v197, v211
	v_mul_i32_i24_e32 v80, v198, v251
	s_clause 0x2
	scratch_load_b32 v211, off, off offset:1228
	scratch_load_b32 v198, off, off offset:652
	;; [unrolled: 1-line block ×3, first 2 shown]
	v_mov_b32_e32 v197, v110
	s_waitcnt vmcnt(4)
	v_mul_i32_i24_e32 v75, v195, v2
	scratch_load_b32 v2, off, off offset:264 ; 4-byte Folded Reload
	v_mov_b32_e32 v195, v112
	s_waitcnt vmcnt(2)
	v_mul_i32_i24_e32 v0, v0, v198
	s_waitcnt vmcnt(0)
	v_mul_i32_i24_e32 v76, v196, v2
	scratch_load_b32 v2, off, off offset:612 ; 4-byte Folded Reload
	v_mov_b32_e32 v196, v111
	v_add3_u32 v74, v74, v75, v76
	v_mul_i32_i24_e32 v76, v192, v248
	s_clause 0x1
	scratch_load_b32 v192, off, off offset:1212
	scratch_load_b32 v248, off, off offset:324
	v_add3_u32 v74, v74, v77, v80
	v_mul_i32_i24_e32 v77, v193, v245
	v_mul_i32_i24_e32 v80, v194, v244
	s_clause 0x1
	scratch_load_b32 v193, off, off offset:1236
	scratch_load_b32 v245, off, off offset:688
	v_mov_b32_e32 v194, v109
	scratch_load_b32 v244, off, off offset:684 ; 4-byte Folded Reload
	s_waitcnt vmcnt(5)
	v_mul_i32_i24_e32 v75, v191, v2
	scratch_load_b32 v191, off, off offset:1208 ; 4-byte Folded Reload
	v_fma_mix_f32 v2, v156, v158, 0 op_sel:[0,1,0] op_sel_hi:[0,1,0]
	v_add3_u32 v74, v74, v75, v76
	s_delay_alu instid0(VALU_DEP_1) | instskip(NEXT) | instid1(VALU_DEP_1)
	v_add3_u32 v74, v74, v77, v80
	v_mul_lo_u32 v74, v74, v243
	scratch_load_b32 v243, off, off offset:680 ; 4-byte Folded Reload
	v_cvt_f32_i32_e32 v74, v74
	s_delay_alu instid0(VALU_DEP_1)
	v_fma_mix_f32 v167, v158, v74, 0 op_sel_hi:[1,0,0]
	v_mul_i32_i24_e32 v74, v177, v5
	scratch_load_b32 v5, off, off offset:624 ; 4-byte Folded Reload
	s_waitcnt vmcnt(0)
	v_mul_i32_i24_e32 v75, v178, v5
	scratch_load_b32 v5, off, off offset:632 ; 4-byte Folded Reload
	s_waitcnt vmcnt(0)
	;; [unrolled: 3-line block ×3, first 2 shown]
	v_mad_i32_i24 v74, v176, v5, v74
	scratch_load_b32 v5, off, off offset:628 ; 4-byte Folded Reload
	v_add3_u32 v74, v74, v75, v76
	v_mul_i32_i24_e32 v75, v175, v132
	s_waitcnt vmcnt(0)
	v_mul_i32_i24_e32 v76, v172, v5
	scratch_load_b32 v5, off, off offset:636 ; 4-byte Folded Reload
	v_add3_u32 v74, v74, v75, v76
	v_mul_i32_i24_e32 v75, v171, v211
	v_mul_i32_i24_e32 v76, v168, v190
	s_waitcnt vmcnt(0)
	v_mul_i32_i24_e32 v77, v173, v5
	scratch_load_b32 v5, off, off offset:640 ; 4-byte Folded Reload
	s_waitcnt vmcnt(0)
	v_mul_i32_i24_e32 v80, v174, v5
	scratch_load_b32 v5, off, off offset:228 ; 4-byte Folded Reload
	v_add3_u32 v74, v74, v77, v80
	v_mul_i32_i24_e32 v77, v169, v189
	v_mul_i32_i24_e32 v80, v170, v193
	s_delay_alu instid0(VALU_DEP_3) | instskip(SKIP_2) | instid1(VALU_DEP_3)
	v_add3_u32 v74, v74, v75, v76
	v_mul_i32_i24_e32 v75, v166, v192
	v_mul_i32_i24_e32 v76, v163, v191
	v_add3_u32 v74, v74, v77, v80
	v_mul_i32_i24_e32 v77, v164, v187
	v_mul_i32_i24_e32 v80, v165, v188
	s_delay_alu instid0(VALU_DEP_3) | instskip(SKIP_2) | instid1(VALU_DEP_3)
	v_add3_u32 v74, v74, v75, v76
	v_mul_i32_i24_e32 v75, v162, v85
	v_mul_i32_i24_e32 v76, v108, v210
	v_add3_u32 v74, v74, v77, v80
	v_mul_i32_i24_e32 v77, v160, v84
	v_mul_i32_i24_e32 v80, v161, v87
	s_delay_alu instid0(VALU_DEP_3) | instskip(SKIP_2) | instid1(VALU_DEP_3)
	v_add3_u32 v74, v74, v75, v76
	v_mul_i32_i24_e32 v75, v83, v206
	v_mul_i32_i24_e32 v76, v114, v207
	v_add3_u32 v74, v74, v77, v80
	v_mul_i32_i24_e32 v77, v3, v208
	v_mul_i32_i24_e32 v80, v7, v209
	scratch_load_b32 v7, off, off           ; 4-byte Folded Reload
	v_add3_u32 v74, v74, v75, v76
	v_mul_i32_i24_e32 v75, v153, v202
	v_mul_i32_i24_e32 v76, v126, v203
	s_delay_alu instid0(VALU_DEP_3) | instskip(SKIP_1) | instid1(VALU_DEP_2)
	v_add3_u32 v74, v74, v77, v80
	v_mul_i32_i24_e32 v77, v152, v205
	v_add3_u32 v74, v74, v75, v76
	s_delay_alu instid0(VALU_DEP_1) | instskip(NEXT) | instid1(VALU_DEP_1)
	v_add3_u32 v4, v74, v4, v77
	v_add3_u32 v0, v4, v0, v1
	v_fma_mix_f32 v1, v194, v159, v2 op_sel:[0,1,0] op_sel_hi:[0,1,0]
	s_delay_alu instid0(VALU_DEP_2) | instskip(NEXT) | instid1(VALU_DEP_2)
	v_add3_u32 v0, v0, v44, v51
	v_mul_f32_e32 v1, v1, v195
	s_delay_alu instid0(VALU_DEP_2) | instskip(NEXT) | instid1(VALU_DEP_1)
	v_mul_lo_u32 v0, v0, v197
	v_cvt_f32_i32_e32 v0, v0
	s_delay_alu instid0(VALU_DEP_1) | instskip(NEXT) | instid1(VALU_DEP_1)
	v_fma_mix_f32 v0, v159, v0, v167 op_sel_hi:[1,0,0]
	v_fma_f32 v0, v0, v196, -v1
	s_delay_alu instid0(VALU_DEP_1)
	v_add_f32_e32 v30, v30, v0
	scratch_load_b32 v0, off, off           ; 4-byte Folded Reload
	scratch_store_b32 off, v30, off offset:1096 ; 4-byte Folded Spill
	scratch_load_b32 v30, off, off offset:520 ; 4-byte Folded Reload
	s_waitcnt vmcnt(2)
	ds_load_b128 v[164:167], v7 offset:2080
	scratch_load_b32 v7, off, off           ; 4-byte Folded Reload
	s_waitcnt lgkmcnt(0)
	v_bfe_i32 v118, v164, 0, 8
	v_bfe_i32 v119, v164, 8, 8
	v_bfe_i32 v120, v164, 16, 8
	v_ashrrev_i32_e32 v121, 24, v164
	v_bfe_i32 v122, v165, 0, 8
	v_bfe_i32 v123, v165, 8, 8
	v_bfe_i32 v124, v165, 16, 8
	v_ashrrev_i32_e32 v125, 24, v165
	;; [unrolled: 4-line block ×4, first 2 shown]
	v_mul_i32_i24_e32 v185, v124, v9
	v_mul_i32_i24_e32 v186, v125, v10
	s_waitcnt vmcnt(2)
	ds_load_b128 v[0:3], v0 offset:2048
	s_waitcnt lgkmcnt(0)
	v_bfe_i32 v161, v0, 0, 8
	v_bfe_i32 v156, v0, 8, 8
	v_bfe_i32 v162, v0, 16, 8
	v_ashrrev_i32_e32 v163, 24, v0
	scratch_load_b32 v0, off, off           ; 4-byte Folded Reload
	v_bfe_i32 v157, v1, 0, 8
	v_bfe_i32 v158, v1, 8, 8
	v_bfe_i32 v159, v1, 16, 8
	v_ashrrev_i32_e32 v160, 24, v1
	v_bfe_i32 v152, v2, 0, 8
	v_bfe_i32 v153, v2, 8, 8
	v_bfe_i32 v154, v2, 16, 8
	v_ashrrev_i32_e32 v155, 24, v2
	v_bfe_i32 v4, v3, 0, 8
	v_bfe_i32 v44, v3, 8, 8
	v_bfe_i32 v51, v3, 16, 8
	v_ashrrev_i32_e32 v126, 24, v3
	v_mul_i32_i24_e32 v180, v161, v236
	v_mul_i32_i24_e32 v181, v162, v139
	;; [unrolled: 1-line block ×5, first 2 shown]
	v_mad_i32_i24 v180, v156, v137, v180
	s_delay_alu instid0(VALU_DEP_1) | instskip(SKIP_2) | instid1(VALU_DEP_1)
	v_add3_u32 v180, v180, v181, v182
	v_mul_i32_i24_e32 v181, v157, v135
	v_mul_i32_i24_e32 v182, v158, v138
	v_add3_u32 v180, v180, v181, v182
	v_mul_i32_i24_e32 v181, v152, v243
	v_mul_i32_i24_e32 v182, v153, v244
	s_delay_alu instid0(VALU_DEP_3) | instskip(SKIP_2) | instid1(VALU_DEP_3)
	v_add3_u32 v180, v180, v183, v184
	v_mul_i32_i24_e32 v183, v154, v245
	v_mul_i32_i24_e32 v184, v155, v251
	v_add3_u32 v180, v180, v181, v182
	v_mul_i32_i24_e32 v181, v4, v248
	v_mul_i32_i24_e32 v182, v44, v254
	s_delay_alu instid0(VALU_DEP_3) | instskip(SKIP_2) | instid1(VALU_DEP_3)
	v_add3_u32 v180, v180, v183, v184
	v_mul_i32_i24_e32 v183, v51, v6
	v_mul_i32_i24_e32 v184, v126, v12
	v_add3_u32 v180, v180, v181, v182
	s_delay_alu instid0(VALU_DEP_1)
	v_add3_u32 v180, v180, v183, v184
	s_waitcnt vmcnt(1)
	ds_load_b128 v[164:167], v7 offset:2096
	scratch_load_b32 v7, off, off offset:212 ; 4-byte Folded Reload
	s_waitcnt lgkmcnt(0)
	v_bfe_i32 v168, v164, 0, 8
	v_bfe_i32 v169, v164, 8, 8
	v_bfe_i32 v170, v164, 16, 8
	v_ashrrev_i32_e32 v164, 24, v164
	v_bfe_i32 v171, v165, 0, 8
	v_bfe_i32 v172, v165, 8, 8
	v_bfe_i32 v173, v165, 16, 8
	v_ashrrev_i32_e32 v165, 24, v165
	;; [unrolled: 4-line block ×4, first 2 shown]
	s_waitcnt vmcnt(1)
	ds_load_b128 v[0:3], v0 offset:2064
	s_waitcnt lgkmcnt(0)
	v_bfe_i32 v74, v0, 0, 8
	v_bfe_i32 v75, v0, 8, 8
	v_bfe_i32 v76, v0, 16, 8
	v_ashrrev_i32_e32 v77, 24, v0
	scratch_load_b32 v0, off, off offset:208 ; 4-byte Folded Reload
	v_mul_i32_i24_e32 v181, v74, v35
	v_mul_i32_i24_e32 v182, v75, v36
	v_bfe_i32 v80, v1, 0, 8
	v_bfe_i32 v81, v1, 8, 8
	v_mul_i32_i24_e32 v183, v76, v37
	v_mul_i32_i24_e32 v184, v77, v17
	v_add3_u32 v180, v180, v181, v182
	v_bfe_i32 v82, v1, 16, 8
	v_ashrrev_i32_e32 v83, 24, v1
	v_mul_i32_i24_e32 v181, v80, v14
	v_mul_i32_i24_e32 v182, v81, v21
	v_add3_u32 v180, v180, v183, v184
	v_bfe_i32 v108, v2, 0, 8
	v_bfe_i32 v109, v2, 8, 8
	v_mul_i32_i24_e32 v183, v82, v22
	v_mul_i32_i24_e32 v184, v83, v23
	v_add3_u32 v180, v180, v181, v182
	v_bfe_i32 v110, v2, 16, 8
	v_ashrrev_i32_e32 v111, 24, v2
	v_mul_i32_i24_e32 v181, v108, v43
	v_mul_i32_i24_e32 v182, v109, v49
	v_add3_u32 v180, v180, v183, v184
	;; [unrolled: 10-line block ×3, first 2 shown]
	v_mul_i32_i24_e32 v183, v116, v47
	v_mul_i32_i24_e32 v184, v117, v48
	s_delay_alu instid0(VALU_DEP_3) | instskip(SKIP_1) | instid1(VALU_DEP_2)
	v_add3_u32 v180, v180, v181, v182
	v_mul_i32_i24_e32 v182, v118, v5
	v_add3_u32 v180, v180, v183, v184
	v_mul_i32_i24_e32 v183, v120, v253
	s_delay_alu instid0(VALU_DEP_3) | instskip(NEXT) | instid1(VALU_DEP_3)
	v_mad_i32_i24 v182, v119, v247, v182
	v_mul_lo_u32 v180, v180, v213
	s_delay_alu instid0(VALU_DEP_1) | instskip(SKIP_2) | instid1(VALU_DEP_1)
	v_cvt_f32_i32_e32 v180, v180
	s_waitcnt vmcnt(1)
	v_mul_i32_i24_e32 v184, v121, v7
	v_add3_u32 v182, v182, v183, v184
	v_mul_i32_i24_e32 v183, v122, v15
	v_mul_i32_i24_e32 v184, v123, v8
	s_delay_alu instid0(VALU_DEP_1) | instskip(SKIP_2) | instid1(VALU_DEP_3)
	v_add3_u32 v182, v182, v183, v184
	v_mul_i32_i24_e32 v183, v127, v11
	v_mul_i32_i24_e32 v184, v128, v33
	v_add3_u32 v182, v182, v185, v186
	v_mul_i32_i24_e32 v185, v129, v39
	v_mul_i32_i24_e32 v186, v130, v40
	s_delay_alu instid0(VALU_DEP_3) | instskip(SKIP_2) | instid1(VALU_DEP_3)
	v_add3_u32 v182, v182, v183, v184
	v_mul_i32_i24_e32 v183, v131, v141
	v_mul_i32_i24_e32 v184, v132, v142
	v_add3_u32 v182, v182, v185, v186
	v_mul_i32_i24_e32 v185, v133, v143
	v_mul_i32_i24_e32 v186, v134, v144
	s_delay_alu instid0(VALU_DEP_3) | instskip(SKIP_2) | instid1(VALU_DEP_3)
	;; [unrolled: 7-line block ×5, first 2 shown]
	v_add3_u32 v182, v182, v183, v184
	v_mul_i32_i24_e32 v183, v177, v237
	v_mul_i32_i24_e32 v184, v178, v13
	v_add3_u32 v182, v182, v185, v186
	v_mul_i32_i24_e32 v185, v179, v18
	v_mul_i32_i24_e32 v186, v167, v241
	s_delay_alu instid0(VALU_DEP_3)
	v_add3_u32 v182, v182, v183, v184
	v_mul_i32_i24_e32 v183, v159, v60
	v_mul_i32_i24_e32 v184, v160, v38
	scratch_load_b32 v38, off, off offset:572 ; 4-byte Folded Reload
	v_add3_u32 v182, v182, v185, v186
	v_mul_i32_i24_e32 v185, v124, v57
	v_mul_i32_i24_e32 v186, v125, v69
	scratch_load_b32 v69, off, off offset:296 ; 4-byte Folded Reload
	v_mul_lo_u32 v182, v182, v242
	s_delay_alu instid0(VALU_DEP_1)
	v_cvt_f32_i32_e32 v182, v182
	s_waitcnt vmcnt(2)
	ds_load_2addr_b64 v[0:3], v0 offset0:32 offset1:48
	s_waitcnt lgkmcnt(0)
	v_fma_mix_f32 v181, v50, v0, 0 op_sel:[0,1,0] op_sel_hi:[0,1,0]
	v_fma_mix_f32 v180, v0, v180, 0 op_sel_hi:[1,0,0]
	s_delay_alu instid0(VALU_DEP_2) | instskip(NEXT) | instid1(VALU_DEP_2)
	v_fma_mix_f32 v181, v24, v1, v181 op_sel:[0,1,0] op_sel_hi:[0,1,0]
	v_fma_mix_f32 v180, v1, v182, v180 op_sel_hi:[1,0,0]
	v_mul_i32_i24_e32 v182, v163, v225
	s_delay_alu instid0(VALU_DEP_3) | instskip(NEXT) | instid1(VALU_DEP_1)
	v_mul_f32_e32 v181, v181, v41
	v_fma_f32 v180, v180, v25, -v181
	v_mul_i32_i24_e32 v181, v162, v20
	s_delay_alu instid0(VALU_DEP_2)
	v_add_f32_e32 v66, v66, v180
	v_mul_i32_i24_e32 v180, v161, v26
	scratch_store_b32 off, v66, off offset:1116 ; 4-byte Folded Spill
	v_mad_i32_i24 v180, v156, v56, v180
	v_mov_b32_e32 v66, v96
	v_mov_b32_e32 v96, v222
	;; [unrolled: 1-line block ×3, first 2 shown]
	scratch_load_b32 v217, off, off offset:892 ; 4-byte Folded Reload
	v_add3_u32 v180, v180, v181, v182
	v_mul_i32_i24_e32 v181, v157, v227
	v_mul_i32_i24_e32 v182, v158, v68
	scratch_load_b32 v227, off, off offset:968 ; 4-byte Folded Reload
	s_clause 0x2
	scratch_store_b32 off, v197, off offset:1008
	scratch_store_b32 off, v194, off offset:1004
	;; [unrolled: 1-line block ×3, first 2 shown]
	v_add3_u32 v180, v180, v181, v182
	v_mul_i32_i24_e32 v181, v152, v27
	scratch_load_b32 v27, off, off offset:568 ; 4-byte Folded Reload
	v_mul_i32_i24_e32 v182, v153, v55
	scratch_load_b32 v55, off, off offset:160 ; 4-byte Folded Reload
	v_add3_u32 v180, v180, v183, v184
	v_mul_i32_i24_e32 v184, v155, v72
	scratch_load_b32 v72, off, off offset:964 ; 4-byte Folded Reload
	v_mul_i32_i24_e32 v183, v154, v59
	scratch_load_b32 v59, off, off offset:148 ; 4-byte Folded Reload
	v_add3_u32 v180, v180, v181, v182
	v_mul_i32_i24_e32 v181, v4, v67
	scratch_load_b32 v67, off, off offset:592 ; 4-byte Folded Reload
	v_add3_u32 v180, v180, v183, v184
	v_mul_i32_i24_e32 v183, v51, v63
	v_mul_i32_i24_e32 v184, v126, v28
	scratch_load_b32 v28, off, off offset:280 ; 4-byte Folded Reload
	s_waitcnt vmcnt(5)
	v_mul_i32_i24_e32 v182, v44, v27
	s_delay_alu instid0(VALU_DEP_1) | instskip(SKIP_2) | instid1(VALU_DEP_3)
	v_add3_u32 v180, v180, v181, v182
	v_mul_i32_i24_e32 v181, v74, v64
	v_mul_i32_i24_e32 v182, v75, v66
	v_add3_u32 v180, v180, v183, v184
	v_mul_i32_i24_e32 v183, v76, v32
	v_mul_i32_i24_e32 v184, v77, v38
	scratch_load_b32 v32, off, off offset:292 ; 4-byte Folded Reload
	v_add3_u32 v180, v180, v181, v182
	s_waitcnt vmcnt(2)
	v_mul_i32_i24_e32 v181, v80, v67
	v_mul_i32_i24_e32 v182, v81, v72
	s_delay_alu instid0(VALU_DEP_3)
	v_add3_u32 v180, v180, v183, v184
	v_mul_i32_i24_e32 v183, v82, v53
	v_mul_i32_i24_e32 v184, v83, v42
	scratch_load_b32 v53, off, off offset:388 ; 4-byte Folded Reload
	v_add3_u32 v180, v180, v181, v182
	v_mul_i32_i24_e32 v181, v108, v227
	v_mul_i32_i24_e32 v182, v109, v228
	s_delay_alu instid0(VALU_DEP_3) | instskip(SKIP_2) | instid1(VALU_DEP_3)
	v_add3_u32 v180, v180, v183, v184
	v_mul_i32_i24_e32 v183, v110, v70
	v_mul_i32_i24_e32 v184, v111, v71
	v_add3_u32 v180, v180, v181, v182
	v_mul_i32_i24_e32 v181, v112, v98
	v_mul_i32_i24_e32 v182, v114, v54
	s_clause 0x1
	scratch_load_b32 v54, off, off offset:576
	scratch_load_b32 v98, off, off offset:1036
	v_add3_u32 v180, v180, v183, v184
	v_mul_i32_i24_e32 v184, v117, v78
	s_delay_alu instid0(VALU_DEP_2) | instskip(SKIP_3) | instid1(VALU_DEP_1)
	v_add3_u32 v180, v180, v181, v182
	v_mul_i32_i24_e32 v182, v118, v62
	scratch_load_b32 v62, off, off offset:364 ; 4-byte Folded Reload
	v_fma_mix_f32 v181, v59, v0, 0 op_sel:[0,1,0] op_sel_hi:[0,1,0]
	v_fma_mix_f32 v181, v250, v1, v181 op_sel:[0,1,0] op_sel_hi:[0,1,0]
	scratch_load_b32 v250, off, off offset:880 ; 4-byte Folded Reload
	s_waitcnt vmcnt(3)
	v_mul_i32_i24_e32 v183, v116, v54
	s_delay_alu instid0(VALU_DEP_1)
	v_add3_u32 v180, v180, v183, v184
	v_mul_i32_i24_e32 v183, v120, v73
	v_mul_i32_i24_e32 v184, v121, v136
	scratch_load_b32 v73, off, off offset:404 ; 4-byte Folded Reload
	s_waitcnt vmcnt(2)
	v_mad_i32_i24 v182, v119, v62, v182
	v_mul_lo_u32 v180, v180, v79
	scratch_load_b32 v136, off, off offset:1032 ; 4-byte Folded Reload
	v_add3_u32 v182, v182, v183, v184
	v_mul_i32_i24_e32 v184, v123, v61
	scratch_load_b32 v61, off, off offset:352 ; 4-byte Folded Reload
	v_mul_i32_i24_e32 v183, v122, v88
	v_cvt_f32_i32_e32 v180, v180
	s_delay_alu instid0(VALU_DEP_2) | instskip(SKIP_1) | instid1(VALU_DEP_3)
	v_add3_u32 v182, v182, v183, v184
	v_mul_i32_i24_e32 v184, v128, v229
	v_fma_mix_f32 v180, v0, v180, 0 op_sel_hi:[1,0,0]
	v_mov_b32_e32 v229, v106
	scratch_load_b32 v106, off, off offset:856 ; 4-byte Folded Reload
	v_add3_u32 v182, v182, v185, v186
	v_mul_i32_i24_e32 v185, v129, v89
	v_mul_i32_i24_e32 v186, v130, v58
	scratch_load_b32 v89, off, off offset:868 ; 4-byte Folded Reload
	s_waitcnt vmcnt(2)
	v_mul_i32_i24_e32 v183, v127, v61
	s_delay_alu instid0(VALU_DEP_1)
	v_add3_u32 v182, v182, v183, v184
	v_mul_i32_i24_e32 v184, v132, v29
	scratch_load_b32 v29, off, off offset:284 ; 4-byte Folded Reload
	v_mul_i32_i24_e32 v183, v131, v230
	scratch_load_b32 v230, off, off offset:860 ; 4-byte Folded Reload
	v_add3_u32 v182, v182, v185, v186
	v_mul_i32_i24_e32 v185, v133, v28
	v_mul_i32_i24_e32 v186, v134, v103
	scratch_load_b32 v103, off, off offset:848 ; 4-byte Folded Reload
	v_add3_u32 v182, v182, v183, v184
	v_mul_i32_i24_e32 v183, v168, v231
	scratch_load_b32 v231, off, off offset:192 ; 4-byte Folded Reload
	v_add3_u32 v182, v182, v185, v186
	v_mul_i32_i24_e32 v185, v170, v86
	v_mul_i32_i24_e32 v186, v164, v232
	v_dual_mov_b32 v86, v223 :: v_dual_mov_b32 v223, v150
	s_clause 0x1
	scratch_load_b32 v150, off, off offset:980
	scratch_load_b32 v232, off, off offset:872
	v_mul_f32_e32 v181, v181, v86
	s_waitcnt vmcnt(5)
	v_mul_i32_i24_e32 v184, v169, v29
	s_delay_alu instid0(VALU_DEP_1)
	v_add3_u32 v182, v182, v183, v184
	v_mul_i32_i24_e32 v183, v171, v255
	v_mul_i32_i24_e32 v184, v172, v32
	scratch_load_b32 v255, off, off offset:884 ; 4-byte Folded Reload
	v_add3_u32 v182, v182, v185, v186
	v_mul_i32_i24_e32 v185, v173, v233
	v_mul_i32_i24_e32 v186, v165, v240
	s_clause 0x1
	scratch_load_b32 v233, off, off offset:896
	scratch_load_b32 v240, off, off offset:200
	v_add3_u32 v182, v182, v183, v184
	v_mul_i32_i24_e32 v183, v174, v69
	v_mul_i32_i24_e32 v184, v175, v104
	scratch_load_b32 v104, off, off offset:1012 ; 4-byte Folded Reload
	v_add3_u32 v182, v182, v185, v186
	v_mul_i32_i24_e32 v185, v176, v235
	v_mul_i32_i24_e32 v186, v166, v53
	scratch_load_b32 v235, off, off offset:900 ; 4-byte Folded Reload
	v_add3_u32 v182, v182, v183, v184
	v_mul_i32_i24_e32 v183, v177, v90
	scratch_load_b32 v90, off, off offset:476 ; 4-byte Folded Reload
	v_mul_i32_i24_e32 v184, v178, v55
	v_add3_u32 v182, v182, v185, v186
	v_mul_i32_i24_e32 v185, v179, v105
	v_mul_i32_i24_e32 v186, v167, v249
	s_clause 0x1
	scratch_load_b32 v249, off, off offset:876
	scratch_load_b32 v105, off, off offset:1016
	v_add3_u32 v182, v182, v183, v184
	v_mul_i32_i24_e32 v183, v159, v220
	v_mul_i32_i24_e32 v184, v160, v221
	v_dual_mov_b32 v220, v115 :: v_dual_mov_b32 v221, v212
	s_delay_alu instid0(VALU_DEP_4) | instskip(SKIP_4) | instid1(VALU_DEP_1)
	v_add3_u32 v182, v182, v185, v186
	s_clause 0x1
	scratch_load_b32 v212, off, off offset:888
	scratch_load_b32 v115, off, off offset:1028
	v_mul_lo_u32 v182, v182, v73
	v_cvt_f32_i32_e32 v182, v182
	s_delay_alu instid0(VALU_DEP_1) | instskip(SKIP_1) | instid1(VALU_DEP_2)
	v_fma_mix_f32 v180, v1, v182, v180 op_sel_hi:[1,0,0]
	v_mul_i32_i24_e32 v182, v163, v89
	v_fma_f32 v180, v180, v252, -v181
	v_mul_i32_i24_e32 v181, v162, v93
	s_delay_alu instid0(VALU_DEP_2)
	v_add_f32_e32 v214, v214, v180
	scratch_store_b32 off, v214, off offset:1112 ; 4-byte Folded Spill
	scratch_load_b32 v214, off, off offset:796 ; 4-byte Folded Reload
	s_waitcnt vmcnt(10)
	v_mul_i32_i24_e32 v185, v124, v255
	s_waitcnt vmcnt(5)
	v_mul_i32_i24_e32 v180, v161, v90
	s_delay_alu instid0(VALU_DEP_1) | instskip(NEXT) | instid1(VALU_DEP_1)
	v_mad_i32_i24 v180, v156, v96, v180
	v_add3_u32 v180, v180, v181, v182
	v_mul_i32_i24_e32 v181, v157, v218
	v_mul_i32_i24_e32 v182, v158, v226
	scratch_load_b32 v226, off, off offset:604 ; 4-byte Folded Reload
	s_waitcnt vmcnt(3)
	v_mul_i32_i24_e32 v186, v125, v212
	v_add3_u32 v180, v180, v181, v182
	v_mul_i32_i24_e32 v182, v153, v92
	scratch_load_b32 v92, off, off offset:816 ; 4-byte Folded Reload
	v_mul_i32_i24_e32 v181, v152, v91
	scratch_load_b32 v91, off, off offset:480 ; 4-byte Folded Reload
	v_add3_u32 v180, v180, v183, v184
	v_mul_i32_i24_e32 v183, v154, v219
	v_dual_mov_b32 v219, v102 :: v_dual_mov_b32 v102, v113
	scratch_load_b32 v113, off, off offset:1024 ; 4-byte Folded Reload
	v_add3_u32 v180, v180, v181, v182
	v_mul_i32_i24_e32 v181, v4, v94
	v_mul_i32_i24_e32 v182, v44, v95
	s_clause 0x1
	scratch_load_b32 v94, off, off offset:188
	scratch_load_b32 v95, off, off offset:440
	s_waitcnt vmcnt(6)
	v_mul_i32_i24_e32 v184, v155, v214
	s_delay_alu instid0(VALU_DEP_1)
	v_add3_u32 v180, v180, v183, v184
	v_mul_i32_i24_e32 v183, v51, v149
	v_mul_i32_i24_e32 v184, v126, v97
	s_clause 0x1
	scratch_load_b32 v149, off, off offset:976
	scratch_load_b32 v97, off, off offset:1020
	v_add3_u32 v180, v180, v181, v182
	v_mul_i32_i24_e32 v181, v74, v99
	v_mul_i32_i24_e32 v182, v75, v100
	s_clause 0x1
	scratch_load_b32 v100, off, off offset:180
	scratch_load_b32 v99, off, off offset:196
	v_add3_u32 v180, v180, v183, v184
	v_mul_i32_i24_e32 v183, v76, v101
	scratch_load_b32 v101, off, off offset:204 ; 4-byte Folded Reload
	v_add3_u32 v180, v180, v181, v182
	v_mul_i32_i24_e32 v181, v80, v219
	v_mul_i32_i24_e32 v182, v81, v229
	s_waitcnt vmcnt(9)
	v_mul_i32_i24_e32 v184, v77, v92
	s_delay_alu instid0(VALU_DEP_1)
	v_add3_u32 v180, v180, v183, v184
	v_mul_i32_i24_e32 v183, v82, v107
	scratch_load_b32 v107, off, off offset:864 ; 4-byte Folded Reload
	v_mul_i32_i24_e32 v184, v83, v102
	v_add3_u32 v180, v180, v181, v182
	v_mul_i32_i24_e32 v181, v108, v220
	v_mul_i32_i24_e32 v182, v109, v221
	s_delay_alu instid0(VALU_DEP_3) | instskip(SKIP_2) | instid1(VALU_DEP_3)
	v_add3_u32 v180, v180, v183, v184
	v_mul_i32_i24_e32 v183, v110, v222
	v_mul_i32_i24_e32 v184, v111, v103
	v_add3_u32 v180, v180, v181, v182
	v_mul_i32_i24_e32 v181, v112, v223
	v_mul_i32_i24_e32 v182, v114, v226
	s_delay_alu instid0(VALU_DEP_3) | instskip(SKIP_1) | instid1(VALU_DEP_2)
	v_add3_u32 v180, v180, v183, v184
	v_mul_i32_i24_e32 v184, v117, v150
	v_add3_u32 v180, v180, v181, v182
	v_mul_i32_i24_e32 v182, v118, v232
	v_fma_mix_f32 v181, v230, v0, 0 op_sel:[0,1,0] op_sel_hi:[0,1,0]
	s_waitcnt vmcnt(5)
	v_mul_i32_i24_e32 v183, v116, v149
	s_delay_alu instid0(VALU_DEP_1)
	v_add3_u32 v180, v180, v183, v184
	v_mul_i32_i24_e32 v183, v120, v233
	v_mul_i32_i24_e32 v184, v121, v235
	s_waitcnt vmcnt(3)
	v_fma_mix_f32 v181, v100, v1, v181 op_sel:[0,1,0] op_sel_hi:[0,1,0]
	v_mul_lo_u32 v180, v180, v106
	s_delay_alu instid0(VALU_DEP_2) | instskip(NEXT) | instid1(VALU_DEP_2)
	v_mul_f32_e32 v181, v181, v65
	v_cvt_f32_i32_e32 v180, v180
	s_delay_alu instid0(VALU_DEP_1) | instskip(SKIP_2) | instid1(VALU_DEP_1)
	v_fma_mix_f32 v180, v0, v180, 0 op_sel_hi:[1,0,0]
	s_waitcnt vmcnt(0)
	v_mad_i32_i24 v182, v119, v107, v182
	v_add3_u32 v182, v182, v183, v184
	v_mul_i32_i24_e32 v183, v122, v249
	v_mul_i32_i24_e32 v184, v123, v250
	s_delay_alu instid0(VALU_DEP_1)
	v_add3_u32 v182, v182, v183, v184
	v_mul_i32_i24_e32 v183, v127, v91
	scratch_load_b32 v91, off, off offset:484 ; 4-byte Folded Reload
	v_add3_u32 v182, v182, v185, v186
	v_mul_i32_i24_e32 v186, v130, v217
	s_waitcnt vmcnt(0)
	v_mul_i32_i24_e32 v184, v128, v91
	scratch_load_b32 v91, off, off offset:488 ; 4-byte Folded Reload
	v_add3_u32 v182, v182, v183, v184
	s_waitcnt vmcnt(0)
	v_mul_i32_i24_e32 v185, v129, v91
	scratch_load_b32 v91, off, off offset:492 ; 4-byte Folded Reload
	v_add3_u32 v182, v182, v185, v186
	s_waitcnt vmcnt(0)
	v_mul_i32_i24_e32 v183, v131, v91
	scratch_load_b32 v91, off, off offset:496 ; 4-byte Folded Reload
	s_waitcnt vmcnt(0)
	v_mul_i32_i24_e32 v184, v132, v91
	scratch_load_b32 v91, off, off offset:500 ; 4-byte Folded Reload
	v_add3_u32 v182, v182, v183, v184
	v_mul_i32_i24_e32 v184, v169, v224
	s_waitcnt vmcnt(0)
	v_mul_i32_i24_e32 v185, v133, v91
	scratch_load_b32 v91, off, off offset:232 ; 4-byte Folded Reload
	s_waitcnt vmcnt(0)
	v_mul_i32_i24_e32 v186, v134, v91
	scratch_load_b32 v91, off, off offset:644 ; 4-byte Folded Reload
	v_add3_u32 v182, v182, v185, v186
	v_mul_i32_i24_e32 v186, v164, v94
	s_waitcnt vmcnt(0)
	v_mul_i32_i24_e32 v183, v168, v91
	scratch_load_b32 v91, off, off offset:28 ; 4-byte Folded Reload
	v_add3_u32 v182, v182, v183, v184
	v_mul_i32_i24_e32 v183, v171, v231
	;; [unrolled: 5-line block ×3, first 2 shown]
	v_mul_i32_i24_e32 v186, v165, v95
	s_waitcnt vmcnt(0)
	v_mul_i32_i24_e32 v184, v172, v91
	v_mov_b32_e32 v91, v65
	scratch_load_b32 v65, off, off offset:1108 ; 4-byte Folded Reload
	v_add3_u32 v182, v182, v183, v184
	v_mul_i32_i24_e32 v183, v174, v101
	v_mul_i32_i24_e32 v184, v175, v104
	s_delay_alu instid0(VALU_DEP_3) | instskip(SKIP_2) | instid1(VALU_DEP_3)
	v_add3_u32 v182, v182, v185, v186
	v_mul_i32_i24_e32 v185, v176, v105
	v_mul_i32_i24_e32 v186, v166, v97
	v_add3_u32 v182, v182, v183, v184
	v_mul_i32_i24_e32 v183, v177, v113
	v_mul_i32_i24_e32 v184, v178, v115
	s_delay_alu instid0(VALU_DEP_3) | instskip(SKIP_2) | instid1(VALU_DEP_3)
	v_add3_u32 v182, v182, v185, v186
	v_mul_i32_i24_e32 v185, v179, v136
	v_mul_i32_i24_e32 v186, v167, v98
	v_add3_u32 v182, v182, v183, v184
	s_delay_alu instid0(VALU_DEP_1) | instskip(NEXT) | instid1(VALU_DEP_1)
	v_add3_u32 v182, v182, v185, v186
	v_mul_lo_u32 v182, v182, v99
	s_delay_alu instid0(VALU_DEP_1) | instskip(NEXT) | instid1(VALU_DEP_1)
	v_cvt_f32_i32_e32 v182, v182
	v_fma_mix_f32 v180, v1, v182, v180 op_sel_hi:[1,0,0]
	s_delay_alu instid0(VALU_DEP_1) | instskip(SKIP_1) | instid1(VALU_DEP_1)
	v_fma_f32 v180, v180, v234, -v181
	s_waitcnt vmcnt(0)
	v_add_f32_e32 v65, v65, v180
	scratch_store_b32 off, v65, off offset:1108 ; 4-byte Folded Spill
	scratch_load_b32 v65, off, off offset:444 ; 4-byte Folded Reload
	s_waitcnt vmcnt(0)
	v_mul_i32_i24_e32 v161, v161, v65
	scratch_load_b32 v65, off, off offset:448 ; 4-byte Folded Reload
	s_waitcnt vmcnt(0)
	v_mul_i32_i24_e32 v162, v162, v65
	;; [unrolled: 3-line block ×3, first 2 shown]
	scratch_load_b32 v65, off, off offset:784 ; 4-byte Folded Reload
	s_waitcnt vmcnt(0)
	v_mad_i32_i24 v156, v156, v65, v161
	scratch_load_b32 v161, off, off offset:236 ; 4-byte Folded Reload
	v_add3_u32 v156, v156, v162, v163
	s_waitcnt vmcnt(0)
	v_mul_i32_i24_e32 v157, v157, v161
	scratch_load_b32 v161, off, off offset:60 ; 4-byte Folded Reload
	s_waitcnt vmcnt(0)
	v_mul_i32_i24_e32 v158, v158, v161
	scratch_load_b32 v161, off, off offset:68 ; 4-byte Folded Reload
	v_add3_u32 v156, v156, v157, v158
	scratch_load_b32 v157, off, off offset:32 ; 4-byte Folded Reload
	s_waitcnt vmcnt(1)
	v_mul_i32_i24_e32 v159, v159, v161
	scratch_load_b32 v161, off, off offset:72 ; 4-byte Folded Reload
	s_waitcnt vmcnt(1)
	v_mul_i32_i24_e32 v152, v152, v157
	;; [unrolled: 3-line block ×3, first 2 shown]
	s_delay_alu instid0(VALU_DEP_1)
	v_add3_u32 v156, v156, v159, v160
	s_waitcnt vmcnt(0)
	v_mul_i32_i24_e32 v153, v153, v157
	scratch_load_b32 v157, off, off offset:44 ; 4-byte Folded Reload
	v_add3_u32 v152, v156, v152, v153
	scratch_load_b32 v153, off, off offset:36 ; 4-byte Folded Reload
	s_waitcnt vmcnt(1)
	v_mul_i32_i24_e32 v154, v154, v157
	scratch_load_b32 v157, off, off offset:48 ; 4-byte Folded Reload
	s_waitcnt vmcnt(1)
	v_mul_i32_i24_e32 v4, v4, v153
	scratch_load_b32 v153, off, off offset:52 ; 4-byte Folded Reload
	s_waitcnt vmcnt(1)
	v_mul_i32_i24_e32 v155, v155, v157
	s_waitcnt vmcnt(0)
	v_mul_i32_i24_e32 v44, v44, v153
	scratch_load_b32 v153, off, off offset:56 ; 4-byte Folded Reload
	v_add3_u32 v152, v152, v154, v155
	s_delay_alu instid0(VALU_DEP_1)
	v_add3_u32 v4, v152, v4, v44
	scratch_load_b32 v44, off, off offset:76 ; 4-byte Folded Reload
	s_waitcnt vmcnt(1)
	v_mul_i32_i24_e32 v51, v51, v153
	scratch_load_b32 v153, off, off offset:64 ; 4-byte Folded Reload
	s_waitcnt vmcnt(1)
	v_mul_i32_i24_e32 v44, v74, v44
	;; [unrolled: 3-line block ×3, first 2 shown]
	s_delay_alu instid0(VALU_DEP_1)
	v_add3_u32 v4, v4, v51, v126
	scratch_load_b32 v51, off, off offset:80 ; 4-byte Folded Reload
	s_waitcnt vmcnt(1)
	v_mul_i32_i24_e32 v74, v76, v74
	s_waitcnt vmcnt(0)
	v_mul_i32_i24_e32 v51, v75, v51
	scratch_load_b32 v75, off, off offset:244 ; 4-byte Folded Reload
	v_add3_u32 v4, v4, v44, v51
	s_clause 0x1
	scratch_load_b32 v44, off, off offset:240
	scratch_load_b32 v51, off, off offset:248
	s_waitcnt vmcnt(2)
	v_mul_i32_i24_e32 v75, v77, v75
	s_delay_alu instid0(VALU_DEP_1)
	v_add3_u32 v4, v4, v74, v75
	s_clause 0x1
	scratch_load_b32 v74, off, off offset:252
	scratch_load_b32 v75, off, off offset:256
	s_waitcnt vmcnt(3)
	v_mul_i32_i24_e32 v44, v80, v44
	s_waitcnt vmcnt(2)
	v_mul_i32_i24_e32 v51, v81, v51
	s_delay_alu instid0(VALU_DEP_1)
	v_add3_u32 v4, v4, v44, v51
	s_clause 0x1
	scratch_load_b32 v44, off, off offset:260
	scratch_load_b32 v51, off, off offset:264
	s_waitcnt vmcnt(3)
	v_mul_i32_i24_e32 v74, v82, v74
	s_waitcnt vmcnt(2)
	v_mul_i32_i24_e32 v75, v83, v75
	scratch_load_b32 v83, off, off offset:612 ; 4-byte Folded Reload
	v_add3_u32 v4, v4, v74, v75
	s_clause 0x1
	scratch_load_b32 v74, off, off offset:648
	scratch_load_b32 v75, off, off offset:268
	s_waitcnt vmcnt(4)
	v_mul_i32_i24_e32 v44, v108, v44
	s_waitcnt vmcnt(3)
	v_mul_i32_i24_e32 v51, v109, v51
	s_clause 0x1
	scratch_load_b32 v108, off, off offset:1044
	scratch_load_b32 v109, off, off offset:1048
	v_add3_u32 v4, v4, v44, v51
	s_waitcnt vmcnt(4)
	v_mul_i32_i24_e32 v44, v112, v83
	scratch_load_b32 v112, off, off offset:1060 ; 4-byte Folded Reload
	s_waitcnt vmcnt(4)
	v_mul_i32_i24_e32 v74, v110, v74
	scratch_load_b32 v110, off, off offset:1052 ; 4-byte Folded Reload
	;; [unrolled: 3-line block ×4, first 2 shown]
	v_add3_u32 v4, v4, v74, v75
	s_waitcnt vmcnt(4)
	v_mul_i32_i24_e32 v74, v116, v109
	scratch_load_b32 v116, off, off offset:620 ; 4-byte Folded Reload
	v_add3_u32 v4, v4, v44, v51
	s_waitcnt vmcnt(3)
	v_mul_i32_i24_e32 v75, v117, v110
	scratch_load_b32 v117, off, off offset:624 ; 4-byte Folded Reload
	v_add3_u32 v4, v4, v74, v75
	s_waitcnt vmcnt(1)
	v_mul_i32_i24_e32 v44, v118, v116
	scratch_load_b32 v118, off, off offset:628 ; 4-byte Folded Reload
	v_mul_lo_u32 v4, v4, v111
	v_mad_i32_i24 v44, v119, v114, v44
	scratch_load_b32 v119, off, off offset:636 ; 4-byte Folded Reload
	v_cvt_f32_i32_e32 v4, v4
	s_delay_alu instid0(VALU_DEP_1) | instskip(SKIP_1) | instid1(VALU_DEP_1)
	v_fma_mix_f32 v4, v0, v4, 0 op_sel_hi:[1,0,0]
	v_fma_mix_f32 v0, v112, v0, 0 op_sel:[0,1,0] op_sel_hi:[0,1,0]
	v_fma_mix_f32 v0, v194, v1, v0 op_sel:[0,1,0] op_sel_hi:[0,1,0]
	s_delay_alu instid0(VALU_DEP_1)
	v_mul_f32_e32 v0, v0, v195
	s_waitcnt vmcnt(2)
	v_mul_i32_i24_e32 v51, v120, v117
	scratch_load_b32 v120, off, off offset:632 ; 4-byte Folded Reload
	s_waitcnt vmcnt(1)
	v_mul_i32_i24_e32 v75, v124, v119
	v_mov_b32_e32 v124, v196
	s_waitcnt vmcnt(0)
	v_mul_i32_i24_e32 v74, v121, v120
	scratch_load_b32 v121, off, off offset:640 ; 4-byte Folded Reload
	v_add3_u32 v44, v44, v51, v74
	scratch_load_b32 v74, off, off offset:1064 ; 4-byte Folded Reload
	s_waitcnt vmcnt(1)
	v_mul_i32_i24_e32 v76, v125, v121
	v_mov_b32_e32 v125, v193
	s_waitcnt vmcnt(0)
	v_mul_i32_i24_e32 v51, v122, v74
	v_mov_b32_e32 v122, v74
	v_mul_i32_i24_e32 v74, v123, v118
	v_mov_b32_e32 v123, v195
	s_delay_alu instid0(VALU_DEP_2) | instskip(SKIP_3) | instid1(VALU_DEP_4)
	v_add3_u32 v44, v44, v51, v74
	v_mul_i32_i24_e32 v51, v127, v211
	v_mul_i32_i24_e32 v74, v128, v190
	v_dual_mov_b32 v128, v190 :: v_dual_mov_b32 v127, v211
	v_add3_u32 v44, v44, v75, v76
	v_mul_i32_i24_e32 v75, v129, v189
	v_mul_i32_i24_e32 v76, v130, v193
	v_dual_mov_b32 v129, v189 :: v_dual_mov_b32 v130, v188
	s_delay_alu instid0(VALU_DEP_4) | instskip(SKIP_3) | instid1(VALU_DEP_4)
	v_add3_u32 v44, v44, v51, v74
	v_mul_i32_i24_e32 v51, v131, v192
	v_mul_i32_i24_e32 v74, v132, v191
	v_dual_mov_b32 v131, v192 :: v_dual_mov_b32 v132, v191
	v_add3_u32 v44, v44, v75, v76
	v_mul_i32_i24_e32 v75, v133, v187
	v_mul_i32_i24_e32 v76, v134, v188
	v_dual_mov_b32 v133, v187 :: v_dual_mov_b32 v134, v85
	s_delay_alu instid0(VALU_DEP_4) | instskip(SKIP_2) | instid1(VALU_DEP_3)
	v_add3_u32 v44, v44, v51, v74
	v_mul_i32_i24_e32 v51, v168, v85
	v_mul_i32_i24_e32 v74, v169, v210
	v_add3_u32 v44, v44, v75, v76
	v_mul_i32_i24_e32 v75, v170, v84
	v_mul_i32_i24_e32 v76, v164, v87
	v_mov_b32_e32 v84, v26
	s_delay_alu instid0(VALU_DEP_4) | instskip(SKIP_2) | instid1(VALU_DEP_3)
	v_add3_u32 v44, v44, v51, v74
	v_mul_i32_i24_e32 v51, v171, v206
	v_mul_i32_i24_e32 v74, v172, v207
	v_add3_u32 v44, v44, v75, v76
	v_mul_i32_i24_e32 v75, v173, v208
	v_mul_i32_i24_e32 v76, v165, v209
	s_delay_alu instid0(VALU_DEP_3) | instskip(SKIP_2) | instid1(VALU_DEP_3)
	v_add3_u32 v44, v44, v51, v74
	v_mul_i32_i24_e32 v51, v174, v202
	v_mul_i32_i24_e32 v74, v175, v203
	v_add3_u32 v44, v44, v75, v76
	v_mul_i32_i24_e32 v75, v176, v204
	v_mul_i32_i24_e32 v76, v166, v205
	s_delay_alu instid0(VALU_DEP_3) | instskip(SKIP_2) | instid1(VALU_DEP_3)
	v_add3_u32 v44, v44, v51, v74
	v_mul_i32_i24_e32 v51, v177, v198
	v_mul_i32_i24_e32 v74, v178, v199
	v_add3_u32 v44, v44, v75, v76
	v_mul_i32_i24_e32 v75, v179, v200
	v_mul_i32_i24_e32 v76, v167, v201
	s_delay_alu instid0(VALU_DEP_3) | instskip(NEXT) | instid1(VALU_DEP_1)
	v_add3_u32 v44, v44, v51, v74
	v_add3_u32 v44, v44, v75, v76
	s_delay_alu instid0(VALU_DEP_1) | instskip(NEXT) | instid1(VALU_DEP_1)
	v_mul_lo_u32 v44, v44, v197
	v_cvt_f32_i32_e32 v44, v44
	s_delay_alu instid0(VALU_DEP_1) | instskip(SKIP_3) | instid1(VALU_DEP_1)
	v_fma_mix_f32 v4, v1, v44, v4 op_sel_hi:[1,0,0]
	scratch_load_b32 v1, off, off offset:1104 ; 4-byte Folded Reload
	v_fma_f32 v0, v4, v196, -v0
	s_waitcnt vmcnt(0)
	v_add_f32_e32 v1, v1, v0
	scratch_load_b32 v0, off, off           ; 4-byte Folded Reload
	s_waitcnt vmcnt(0)
	ds_load_b128 v[152:155], v0 offset:3072
	scratch_load_b32 v0, off, off           ; 4-byte Folded Reload
	s_waitcnt lgkmcnt(0)
	v_bfe_i32 v208, v152, 0, 8
	v_bfe_i32 v207, v152, 8, 8
	v_bfe_i32 v209, v152, 16, 8
	v_ashrrev_i32_e32 v210, 24, v152
	v_bfe_i32 v187, v153, 0, 8
	v_bfe_i32 v188, v153, 8, 8
	v_bfe_i32 v189, v153, 16, 8
	v_ashrrev_i32_e32 v190, 24, v153
	;; [unrolled: 4-line block ×4, first 2 shown]
	v_mul_i32_i24_e32 v74, v208, v236
	v_mul_i32_i24_e32 v75, v209, v139
	;; [unrolled: 1-line block ×5, first 2 shown]
	v_mad_i32_i24 v74, v207, v137, v74
	v_dual_mov_b32 v137, v243 :: v_dual_mov_b32 v236, v13
	v_mov_b32_e32 v239, v6
	v_mov_b32_e32 v139, v245
	s_delay_alu instid0(VALU_DEP_4)
	v_add3_u32 v74, v74, v75, v76
	v_mul_i32_i24_e32 v75, v187, v135
	v_mul_i32_i24_e32 v76, v188, v138
	v_mov_b32_e32 v140, v25
	v_mov_b32_e32 v138, v244
	v_mov_b32_e32 v238, v60
	s_delay_alu instid0(VALU_DEP_4)
	v_add3_u32 v74, v74, v75, v76
	v_mul_i32_i24_e32 v75, v183, v243
	v_mul_i32_i24_e32 v76, v184, v244
	v_mov_b32_e32 v243, v8
	v_mov_b32_e32 v244, v12
	v_add3_u32 v74, v74, v77, v80
	v_mul_i32_i24_e32 v77, v185, v245
	v_mul_i32_i24_e32 v80, v186, v251
	v_mov_b32_e32 v245, v11
	s_delay_alu instid0(VALU_DEP_4)
	v_add3_u32 v74, v74, v75, v76
	v_mul_i32_i24_e32 v75, v163, v248
	v_mul_i32_i24_e32 v76, v180, v254
	v_mov_b32_e32 v254, v216
	v_mov_b32_e32 v87, v68
	v_add3_u32 v74, v74, v77, v80
	v_mul_i32_i24_e32 v77, v181, v6
	v_mul_i32_i24_e32 v80, v182, v12
	v_dual_mov_b32 v6, v14 :: v_dual_mov_b32 v85, v72
	s_delay_alu instid0(VALU_DEP_4) | instskip(SKIP_1) | instid1(VALU_DEP_2)
	v_add3_u32 v74, v74, v75, v76
	v_mov_b32_e32 v248, v20
	v_add3_u32 v74, v74, v77, v80
	s_waitcnt vmcnt(0)
	ds_load_b128 v[152:155], v0 offset:3088
	scratch_load_b32 v0, off, off           ; 4-byte Folded Reload
	s_waitcnt lgkmcnt(0)
	v_bfe_i32 v203, v152, 0, 8
	v_bfe_i32 v204, v152, 8, 8
	v_bfe_i32 v205, v152, 16, 8
	v_ashrrev_i32_e32 v206, 24, v152
	v_bfe_i32 v199, v153, 0, 8
	v_bfe_i32 v200, v153, 8, 8
	v_bfe_i32 v201, v153, 16, 8
	v_ashrrev_i32_e32 v202, 24, v153
	;; [unrolled: 4-line block ×4, first 2 shown]
	v_mul_i32_i24_e32 v75, v203, v35
	v_mul_i32_i24_e32 v76, v204, v36
	;; [unrolled: 1-line block ×4, first 2 shown]
	s_delay_alu instid0(VALU_DEP_3) | instskip(SKIP_3) | instid1(VALU_DEP_4)
	v_add3_u32 v74, v74, v75, v76
	v_mul_i32_i24_e32 v75, v199, v14
	v_mul_i32_i24_e32 v76, v200, v21
	v_mov_b32_e32 v21, v86
	v_add3_u32 v74, v74, v77, v80
	v_mul_i32_i24_e32 v77, v201, v22
	v_mul_i32_i24_e32 v80, v202, v23
	s_delay_alu instid0(VALU_DEP_3)
	v_add3_u32 v74, v74, v75, v76
	v_mul_i32_i24_e32 v75, v195, v43
	v_mul_i32_i24_e32 v76, v196, v49
	v_mov_b32_e32 v43, v144
	v_mov_b32_e32 v49, v16
	v_add3_u32 v74, v74, v77, v80
	v_mul_i32_i24_e32 v77, v197, v52
	v_mul_i32_i24_e32 v80, v198, v246
	v_dual_mov_b32 v52, v215 :: v_dual_mov_b32 v135, v252
	s_delay_alu instid0(VALU_DEP_4)
	v_add3_u32 v74, v74, v75, v76
	v_mul_i32_i24_e32 v75, v191, v45
	v_mul_i32_i24_e32 v76, v192, v46
	v_mov_b32_e32 v46, v147
	scratch_store_b32 off, v1, off offset:1104 ; 4-byte Folded Spill
	v_add3_u32 v74, v74, v77, v80
	v_mul_i32_i24_e32 v77, v193, v47
	v_mul_i32_i24_e32 v80, v194, v48
	v_dual_mov_b32 v48, v19 :: v_dual_mov_b32 v45, v146
	s_delay_alu instid0(VALU_DEP_4) | instskip(SKIP_2) | instid1(VALU_DEP_3)
	v_add3_u32 v74, v74, v75, v76
	v_fma_mix_f32 v75, v50, v2, 0 op_sel:[0,1,0] op_sel_hi:[0,1,0]
	v_dual_mov_b32 v47, v148 :: v_dual_mov_b32 v50, v151
	v_add3_u32 v74, v74, v77, v80
	s_delay_alu instid0(VALU_DEP_3) | instskip(SKIP_3) | instid1(VALU_DEP_2)
	v_fma_mix_f32 v75, v24, v3, v75 op_sel:[0,1,0] op_sel_hi:[0,1,0]
	scratch_load_b32 v24, off, off offset:644 ; 4-byte Folded Reload
	v_mul_lo_u32 v74, v74, v213
	v_mul_f32_e32 v75, v75, v41
	v_cvt_f32_i32_e32 v74, v74
	s_delay_alu instid0(VALU_DEP_1)
	v_fma_mix_f32 v74, v2, v74, 0 op_sel_hi:[1,0,0]
	s_waitcnt vmcnt(1)
	ds_load_b128 v[152:155], v0 offset:3104
	scratch_load_b32 v0, off, off           ; 4-byte Folded Reload
	s_waitcnt lgkmcnt(0)
	v_bfe_i32 v177, v152, 0, 8
	v_bfe_i32 v176, v152, 8, 8
	;; [unrolled: 1-line block ×3, first 2 shown]
	v_ashrrev_i32_e32 v179, 24, v152
	v_bfe_i32 v172, v153, 0, 8
	v_mul_i32_i24_e32 v76, v177, v5
	scratch_load_b32 v5, off, off offset:1132 ; 4-byte Folded Reload
	v_bfe_i32 v173, v153, 8, 8
	v_mul_i32_i24_e32 v77, v178, v253
	v_mul_i32_i24_e32 v80, v179, v7
	v_mad_i32_i24 v76, v176, v247, v76
	v_bfe_i32 v174, v153, 16, 8
	v_ashrrev_i32_e32 v175, 24, v153
	v_bfe_i32 v168, v154, 0, 8
	v_bfe_i32 v169, v154, 8, 8
	v_add3_u32 v76, v76, v77, v80
	v_mul_i32_i24_e32 v77, v172, v15
	v_mul_i32_i24_e32 v80, v173, v8
	v_mov_b32_e32 v8, v132
	v_bfe_i32 v170, v154, 16, 8
	v_ashrrev_i32_e32 v171, 24, v154
	v_bfe_i32 v164, v155, 0, 8
	v_bfe_i32 v165, v155, 8, 8
	;; [unrolled: 1-line block ×3, first 2 shown]
	v_ashrrev_i32_e32 v167, 24, v155
	v_mul_i32_i24_e32 v81, v174, v9
	v_mul_i32_i24_e32 v82, v175, v10
	v_add3_u32 v76, v76, v77, v80
	v_mul_i32_i24_e32 v77, v168, v11
	v_mul_i32_i24_e32 v80, v169, v33
	v_mov_b32_e32 v10, v131
	v_mov_b32_e32 v33, v239
	v_add3_u32 v76, v76, v81, v82
	v_mul_i32_i24_e32 v81, v170, v39
	v_mul_i32_i24_e32 v82, v171, v40
	s_delay_alu instid0(VALU_DEP_3) | instskip(SKIP_2) | instid1(VALU_DEP_3)
	v_add3_u32 v76, v76, v77, v80
	v_mul_i32_i24_e32 v77, v164, v141
	v_mul_i32_i24_e32 v80, v165, v142
	v_add3_u32 v76, v76, v81, v82
	v_mul_i32_i24_e32 v81, v166, v143
	v_mul_i32_i24_e32 v82, v167, v144
	s_delay_alu instid0(VALU_DEP_3) | instskip(NEXT) | instid1(VALU_DEP_1)
	v_add3_u32 v76, v76, v77, v80
	v_add3_u32 v76, v76, v81, v82
	s_waitcnt vmcnt(1)
	ds_load_b128 v[152:155], v0 offset:3120
	s_waitcnt lgkmcnt(0)
	v_bfe_i32 v162, v152, 0, 8
	v_bfe_i32 v159, v152, 8, 8
	;; [unrolled: 1-line block ×3, first 2 shown]
	v_ashrrev_i32_e32 v161, 24, v152
	v_bfe_i32 v211, v153, 0, 8
	v_mul_i32_i24_e32 v77, v162, v146
	v_mul_i32_i24_e32 v80, v159, v147
	v_bfe_i32 v156, v153, 8, 8
	v_mul_i32_i24_e32 v81, v160, v148
	v_mul_i32_i24_e32 v82, v161, v19
	v_bfe_i32 v157, v153, 16, 8
	v_add3_u32 v76, v76, v77, v80
	v_ashrrev_i32_e32 v158, 24, v153
	v_mul_i32_i24_e32 v77, v211, v16
	v_mul_i32_i24_e32 v80, v156, v151
	v_bfe_i32 v126, v154, 0, 8
	v_add3_u32 v76, v76, v81, v82
	v_bfe_i32 v4, v154, 8, 8
	v_mul_i32_i24_e32 v81, v157, v215
	v_mul_i32_i24_e32 v82, v158, v216
	v_bfe_i32 v152, v154, 16, 8
	v_add3_u32 v76, v76, v77, v80
	v_ashrrev_i32_e32 v153, 24, v154
	v_mul_i32_i24_e32 v77, v126, v34
	v_mul_i32_i24_e32 v80, v4, v145
	v_bfe_i32 v0, v155, 0, 8
	v_add3_u32 v76, v76, v81, v82
	v_bfe_i32 v1, v155, 8, 8
	v_mul_i32_i24_e32 v81, v152, v30
	v_mul_i32_i24_e32 v82, v153, v31
	v_bfe_i32 v44, v155, 16, 8
	v_add3_u32 v76, v76, v77, v80
	v_ashrrev_i32_e32 v51, 24, v155
	v_mul_i32_i24_e32 v77, v0, v237
	v_mul_i32_i24_e32 v80, v1, v13
	v_mov_b32_e32 v34, v244
	v_add3_u32 v76, v76, v81, v82
	v_mul_i32_i24_e32 v81, v44, v18
	v_mul_i32_i24_e32 v82, v51, v241
	v_dual_mov_b32 v13, v18 :: v_dual_mov_b32 v16, v17
	s_delay_alu instid0(VALU_DEP_4) | instskip(SKIP_2) | instid1(VALU_DEP_3)
	v_add3_u32 v76, v76, v77, v80
	v_mul_i32_i24_e32 v77, v189, v60
	v_mov_b32_e32 v216, v245
	v_add3_u32 v76, v76, v81, v82
	v_mul_i32_i24_e32 v81, v174, v57
	s_delay_alu instid0(VALU_DEP_2) | instskip(NEXT) | instid1(VALU_DEP_1)
	v_mul_lo_u32 v76, v76, v242
	v_cvt_f32_i32_e32 v76, v76
	s_delay_alu instid0(VALU_DEP_1) | instskip(SKIP_2) | instid1(VALU_DEP_3)
	v_fma_mix_f32 v74, v3, v76, v74 op_sel_hi:[1,0,0]
	v_mul_i32_i24_e32 v76, v210, v225
	v_mov_b32_e32 v225, v64
	v_fma_f32 v74, v74, v25, -v75
	v_mul_i32_i24_e32 v75, v209, v20
	v_dual_mov_b32 v25, v127 :: v_dual_mov_b32 v20, v6
	s_waitcnt vmcnt(0)
	s_delay_alu instid0(VALU_DEP_3)
	v_add_f32_e32 v5, v5, v74
	v_mul_i32_i24_e32 v74, v208, v26
	v_mov_b32_e32 v26, v125
	scratch_store_b32 off, v5, off offset:1132 ; 4-byte Folded Spill
	scratch_load_b32 v5, off, off offset:300 ; 4-byte Folded Reload
	v_mad_i32_i24 v74, v207, v56, v74
	v_mov_b32_e32 v56, v124
	s_delay_alu instid0(VALU_DEP_2)
	v_add3_u32 v74, v74, v75, v76
	v_mul_i32_i24_e32 v76, v188, v68
	v_mov_b32_e32 v68, v63
	s_waitcnt vmcnt(0)
	v_mul_i32_i24_e32 v75, v187, v5
	scratch_load_b32 v5, off, off offset:336 ; 4-byte Folded Reload
	v_add3_u32 v74, v74, v75, v76
	s_waitcnt vmcnt(0)
	v_mul_i32_i24_e32 v80, v190, v5
	scratch_load_b32 v5, off, off offset:112 ; 4-byte Folded Reload
	v_add3_u32 v74, v74, v77, v80
	s_waitcnt vmcnt(0)
	v_mul_i32_i24_e32 v75, v183, v5
	scratch_load_b32 v5, off, off offset:136 ; 4-byte Folded Reload
	s_waitcnt vmcnt(0)
	v_mul_i32_i24_e32 v76, v184, v5
	scratch_load_b32 v5, off, off offset:152 ; 4-byte Folded Reload
	v_add3_u32 v74, v74, v75, v76
	v_mul_i32_i24_e32 v76, v180, v27
	v_mov_b32_e32 v27, v129
	s_waitcnt vmcnt(0)
	v_mul_i32_i24_e32 v77, v185, v5
	scratch_load_b32 v5, off, off offset:124 ; 4-byte Folded Reload
	s_waitcnt vmcnt(0)
	v_mul_i32_i24_e32 v80, v186, v5
	scratch_load_b32 v5, off, off offset:116 ; 4-byte Folded Reload
	v_add3_u32 v74, v74, v77, v80
	v_mul_i32_i24_e32 v77, v181, v63
	s_waitcnt vmcnt(0)
	v_mul_i32_i24_e32 v75, v163, v5
	scratch_load_b32 v5, off, off offset:144 ; 4-byte Folded Reload
	v_add3_u32 v74, v74, v75, v76
	v_mul_i32_i24_e32 v75, v203, v64
	v_mul_i32_i24_e32 v76, v204, v66
	s_waitcnt vmcnt(0)
	v_mul_i32_i24_e32 v80, v182, v5
	scratch_load_b32 v5, off, off offset:12 ; 4-byte Folded Reload
	v_add3_u32 v74, v74, v77, v80
	v_mul_i32_i24_e32 v80, v206, v38
	s_delay_alu instid0(VALU_DEP_2)
	v_add3_u32 v74, v74, v75, v76
	v_mul_i32_i24_e32 v75, v199, v67
	v_mul_i32_i24_e32 v76, v200, v72
	v_mov_b32_e32 v72, v46
	s_waitcnt vmcnt(0)
	v_mul_i32_i24_e32 v77, v205, v5
	scratch_load_b32 v5, off, off offset:16 ; 4-byte Folded Reload
	v_add3_u32 v74, v74, v77, v80
	v_mul_i32_i24_e32 v80, v202, v42
	v_mov_b32_e32 v42, v243
	s_delay_alu instid0(VALU_DEP_3)
	v_add3_u32 v74, v74, v75, v76
	v_mul_i32_i24_e32 v75, v195, v227
	v_mul_i32_i24_e32 v76, v196, v228
	s_waitcnt vmcnt(0)
	v_mul_i32_i24_e32 v77, v201, v5
	scratch_load_b32 v5, off, off offset:128 ; 4-byte Folded Reload
	v_add3_u32 v74, v74, v77, v80
	v_mul_i32_i24_e32 v77, v197, v70
	v_mul_i32_i24_e32 v80, v198, v71
	s_delay_alu instid0(VALU_DEP_3) | instskip(NEXT) | instid1(VALU_DEP_1)
	v_add3_u32 v74, v74, v75, v76
	v_add3_u32 v74, v74, v77, v80
	v_mul_i32_i24_e32 v77, v193, v54
	v_mul_i32_i24_e32 v80, v194, v78
	s_waitcnt vmcnt(0)
	v_mul_i32_i24_e32 v75, v191, v5
	scratch_load_b32 v5, off, off offset:132 ; 4-byte Folded Reload
	s_waitcnt vmcnt(0)
	v_mul_i32_i24_e32 v76, v192, v5
	scratch_load_b32 v5, off, off offset:8  ; 4-byte Folded Reload
	v_add3_u32 v74, v74, v75, v76
	v_fma_mix_f32 v75, v59, v2, 0 op_sel:[0,1,0] op_sel_hi:[0,1,0]
	s_delay_alu instid0(VALU_DEP_2) | instskip(NEXT) | instid1(VALU_DEP_1)
	v_add3_u32 v74, v74, v77, v80
	v_mul_lo_u32 v74, v74, v79
	s_delay_alu instid0(VALU_DEP_1) | instskip(NEXT) | instid1(VALU_DEP_1)
	v_cvt_f32_i32_e32 v74, v74
	v_fma_mix_f32 v74, v2, v74, 0 op_sel_hi:[1,0,0]
	s_waitcnt vmcnt(0)
	v_mul_i32_i24_e32 v76, v177, v5
	scratch_load_b32 v5, off, off offset:308 ; 4-byte Folded Reload
	v_mad_i32_i24 v76, v176, v62, v76
	s_waitcnt vmcnt(0)
	v_mul_i32_i24_e32 v77, v178, v5
	scratch_load_b32 v5, off, off offset:120 ; 4-byte Folded Reload
	s_waitcnt vmcnt(0)
	v_mul_i32_i24_e32 v80, v179, v5
	scratch_load_b32 v5, off, off offset:340 ; 4-byte Folded Reload
	v_add3_u32 v76, v76, v77, v80
	v_mul_i32_i24_e32 v77, v172, v88
	s_waitcnt vmcnt(0)
	v_mul_i32_i24_e32 v80, v173, v5
	scratch_load_b32 v5, off, off offset:348 ; 4-byte Folded Reload
	v_add3_u32 v76, v76, v77, v80
	v_mul_i32_i24_e32 v77, v168, v61
	;; [unrolled: 5-line block ×3, first 2 shown]
	s_waitcnt vmcnt(0)
	v_mul_i32_i24_e32 v80, v169, v5
	scratch_load_b32 v5, off, off offset:408 ; 4-byte Folded Reload
	v_add3_u32 v76, v76, v77, v80
	s_waitcnt vmcnt(0)
	v_mul_i32_i24_e32 v81, v170, v5
	scratch_load_b32 v5, off, off offset:164 ; 4-byte Folded Reload
	v_add3_u32 v76, v76, v81, v82
	v_mul_i32_i24_e32 v81, v166, v28
	s_waitcnt vmcnt(0)
	v_mul_i32_i24_e32 v77, v164, v5
	scratch_load_b32 v5, off, off offset:140 ; 4-byte Folded Reload
	s_waitcnt vmcnt(0)
	v_mul_i32_i24_e32 v80, v165, v5
	scratch_load_b32 v5, off, off offset:372 ; 4-byte Folded Reload
	v_add3_u32 v76, v76, v77, v80
	v_mul_i32_i24_e32 v80, v159, v29
	s_waitcnt vmcnt(0)
	v_mul_i32_i24_e32 v82, v167, v5
	scratch_load_b32 v5, off, off offset:156 ; 4-byte Folded Reload
	v_add3_u32 v76, v76, v81, v82
	s_waitcnt vmcnt(0)
	v_mul_i32_i24_e32 v77, v162, v5
	scratch_load_b32 v5, off, off offset:288 ; 4-byte Folded Reload
	v_add3_u32 v76, v76, v77, v80
	v_mul_i32_i24_e32 v80, v156, v32
	s_waitcnt vmcnt(0)
	v_mul_i32_i24_e32 v81, v160, v5
	scratch_load_b32 v5, off, off offset:88 ; 4-byte Folded Reload
	s_waitcnt vmcnt(0)
	v_mul_i32_i24_e32 v82, v161, v5
	scratch_load_b32 v5, off, off offset:92 ; 4-byte Folded Reload
	v_add3_u32 v76, v76, v81, v82
	s_waitcnt vmcnt(0)
	v_mul_i32_i24_e32 v77, v211, v5
	scratch_load_b32 v5, off, off offset:96 ; 4-byte Folded Reload
	v_add3_u32 v76, v76, v77, v80
	v_mul_i32_i24_e32 v77, v126, v69
	s_waitcnt vmcnt(0)
	v_mul_i32_i24_e32 v81, v157, v5
	scratch_load_b32 v5, off, off offset:100 ; 4-byte Folded Reload
	s_waitcnt vmcnt(0)
	v_mul_i32_i24_e32 v82, v158, v5
	scratch_load_b32 v5, off, off offset:304 ; 4-byte Folded Reload
	v_add3_u32 v76, v76, v81, v82
	v_mul_i32_i24_e32 v82, v153, v53
	s_waitcnt vmcnt(0)
	v_mul_i32_i24_e32 v80, v4, v5
	scratch_load_b32 v5, off, off offset:104 ; 4-byte Folded Reload
	v_add3_u32 v76, v76, v77, v80
	v_mul_i32_i24_e32 v80, v1, v55
	s_waitcnt vmcnt(0)
	v_mul_i32_i24_e32 v81, v152, v5
	scratch_load_b32 v5, off, off offset:392 ; 4-byte Folded Reload
	v_add3_u32 v76, v76, v81, v82
	s_waitcnt vmcnt(0)
	v_mul_i32_i24_e32 v77, v0, v5
	scratch_load_b32 v5, off, off offset:168 ; 4-byte Folded Reload
	v_add3_u32 v76, v76, v77, v80
	s_waitcnt vmcnt(0)
	v_mul_i32_i24_e32 v81, v44, v5
	scratch_load_b32 v5, off, off offset:172 ; 4-byte Folded Reload
	s_waitcnt vmcnt(0)
	v_mul_i32_i24_e32 v82, v51, v5
	scratch_load_b32 v5, off, off offset:20 ; 4-byte Folded Reload
	v_add3_u32 v76, v76, v81, v82
	v_mul_i32_i24_e32 v81, v174, v255
	v_mul_i32_i24_e32 v82, v175, v212
	s_delay_alu instid0(VALU_DEP_3) | instskip(NEXT) | instid1(VALU_DEP_1)
	v_mul_lo_u32 v76, v76, v73
	v_cvt_f32_i32_e32 v76, v76
	s_delay_alu instid0(VALU_DEP_1)
	v_fma_mix_f32 v74, v3, v76, v74 op_sel_hi:[1,0,0]
	v_mul_i32_i24_e32 v76, v210, v89
	s_waitcnt vmcnt(0)
	v_fma_mix_f32 v75, v5, v3, v75 op_sel:[0,1,0] op_sel_hi:[0,1,0]
	scratch_load_b32 v5, off, off offset:1128 ; 4-byte Folded Reload
	v_mul_f32_e32 v75, v75, v86
	s_delay_alu instid0(VALU_DEP_1) | instskip(SKIP_3) | instid1(VALU_DEP_3)
	v_fma_f32 v74, v74, v252, -v75
	v_mul_i32_i24_e32 v75, v209, v93
	v_dual_mov_b32 v252, v123 :: v_dual_mov_b32 v9, v133
	s_waitcnt vmcnt(0)
	v_add_f32_e32 v5, v5, v74
	v_mul_i32_i24_e32 v74, v208, v90
	scratch_store_b32 off, v5, off offset:1128 ; 4-byte Folded Spill
	scratch_load_b32 v5, off, off offset:908 ; 4-byte Folded Reload
	v_mad_i32_i24 v74, v207, v96, v74
	s_delay_alu instid0(VALU_DEP_1)
	v_add3_u32 v74, v74, v75, v76
	v_mul_i32_i24_e32 v75, v187, v218
	s_waitcnt vmcnt(0)
	v_mul_i32_i24_e32 v76, v188, v5
	scratch_load_b32 v5, off, off offset:504 ; 4-byte Folded Reload
	v_add3_u32 v74, v74, v75, v76
	s_waitcnt vmcnt(0)
	v_mul_i32_i24_e32 v77, v189, v5
	scratch_load_b32 v5, off, off offset:508 ; 4-byte Folded Reload
	s_waitcnt vmcnt(0)
	v_mul_i32_i24_e32 v80, v190, v5
	scratch_load_b32 v5, off, off offset:456 ; 4-byte Folded Reload
	v_add3_u32 v74, v74, v77, v80
	v_mul_i32_i24_e32 v80, v186, v214
	v_dual_mov_b32 v214, v21 :: v_dual_mov_b32 v23, v128
	s_waitcnt vmcnt(0)
	v_mul_i32_i24_e32 v75, v183, v5
	scratch_load_b32 v5, off, off offset:460 ; 4-byte Folded Reload
	s_waitcnt vmcnt(0)
	v_mul_i32_i24_e32 v76, v184, v5
	scratch_load_b32 v5, off, off offset:788 ; 4-byte Folded Reload
	v_add3_u32 v74, v74, v75, v76
	s_waitcnt vmcnt(0)
	v_mul_i32_i24_e32 v77, v185, v5
	scratch_load_b32 v5, off, off offset:792 ; 4-byte Folded Reload
	v_add3_u32 v74, v74, v77, v80
	s_waitcnt vmcnt(0)
	v_mul_i32_i24_e32 v75, v163, v5
	scratch_load_b32 v5, off, off offset:464 ; 4-byte Folded Reload
	s_waitcnt vmcnt(0)
	v_mul_i32_i24_e32 v76, v180, v5
	scratch_load_b32 v5, off, off offset:800 ; 4-byte Folded Reload
	v_add3_u32 v74, v74, v75, v76
	s_waitcnt vmcnt(0)
	v_mul_i32_i24_e32 v77, v181, v5
	scratch_load_b32 v5, off, off offset:468 ; 4-byte Folded Reload
	s_waitcnt vmcnt(0)
	v_mul_i32_i24_e32 v80, v182, v5
	scratch_load_b32 v5, off, off offset:804 ; 4-byte Folded Reload
	v_add3_u32 v74, v74, v77, v80
	v_mul_i32_i24_e32 v80, v206, v92
	s_waitcnt vmcnt(0)
	v_mul_i32_i24_e32 v75, v203, v5
	scratch_load_b32 v5, off, off offset:808 ; 4-byte Folded Reload
	s_waitcnt vmcnt(0)
	v_mul_i32_i24_e32 v76, v204, v5
	scratch_load_b32 v5, off, off offset:912 ; 4-byte Folded Reload
	v_add3_u32 v74, v74, v75, v76
	v_mul_i32_i24_e32 v75, v199, v219
	v_mul_i32_i24_e32 v76, v200, v229
	s_waitcnt vmcnt(0)
	v_mul_i32_i24_e32 v77, v205, v5
	scratch_load_b32 v5, off, off offset:472 ; 4-byte Folded Reload
	v_add3_u32 v74, v74, v77, v80
	v_mul_i32_i24_e32 v80, v202, v102
	s_delay_alu instid0(VALU_DEP_2)
	v_add3_u32 v74, v74, v75, v76
	v_mul_i32_i24_e32 v75, v195, v220
	v_mul_i32_i24_e32 v76, v196, v221
	s_waitcnt vmcnt(0)
	v_mul_i32_i24_e32 v77, v201, v5
	scratch_load_b32 v5, off, off offset:480 ; 4-byte Folded Reload
	v_add3_u32 v74, v74, v77, v80
	v_mul_i32_i24_e32 v77, v197, v222
	v_mul_i32_i24_e32 v80, v198, v103
	s_delay_alu instid0(VALU_DEP_3) | instskip(SKIP_2) | instid1(VALU_DEP_3)
	v_add3_u32 v74, v74, v75, v76
	v_mul_i32_i24_e32 v75, v191, v223
	v_mul_i32_i24_e32 v76, v192, v226
	v_add3_u32 v74, v74, v77, v80
	v_mul_i32_i24_e32 v77, v193, v149
	v_mul_i32_i24_e32 v80, v194, v150
	s_delay_alu instid0(VALU_DEP_3) | instskip(SKIP_2) | instid1(VALU_DEP_3)
	v_add3_u32 v74, v74, v75, v76
	v_mul_i32_i24_e32 v76, v177, v232
	v_fma_mix_f32 v75, v230, v2, 0 op_sel:[0,1,0] op_sel_hi:[0,1,0]
	v_add3_u32 v74, v74, v77, v80
	v_mul_i32_i24_e32 v77, v178, v233
	v_mul_i32_i24_e32 v80, v179, v235
	v_mad_i32_i24 v76, v176, v107, v76
	v_fma_mix_f32 v75, v100, v3, v75 op_sel:[0,1,0] op_sel_hi:[0,1,0]
	v_mul_lo_u32 v74, v74, v106
	s_delay_alu instid0(VALU_DEP_3) | instskip(SKIP_4) | instid1(VALU_DEP_3)
	v_add3_u32 v76, v76, v77, v80
	v_mul_i32_i24_e32 v77, v172, v249
	v_mul_i32_i24_e32 v80, v173, v250
	v_mul_f32_e32 v75, v75, v91
	v_cvt_f32_i32_e32 v74, v74
	v_add3_u32 v76, v76, v77, v80
	s_delay_alu instid0(VALU_DEP_2) | instskip(NEXT) | instid1(VALU_DEP_2)
	v_fma_mix_f32 v74, v2, v74, 0 op_sel_hi:[1,0,0]
	v_add3_u32 v76, v76, v81, v82
	v_mul_i32_i24_e32 v82, v171, v217
	s_waitcnt vmcnt(0)
	v_mul_i32_i24_e32 v77, v168, v5
	scratch_load_b32 v5, off, off offset:484 ; 4-byte Folded Reload
	s_waitcnt vmcnt(0)
	v_mul_i32_i24_e32 v80, v169, v5
	scratch_load_b32 v5, off, off offset:488 ; 4-byte Folded Reload
	v_add3_u32 v76, v76, v77, v80
	s_waitcnt vmcnt(0)
	v_mul_i32_i24_e32 v81, v170, v5
	scratch_load_b32 v5, off, off offset:492 ; 4-byte Folded Reload
	v_add3_u32 v76, v76, v81, v82
	s_waitcnt vmcnt(0)
	v_mul_i32_i24_e32 v77, v164, v5
	scratch_load_b32 v5, off, off offset:496 ; 4-byte Folded Reload
	s_waitcnt vmcnt(0)
	v_mul_i32_i24_e32 v80, v165, v5
	scratch_load_b32 v5, off, off offset:500 ; 4-byte Folded Reload
	v_add3_u32 v76, v76, v77, v80
	v_mul_i32_i24_e32 v77, v162, v24
	v_mul_i32_i24_e32 v80, v159, v224
	s_waitcnt vmcnt(0)
	v_mul_i32_i24_e32 v81, v166, v5
	scratch_load_b32 v5, off, off offset:232 ; 4-byte Folded Reload
	s_waitcnt vmcnt(0)
	v_mul_i32_i24_e32 v82, v167, v5
	scratch_load_b32 v5, off, off offset:28 ; 4-byte Folded Reload
	v_add3_u32 v76, v76, v81, v82
	v_mul_i32_i24_e32 v82, v161, v94
	s_delay_alu instid0(VALU_DEP_2)
	v_add3_u32 v76, v76, v77, v80
	v_mul_i32_i24_e32 v77, v211, v231
	s_waitcnt vmcnt(0)
	v_mul_i32_i24_e32 v81, v160, v5
	scratch_load_b32 v5, off, off offset:24 ; 4-byte Folded Reload
	v_add3_u32 v76, v76, v81, v82
	v_mul_i32_i24_e32 v81, v157, v240
	v_mul_i32_i24_e32 v82, v158, v95
	s_waitcnt vmcnt(0)
	v_mul_i32_i24_e32 v80, v156, v5
	scratch_load_b32 v5, off, off offset:1124 ; 4-byte Folded Reload
	v_add3_u32 v76, v76, v77, v80
	v_mul_i32_i24_e32 v77, v126, v101
	v_mul_i32_i24_e32 v80, v4, v104
	s_delay_alu instid0(VALU_DEP_3) | instskip(SKIP_2) | instid1(VALU_DEP_3)
	v_add3_u32 v76, v76, v81, v82
	v_mul_i32_i24_e32 v81, v152, v105
	v_mul_i32_i24_e32 v82, v153, v97
	v_add3_u32 v76, v76, v77, v80
	v_mul_i32_i24_e32 v77, v0, v113
	v_mul_i32_i24_e32 v80, v1, v115
	s_delay_alu instid0(VALU_DEP_3) | instskip(SKIP_2) | instid1(VALU_DEP_3)
	v_add3_u32 v76, v76, v81, v82
	v_mul_i32_i24_e32 v81, v44, v136
	v_mul_i32_i24_e32 v82, v51, v98
	v_add3_u32 v76, v76, v77, v80
	s_delay_alu instid0(VALU_DEP_1) | instskip(NEXT) | instid1(VALU_DEP_1)
	v_add3_u32 v76, v76, v81, v82
	v_mul_lo_u32 v76, v76, v99
	s_delay_alu instid0(VALU_DEP_1) | instskip(NEXT) | instid1(VALU_DEP_1)
	v_cvt_f32_i32_e32 v76, v76
	v_fma_mix_f32 v74, v3, v76, v74 op_sel_hi:[1,0,0]
	s_delay_alu instid0(VALU_DEP_1) | instskip(SKIP_1) | instid1(VALU_DEP_1)
	v_fma_f32 v74, v74, v234, -v75
	s_waitcnt vmcnt(0)
	v_add_f32_e32 v5, v5, v74
	scratch_store_b32 off, v5, off offset:1124 ; 4-byte Folded Spill
	scratch_load_b32 v5, off, off offset:444 ; 4-byte Folded Reload
	s_waitcnt vmcnt(0)
	v_mul_i32_i24_e32 v74, v208, v5
	scratch_load_b32 v5, off, off offset:448 ; 4-byte Folded Reload
	v_mad_i32_i24 v74, v207, v65, v74
	s_waitcnt vmcnt(0)
	v_mul_i32_i24_e32 v75, v209, v5
	scratch_load_b32 v5, off, off offset:452 ; 4-byte Folded Reload
	s_waitcnt vmcnt(0)
	v_mul_i32_i24_e32 v76, v210, v5
	scratch_load_b32 v5, off, off offset:236 ; 4-byte Folded Reload
	v_add3_u32 v74, v74, v75, v76
	s_waitcnt vmcnt(0)
	v_mul_i32_i24_e32 v75, v187, v5
	s_clause 0x1
	scratch_load_b32 v5, off, off offset:60
	scratch_load_b32 v187, off, off offset:240
	s_waitcnt vmcnt(1)
	v_mul_i32_i24_e32 v76, v188, v5
	s_clause 0x1
	scratch_load_b32 v5, off, off offset:68
	scratch_load_b32 v188, off, off offset:244
	v_add3_u32 v74, v74, v75, v76
	s_waitcnt vmcnt(1)
	v_mul_i32_i24_e32 v77, v189, v5
	s_clause 0x1
	scratch_load_b32 v5, off, off offset:72
	scratch_load_b32 v189, off, off offset:248
	s_waitcnt vmcnt(1)
	v_mul_i32_i24_e32 v80, v190, v5
	s_clause 0x1
	scratch_load_b32 v5, off, off offset:32
	scratch_load_b32 v190, off, off offset:252
	v_add3_u32 v74, v74, v77, v80
	s_waitcnt vmcnt(1)
	v_mul_i32_i24_e32 v75, v183, v5
	scratch_load_b32 v5, off, off offset:40 ; 4-byte Folded Reload
	s_waitcnt vmcnt(0)
	v_mul_i32_i24_e32 v76, v184, v5
	scratch_load_b32 v5, off, off offset:44 ; 4-byte Folded Reload
	v_add3_u32 v74, v74, v75, v76
	s_waitcnt vmcnt(0)
	v_mul_i32_i24_e32 v77, v185, v5
	scratch_load_b32 v5, off, off offset:48 ; 4-byte Folded Reload
	s_waitcnt vmcnt(0)
	v_mul_i32_i24_e32 v80, v186, v5
	scratch_load_b32 v5, off, off offset:36 ; 4-byte Folded Reload
	;; [unrolled: 7-line block ×4, first 2 shown]
	v_add3_u32 v74, v74, v77, v80
	v_mul_i32_i24_e32 v80, v206, v188
	s_waitcnt vmcnt(0)
	v_mul_i32_i24_e32 v75, v203, v5
	scratch_load_b32 v5, off, off offset:80 ; 4-byte Folded Reload
	s_waitcnt vmcnt(0)
	v_mul_i32_i24_e32 v76, v204, v5
	s_delay_alu instid0(VALU_DEP_1)
	v_add3_u32 v74, v74, v75, v76
	v_mul_i32_i24_e32 v76, v200, v189
	s_clause 0x3
	scratch_load_b32 v200, off, off offset:260
	scratch_load_b32 v203, off, off offset:756
	;; [unrolled: 1-line block ×4, first 2 shown]
	v_mul_i32_i24_e32 v75, v199, v187
	s_clause 0x1f
	scratch_load_b32 v199, off, off offset:256
	scratch_load_b32 v207, off, off offset:264
	scratch_load_b32 v65, off, off offset:124
	scratch_load_b32 v209, off, off offset:648
	scratch_load_b32 v210, off, off offset:776
	scratch_load_b32 v249, off, off offset:780
	scratch_load_b32 v250, off, off offset:996
	scratch_load_b32 v206, off, off offset:768
	scratch_load_b32 v208, off, off offset:772
	scratch_load_b32 v19, off, off offset:588
	scratch_load_b32 v7, off, off
	scratch_load_b32 v39, off, off offset:380
	scratch_load_b32 v40, off, off offset:272
	;; [unrolled: 1-line block ×21, first 2 shown]
	s_clause 0xe
	scratch_load_b32 v32, off, off offset:904
	scratch_load_b32 v151, off, off offset:396
	;; [unrolled: 1-line block ×15, first 2 shown]
	v_mov_b32_e32 v73, v13
	s_clause 0x4
	scratch_load_b32 v13, off, off offset:1148
	scratch_load_b32 v97, off, off offset:600
	;; [unrolled: 1-line block ×5, first 2 shown]
	v_mov_b32_e32 v53, v236
	s_clause 0x2
	scratch_load_b32 v107, off, off offset:112
	scratch_load_b32 v236, off, off offset:136
	;; [unrolled: 1-line block ×3, first 2 shown]
	v_mov_b32_e32 v29, v253
	s_clause 0x1f
	scratch_load_b32 v229, off, off offset:116
	scratch_load_b32 v253, off, off offset:568
	;; [unrolled: 1-line block ×32, first 2 shown]
	s_clause 0x11
	scratch_load_b32 v224, off, off offset:292
	scratch_load_b32 v226, off, off offset:96
	;; [unrolled: 1-line block ×18, first 2 shown]
	scratch_store_b32 off, v241, off offset:988 ; 4-byte Folded Spill
	s_waitcnt vmcnt(62)
	v_mul_i32_i24_e32 v77, v205, v5
	s_clause 0x1
	scratch_load_b32 v5, off, off offset:268
	scratch_load_b32 v205, off, off offset:760
	v_add3_u32 v74, v74, v77, v80
	v_mul_i32_i24_e32 v77, v201, v190
	v_mul_i32_i24_e32 v80, v202, v199
	s_clause 0x1
	scratch_load_b32 v201, off, off offset:744
	scratch_load_b32 v202, off, off offset:752
	v_add3_u32 v74, v74, v75, v76
	v_mul_i32_i24_e32 v75, v195, v200
	v_mul_i32_i24_e32 v76, v196, v207
	s_clause 0x1
	scratch_load_b32 v195, off, off offset:656
	scratch_load_b32 v196, off, off offset:660
	v_add3_u32 v74, v74, v77, v80
	v_mul_i32_i24_e32 v77, v197, v209
	scratch_load_b32 v197, off, off offset:664 ; 4-byte Folded Reload
	v_add3_u32 v74, v74, v75, v76
	v_mul_i32_i24_e32 v76, v192, v108
	scratch_load_b32 v192, off, off offset:1004 ; 4-byte Folded Reload
	v_mul_i32_i24_e32 v75, v191, v83
	s_waitcnt vmcnt(7)
	v_mul_i32_i24_e32 v80, v198, v5
	scratch_load_b32 v198, off, off offset:748 ; 4-byte Folded Reload
	v_mov_b32_e32 v5, v130
	v_mov_b32_e32 v191, v134
	v_add3_u32 v74, v74, v77, v80
	v_mul_i32_i24_e32 v80, v194, v110
	scratch_load_b32 v194, off, off offset:652 ; 4-byte Folded Reload
	v_mul_i32_i24_e32 v77, v193, v109
	scratch_load_b32 v193, off, off offset:1008 ; 4-byte Folded Reload
	v_add3_u32 v74, v74, v75, v76
	v_mul_i32_i24_e32 v75, v178, v117
	v_mul_i32_i24_e32 v76, v179, v120
	s_waitcnt vmcnt(8)
	v_mul_i32_i24_e32 v4, v4, v201
	s_waitcnt vmcnt(6)
	v_mul_i32_i24_e32 v1, v1, v195
	v_add3_u32 v74, v74, v77, v80
	v_mul_i32_i24_e32 v77, v174, v119
	v_mul_i32_i24_e32 v80, v175, v121
	s_waitcnt vmcnt(5)
	v_mul_i32_i24_e32 v44, v44, v196
	s_waitcnt vmcnt(4)
	v_mul_i32_i24_e32 v51, v51, v197
	v_mul_lo_u32 v74, v74, v111
	s_delay_alu instid0(VALU_DEP_1) | instskip(NEXT) | instid1(VALU_DEP_1)
	v_cvt_f32_i32_e32 v74, v74
	v_fma_mix_f32 v163, v2, v74, 0 op_sel_hi:[1,0,0]
	v_mul_i32_i24_e32 v74, v177, v116
	v_fma_mix_f32 v2, v112, v2, 0 op_sel:[0,1,0] op_sel_hi:[0,1,0]
	s_delay_alu instid0(VALU_DEP_2) | instskip(NEXT) | instid1(VALU_DEP_1)
	v_mad_i32_i24 v74, v176, v114, v74
	v_add3_u32 v74, v74, v75, v76
	v_mul_i32_i24_e32 v75, v172, v122
	v_mul_i32_i24_e32 v76, v173, v118
	s_delay_alu instid0(VALU_DEP_1) | instskip(SKIP_2) | instid1(VALU_DEP_3)
	v_add3_u32 v74, v74, v75, v76
	v_mul_i32_i24_e32 v75, v168, v25
	v_mul_i32_i24_e32 v76, v169, v23
	v_add3_u32 v74, v74, v77, v80
	v_mul_i32_i24_e32 v77, v170, v27
	v_mul_i32_i24_e32 v80, v171, v26
	s_delay_alu instid0(VALU_DEP_3) | instskip(SKIP_2) | instid1(VALU_DEP_3)
	v_add3_u32 v74, v74, v75, v76
	v_mul_i32_i24_e32 v75, v164, v10
	v_mul_i32_i24_e32 v76, v165, v8
	v_add3_u32 v74, v74, v77, v80
	v_mul_i32_i24_e32 v77, v166, v9
	v_mul_i32_i24_e32 v80, v167, v5
	ds_load_b128 v[164:167], v7 offset:4128
	scratch_load_b32 v7, off, off           ; 4-byte Folded Reload
	v_add3_u32 v74, v74, v75, v76
	v_mul_i32_i24_e32 v75, v162, v191
	v_mul_i32_i24_e32 v76, v159, v210
	s_delay_alu instid0(VALU_DEP_3) | instskip(SKIP_2) | instid1(VALU_DEP_3)
	v_add3_u32 v74, v74, v77, v80
	v_mul_i32_i24_e32 v77, v160, v249
	v_mul_i32_i24_e32 v80, v161, v250
	v_add3_u32 v74, v74, v75, v76
	v_mul_i32_i24_e32 v75, v211, v204
	v_mul_i32_i24_e32 v76, v156, v205
	scratch_load_b32 v211, off, off offset:228 ; 4-byte Folded Reload
	v_add3_u32 v74, v74, v77, v80
	v_mul_i32_i24_e32 v77, v157, v206
	v_mul_i32_i24_e32 v80, v158, v208
	s_waitcnt lgkmcnt(0)
	v_bfe_i32 v118, v164, 0, 8
	v_bfe_i32 v119, v164, 8, 8
	v_add3_u32 v74, v74, v75, v76
	v_mul_i32_i24_e32 v76, v152, v202
	v_bfe_i32 v120, v164, 16, 8
	v_ashrrev_i32_e32 v121, 24, v164
	v_bfe_i32 v122, v165, 0, 8
	v_add3_u32 v74, v74, v77, v80
	v_mul_i32_i24_e32 v77, v153, v203
	v_bfe_i32 v123, v165, 8, 8
	v_bfe_i32 v124, v165, 16, 8
	v_ashrrev_i32_e32 v125, 24, v165
	v_bfe_i32 v127, v166, 0, 8
	v_bfe_i32 v128, v166, 8, 8
	;; [unrolled: 1-line block ×3, first 2 shown]
	v_ashrrev_i32_e32 v130, 24, v166
	v_bfe_i32 v131, v167, 0, 8
	v_bfe_i32 v132, v167, 8, 8
	;; [unrolled: 1-line block ×3, first 2 shown]
	v_ashrrev_i32_e32 v134, 24, v167
	v_mul_i32_i24_e32 v185, v124, v151
	v_mul_i32_i24_e32 v186, v125, v215
	s_waitcnt vmcnt(4)
	v_mul_i32_i24_e32 v75, v126, v198
	s_delay_alu instid0(VALU_DEP_1) | instskip(SKIP_2) | instid1(VALU_DEP_2)
	v_add3_u32 v4, v74, v75, v4
	s_waitcnt vmcnt(3)
	v_mul_i32_i24_e32 v0, v0, v194
	v_add3_u32 v4, v4, v76, v77
	s_delay_alu instid0(VALU_DEP_1) | instskip(SKIP_1) | instid1(VALU_DEP_2)
	v_add3_u32 v0, v4, v0, v1
	v_fma_mix_f32 v1, v192, v3, v2 op_sel:[0,1,0] op_sel_hi:[0,1,0]
	v_add3_u32 v0, v0, v44, v51
	s_delay_alu instid0(VALU_DEP_2) | instskip(SKIP_1) | instid1(VALU_DEP_2)
	v_mul_f32_e32 v1, v1, v252
	s_waitcnt vmcnt(2)
	v_mul_lo_u32 v0, v0, v193
	s_delay_alu instid0(VALU_DEP_1) | instskip(NEXT) | instid1(VALU_DEP_1)
	v_cvt_f32_i32_e32 v0, v0
	v_fma_mix_f32 v0, v3, v0, v163 op_sel_hi:[1,0,0]
	s_delay_alu instid0(VALU_DEP_1)
	v_fma_f32 v0, v0, v56, -v1
	scratch_load_b32 v1, off, off offset:1120 ; 4-byte Folded Reload
	s_waitcnt vmcnt(2)
	ds_load_b128 v[164:167], v7 offset:4144
	v_mov_b32_e32 v7, v87
	scratch_load_b32 v87, off, off offset:584 ; 4-byte Folded Reload
	s_waitcnt lgkmcnt(0)
	v_bfe_i32 v168, v164, 0, 8
	v_bfe_i32 v169, v164, 8, 8
	v_bfe_i32 v170, v164, 16, 8
	v_ashrrev_i32_e32 v164, 24, v164
	v_bfe_i32 v171, v165, 0, 8
	v_bfe_i32 v172, v165, 8, 8
	v_bfe_i32 v173, v165, 16, 8
	v_ashrrev_i32_e32 v165, 24, v165
	;; [unrolled: 4-line block ×4, first 2 shown]
	s_waitcnt vmcnt(1)
	v_add_f32_e32 v1, v1, v0
	scratch_load_b32 v0, off, off           ; 4-byte Folded Reload
	scratch_store_b32 off, v1, off offset:1120 ; 4-byte Folded Spill
	s_waitcnt vmcnt(0)
	ds_load_b128 v[0:3], v0 offset:4096
	s_waitcnt lgkmcnt(0)
	v_bfe_i32 v161, v0, 0, 8
	v_bfe_i32 v156, v0, 8, 8
	;; [unrolled: 1-line block ×3, first 2 shown]
	v_ashrrev_i32_e32 v163, 24, v0
	scratch_load_b32 v0, off, off           ; 4-byte Folded Reload
	v_bfe_i32 v157, v1, 0, 8
	v_bfe_i32 v158, v1, 8, 8
	v_bfe_i32 v159, v1, 16, 8
	v_ashrrev_i32_e32 v160, 24, v1
	v_bfe_i32 v152, v2, 0, 8
	v_bfe_i32 v153, v2, 8, 8
	v_bfe_i32 v154, v2, 16, 8
	v_ashrrev_i32_e32 v155, 24, v2
	;; [unrolled: 4-line block ×3, first 2 shown]
	v_mul_i32_i24_e32 v180, v161, v39
	v_mul_i32_i24_e32 v181, v162, v40
	;; [unrolled: 1-line block ×5, first 2 shown]
	v_mad_i32_i24 v180, v156, v11, v180
	s_delay_alu instid0(VALU_DEP_1) | instskip(SKIP_2) | instid1(VALU_DEP_1)
	v_add3_u32 v180, v180, v181, v182
	v_mul_i32_i24_e32 v181, v157, v15
	v_mul_i32_i24_e32 v182, v158, v136
	v_add3_u32 v180, v180, v181, v182
	v_mul_i32_i24_e32 v181, v152, v137
	v_mul_i32_i24_e32 v182, v153, v138
	s_delay_alu instid0(VALU_DEP_3) | instskip(SKIP_2) | instid1(VALU_DEP_3)
	v_add3_u32 v180, v180, v183, v184
	v_mul_i32_i24_e32 v183, v154, v139
	v_mul_i32_i24_e32 v184, v155, v30
	v_add3_u32 v180, v180, v181, v182
	v_mul_i32_i24_e32 v181, v4, v18
	v_mul_i32_i24_e32 v182, v44, v31
	s_delay_alu instid0(VALU_DEP_3) | instskip(SKIP_2) | instid1(VALU_DEP_3)
	v_add3_u32 v180, v180, v183, v184
	v_mul_i32_i24_e32 v183, v51, v33
	v_mul_i32_i24_e32 v184, v126, v34
	v_add3_u32 v180, v180, v181, v182
	s_delay_alu instid0(VALU_DEP_1)
	v_add3_u32 v180, v180, v183, v184
	s_waitcnt vmcnt(0)
	ds_load_b128 v[0:3], v0 offset:4112
	s_waitcnt lgkmcnt(0)
	v_bfe_i32 v74, v0, 0, 8
	v_bfe_i32 v75, v0, 8, 8
	;; [unrolled: 1-line block ×3, first 2 shown]
	v_ashrrev_i32_e32 v77, 24, v0
	scratch_load_b32 v0, off, off offset:208 ; 4-byte Folded Reload
	v_mul_i32_i24_e32 v181, v74, v35
	v_mul_i32_i24_e32 v182, v75, v36
	v_bfe_i32 v80, v1, 0, 8
	v_bfe_i32 v81, v1, 8, 8
	v_mul_i32_i24_e32 v183, v76, v37
	v_mul_i32_i24_e32 v184, v77, v16
	v_add3_u32 v180, v180, v181, v182
	v_bfe_i32 v82, v1, 16, 8
	v_ashrrev_i32_e32 v83, 24, v1
	v_mul_i32_i24_e32 v181, v80, v20
	v_mul_i32_i24_e32 v182, v81, v19
	v_add3_u32 v180, v180, v183, v184
	v_bfe_i32 v108, v2, 0, 8
	v_bfe_i32 v109, v2, 8, 8
	v_mul_i32_i24_e32 v183, v82, v17
	v_mul_i32_i24_e32 v184, v83, v141
	v_add3_u32 v180, v180, v181, v182
	v_bfe_i32 v110, v2, 16, 8
	v_ashrrev_i32_e32 v111, 24, v2
	v_mul_i32_i24_e32 v181, v108, v142
	v_mul_i32_i24_e32 v182, v109, v143
	v_add3_u32 v180, v180, v183, v184
	;; [unrolled: 10-line block ×3, first 2 shown]
	v_mul_i32_i24_e32 v183, v116, v147
	v_mul_i32_i24_e32 v184, v117, v148
	s_delay_alu instid0(VALU_DEP_3) | instskip(SKIP_1) | instid1(VALU_DEP_2)
	v_add3_u32 v180, v180, v181, v182
	v_mul_i32_i24_e32 v182, v118, v211
	v_add3_u32 v180, v180, v183, v184
	v_mul_i32_i24_e32 v183, v120, v29
	v_mul_i32_i24_e32 v184, v121, v28
	s_delay_alu instid0(VALU_DEP_4) | instskip(NEXT) | instid1(VALU_DEP_4)
	v_mad_i32_i24 v182, v119, v247, v182
	v_mul_lo_u32 v180, v180, v213
	s_delay_alu instid0(VALU_DEP_2) | instskip(SKIP_2) | instid1(VALU_DEP_4)
	v_add3_u32 v182, v182, v183, v184
	v_mul_i32_i24_e32 v183, v122, v32
	v_mul_i32_i24_e32 v184, v123, v42
	v_cvt_f32_i32_e32 v180, v180
	s_delay_alu instid0(VALU_DEP_2) | instskip(SKIP_2) | instid1(VALU_DEP_3)
	v_add3_u32 v182, v182, v183, v184
	v_mul_i32_i24_e32 v183, v127, v216
	v_mul_i32_i24_e32 v184, v128, v55
	v_add3_u32 v182, v182, v185, v186
	v_mul_i32_i24_e32 v185, v129, v57
	v_mul_i32_i24_e32 v186, v130, v58
	s_delay_alu instid0(VALU_DEP_3) | instskip(SKIP_2) | instid1(VALU_DEP_3)
	v_add3_u32 v182, v182, v183, v184
	v_mul_i32_i24_e32 v183, v131, v59
	v_mul_i32_i24_e32 v184, v132, v60
	v_add3_u32 v182, v182, v185, v186
	v_mul_i32_i24_e32 v185, v133, v61
	v_mul_i32_i24_e32 v186, v134, v43
	s_delay_alu instid0(VALU_DEP_3) | instskip(SKIP_2) | instid1(VALU_DEP_3)
	;; [unrolled: 7-line block ×6, first 2 shown]
	v_add3_u32 v182, v182, v183, v184
	v_mul_i32_i24_e32 v183, v159, v238
	v_mul_i32_i24_e32 v184, v160, v63
	v_add3_u32 v182, v182, v185, v186
	v_mul_i32_i24_e32 v185, v124, v102
	s_delay_alu instid0(VALU_DEP_2) | instskip(NEXT) | instid1(VALU_DEP_1)
	v_mul_lo_u32 v182, v182, v242
	v_cvt_f32_i32_e32 v182, v182
	s_waitcnt vmcnt(0)
	ds_load_2addr_b64 v[0:3], v0 offset0:64 offset1:80
	s_waitcnt lgkmcnt(0)
	v_fma_mix_f32 v181, v22, v0, 0 op_sel:[0,1,0] op_sel_hi:[0,1,0]
	v_fma_mix_f32 v180, v0, v180, 0 op_sel_hi:[1,0,0]
	s_delay_alu instid0(VALU_DEP_2) | instskip(NEXT) | instid1(VALU_DEP_2)
	v_fma_mix_f32 v181, v38, v1, v181 op_sel:[0,1,0] op_sel_hi:[0,1,0]
	v_fma_mix_f32 v180, v1, v182, v180 op_sel_hi:[1,0,0]
	v_mul_i32_i24_e32 v182, v163, v97
	s_delay_alu instid0(VALU_DEP_3) | instskip(NEXT) | instid1(VALU_DEP_1)
	v_mul_f32_e32 v181, v181, v41
	v_fma_f32 v180, v180, v140, -v181
	s_delay_alu instid0(VALU_DEP_1)
	v_add_f32_e32 v13, v13, v180
	v_mul_i32_i24_e32 v180, v161, v84
	scratch_store_b32 off, v13, off offset:1148 ; 4-byte Folded Spill
	v_mov_b32_e32 v13, v248
	v_mad_i32_i24 v180, v156, v103, v180
	scratch_load_b32 v248, off, off offset:1028 ; 4-byte Folded Reload
	v_mul_i32_i24_e32 v181, v162, v13
	s_delay_alu instid0(VALU_DEP_1) | instskip(SKIP_2) | instid1(VALU_DEP_1)
	v_add3_u32 v180, v180, v181, v182
	v_mul_i32_i24_e32 v181, v157, v235
	v_mul_i32_i24_e32 v182, v158, v7
	v_add3_u32 v180, v180, v181, v182
	v_mul_i32_i24_e32 v181, v152, v107
	v_mul_i32_i24_e32 v182, v153, v236
	s_delay_alu instid0(VALU_DEP_3) | instskip(SKIP_2) | instid1(VALU_DEP_3)
	v_add3_u32 v180, v180, v183, v184
	v_mul_i32_i24_e32 v183, v154, v67
	v_mul_i32_i24_e32 v184, v155, v65
	v_add3_u32 v180, v180, v181, v182
	v_mul_i32_i24_e32 v181, v4, v229
	v_mul_i32_i24_e32 v182, v44, v253
	s_delay_alu instid0(VALU_DEP_3) | instskip(SKIP_2) | instid1(VALU_DEP_3)
	v_add3_u32 v180, v180, v183, v184
	v_mul_i32_i24_e32 v183, v51, v68
	v_mul_i32_i24_e32 v184, v126, v66
	v_add3_u32 v180, v180, v181, v182
	v_mul_i32_i24_e32 v181, v74, v225
	v_mul_i32_i24_e32 v182, v75, v233
	s_delay_alu instid0(VALU_DEP_3)
	v_add3_u32 v180, v180, v183, v184
	v_mul_i32_i24_e32 v183, v76, v6
	scratch_load_b32 v6, off, off offset:16 ; 4-byte Folded Reload
	v_mul_i32_i24_e32 v184, v77, v71
	v_add3_u32 v180, v180, v181, v182
	v_mul_i32_i24_e32 v181, v80, v70
	v_mul_i32_i24_e32 v182, v81, v85
	s_delay_alu instid0(VALU_DEP_3) | instskip(SKIP_1) | instid1(VALU_DEP_2)
	v_add3_u32 v180, v180, v183, v184
	v_mul_i32_i24_e32 v184, v83, v54
	v_add3_u32 v180, v180, v181, v182
	v_mul_i32_i24_e32 v181, v108, v227
	v_mul_i32_i24_e32 v182, v109, v228
	s_waitcnt vmcnt(0)
	v_mul_i32_i24_e32 v183, v82, v6
	scratch_load_b32 v6, off, off offset:580 ; 4-byte Folded Reload
	v_add3_u32 v180, v180, v183, v184
	v_mul_i32_i24_e32 v184, v111, v87
	s_delay_alu instid0(VALU_DEP_2) | instskip(SKIP_4) | instid1(VALU_DEP_1)
	v_add3_u32 v180, v180, v181, v182
	v_mul_i32_i24_e32 v181, v112, v217
	v_mul_i32_i24_e32 v182, v114, v221
	s_waitcnt vmcnt(0)
	v_mul_i32_i24_e32 v183, v110, v6
	v_add3_u32 v180, v180, v183, v184
	v_mul_i32_i24_e32 v183, v116, v46
	v_mul_i32_i24_e32 v184, v117, v69
	s_delay_alu instid0(VALU_DEP_3)
	v_add3_u32 v180, v180, v181, v182
	v_fma_mix_f32 v181, v88, v0, 0 op_sel:[0,1,0] op_sel_hi:[0,1,0]
	scratch_load_b32 v88, off, off offset:8 ; 4-byte Folded Reload
	v_add3_u32 v180, v180, v183, v184
	v_mul_i32_i24_e32 v183, v120, v99
	v_mul_i32_i24_e32 v184, v121, v100
	s_delay_alu instid0(VALU_DEP_3) | instskip(NEXT) | instid1(VALU_DEP_1)
	v_mul_lo_u32 v180, v180, v86
	v_cvt_f32_i32_e32 v180, v180
	s_delay_alu instid0(VALU_DEP_1)
	v_fma_mix_f32 v180, v0, v180, 0 op_sel_hi:[1,0,0]
	s_waitcnt vmcnt(0)
	v_mul_i32_i24_e32 v182, v118, v88
	scratch_load_b32 v88, off, off offset:364 ; 4-byte Folded Reload
	s_waitcnt vmcnt(0)
	v_mad_i32_i24 v182, v119, v88, v182
	s_delay_alu instid0(VALU_DEP_1) | instskip(SKIP_3) | instid1(VALU_DEP_1)
	v_add3_u32 v182, v182, v183, v184
	v_mul_i32_i24_e32 v183, v122, v89
	scratch_load_b32 v89, off, off offset:348 ; 4-byte Folded Reload
	v_mul_i32_i24_e32 v184, v123, v101
	v_add3_u32 v182, v182, v183, v184
	v_mul_i32_i24_e32 v183, v127, v104
	v_mul_i32_i24_e32 v184, v128, v105
	s_waitcnt vmcnt(0)
	v_mul_i32_i24_e32 v186, v125, v89
	s_delay_alu instid0(VALU_DEP_1) | instskip(SKIP_2) | instid1(VALU_DEP_3)
	v_add3_u32 v182, v182, v185, v186
	v_mul_i32_i24_e32 v185, v129, v106
	v_mul_i32_i24_e32 v186, v130, v90
	v_add3_u32 v182, v182, v183, v184
	v_mul_i32_i24_e32 v183, v131, v113
	v_mul_i32_i24_e32 v184, v132, v115
	s_delay_alu instid0(VALU_DEP_3) | instskip(SKIP_2) | instid1(VALU_DEP_3)
	v_add3_u32 v182, v182, v185, v186
	v_mul_i32_i24_e32 v185, v133, v212
	v_mul_i32_i24_e32 v186, v134, v92
	v_add3_u32 v182, v182, v183, v184
	v_mul_i32_i24_e32 v183, v168, v218
	v_mul_i32_i24_e32 v184, v169, v219
	s_delay_alu instid0(VALU_DEP_3) | instskip(SKIP_2) | instid1(VALU_DEP_3)
	;; [unrolled: 7-line block ×4, first 2 shown]
	v_add3_u32 v182, v182, v185, v186
	v_mul_i32_i24_e32 v185, v176, v232
	v_mul_i32_i24_e32 v186, v166, v95
	v_add3_u32 v182, v182, v183, v184
	v_mul_i32_i24_e32 v184, v178, v96
	scratch_load_b32 v96, off, off offset:168 ; 4-byte Folded Reload
	v_mul_i32_i24_e32 v183, v177, v234
	v_add3_u32 v182, v182, v185, v186
	s_delay_alu instid0(VALU_DEP_1)
	v_add3_u32 v182, v182, v183, v184
	s_waitcnt vmcnt(0)
	v_mul_i32_i24_e32 v185, v179, v96
	scratch_load_b32 v96, off, off offset:172 ; 4-byte Folded Reload
	s_waitcnt vmcnt(0)
	v_mul_i32_i24_e32 v186, v167, v96
	s_delay_alu instid0(VALU_DEP_1) | instskip(NEXT) | instid1(VALU_DEP_1)
	v_add3_u32 v182, v182, v185, v186
	v_mul_lo_u32 v182, v182, v98
	s_delay_alu instid0(VALU_DEP_1) | instskip(NEXT) | instid1(VALU_DEP_1)
	v_cvt_f32_i32_e32 v182, v182
	v_fma_mix_f32 v180, v1, v182, v180 op_sel_hi:[1,0,0]
	scratch_load_b32 v182, off, off offset:20 ; 4-byte Folded Reload
	s_waitcnt vmcnt(0)
	v_fma_mix_f32 v181, v182, v1, v181 op_sel:[0,1,0] op_sel_hi:[0,1,0]
	s_delay_alu instid0(VALU_DEP_1) | instskip(NEXT) | instid1(VALU_DEP_1)
	v_mul_f32_e32 v181, v181, v214
	v_fma_f32 v180, v180, v135, -v181
	s_delay_alu instid0(VALU_DEP_1)
	v_add_f32_e32 v21, v21, v180
	scratch_store_b32 off, v21, off offset:1144 ; 4-byte Folded Spill
	scratch_load_b32 v21, off, off offset:476 ; 4-byte Folded Reload
	s_waitcnt vmcnt(0)
	v_mul_i32_i24_e32 v180, v161, v21
	scratch_load_b32 v21, off, off offset:852 ; 4-byte Folded Reload
	s_waitcnt vmcnt(0)
	v_mul_i32_i24_e32 v181, v162, v21
	;; [unrolled: 3-line block ×3, first 2 shown]
	scratch_load_b32 v21, off, off offset:1000 ; 4-byte Folded Reload
	s_waitcnt vmcnt(0)
	v_mad_i32_i24 v180, v156, v21, v180
	scratch_load_b32 v21, off, off offset:844 ; 4-byte Folded Reload
	v_add3_u32 v180, v180, v181, v182
	s_waitcnt vmcnt(0)
	v_mul_i32_i24_e32 v181, v157, v21
	scratch_load_b32 v21, off, off offset:908 ; 4-byte Folded Reload
	s_waitcnt vmcnt(0)
	v_mul_i32_i24_e32 v182, v158, v21
	scratch_load_b32 v21, off, off offset:504 ; 4-byte Folded Reload
	v_add3_u32 v180, v180, v181, v182
	s_waitcnt vmcnt(0)
	v_mul_i32_i24_e32 v183, v159, v21
	scratch_load_b32 v21, off, off offset:508 ; 4-byte Folded Reload
	s_waitcnt vmcnt(0)
	v_mul_i32_i24_e32 v184, v160, v21
	;; [unrolled: 7-line block ×11, first 2 shown]
	scratch_load_b32 v21, off, off offset:836 ; 4-byte Folded Reload
	v_add3_u32 v180, v180, v181, v182
	v_mul_i32_i24_e32 v182, v114, v223
	s_waitcnt vmcnt(0)
	v_mul_i32_i24_e32 v183, v110, v21
	scratch_load_b32 v21, off, off offset:848 ; 4-byte Folded Reload
	s_waitcnt vmcnt(0)
	v_mul_i32_i24_e32 v184, v111, v21
	scratch_load_b32 v21, off, off offset:840 ; 4-byte Folded Reload
	v_add3_u32 v180, v180, v183, v184
	v_mul_i32_i24_e32 v183, v116, v149
	v_mul_i32_i24_e32 v184, v117, v150
	s_waitcnt vmcnt(0)
	v_mul_i32_i24_e32 v181, v112, v21
	scratch_load_b32 v21, off, off offset:856 ; 4-byte Folded Reload
	v_add3_u32 v180, v180, v181, v182
	s_delay_alu instid0(VALU_DEP_1) | instskip(SKIP_1) | instid1(VALU_DEP_1)
	v_add3_u32 v180, v180, v183, v184
	s_waitcnt vmcnt(0)
	v_mul_lo_u32 v180, v180, v21
	scratch_load_b32 v21, off, off offset:860 ; 4-byte Folded Reload
	v_cvt_f32_i32_e32 v180, v180
	s_delay_alu instid0(VALU_DEP_1)
	v_fma_mix_f32 v180, v0, v180, 0 op_sel_hi:[1,0,0]
	s_waitcnt vmcnt(0)
	v_fma_mix_f32 v181, v21, v0, 0 op_sel:[0,1,0] op_sel_hi:[0,1,0]
	scratch_load_b32 v21, off, off offset:872 ; 4-byte Folded Reload
	s_waitcnt vmcnt(0)
	v_mul_i32_i24_e32 v182, v118, v21
	scratch_load_b32 v21, off, off offset:896 ; 4-byte Folded Reload
	s_waitcnt vmcnt(0)
	v_mul_i32_i24_e32 v183, v120, v21
	;; [unrolled: 3-line block ×3, first 2 shown]
	scratch_load_b32 v21, off, off offset:864 ; 4-byte Folded Reload
	s_waitcnt vmcnt(0)
	v_mad_i32_i24 v182, v119, v21, v182
	scratch_load_b32 v21, off, off offset:876 ; 4-byte Folded Reload
	v_add3_u32 v182, v182, v183, v184
	s_waitcnt vmcnt(0)
	v_mul_i32_i24_e32 v183, v122, v21
	scratch_load_b32 v21, off, off offset:880 ; 4-byte Folded Reload
	s_waitcnt vmcnt(0)
	v_mul_i32_i24_e32 v184, v123, v21
	scratch_load_b32 v21, off, off offset:884 ; 4-byte Folded Reload
	v_add3_u32 v182, v182, v183, v184
	s_waitcnt vmcnt(0)
	v_mul_i32_i24_e32 v185, v124, v21
	scratch_load_b32 v21, off, off offset:888 ; 4-byte Folded Reload
	s_waitcnt vmcnt(0)
	v_mul_i32_i24_e32 v186, v125, v21
	;; [unrolled: 7-line block ×5, first 2 shown]
	scratch_load_b32 v21, off, off offset:500 ; 4-byte Folded Reload
	v_add3_u32 v182, v182, v183, v184
	v_mul_i32_i24_e32 v183, v168, v24
	scratch_load_b32 v24, off, off offset:204 ; 4-byte Folded Reload
	s_waitcnt vmcnt(1)
	v_mul_i32_i24_e32 v185, v133, v21
	scratch_load_b32 v21, off, off offset:232 ; 4-byte Folded Reload
	s_waitcnt vmcnt(0)
	v_mul_i32_i24_e32 v186, v134, v21
	scratch_load_b32 v21, off, off offset:184 ; 4-byte Folded Reload
	v_add3_u32 v182, v182, v185, v186
	s_waitcnt vmcnt(0)
	v_mul_i32_i24_e32 v184, v169, v21
	scratch_load_b32 v21, off, off offset:28 ; 4-byte Folded Reload
	v_add3_u32 v182, v182, v183, v184
	s_waitcnt vmcnt(0)
	v_mul_i32_i24_e32 v185, v170, v21
	scratch_load_b32 v21, off, off offset:188 ; 4-byte Folded Reload
	s_waitcnt vmcnt(0)
	v_mul_i32_i24_e32 v186, v164, v21
	scratch_load_b32 v21, off, off offset:192 ; 4-byte Folded Reload
	v_add3_u32 v182, v182, v185, v186
	s_waitcnt vmcnt(0)
	v_mul_i32_i24_e32 v183, v171, v21
	scratch_load_b32 v21, off, off offset:24 ; 4-byte Folded Reload
	s_waitcnt vmcnt(0)
	v_mul_i32_i24_e32 v184, v172, v21
	scratch_load_b32 v21, off, off offset:200 ; 4-byte Folded Reload
	v_add3_u32 v182, v182, v183, v184
	v_mul_i32_i24_e32 v183, v174, v24
	scratch_load_b32 v24, off, off offset:196 ; 4-byte Folded Reload
	v_mul_i32_i24_e32 v184, v175, v239
	s_waitcnt vmcnt(1)
	v_mul_i32_i24_e32 v185, v173, v21
	scratch_load_b32 v21, off, off offset:440 ; 4-byte Folded Reload
	s_waitcnt vmcnt(0)
	v_mul_i32_i24_e32 v186, v165, v21
	s_delay_alu instid0(VALU_DEP_1) | instskip(SKIP_2) | instid1(VALU_DEP_3)
	v_add3_u32 v182, v182, v185, v186
	v_mul_i32_i24_e32 v185, v176, v243
	v_mul_i32_i24_e32 v186, v166, v244
	v_add3_u32 v182, v182, v183, v184
	v_mul_i32_i24_e32 v183, v177, v245
	v_mul_i32_i24_e32 v184, v178, v248
	s_delay_alu instid0(VALU_DEP_3) | instskip(SKIP_2) | instid1(VALU_DEP_3)
	v_add3_u32 v182, v182, v185, v186
	v_mul_i32_i24_e32 v185, v179, v251
	v_mul_i32_i24_e32 v186, v167, v255
	v_add3_u32 v182, v182, v183, v184
	s_delay_alu instid0(VALU_DEP_1) | instskip(NEXT) | instid1(VALU_DEP_1)
	v_add3_u32 v182, v182, v185, v186
	v_mul_lo_u32 v182, v182, v24
	scratch_load_b32 v24, off, off offset:180 ; 4-byte Folded Reload
	v_cvt_f32_i32_e32 v182, v182
	s_delay_alu instid0(VALU_DEP_1)
	v_fma_mix_f32 v180, v1, v182, v180 op_sel_hi:[1,0,0]
	s_waitcnt vmcnt(0)
	v_fma_mix_f32 v181, v24, v1, v181 op_sel:[0,1,0] op_sel_hi:[0,1,0]
	scratch_load_b32 v24, off, off offset:1140 ; 4-byte Folded Reload
	v_mul_f32_e32 v181, v181, v91
	scratch_load_b32 v91, off, off offset:1084 ; 4-byte Folded Reload
	s_waitcnt vmcnt(0)
	v_fma_f32 v180, v180, v91, -v181
	s_delay_alu instid0(VALU_DEP_1)
	v_add_f32_e32 v24, v24, v180
	scratch_store_b32 off, v24, off offset:1140 ; 4-byte Folded Spill
	scratch_load_b32 v24, off, off offset:444 ; 4-byte Folded Reload
	s_waitcnt vmcnt(0)
	v_mul_i32_i24_e32 v161, v161, v24
	scratch_load_b32 v24, off, off offset:448 ; 4-byte Folded Reload
	s_waitcnt vmcnt(0)
	v_mul_i32_i24_e32 v162, v162, v24
	;; [unrolled: 3-line block ×3, first 2 shown]
	scratch_load_b32 v24, off, off offset:784 ; 4-byte Folded Reload
	s_waitcnt vmcnt(0)
	v_mad_i32_i24 v156, v156, v24, v161
	scratch_load_b32 v24, off, off offset:236 ; 4-byte Folded Reload
	v_add3_u32 v156, v156, v162, v163
	s_waitcnt vmcnt(0)
	v_mul_i32_i24_e32 v157, v157, v24
	scratch_load_b32 v24, off, off offset:60 ; 4-byte Folded Reload
	s_waitcnt vmcnt(0)
	v_mul_i32_i24_e32 v158, v158, v24
	scratch_load_b32 v24, off, off offset:68 ; 4-byte Folded Reload
	v_add3_u32 v156, v156, v157, v158
	s_waitcnt vmcnt(0)
	v_mul_i32_i24_e32 v159, v159, v24
	scratch_load_b32 v24, off, off offset:72 ; 4-byte Folded Reload
	s_waitcnt vmcnt(0)
	v_mul_i32_i24_e32 v160, v160, v24
	;; [unrolled: 7-line block ×7, first 2 shown]
	scratch_load_b32 v24, off, off offset:84 ; 4-byte Folded Reload
	v_mul_i32_i24_e32 v75, v77, v188
	v_add3_u32 v4, v4, v44, v51
	v_mul_i32_i24_e32 v44, v80, v187
	v_mul_i32_i24_e32 v51, v81, v189
	s_waitcnt vmcnt(0)
	v_mul_i32_i24_e32 v74, v76, v24
	scratch_load_b32 v24, off, off offset:268 ; 4-byte Folded Reload
	v_add3_u32 v4, v4, v74, v75
	v_mul_i32_i24_e32 v74, v82, v190
	v_mul_i32_i24_e32 v75, v83, v199
	scratch_load_b32 v83, off, off offset:1048 ; 4-byte Folded Reload
	v_add3_u32 v4, v4, v44, v51
	v_mul_i32_i24_e32 v44, v108, v200
	scratch_load_b32 v108, off, off offset:1052 ; 4-byte Folded Reload
	v_mul_i32_i24_e32 v51, v109, v207
	scratch_load_b32 v109, off, off offset:1056 ; 4-byte Folded Reload
	v_add3_u32 v4, v4, v74, v75
	v_mul_i32_i24_e32 v74, v110, v209
	scratch_load_b32 v110, off, off offset:1060 ; 4-byte Folded Reload
	v_add3_u32 v4, v4, v44, v51
	s_waitcnt vmcnt(4)
	v_mul_i32_i24_e32 v75, v111, v24
	s_clause 0x1
	scratch_load_b32 v24, off, off offset:612
	scratch_load_b32 v111, off, off offset:1044
	v_add3_u32 v4, v4, v74, v75
	s_waitcnt vmcnt(5)
	v_mul_i32_i24_e32 v74, v116, v83
	scratch_load_b32 v116, off, off offset:624 ; 4-byte Folded Reload
	s_waitcnt vmcnt(5)
	v_mul_i32_i24_e32 v75, v117, v108
	scratch_load_b32 v117, off, off offset:616 ; 4-byte Folded Reload
	s_waitcnt vmcnt(3)
	v_mul_i32_i24_e32 v44, v112, v24
	s_waitcnt vmcnt(2)
	v_mul_i32_i24_e32 v51, v114, v111
	s_clause 0x1
	scratch_load_b32 v114, off, off offset:620
	scratch_load_b32 v112, off, off offset:632
	v_add3_u32 v4, v4, v44, v51
	s_waitcnt vmcnt(3)
	v_mul_i32_i24_e32 v51, v120, v116
	scratch_load_b32 v120, off, off offset:1064 ; 4-byte Folded Reload
	v_add3_u32 v4, v4, v74, v75
	s_delay_alu instid0(VALU_DEP_1) | instskip(NEXT) | instid1(VALU_DEP_1)
	v_mul_lo_u32 v4, v4, v109
	v_cvt_f32_i32_e32 v4, v4
	s_delay_alu instid0(VALU_DEP_1) | instskip(SKIP_1) | instid1(VALU_DEP_1)
	v_fma_mix_f32 v4, v0, v4, 0 op_sel_hi:[1,0,0]
	v_fma_mix_f32 v0, v110, v0, 0 op_sel:[0,1,0] op_sel_hi:[0,1,0]
	v_fma_mix_f32 v0, v192, v1, v0 op_sel:[0,1,0] op_sel_hi:[0,1,0]
	s_delay_alu instid0(VALU_DEP_1)
	v_mul_f32_e32 v0, v0, v252
	s_waitcnt vmcnt(2)
	v_mul_i32_i24_e32 v44, v118, v114
	s_waitcnt vmcnt(1)
	v_mul_i32_i24_e32 v74, v121, v112
	s_clause 0x1
	scratch_load_b32 v121, off, off offset:628
	scratch_load_b32 v118, off, off offset:640
	v_mad_i32_i24 v44, v119, v117, v44
	scratch_load_b32 v119, off, off offset:636 ; 4-byte Folded Reload
	v_add3_u32 v44, v44, v51, v74
	s_waitcnt vmcnt(3)
	v_mul_i32_i24_e32 v51, v122, v120
	v_mov_b32_e32 v122, v56
	s_waitcnt vmcnt(2)
	v_mul_i32_i24_e32 v74, v123, v121
	s_waitcnt vmcnt(1)
	v_mul_i32_i24_e32 v76, v125, v118
	v_mov_b32_e32 v123, v26
	s_waitcnt vmcnt(0)
	v_mul_i32_i24_e32 v75, v124, v119
	v_add3_u32 v44, v44, v51, v74
	v_mul_i32_i24_e32 v51, v127, v25
	v_mov_b32_e32 v124, v25
	v_mul_i32_i24_e32 v74, v128, v23
	s_delay_alu instid0(VALU_DEP_4)
	v_add3_u32 v44, v44, v75, v76
	v_mul_i32_i24_e32 v76, v130, v26
	v_mov_b32_e32 v130, v8
	v_mul_i32_i24_e32 v75, v129, v27
	v_mov_b32_e32 v26, v52
	v_add3_u32 v44, v44, v51, v74
	v_mul_i32_i24_e32 v51, v131, v10
	v_mul_i32_i24_e32 v74, v132, v8
	v_dual_mov_b32 v131, v9 :: v_dual_mov_b32 v8, v112
	s_delay_alu instid0(VALU_DEP_4)
	v_add3_u32 v44, v44, v75, v76
	v_mul_i32_i24_e32 v75, v133, v9
	v_mul_i32_i24_e32 v76, v134, v5
	v_mov_b32_e32 v134, v252
	v_mov_b32_e32 v128, v5
	v_add3_u32 v44, v44, v51, v74
	v_mul_i32_i24_e32 v51, v168, v191
	v_mul_i32_i24_e32 v74, v169, v210
	scratch_load_b32 v5, off, off offset:1164 ; 4-byte Folded Reload
	v_mov_b32_e32 v133, v250
	v_add3_u32 v44, v44, v75, v76
	v_mul_i32_i24_e32 v75, v170, v249
	v_mul_i32_i24_e32 v76, v164, v250
	v_mov_b32_e32 v25, v50
	scratch_load_b32 v250, off, off offset:796 ; 4-byte Folded Reload
	v_add3_u32 v44, v44, v51, v74
	v_mul_i32_i24_e32 v51, v171, v204
	v_mul_i32_i24_e32 v74, v172, v205
	s_clause 0x1
	scratch_load_b32 v249, off, off offset:792
	scratch_load_b32 v252, off, off offset:840
	v_add3_u32 v44, v44, v75, v76
	v_mul_i32_i24_e32 v75, v173, v206
	v_mul_i32_i24_e32 v76, v165, v208
	v_mov_b32_e32 v9, v143
	s_delay_alu instid0(VALU_DEP_4) | instskip(SKIP_2) | instid1(VALU_DEP_3)
	v_add3_u32 v44, v44, v51, v74
	v_mul_i32_i24_e32 v51, v174, v198
	v_mul_i32_i24_e32 v74, v175, v201
	v_add3_u32 v44, v44, v75, v76
	v_mul_i32_i24_e32 v75, v176, v202
	v_mul_i32_i24_e32 v76, v166, v203
	s_delay_alu instid0(VALU_DEP_3) | instskip(SKIP_2) | instid1(VALU_DEP_3)
	v_add3_u32 v44, v44, v51, v74
	v_mul_i32_i24_e32 v51, v177, v194
	v_mul_i32_i24_e32 v74, v178, v195
	v_add3_u32 v44, v44, v75, v76
	v_mul_i32_i24_e32 v75, v179, v196
	v_mul_i32_i24_e32 v76, v167, v197
	s_delay_alu instid0(VALU_DEP_3) | instskip(NEXT) | instid1(VALU_DEP_1)
	v_add3_u32 v44, v44, v51, v74
	v_add3_u32 v44, v44, v75, v76
	s_delay_alu instid0(VALU_DEP_1) | instskip(NEXT) | instid1(VALU_DEP_1)
	v_mul_lo_u32 v44, v44, v193
	v_cvt_f32_i32_e32 v44, v44
	s_delay_alu instid0(VALU_DEP_1) | instskip(SKIP_4) | instid1(VALU_DEP_2)
	v_fma_mix_f32 v4, v1, v44, v4 op_sel_hi:[1,0,0]
	scratch_load_b32 v1, off, off offset:1136 ; 4-byte Folded Reload
	v_fma_f32 v0, v4, v56, -v0
	v_mov_b32_e32 v56, v17
	s_waitcnt vmcnt(0)
	v_add_f32_e32 v1, v1, v0
	scratch_load_b32 v0, off, off           ; 4-byte Folded Reload
	scratch_store_b32 off, v1, off offset:1136 ; 4-byte Folded Spill
	s_waitcnt vmcnt(0)
	ds_load_b128 v[152:155], v0 offset:5120
	scratch_load_b32 v0, off, off           ; 4-byte Folded Reload
	s_waitcnt lgkmcnt(0)
	v_bfe_i32 v208, v152, 0, 8
	v_bfe_i32 v207, v152, 8, 8
	v_bfe_i32 v209, v152, 16, 8
	v_ashrrev_i32_e32 v210, 24, v152
	v_bfe_i32 v187, v153, 0, 8
	v_bfe_i32 v188, v153, 8, 8
	v_bfe_i32 v189, v153, 16, 8
	v_ashrrev_i32_e32 v190, 24, v153
	;; [unrolled: 4-line block ×4, first 2 shown]
	v_mul_i32_i24_e32 v74, v208, v39
	v_mul_i32_i24_e32 v75, v209, v40
	;; [unrolled: 1-line block ×5, first 2 shown]
	v_mad_i32_i24 v74, v207, v11, v74
	v_mov_b32_e32 v14, v122
	v_mov_b32_e32 v12, v145
	scratch_load_b32 v240, off, off offset:836 ; 4-byte Folded Reload
	v_mov_b32_e32 v11, v246
	v_add3_u32 v74, v74, v75, v76
	v_mul_i32_i24_e32 v75, v187, v15
	v_mul_i32_i24_e32 v76, v188, v136
	v_dual_mov_b32 v136, v141 :: v_dual_mov_b32 v129, v10
	v_dual_mov_b32 v10, v144 :: v_dual_mov_b32 v15, v147
	s_delay_alu instid0(VALU_DEP_3)
	v_add3_u32 v74, v74, v75, v76
	v_mul_i32_i24_e32 v75, v183, v137
	v_mul_i32_i24_e32 v76, v184, v138
	s_clause 0x1
	scratch_load_b32 v138, off, off offset:900
	scratch_load_b32 v137, off, off offset:64
	v_add3_u32 v74, v74, v77, v80
	v_mul_i32_i24_e32 v77, v185, v139
	v_mul_i32_i24_e32 v80, v186, v30
	v_mov_b32_e32 v139, v142
	scratch_load_b32 v30, off, off offset:80 ; 4-byte Folded Reload
	v_add3_u32 v74, v74, v75, v76
	v_mul_i32_i24_e32 v75, v171, v18
	v_mul_i32_i24_e32 v76, v180, v31
	v_mov_b32_e32 v31, v35
	v_mov_b32_e32 v40, v19
	v_add3_u32 v74, v74, v77, v80
	v_mul_i32_i24_e32 v80, v182, v34
	v_mov_b32_e32 v34, v37
	v_mul_i32_i24_e32 v77, v181, v33
	v_mov_b32_e32 v33, v36
	v_add3_u32 v74, v74, v75, v76
	scratch_load_b32 v18, off, off offset:212 ; 4-byte Folded Reload
	v_add3_u32 v74, v74, v77, v80
	s_waitcnt vmcnt(5)
	ds_load_b128 v[152:155], v0 offset:5136
	scratch_load_b32 v0, off, off           ; 4-byte Folded Reload
	s_waitcnt lgkmcnt(0)
	v_bfe_i32 v203, v152, 0, 8
	v_bfe_i32 v204, v152, 8, 8
	v_bfe_i32 v205, v152, 16, 8
	v_ashrrev_i32_e32 v206, 24, v152
	v_bfe_i32 v199, v153, 0, 8
	v_bfe_i32 v200, v153, 8, 8
	v_bfe_i32 v201, v153, 16, 8
	v_ashrrev_i32_e32 v202, 24, v153
	;; [unrolled: 4-line block ×4, first 2 shown]
	v_mul_i32_i24_e32 v75, v203, v35
	v_mul_i32_i24_e32 v76, v204, v36
	;; [unrolled: 1-line block ×4, first 2 shown]
	s_clause 0x1
	scratch_load_b32 v37, off, off offset:844
	scratch_load_b32 v36, off, off offset:60
	v_add3_u32 v74, v74, v75, v76
	v_mul_i32_i24_e32 v75, v199, v20
	v_mul_i32_i24_e32 v76, v200, v19
	v_mov_b32_e32 v20, v57
	scratch_load_b32 v35, off, off offset:32 ; 4-byte Folded Reload
	v_add3_u32 v74, v74, v77, v80
	v_mul_i32_i24_e32 v77, v201, v17
	v_mul_i32_i24_e32 v80, v202, v141
	v_mov_b32_e32 v17, v146
	v_mov_b32_e32 v141, v216
	v_add3_u32 v74, v74, v75, v76
	v_mul_i32_i24_e32 v75, v195, v142
	v_mul_i32_i24_e32 v76, v196, v143
	s_clause 0x1
	scratch_load_b32 v143, off, off offset:488
	scratch_load_b32 v142, off, off offset:1092
	v_add3_u32 v74, v74, v77, v80
	v_mul_i32_i24_e32 v77, v197, v144
	v_mul_i32_i24_e32 v80, v198, v246
	s_clause 0x1
	scratch_load_b32 v144, off, off offset:816
	scratch_load_b32 v246, off, off offset:872
	v_add3_u32 v74, v74, v75, v76
	v_mul_i32_i24_e32 v75, v191, v145
	v_mul_i32_i24_e32 v76, v192, v146
	s_clause 0x1
	scratch_load_b32 v145, off, off offset:820
	scratch_load_b32 v146, off, off offset:472
	v_add3_u32 v74, v74, v77, v80
	v_mul_i32_i24_e32 v77, v193, v147
	v_mul_i32_i24_e32 v80, v194, v148
	s_clause 0x1
	scratch_load_b32 v147, off, off offset:824
	scratch_load_b32 v148, off, off offset:828
	v_add3_u32 v74, v74, v75, v76
	v_fma_mix_f32 v75, v22, v2, 0 op_sel:[0,1,0] op_sel_hi:[0,1,0]
	v_dual_mov_b32 v22, v58 :: v_dual_mov_b32 v19, v97
	s_delay_alu instid0(VALU_DEP_3) | instskip(NEXT) | instid1(VALU_DEP_3)
	v_add3_u32 v74, v74, v77, v80
	v_fma_mix_f32 v75, v38, v3, v75 op_sel:[0,1,0] op_sel_hi:[0,1,0]
	scratch_load_b32 v38, off, off offset:460 ; 4-byte Folded Reload
	v_mul_lo_u32 v74, v74, v213
	v_mul_f32_e32 v75, v75, v41
	s_clause 0x1
	scratch_load_b32 v213, off, off offset:832
	scratch_load_b32 v41, off, off offset:888
	v_cvt_f32_i32_e32 v74, v74
	s_delay_alu instid0(VALU_DEP_1)
	v_fma_mix_f32 v74, v2, v74, 0 op_sel_hi:[1,0,0]
	s_waitcnt vmcnt(14)
	ds_load_b128 v[152:155], v0 offset:5152
	scratch_load_b32 v0, off, off           ; 4-byte Folded Reload
	s_waitcnt lgkmcnt(0)
	v_bfe_i32 v177, v152, 0, 8
	v_bfe_i32 v176, v152, 8, 8
	;; [unrolled: 1-line block ×3, first 2 shown]
	v_ashrrev_i32_e32 v179, 24, v152
	v_bfe_i32 v172, v153, 0, 8
	v_mul_i32_i24_e32 v76, v177, v211
	v_bfe_i32 v173, v153, 8, 8
	v_mul_i32_i24_e32 v77, v178, v29
	v_mul_i32_i24_e32 v80, v179, v28
	v_bfe_i32 v174, v153, 16, 8
	v_mad_i32_i24 v76, v176, v247, v76
	v_ashrrev_i32_e32 v175, 24, v153
	v_bfe_i32 v167, v154, 0, 8
	v_bfe_i32 v168, v154, 8, 8
	;; [unrolled: 1-line block ×3, first 2 shown]
	v_add3_u32 v76, v76, v77, v80
	v_mul_i32_i24_e32 v77, v172, v32
	v_mul_i32_i24_e32 v80, v173, v42
	v_ashrrev_i32_e32 v170, 24, v154
	v_bfe_i32 v163, v155, 0, 8
	v_bfe_i32 v164, v155, 8, 8
	;; [unrolled: 1-line block ×3, first 2 shown]
	v_ashrrev_i32_e32 v166, 24, v155
	v_mul_i32_i24_e32 v81, v174, v151
	v_mul_i32_i24_e32 v82, v175, v215
	v_add3_u32 v76, v76, v77, v80
	v_mul_i32_i24_e32 v77, v167, v216
	v_mul_i32_i24_e32 v80, v168, v55
	s_clause 0x1
	scratch_load_b32 v247, off, off offset:896
	scratch_load_b32 v216, off, off offset:864
	v_add3_u32 v76, v76, v81, v82
	v_mul_i32_i24_e32 v81, v169, v57
	v_mul_i32_i24_e32 v82, v170, v58
	s_clause 0x1
	scratch_load_b32 v58, off, off offset:788
	scratch_load_b32 v57, off, off offset:480
	v_add3_u32 v76, v76, v77, v80
	v_mul_i32_i24_e32 v77, v163, v59
	v_mul_i32_i24_e32 v80, v164, v60
	s_clause 0x1
	scratch_load_b32 v60, off, off offset:492
	scratch_load_b32 v151, off, off offset:856
	v_add3_u32 v76, v76, v81, v82
	v_mul_i32_i24_e32 v81, v165, v61
	v_mul_i32_i24_e32 v82, v166, v43
	s_clause 0x1
	scratch_load_b32 v43, off, off offset:892
	scratch_load_b32 v61, off, off offset:496
	v_add3_u32 v76, v76, v77, v80
	s_clause 0x2
	scratch_load_b32 v215, off, off offset:860
	scratch_load_b32 v59, off, off offset:444
	;; [unrolled: 1-line block ×3, first 2 shown]
	v_mov_b32_e32 v32, v79
	v_add3_u32 v76, v76, v81, v82
	scratch_load_b32 v28, off, off offset:220 ; 4-byte Folded Reload
	v_mov_b32_e32 v42, v238
	s_waitcnt vmcnt(12)
	ds_load_b128 v[152:155], v0 offset:5168
	s_waitcnt lgkmcnt(0)
	v_bfe_i32 v159, v152, 0, 8
	v_bfe_i32 v160, v152, 8, 8
	;; [unrolled: 1-line block ×3, first 2 shown]
	v_ashrrev_i32_e32 v162, 24, v152
	v_bfe_i32 v132, v153, 0, 8
	v_mul_i32_i24_e32 v77, v159, v45
	v_mul_i32_i24_e32 v80, v160, v72
	v_bfe_i32 v156, v153, 8, 8
	v_mul_i32_i24_e32 v81, v161, v47
	v_mul_i32_i24_e32 v82, v162, v48
	v_bfe_i32 v157, v153, 16, 8
	v_add3_u32 v76, v76, v77, v80
	v_ashrrev_i32_e32 v158, 24, v153
	v_mul_i32_i24_e32 v77, v132, v49
	v_mul_i32_i24_e32 v80, v156, v50
	v_bfe_i32 v126, v154, 0, 8
	v_add3_u32 v76, v76, v81, v82
	v_bfe_i32 v4, v154, 8, 8
	v_mul_i32_i24_e32 v81, v157, v52
	v_mul_i32_i24_e32 v82, v158, v254
	v_bfe_i32 v152, v154, 16, 8
	v_add3_u32 v76, v76, v77, v80
	v_ashrrev_i32_e32 v153, 24, v154
	v_mul_i32_i24_e32 v77, v126, v62
	v_mul_i32_i24_e32 v80, v4, v64
	v_bfe_i32 v0, v155, 0, 8
	v_add3_u32 v76, v76, v81, v82
	v_bfe_i32 v1, v155, 8, 8
	v_mul_i32_i24_e32 v81, v152, v78
	v_mul_i32_i24_e32 v82, v153, v79
	v_bfe_i32 v44, v155, 16, 8
	v_add3_u32 v76, v76, v77, v80
	v_ashrrev_i32_e32 v51, 24, v155
	v_mul_i32_i24_e32 v77, v0, v237
	v_mul_i32_i24_e32 v80, v1, v53
	v_mov_b32_e32 v72, v85
	v_add3_u32 v76, v76, v81, v82
	v_mul_i32_i24_e32 v81, v44, v73
	v_mul_i32_i24_e32 v82, v51, v241
	s_clause 0x1
	scratch_load_b32 v73, off, off offset:908
	scratch_load_b32 v47, off, off offset:508
	v_add3_u32 v76, v76, v77, v80
	v_mul_i32_i24_e32 v77, v189, v238
	v_mul_i32_i24_e32 v80, v190, v63
	s_clause 0x1
	scratch_load_b32 v50, off, off offset:456
	scratch_load_b32 v254, off, off offset:800
	;; [unrolled: 6-line block ×3, first 2 shown]
	v_mul_lo_u32 v76, v76, v242
	s_clause 0x2
	scratch_load_b32 v242, off, off offset:812
	scratch_load_b32 v62, off, off offset:500
	scratch_load_b32 v102, off, off offset:644
	v_mov_b32_e32 v53, v7
	scratch_load_b32 v49, off, off offset:72 ; 4-byte Folded Reload
	v_mov_b32_e32 v64, v68
	scratch_load_b32 v48, off, off offset:48 ; 4-byte Folded Reload
	v_cvt_f32_i32_e32 v76, v76
	s_clause 0x1
	scratch_load_b32 v45, off, off offset:36
	scratch_load_b32 v89, off, off offset:240
	v_dual_mov_b32 v52, v27 :: v_dual_mov_b32 v29, v78
	v_fma_mix_f32 v74, v3, v76, v74 op_sel_hi:[1,0,0]
	v_mul_i32_i24_e32 v76, v210, v97
	scratch_load_b32 v97, off, off offset:268 ; 4-byte Folded Reload
	v_mov_b32_e32 v78, v13
	scratch_load_b32 v27, off, off offset:596 ; 4-byte Folded Reload
	v_fma_f32 v74, v74, v140, -v75
	v_mul_i32_i24_e32 v75, v209, v13
	v_mov_b32_e32 v13, v134
	v_mov_b32_e32 v39, v16
	scratch_load_b32 v16, off, off offset:224 ; 4-byte Folded Reload
	v_add_f32_e32 v5, v5, v74
	v_mul_i32_i24_e32 v74, v208, v84
	s_delay_alu instid0(VALU_DEP_1) | instskip(NEXT) | instid1(VALU_DEP_1)
	v_mad_i32_i24 v74, v207, v103, v74
	v_add3_u32 v74, v74, v75, v76
	v_mul_i32_i24_e32 v75, v187, v235
	v_mul_i32_i24_e32 v76, v188, v7
	scratch_load_b32 v7, off, off offset:1156 ; 4-byte Folded Reload
	v_mov_b32_e32 v235, v20
	v_add3_u32 v74, v74, v75, v76
	v_mul_i32_i24_e32 v76, v184, v236
	v_mov_b32_e32 v236, v22
	scratch_store_b32 off, v5, off offset:1164 ; 4-byte Folded Spill
	scratch_load_b32 v5, off, off offset:12 ; 4-byte Folded Reload
	v_add3_u32 v74, v74, v77, v80
	v_mul_i32_i24_e32 v75, v183, v107
	v_mul_i32_i24_e32 v77, v185, v67
	;; [unrolled: 1-line block ×3, first 2 shown]
	v_mov_b32_e32 v65, v91
	v_mov_b32_e32 v67, v225
	v_add3_u32 v74, v74, v75, v76
	v_mul_i32_i24_e32 v75, v171, v229
	v_mul_i32_i24_e32 v76, v180, v253
	s_clause 0x1
	scratch_load_b32 v107, off, off offset:484
	scratch_load_b32 v91, off, off offset:248
	v_add3_u32 v74, v74, v77, v80
	v_mul_i32_i24_e32 v77, v181, v68
	v_mul_i32_i24_e32 v80, v182, v66
	s_clause 0x1
	scratch_load_b32 v66, off, off offset:68
	scratch_load_b32 v68, off, off offset:40
	v_add3_u32 v74, v74, v75, v76
	v_mul_i32_i24_e32 v75, v203, v225
	v_mul_i32_i24_e32 v76, v204, v233
	scratch_load_b32 v225, off, off offset:868 ; 4-byte Folded Reload
	v_add3_u32 v74, v74, v77, v80
	v_mul_i32_i24_e32 v80, v206, v71
	s_delay_alu instid0(VALU_DEP_2)
	v_add3_u32 v74, v74, v75, v76
	v_mul_i32_i24_e32 v75, v199, v70
	v_mul_i32_i24_e32 v76, v200, v85
	v_mov_b32_e32 v85, v6
	s_waitcnt vmcnt(5)
	v_mul_i32_i24_e32 v77, v205, v5
	scratch_load_b32 v5, off, off offset:16 ; 4-byte Folded Reload
	v_add3_u32 v74, v74, v77, v80
	v_mul_i32_i24_e32 v80, v202, v54
	s_delay_alu instid0(VALU_DEP_2)
	v_add3_u32 v74, v74, v75, v76
	v_mul_i32_i24_e32 v75, v195, v227
	v_mul_i32_i24_e32 v76, v196, v228
	s_waitcnt vmcnt(0)
	v_mul_i32_i24_e32 v77, v201, v5
	scratch_load_b32 v5, off, off offset:148 ; 4-byte Folded Reload
	v_add3_u32 v74, v74, v77, v80
	v_mul_i32_i24_e32 v77, v197, v6
	v_mul_i32_i24_e32 v80, v198, v87
	scratch_load_b32 v6, off, off offset:1160 ; 4-byte Folded Reload
	v_add3_u32 v74, v74, v75, v76
	v_mul_i32_i24_e32 v75, v191, v217
	v_mul_i32_i24_e32 v76, v192, v221
	scratch_load_b32 v221, off, off offset:1000 ; 4-byte Folded Reload
	v_mov_b32_e32 v55, v227
	v_add3_u32 v74, v74, v77, v80
	v_mul_i32_i24_e32 v77, v193, v46
	v_mul_i32_i24_e32 v80, v194, v69
	s_clause 0x1
	scratch_load_b32 v227, off, off offset:476
	scratch_load_b32 v217, off, off offset:448
	v_add3_u32 v74, v74, v75, v76
	scratch_load_b32 v69, off, off offset:44 ; 4-byte Folded Reload
	v_add3_u32 v74, v74, v77, v80
	v_mul_i32_i24_e32 v77, v178, v99
	v_mul_i32_i24_e32 v80, v179, v100
	s_clause 0x1
	scratch_load_b32 v99, off, off offset:464
	scratch_load_b32 v100, off, off offset:468
	v_mul_lo_u32 v74, v74, v86
	scratch_load_b32 v86, off, off offset:76 ; 4-byte Folded Reload
	v_cvt_f32_i32_e32 v74, v74
	s_delay_alu instid0(VALU_DEP_1)
	v_fma_mix_f32 v74, v2, v74, 0 op_sel_hi:[1,0,0]
	s_waitcnt vmcnt(8)
	v_fma_mix_f32 v75, v5, v2, 0 op_sel:[0,1,0] op_sel_hi:[0,1,0]
	scratch_load_b32 v5, off, off offset:8  ; 4-byte Folded Reload
	s_waitcnt vmcnt(0)
	v_mul_i32_i24_e32 v76, v177, v5
	scratch_load_b32 v5, off, off offset:108 ; 4-byte Folded Reload
	v_mad_i32_i24 v76, v176, v88, v76
	scratch_load_b32 v88, off, off offset:84 ; 4-byte Folded Reload
	v_add3_u32 v76, v76, v77, v80
	v_mul_i32_i24_e32 v80, v173, v101
	scratch_load_b32 v101, off, off offset:52 ; 4-byte Folded Reload
	s_waitcnt vmcnt(2)
	v_mul_i32_i24_e32 v77, v172, v5
	scratch_load_b32 v5, off, off offset:160 ; 4-byte Folded Reload
	v_add3_u32 v76, v76, v77, v80
	v_mul_i32_i24_e32 v77, v167, v104
	v_mul_i32_i24_e32 v80, v168, v105
	v_mov_b32_e32 v104, v119
	s_delay_alu instid0(VALU_DEP_4)
	v_add3_u32 v76, v76, v81, v82
	v_mul_i32_i24_e32 v81, v169, v106
	v_mul_i32_i24_e32 v82, v170, v90
	s_clause 0x1
	scratch_load_b32 v106, off, off offset:880
	scratch_load_b32 v90, off, off offset:244
	v_add3_u32 v76, v76, v77, v80
	v_mul_i32_i24_e32 v77, v163, v113
	v_mul_i32_i24_e32 v80, v164, v115
	s_clause 0x1
	scratch_load_b32 v115, off, off offset:876
	scratch_load_b32 v113, off, off offset:884
	;; [unrolled: 6-line block ×3, first 2 shown]
	v_add3_u32 v76, v76, v77, v80
	v_mul_i32_i24_e32 v77, v159, v218
	v_mul_i32_i24_e32 v80, v160, v219
	scratch_load_b32 v219, off, off offset:504 ; 4-byte Folded Reload
	v_mov_b32_e32 v218, v117
	v_add3_u32 v76, v76, v81, v82
	v_mul_i32_i24_e32 v81, v161, v220
	v_mul_i32_i24_e32 v82, v162, v93
	s_clause 0x1
	scratch_load_b32 v220, off, off offset:808
	scratch_load_b32 v93, off, off offset:256
	v_add3_u32 v76, v76, v77, v80
	v_mul_i32_i24_e32 v77, v132, v222
	v_mul_i32_i24_e32 v80, v156, v224
	s_clause 0x1
	scratch_load_b32 v222, off, off offset:848
	scratch_load_b32 v224, off, off offset:56
	;; [unrolled: 6-line block ×3, first 2 shown]
	v_add3_u32 v76, v76, v77, v80
	v_mul_i32_i24_e32 v77, v126, v230
	v_mul_i32_i24_e32 v80, v4, v231
	v_mov_b32_e32 v230, v109
	s_delay_alu instid0(VALU_DEP_4)
	v_add3_u32 v76, v76, v81, v82
	v_mul_i32_i24_e32 v81, v152, v232
	v_mul_i32_i24_e32 v82, v153, v95
	scratch_load_b32 v95, off, off offset:264 ; 4-byte Folded Reload
	v_mov_b32_e32 v232, v83
	v_add3_u32 v76, v76, v77, v80
	v_mul_i32_i24_e32 v77, v0, v234
	scratch_load_b32 v234, off, off offset:452 ; 4-byte Folded Reload
	v_add3_u32 v76, v76, v81, v82
	v_mul_i32_i24_e32 v82, v51, v96
	scratch_load_b32 v96, off, off offset:648 ; 4-byte Folded Reload
	s_waitcnt vmcnt(16)
	v_mul_i32_i24_e32 v80, v1, v5
	scratch_load_b32 v5, off, off offset:168 ; 4-byte Folded Reload
	v_add3_u32 v76, v76, v77, v80
	v_mul_i32_i24_e32 v80, v190, v47
	s_waitcnt vmcnt(10)
	v_mul_i32_i24_e32 v77, v189, v219
	s_waitcnt vmcnt(0)
	v_mul_i32_i24_e32 v81, v44, v5
	scratch_load_b32 v5, off, off offset:20 ; 4-byte Folded Reload
	v_add3_u32 v76, v76, v81, v82
	v_mul_i32_i24_e32 v81, v174, v113
	v_mul_i32_i24_e32 v82, v175, v41
	s_delay_alu instid0(VALU_DEP_3) | instskip(SKIP_2) | instid1(VALU_DEP_1)
	v_mul_lo_u32 v76, v76, v98
	scratch_load_b32 v98, off, off offset:236 ; 4-byte Folded Reload
	v_cvt_f32_i32_e32 v76, v76
	v_fma_mix_f32 v74, v3, v76, v74 op_sel_hi:[1,0,0]
	v_mul_i32_i24_e32 v76, v210, v225
	s_waitcnt vmcnt(1)
	v_fma_mix_f32 v75, v5, v3, v75 op_sel:[0,1,0] op_sel_hi:[0,1,0]
	scratch_load_b32 v5, off, off offset:184 ; 4-byte Folded Reload
	v_mul_f32_e32 v75, v75, v214
	s_delay_alu instid0(VALU_DEP_1) | instskip(SKIP_1) | instid1(VALU_DEP_2)
	v_fma_f32 v74, v74, v135, -v75
	v_mul_i32_i24_e32 v75, v209, v226
	v_add_f32_e32 v6, v6, v74
	v_mul_i32_i24_e32 v74, v208, v227
	s_delay_alu instid0(VALU_DEP_1) | instskip(NEXT) | instid1(VALU_DEP_1)
	v_mad_i32_i24 v74, v207, v221, v74
	v_add3_u32 v74, v74, v75, v76
	v_mul_i32_i24_e32 v75, v187, v37
	v_mul_i32_i24_e32 v76, v188, v73
	s_delay_alu instid0(VALU_DEP_1) | instskip(SKIP_2) | instid1(VALU_DEP_3)
	v_add3_u32 v74, v74, v75, v76
	v_mul_i32_i24_e32 v75, v183, v50
	v_mul_i32_i24_e32 v76, v184, v38
	v_add3_u32 v74, v74, v77, v80
	v_mul_i32_i24_e32 v77, v185, v58
	v_mul_i32_i24_e32 v80, v186, v250
	s_delay_alu instid0(VALU_DEP_3) | instskip(SKIP_2) | instid1(VALU_DEP_3)
	v_add3_u32 v74, v74, v75, v76
	v_mul_i32_i24_e32 v75, v171, v249
	v_mul_i32_i24_e32 v76, v180, v99
	v_add3_u32 v74, v74, v77, v80
	v_mul_i32_i24_e32 v77, v181, v254
	v_mul_i32_i24_e32 v80, v182, v100
	s_delay_alu instid0(VALU_DEP_3) | instskip(SKIP_2) | instid1(VALU_DEP_3)
	v_add3_u32 v74, v74, v75, v76
	v_mul_i32_i24_e32 v75, v203, v237
	v_mul_i32_i24_e32 v76, v204, v220
	v_add3_u32 v74, v74, v77, v80
	v_mul_i32_i24_e32 v77, v205, v241
	v_mul_i32_i24_e32 v80, v206, v144
	s_delay_alu instid0(VALU_DEP_3) | instskip(SKIP_2) | instid1(VALU_DEP_3)
	v_add3_u32 v74, v74, v75, v76
	v_mul_i32_i24_e32 v75, v199, v242
	v_mul_i32_i24_e32 v76, v200, v145
	v_add3_u32 v74, v74, v77, v80
	v_mul_i32_i24_e32 v77, v201, v146
	v_mul_i32_i24_e32 v80, v202, v147
	s_delay_alu instid0(VALU_DEP_3) | instskip(SKIP_2) | instid1(VALU_DEP_3)
	v_add3_u32 v74, v74, v75, v76
	v_mul_i32_i24_e32 v75, v195, v148
	v_mul_i32_i24_e32 v76, v196, v213
	v_add3_u32 v74, v74, v77, v80
	v_mul_i32_i24_e32 v77, v197, v240
	v_mul_i32_i24_e32 v80, v198, v222
	s_delay_alu instid0(VALU_DEP_3) | instskip(SKIP_2) | instid1(VALU_DEP_3)
	v_add3_u32 v74, v74, v75, v76
	v_mul_i32_i24_e32 v75, v191, v252
	v_mul_i32_i24_e32 v76, v192, v223
	v_add3_u32 v74, v74, v77, v80
	v_mul_i32_i24_e32 v77, v193, v149
	v_mul_i32_i24_e32 v80, v194, v150
	s_delay_alu instid0(VALU_DEP_3) | instskip(SKIP_2) | instid1(VALU_DEP_3)
	v_add3_u32 v74, v74, v75, v76
	v_mul_i32_i24_e32 v76, v177, v246
	v_fma_mix_f32 v75, v215, v2, 0 op_sel:[0,1,0] op_sel_hi:[0,1,0]
	v_add3_u32 v74, v74, v77, v80
	v_mul_i32_i24_e32 v77, v178, v247
	v_mul_i32_i24_e32 v80, v179, v138
	v_mad_i32_i24 v76, v176, v216, v76
	s_delay_alu instid0(VALU_DEP_4) | instskip(NEXT) | instid1(VALU_DEP_2)
	v_mul_lo_u32 v74, v74, v151
	v_add3_u32 v76, v76, v77, v80
	v_mul_i32_i24_e32 v77, v172, v115
	v_mul_i32_i24_e32 v80, v173, v106
	s_delay_alu instid0(VALU_DEP_4) | instskip(NEXT) | instid1(VALU_DEP_2)
	v_cvt_f32_i32_e32 v74, v74
	v_add3_u32 v76, v76, v77, v80
	v_mul_i32_i24_e32 v77, v167, v57
	v_mul_i32_i24_e32 v80, v168, v107
	s_delay_alu instid0(VALU_DEP_4) | instskip(NEXT) | instid1(VALU_DEP_4)
	v_fma_mix_f32 v74, v2, v74, 0 op_sel_hi:[1,0,0]
	v_add3_u32 v76, v76, v81, v82
	v_mul_i32_i24_e32 v81, v169, v143
	v_mul_i32_i24_e32 v82, v170, v43
	s_delay_alu instid0(VALU_DEP_3) | instskip(SKIP_2) | instid1(VALU_DEP_3)
	v_add3_u32 v76, v76, v77, v80
	v_mul_i32_i24_e32 v77, v163, v60
	v_mul_i32_i24_e32 v80, v164, v61
	v_add3_u32 v76, v76, v81, v82
	v_mul_i32_i24_e32 v81, v165, v62
	v_mul_i32_i24_e32 v82, v166, v212
	s_delay_alu instid0(VALU_DEP_3) | instskip(SKIP_1) | instid1(VALU_DEP_2)
	v_add3_u32 v76, v76, v77, v80
	v_mul_i32_i24_e32 v77, v159, v102
	v_add3_u32 v76, v76, v81, v82
	s_waitcnt vmcnt(0)
	v_mul_i32_i24_e32 v80, v160, v5
	scratch_load_b32 v5, off, off offset:28 ; 4-byte Folded Reload
	v_add3_u32 v76, v76, v77, v80
	s_waitcnt vmcnt(0)
	v_mul_i32_i24_e32 v81, v161, v5
	scratch_load_b32 v5, off, off offset:188 ; 4-byte Folded Reload
	s_waitcnt vmcnt(0)
	v_mul_i32_i24_e32 v82, v162, v5
	scratch_load_b32 v5, off, off offset:192 ; 4-byte Folded Reload
	v_add3_u32 v76, v76, v81, v82
	v_mul_i32_i24_e32 v82, v158, v21
	scratch_load_b32 v21, off, off offset:528 ; 4-byte Folded Reload
	s_waitcnt vmcnt(1)
	v_mul_i32_i24_e32 v77, v132, v5
	scratch_load_b32 v5, off, off offset:24 ; 4-byte Folded Reload
	s_waitcnt vmcnt(0)
	v_mul_i32_i24_e32 v80, v156, v5
	scratch_load_b32 v5, off, off offset:200 ; 4-byte Folded Reload
	v_add3_u32 v76, v76, v77, v80
	v_mul_i32_i24_e32 v80, v4, v239
	s_waitcnt vmcnt(0)
	v_mul_i32_i24_e32 v81, v157, v5
	scratch_load_b32 v5, off, off offset:204 ; 4-byte Folded Reload
	v_add3_u32 v76, v76, v81, v82
	v_mul_i32_i24_e32 v81, v152, v243
	v_mul_i32_i24_e32 v82, v153, v244
	s_waitcnt vmcnt(0)
	v_mul_i32_i24_e32 v77, v126, v5
	scratch_load_b32 v5, off, off offset:196 ; 4-byte Folded Reload
	v_add3_u32 v76, v76, v77, v80
	v_mul_i32_i24_e32 v77, v0, v245
	v_mul_i32_i24_e32 v80, v1, v248
	s_delay_alu instid0(VALU_DEP_3) | instskip(SKIP_2) | instid1(VALU_DEP_3)
	v_add3_u32 v76, v76, v81, v82
	v_mul_i32_i24_e32 v81, v44, v251
	v_mul_i32_i24_e32 v82, v51, v255
	v_add3_u32 v76, v76, v77, v80
	v_mul_i32_i24_e32 v77, v189, v66
	v_mul_i32_i24_e32 v80, v190, v49
	s_clause 0x1
	scratch_load_b32 v189, off, off offset:652
	scratch_load_b32 v190, off, off offset:656
	v_add3_u32 v76, v76, v81, v82
	s_waitcnt vmcnt(2)
	s_delay_alu instid0(VALU_DEP_1) | instskip(SKIP_2) | instid1(VALU_DEP_1)
	v_mul_lo_u32 v76, v76, v5
	scratch_load_b32 v5, off, off offset:180 ; 4-byte Folded Reload
	v_cvt_f32_i32_e32 v76, v76
	v_fma_mix_f32 v74, v3, v76, v74 op_sel_hi:[1,0,0]
	v_mul_i32_i24_e32 v76, v210, v234
	v_dual_mov_b32 v210, v23 :: v_dual_mov_b32 v79, v84
	s_waitcnt vmcnt(2)
	v_mul_i32_i24_e32 v0, v0, v189
	s_waitcnt vmcnt(1)
	v_mul_i32_i24_e32 v1, v1, v190
	v_mov_b32_e32 v84, v228
	v_mov_b32_e32 v228, v120
	scratch_load_b32 v23, off, off offset:216 ; 4-byte Folded Reload
	s_waitcnt vmcnt(1)
	v_fma_mix_f32 v75, v5, v3, v75 op_sel:[0,1,0] op_sel_hi:[0,1,0]
	s_delay_alu instid0(VALU_DEP_1) | instskip(NEXT) | instid1(VALU_DEP_1)
	v_mul_f32_e32 v75, v75, v142
	v_fma_f32 v74, v74, v65, -v75
	v_mul_i32_i24_e32 v75, v209, v217
	v_mov_b32_e32 v209, v124
	s_delay_alu instid0(VALU_DEP_3) | instskip(SKIP_2) | instid1(VALU_DEP_2)
	v_add_f32_e32 v7, v7, v74
	v_mul_i32_i24_e32 v74, v208, v59
	v_mov_b32_e32 v208, v128
	v_mad_i32_i24 v74, v207, v211, v74
	v_mov_b32_e32 v207, v131
	v_mov_b32_e32 v229, v108
	s_delay_alu instid0(VALU_DEP_3)
	v_add3_u32 v74, v74, v75, v76
	v_mul_i32_i24_e32 v75, v187, v98
	v_mul_i32_i24_e32 v76, v188, v36
	s_clause 0x1
	scratch_load_b32 v188, off, off offset:1008
	scratch_load_b32 v187, off, off offset:1004
	v_add3_u32 v74, v74, v75, v76
	v_mul_i32_i24_e32 v75, v183, v35
	v_mul_i32_i24_e32 v76, v184, v68
	s_delay_alu instid0(VALU_DEP_3) | instskip(SKIP_2) | instid1(VALU_DEP_3)
	v_add3_u32 v74, v74, v77, v80
	v_mul_i32_i24_e32 v77, v185, v69
	v_mul_i32_i24_e32 v80, v186, v48
	v_add3_u32 v74, v74, v75, v76
	v_mul_i32_i24_e32 v75, v171, v45
	v_mul_i32_i24_e32 v76, v180, v101
	s_delay_alu instid0(VALU_DEP_3) | instskip(SKIP_2) | instid1(VALU_DEP_3)
	v_add3_u32 v74, v74, v77, v80
	v_mul_i32_i24_e32 v77, v181, v224
	v_mul_i32_i24_e32 v80, v182, v137
	v_add3_u32 v74, v74, v75, v76
	v_mul_i32_i24_e32 v75, v203, v86
	v_mul_i32_i24_e32 v76, v204, v30
	scratch_load_b32 v203, off, off offset:780 ; 4-byte Folded Reload
	v_mov_b32_e32 v204, v133
	v_add3_u32 v74, v74, v77, v80
	v_mul_i32_i24_e32 v77, v205, v88
	v_mul_i32_i24_e32 v80, v206, v90
	v_dual_mov_b32 v205, v129 :: v_dual_mov_b32 v206, v130
	s_delay_alu instid0(VALU_DEP_4)
	v_add3_u32 v74, v74, v75, v76
	v_mul_i32_i24_e32 v75, v199, v89
	v_mul_i32_i24_e32 v76, v200, v91
	s_clause 0x1
	scratch_load_b32 v199, off, off offset:768
	scratch_load_b32 v200, off, off offset:772
	v_add3_u32 v74, v74, v77, v80
	v_mul_i32_i24_e32 v77, v201, v92
	v_mul_i32_i24_e32 v80, v202, v93
	s_clause 0x1
	scratch_load_b32 v201, off, off offset:992
	scratch_load_b32 v202, off, off offset:776
	;; [unrolled: 6-line block ×6, first 2 shown]
	v_add3_u32 v74, v74, v75, v76
	v_mul_i32_i24_e32 v75, v178, v116
	v_mul_i32_i24_e32 v76, v179, v112
	v_mov_b32_e32 v63, v123
	v_mov_b32_e32 v231, v110
	v_add3_u32 v74, v74, v77, v80
	v_mul_i32_i24_e32 v77, v174, v119
	v_mul_i32_i24_e32 v80, v175, v118
	v_mov_b32_e32 v233, v111
	v_mov_b32_e32 v5, v114
	v_mul_lo_u32 v74, v74, v109
	v_mov_b32_e32 v105, v118
	v_mov_b32_e32 v103, v121
	s_delay_alu instid0(VALU_DEP_3) | instskip(NEXT) | instid1(VALU_DEP_1)
	v_cvt_f32_i32_e32 v74, v74
	v_fma_mix_f32 v171, v2, v74, 0 op_sel_hi:[1,0,0]
	v_mul_i32_i24_e32 v74, v177, v114
	v_fma_mix_f32 v2, v110, v2, 0 op_sel:[0,1,0] op_sel_hi:[0,1,0]
	s_delay_alu instid0(VALU_DEP_2) | instskip(NEXT) | instid1(VALU_DEP_1)
	v_mad_i32_i24 v74, v176, v117, v74
	v_add3_u32 v74, v74, v75, v76
	v_mul_i32_i24_e32 v75, v172, v120
	v_mul_i32_i24_e32 v76, v173, v121
	s_delay_alu instid0(VALU_DEP_1) | instskip(SKIP_2) | instid1(VALU_DEP_3)
	v_add3_u32 v74, v74, v75, v76
	v_mul_i32_i24_e32 v75, v167, v209
	v_mul_i32_i24_e32 v76, v168, v210
	v_add3_u32 v74, v74, v77, v80
	v_mul_i32_i24_e32 v77, v169, v52
	v_mul_i32_i24_e32 v80, v170, v63
	s_delay_alu instid0(VALU_DEP_3) | instskip(SKIP_2) | instid1(VALU_DEP_3)
	v_add3_u32 v74, v74, v75, v76
	v_mul_i32_i24_e32 v75, v163, v205
	v_mul_i32_i24_e32 v76, v164, v206
	v_add3_u32 v74, v74, v77, v80
	v_mul_i32_i24_e32 v77, v165, v207
	v_mul_i32_i24_e32 v80, v166, v208
	s_delay_alu instid0(VALU_DEP_3) | instskip(NEXT) | instid1(VALU_DEP_1)
	v_add3_u32 v74, v74, v75, v76
	v_add3_u32 v74, v74, v77, v80
	v_mul_i32_i24_e32 v80, v162, v204
	s_waitcnt vmcnt(12)
	v_mul_i32_i24_e32 v77, v161, v203
	s_waitcnt vmcnt(9)
	;; [unrolled: 2-line block ×3, first 2 shown]
	v_mul_i32_i24_e32 v76, v160, v202
	s_delay_alu instid0(VALU_DEP_1) | instskip(SKIP_2) | instid1(VALU_DEP_2)
	v_add3_u32 v74, v74, v75, v76
	s_waitcnt vmcnt(5)
	v_mul_i32_i24_e32 v75, v132, v197
	v_add3_u32 v74, v74, v77, v80
	s_waitcnt vmcnt(4)
	v_mul_i32_i24_e32 v76, v156, v198
	v_mul_i32_i24_e32 v77, v157, v199
	v_mul_i32_i24_e32 v80, v158, v200
	s_waitcnt vmcnt(3)
	v_mul_i32_i24_e32 v44, v44, v191
	s_waitcnt vmcnt(2)
	v_mul_i32_i24_e32 v51, v51, v192
	v_add3_u32 v74, v74, v75, v76
	v_mul_i32_i24_e32 v76, v152, v195
	s_waitcnt vmcnt(1)
	v_mul_i32_i24_e32 v75, v126, v193
	s_waitcnt vmcnt(0)
	v_mul_i32_i24_e32 v4, v4, v194
	v_add3_u32 v74, v74, v77, v80
	v_mul_i32_i24_e32 v77, v153, v196
	s_delay_alu instid0(VALU_DEP_2) | instskip(NEXT) | instid1(VALU_DEP_1)
	v_add3_u32 v4, v74, v75, v4
	v_add3_u32 v4, v4, v76, v77
	s_delay_alu instid0(VALU_DEP_1) | instskip(SKIP_1) | instid1(VALU_DEP_2)
	v_add3_u32 v0, v4, v0, v1
	v_fma_mix_f32 v1, v187, v3, v2 op_sel:[0,1,0] op_sel_hi:[0,1,0]
	v_add3_u32 v0, v0, v44, v51
	s_delay_alu instid0(VALU_DEP_2) | instskip(NEXT) | instid1(VALU_DEP_2)
	v_mul_f32_e32 v1, v1, v13
	v_mul_lo_u32 v0, v0, v188
	s_delay_alu instid0(VALU_DEP_1) | instskip(NEXT) | instid1(VALU_DEP_1)
	v_cvt_f32_i32_e32 v0, v0
	v_fma_mix_f32 v0, v3, v0, v171 op_sel_hi:[1,0,0]
	s_delay_alu instid0(VALU_DEP_1)
	v_fma_f32 v0, v0, v14, -v1
	scratch_load_b32 v1, off, off offset:1152 ; 4-byte Folded Reload
	s_waitcnt vmcnt(0)
	v_add_f32_e32 v1, v1, v0
	s_clause 0x1
	scratch_store_b32 off, v6, off offset:1160
	scratch_store_b32 off, v7, off offset:1156
	s_clause 0x1
	scratch_load_b32 v7, off, off
	scratch_load_b32 v0, off, off
	scratch_store_b32 off, v1, off offset:1152 ; 4-byte Folded Spill
	v_mov_b32_e32 v6, v116
	s_waitcnt vmcnt(1)
	ds_load_b128 v[152:155], v7 offset:6176
	scratch_load_b32 v7, off, off           ; 4-byte Folded Reload
	s_waitcnt vmcnt(1)
	ds_load_b128 v[0:3], v0 offset:6144
	s_waitcnt lgkmcnt(1)
	v_bfe_i32 v131, v152, 0, 8
	v_bfe_i32 v132, v152, 8, 8
	v_bfe_i32 v133, v152, 16, 8
	v_ashrrev_i32_e32 v134, 24, v152
	v_bfe_i32 v156, v153, 0, 8
	v_bfe_i32 v157, v153, 8, 8
	v_bfe_i32 v158, v153, 16, 8
	v_ashrrev_i32_e32 v159, 24, v153
	;; [unrolled: 4-line block ×4, first 2 shown]
	s_waitcnt lgkmcnt(0)
	v_bfe_i32 v4, v0, 0, 8
	v_bfe_i32 v51, v0, 16, 8
	v_ashrrev_i32_e32 v74, 24, v0
	v_bfe_i32 v44, v0, 8, 8
	v_bfe_i32 v75, v1, 0, 8
	;; [unrolled: 1-line block ×4, first 2 shown]
	v_ashrrev_i32_e32 v80, 24, v1
	v_bfe_i32 v81, v2, 0, 8
	v_bfe_i32 v82, v2, 8, 8
	;; [unrolled: 1-line block ×3, first 2 shown]
	v_ashrrev_i32_e32 v108, 24, v2
	v_bfe_i32 v109, v3, 0, 8
	v_bfe_i32 v110, v3, 8, 8
	v_bfe_i32 v111, v3, 16, 8
	scratch_load_b32 v0, off, off           ; 4-byte Folded Reload
	v_ashrrev_i32_e32 v112, 24, v3
	s_waitcnt vmcnt(1)
	ds_load_b128 v[152:155], v7 offset:6192
	scratch_load_b32 v7, off, off offset:380 ; 4-byte Folded Reload
	s_waitcnt lgkmcnt(0)
	v_bfe_i32 v168, v152, 0, 8
	v_bfe_i32 v169, v152, 8, 8
	;; [unrolled: 1-line block ×3, first 2 shown]
	v_ashrrev_i32_e32 v152, 24, v152
	v_bfe_i32 v171, v153, 0, 8
	v_bfe_i32 v172, v153, 8, 8
	;; [unrolled: 1-line block ×4, first 2 shown]
	v_ashrrev_i32_e32 v153, 24, v153
	v_bfe_i32 v174, v154, 0, 8
	v_bfe_i32 v176, v154, 16, 8
	v_ashrrev_i32_e32 v154, 24, v154
	v_bfe_i32 v179, v155, 16, 8
	v_bfe_i32 v177, v155, 0, 8
	;; [unrolled: 1-line block ×3, first 2 shown]
	v_ashrrev_i32_e32 v155, 24, v155
	s_waitcnt vmcnt(1)
	ds_load_b128 v[0:3], v0 offset:6160
	s_waitcnt lgkmcnt(0)
	v_bfe_i32 v114, v0, 0, 8
	v_bfe_i32 v116, v0, 8, 8
	;; [unrolled: 1-line block ×4, first 2 shown]
	v_ashrrev_i32_e32 v118, 24, v0
	v_bfe_i32 v120, v1, 8, 8
	v_bfe_i32 v121, v1, 16, 8
	v_ashrrev_i32_e32 v122, 24, v1
	v_bfe_i32 v123, v2, 0, 8
	v_bfe_i32 v124, v2, 8, 8
	;; [unrolled: 1-line block ×3, first 2 shown]
	v_ashrrev_i32_e32 v126, 24, v2
	v_bfe_i32 v127, v3, 0, 8
	v_bfe_i32 v128, v3, 8, 8
	scratch_load_b32 v0, off, off offset:208 ; 4-byte Folded Reload
	v_bfe_i32 v129, v3, 16, 8
	v_ashrrev_i32_e32 v130, 24, v3
	s_waitcnt vmcnt(1)
	v_mul_i32_i24_e32 v180, v4, v7
	scratch_load_b32 v7, off, off offset:272 ; 4-byte Folded Reload
	s_waitcnt vmcnt(1)
	ds_load_2addr_b64 v[0:3], v0 offset0:96 offset1:112
	s_waitcnt vmcnt(0)
	v_mul_i32_i24_e32 v181, v51, v7
	scratch_load_b32 v7, off, off offset:384 ; 4-byte Folded Reload
	s_waitcnt vmcnt(0)
	v_mul_i32_i24_e32 v182, v74, v7
	scratch_load_b32 v7, off, off offset:668 ; 4-byte Folded Reload
	s_waitcnt vmcnt(0)
	v_mad_i32_i24 v180, v44, v7, v180
	scratch_load_b32 v7, off, off offset:676 ; 4-byte Folded Reload
	v_add3_u32 v180, v180, v181, v182
	s_waitcnt vmcnt(0)
	v_mul_i32_i24_e32 v181, v75, v7
	scratch_load_b32 v7, off, off offset:672 ; 4-byte Folded Reload
	s_waitcnt vmcnt(0)
	v_mul_i32_i24_e32 v182, v76, v7
	scratch_load_b32 v7, off, off offset:312 ; 4-byte Folded Reload
	v_add3_u32 v180, v180, v181, v182
	s_waitcnt vmcnt(0)
	v_mul_i32_i24_e32 v183, v77, v7
	scratch_load_b32 v7, off, off offset:316 ; 4-byte Folded Reload
	s_waitcnt vmcnt(0)
	v_mul_i32_i24_e32 v184, v80, v7
	;; [unrolled: 7-line block ×5, first 2 shown]
	scratch_load_b32 v7, off, off offset:692 ; 4-byte Folded Reload
	v_add3_u32 v180, v180, v181, v182
	v_mul_i32_i24_e32 v181, v114, v31
	v_mul_i32_i24_e32 v182, v116, v33
	s_waitcnt vmcnt(0)
	v_mul_i32_i24_e32 v183, v111, v7
	scratch_load_b32 v7, off, off offset:696 ; 4-byte Folded Reload
	s_waitcnt vmcnt(0)
	v_mul_i32_i24_e32 v184, v112, v7
	scratch_load_b32 v7, off, off offset:700 ; 4-byte Folded Reload
	v_add3_u32 v180, v180, v183, v184
	v_mul_i32_i24_e32 v183, v117, v34
	v_mul_i32_i24_e32 v184, v118, v39
	s_delay_alu instid0(VALU_DEP_3) | instskip(SKIP_1) | instid1(VALU_DEP_2)
	v_add3_u32 v180, v180, v181, v182
	v_mul_i32_i24_e32 v182, v120, v40
	v_add3_u32 v180, v180, v183, v184
	v_mul_i32_i24_e32 v183, v121, v56
	v_mul_i32_i24_e32 v184, v122, v136
	s_waitcnt vmcnt(0)
	v_mul_i32_i24_e32 v181, v119, v7
	scratch_load_b32 v7, off, off offset:704 ; 4-byte Folded Reload
	v_add3_u32 v180, v180, v181, v182
	v_mul_i32_i24_e32 v181, v123, v139
	v_mul_i32_i24_e32 v182, v124, v9
	s_delay_alu instid0(VALU_DEP_3) | instskip(SKIP_3) | instid1(VALU_DEP_4)
	v_add3_u32 v180, v180, v183, v184
	v_mul_i32_i24_e32 v183, v125, v10
	v_mul_i32_i24_e32 v184, v126, v11
	v_dual_mov_b32 v11, v12 :: v_dual_mov_b32 v12, v17
	v_add3_u32 v180, v180, v181, v182
	scratch_load_b32 v17, off, off offset:228 ; 4-byte Folded Reload
	v_mul_i32_i24_e32 v181, v127, v11
	v_mul_i32_i24_e32 v182, v128, v12
	v_add3_u32 v180, v180, v183, v184
	v_mul_i32_i24_e32 v183, v129, v15
	v_mul_i32_i24_e32 v184, v130, v16
	s_delay_alu instid0(VALU_DEP_3) | instskip(NEXT) | instid1(VALU_DEP_1)
	v_add3_u32 v180, v180, v181, v182
	v_add3_u32 v180, v180, v183, v184
	v_mul_i32_i24_e32 v184, v134, v18
	s_waitcnt vmcnt(1)
	s_delay_alu instid0(VALU_DEP_2) | instskip(SKIP_3) | instid1(VALU_DEP_1)
	v_mul_lo_u32 v180, v180, v7
	scratch_load_b32 v7, off, off offset:376 ; 4-byte Folded Reload
	v_cvt_f32_i32_e32 v180, v180
	s_waitcnt lgkmcnt(0)
	v_fma_mix_f32 v180, v0, v180, 0 op_sel_hi:[1,0,0]
	s_waitcnt vmcnt(1)
	v_mul_i32_i24_e32 v182, v131, v17
	s_waitcnt vmcnt(0)
	v_fma_mix_f32 v181, v7, v0, 0 op_sel:[0,1,0] op_sel_hi:[0,1,0]
	scratch_load_b32 v7, off, off offset:708 ; 4-byte Folded Reload
	s_waitcnt vmcnt(0)
	v_mul_i32_i24_e32 v183, v133, v7
	scratch_load_b32 v7, off, off offset:712 ; 4-byte Folded Reload
	s_waitcnt vmcnt(0)
	v_mad_i32_i24 v182, v132, v7, v182
	scratch_load_b32 v7, off, off offset:904 ; 4-byte Folded Reload
	v_add3_u32 v182, v182, v183, v184
	s_waitcnt vmcnt(0)
	v_mul_i32_i24_e32 v183, v156, v7
	scratch_load_b32 v7, off, off offset:716 ; 4-byte Folded Reload
	s_waitcnt vmcnt(0)
	v_mul_i32_i24_e32 v184, v157, v7
	scratch_load_b32 v7, off, off offset:396 ; 4-byte Folded Reload
	v_add3_u32 v182, v182, v183, v184
	v_mul_i32_i24_e32 v183, v160, v141
	v_mul_i32_i24_e32 v184, v161, v23
	s_waitcnt vmcnt(0)
	v_mul_i32_i24_e32 v185, v158, v7
	scratch_load_b32 v7, off, off offset:400 ; 4-byte Folded Reload
	s_waitcnt vmcnt(0)
	v_mul_i32_i24_e32 v186, v159, v7
	scratch_load_b32 v7, off, off offset:416 ; 4-byte Folded Reload
	v_add3_u32 v182, v182, v185, v186
	v_mul_i32_i24_e32 v185, v162, v20
	v_mul_i32_i24_e32 v186, v163, v22
	s_clause 0x1
	scratch_load_b32 v20, off, off offset:608
	scratch_load_b32 v22, off, off offset:1088
	v_add3_u32 v182, v182, v183, v184
	s_delay_alu instid0(VALU_DEP_1)
	v_add3_u32 v182, v182, v185, v186
	s_waitcnt vmcnt(2)
	v_mul_i32_i24_e32 v183, v164, v7
	scratch_load_b32 v7, off, off offset:420 ; 4-byte Folded Reload
	s_waitcnt vmcnt(0)
	v_mul_i32_i24_e32 v184, v165, v7
	scratch_load_b32 v7, off, off offset:424 ; 4-byte Folded Reload
	v_add3_u32 v182, v182, v183, v184
	s_waitcnt vmcnt(0)
	v_mul_i32_i24_e32 v185, v166, v7
	scratch_load_b32 v7, off, off offset:728 ; 4-byte Folded Reload
	s_waitcnt vmcnt(0)
	v_mul_i32_i24_e32 v186, v167, v7
	scratch_load_b32 v7, off, off offset:732 ; 4-byte Folded Reload
	;; [unrolled: 7-line block ×3, first 2 shown]
	v_add3_u32 v182, v182, v183, v184
	v_mul_i32_i24_e32 v184, v172, v25
	s_waitcnt vmcnt(0)
	v_mul_i32_i24_e32 v185, v170, v7
	scratch_load_b32 v7, off, off offset:428 ; 4-byte Folded Reload
	s_waitcnt vmcnt(0)
	v_mul_i32_i24_e32 v186, v152, v7
	scratch_load_b32 v7, off, off offset:432 ; 4-byte Folded Reload
	v_add3_u32 v182, v182, v185, v186
	v_mul_i32_i24_e32 v185, v173, v26
	v_mul_i32_i24_e32 v186, v153, v27
	s_waitcnt vmcnt(0)
	v_mul_i32_i24_e32 v183, v171, v7
	scratch_load_b32 v7, off, off offset:436 ; 4-byte Folded Reload
	v_add3_u32 v182, v182, v183, v184
	v_mul_i32_i24_e32 v183, v174, v28
	s_delay_alu instid0(VALU_DEP_2)
	v_add3_u32 v182, v182, v185, v186
	v_mul_i32_i24_e32 v185, v176, v29
	v_mul_i32_i24_e32 v186, v154, v32
	s_waitcnt vmcnt(0)
	v_mul_i32_i24_e32 v184, v175, v7
	scratch_load_b32 v7, off, off offset:720 ; 4-byte Folded Reload
	v_add3_u32 v182, v182, v183, v184
	v_mul_i32_i24_e32 v183, v177, v20
	v_mul_i32_i24_e32 v184, v178, v21
	s_delay_alu instid0(VALU_DEP_3) | instskip(NEXT) | instid1(VALU_DEP_1)
	v_add3_u32 v182, v182, v185, v186
	v_add3_u32 v182, v182, v183, v184
	v_mul_i32_i24_e32 v183, v77, v238
	v_mov_b32_e32 v238, v253
	s_waitcnt vmcnt(0)
	v_mul_i32_i24_e32 v185, v179, v7
	scratch_load_b32 v7, off, off offset:988 ; 4-byte Folded Reload
	s_waitcnt vmcnt(0)
	v_mul_i32_i24_e32 v186, v155, v7
	scratch_load_b32 v7, off, off offset:724 ; 4-byte Folded Reload
	v_add3_u32 v182, v182, v185, v186
	s_waitcnt vmcnt(0)
	s_delay_alu instid0(VALU_DEP_1) | instskip(SKIP_2) | instid1(VALU_DEP_1)
	v_mul_lo_u32 v182, v182, v7
	scratch_load_b32 v7, off, off offset:412 ; 4-byte Folded Reload
	v_cvt_f32_i32_e32 v182, v182
	v_fma_mix_f32 v180, v1, v182, v180 op_sel_hi:[1,0,0]
	v_mul_i32_i24_e32 v182, v74, v19
	s_waitcnt vmcnt(0)
	v_fma_mix_f32 v181, v7, v1, v181 op_sel:[0,1,0] op_sel_hi:[0,1,0]
	scratch_load_b32 v7, off, off offset:1172 ; 4-byte Folded Reload
	v_mul_f32_e32 v181, v181, v22
	s_delay_alu instid0(VALU_DEP_1) | instskip(SKIP_2) | instid1(VALU_DEP_2)
	v_fma_f32 v180, v180, v140, -v181
	v_mul_i32_i24_e32 v181, v51, v78
	s_waitcnt vmcnt(0)
	v_add_f32_e32 v7, v7, v180
	v_mul_i32_i24_e32 v180, v4, v79
	scratch_store_b32 off, v7, off offset:1172 ; 4-byte Folded Spill
	scratch_load_b32 v7, off, off offset:276 ; 4-byte Folded Reload
	s_waitcnt vmcnt(0)
	v_mad_i32_i24 v180, v44, v7, v180
	scratch_load_b32 v7, off, off offset:300 ; 4-byte Folded Reload
	v_add3_u32 v180, v180, v181, v182
	v_mul_i32_i24_e32 v182, v76, v53
	s_waitcnt vmcnt(0)
	v_mul_i32_i24_e32 v181, v75, v7
	scratch_load_b32 v7, off, off offset:336 ; 4-byte Folded Reload
	v_add3_u32 v180, v180, v181, v182
	s_waitcnt vmcnt(0)
	v_mul_i32_i24_e32 v184, v80, v7
	scratch_load_b32 v7, off, off offset:112 ; 4-byte Folded Reload
	v_add3_u32 v180, v180, v183, v184
	s_waitcnt vmcnt(0)
	v_mul_i32_i24_e32 v181, v81, v7
	scratch_load_b32 v7, off, off offset:136 ; 4-byte Folded Reload
	s_waitcnt vmcnt(0)
	v_mul_i32_i24_e32 v182, v82, v7
	scratch_load_b32 v7, off, off offset:152 ; 4-byte Folded Reload
	v_add3_u32 v180, v180, v181, v182
	v_mul_i32_i24_e32 v182, v110, v253
	scratch_load_b32 v253, off, off offset:1204 ; 4-byte Folded Reload
	s_waitcnt vmcnt(1)
	v_mul_i32_i24_e32 v183, v83, v7
	scratch_load_b32 v7, off, off offset:124 ; 4-byte Folded Reload
	s_waitcnt vmcnt(0)
	v_mul_i32_i24_e32 v184, v108, v7
	scratch_load_b32 v7, off, off offset:116 ; 4-byte Folded Reload
	v_add3_u32 v180, v180, v183, v184
	v_mul_i32_i24_e32 v183, v111, v64
	s_waitcnt vmcnt(0)
	v_mul_i32_i24_e32 v181, v109, v7
	scratch_load_b32 v7, off, off offset:144 ; 4-byte Folded Reload
	v_add3_u32 v180, v180, v181, v182
	v_mul_i32_i24_e32 v181, v114, v67
	;; [unrolled: 5-line block ×4, first 2 shown]
	v_mul_i32_i24_e32 v182, v120, v72
	s_waitcnt vmcnt(0)
	v_mul_i32_i24_e32 v183, v117, v7
	scratch_load_b32 v7, off, off offset:16 ; 4-byte Folded Reload
	v_add3_u32 v180, v180, v183, v184
	v_mul_i32_i24_e32 v184, v122, v54
	s_delay_alu instid0(VALU_DEP_2)
	v_add3_u32 v180, v180, v181, v182
	v_mul_i32_i24_e32 v181, v123, v55
	v_mul_i32_i24_e32 v182, v124, v84
	s_waitcnt vmcnt(0)
	v_mul_i32_i24_e32 v183, v121, v7
	scratch_load_b32 v7, off, off offset:128 ; 4-byte Folded Reload
	v_add3_u32 v180, v180, v183, v184
	v_mul_i32_i24_e32 v183, v125, v85
	v_mul_i32_i24_e32 v184, v126, v87
	s_delay_alu instid0(VALU_DEP_3) | instskip(NEXT) | instid1(VALU_DEP_1)
	v_add3_u32 v180, v180, v181, v182
	v_add3_u32 v180, v180, v183, v184
	v_mul_i32_i24_e32 v183, v129, v46
	s_waitcnt vmcnt(0)
	v_mul_i32_i24_e32 v181, v127, v7
	scratch_load_b32 v7, off, off offset:132 ; 4-byte Folded Reload
	s_waitcnt vmcnt(0)
	v_mul_i32_i24_e32 v182, v128, v7
	scratch_load_b32 v7, off, off offset:368 ; 4-byte Folded Reload
	v_add3_u32 v180, v180, v181, v182
	s_waitcnt vmcnt(0)
	v_mul_i32_i24_e32 v184, v130, v7
	scratch_load_b32 v7, off, off offset:344 ; 4-byte Folded Reload
	v_add3_u32 v180, v180, v183, v184
	s_waitcnt vmcnt(0)
	s_delay_alu instid0(VALU_DEP_1) | instskip(SKIP_2) | instid1(VALU_DEP_1)
	v_mul_lo_u32 v180, v180, v7
	scratch_load_b32 v7, off, off offset:148 ; 4-byte Folded Reload
	v_cvt_f32_i32_e32 v180, v180
	v_fma_mix_f32 v180, v0, v180, 0 op_sel_hi:[1,0,0]
	s_waitcnt vmcnt(0)
	v_fma_mix_f32 v181, v7, v0, 0 op_sel:[0,1,0] op_sel_hi:[0,1,0]
	scratch_load_b32 v7, off, off offset:8  ; 4-byte Folded Reload
	s_waitcnt vmcnt(0)
	v_mul_i32_i24_e32 v182, v131, v7
	scratch_load_b32 v7, off, off offset:308 ; 4-byte Folded Reload
	s_waitcnt vmcnt(0)
	v_mul_i32_i24_e32 v183, v133, v7
	scratch_load_b32 v7, off, off offset:120 ; 4-byte Folded Reload
	;; [unrolled: 3-line block ×3, first 2 shown]
	s_waitcnt vmcnt(0)
	v_mad_i32_i24 v182, v132, v7, v182
	scratch_load_b32 v7, off, off offset:108 ; 4-byte Folded Reload
	v_add3_u32 v182, v182, v183, v184
	s_waitcnt vmcnt(0)
	v_mul_i32_i24_e32 v183, v156, v7
	scratch_load_b32 v7, off, off offset:340 ; 4-byte Folded Reload
	s_waitcnt vmcnt(0)
	v_mul_i32_i24_e32 v184, v157, v7
	scratch_load_b32 v7, off, off offset:360 ; 4-byte Folded Reload
	v_add3_u32 v182, v182, v183, v184
	s_waitcnt vmcnt(0)
	v_mul_i32_i24_e32 v185, v158, v7
	scratch_load_b32 v7, off, off offset:348 ; 4-byte Folded Reload
	s_waitcnt vmcnt(0)
	v_mul_i32_i24_e32 v186, v159, v7
	;; [unrolled: 7-line block ×13, first 2 shown]
	scratch_load_b32 v7, off, off offset:168 ; 4-byte Folded Reload
	v_add3_u32 v182, v182, v183, v184
	v_mul_i32_i24_e32 v183, v77, v219
	v_mul_i32_i24_e32 v184, v80, v47
	v_mov_b32_e32 v47, v41
	s_waitcnt vmcnt(0)
	v_mul_i32_i24_e32 v185, v179, v7
	scratch_load_b32 v7, off, off offset:172 ; 4-byte Folded Reload
	s_waitcnt vmcnt(0)
	v_mul_i32_i24_e32 v186, v155, v7
	scratch_load_b32 v7, off, off offset:404 ; 4-byte Folded Reload
	v_add3_u32 v182, v182, v185, v186
	v_mul_i32_i24_e32 v185, v158, v113
	v_mul_i32_i24_e32 v186, v159, v41
	v_mov_b32_e32 v41, v8
	s_waitcnt vmcnt(0)
	v_mul_lo_u32 v182, v182, v7
	scratch_load_b32 v7, off, off offset:20 ; 4-byte Folded Reload
	v_cvt_f32_i32_e32 v182, v182
	s_delay_alu instid0(VALU_DEP_1)
	v_fma_mix_f32 v180, v1, v182, v180 op_sel_hi:[1,0,0]
	v_mul_i32_i24_e32 v182, v74, v225
	v_mul_i32_i24_e32 v74, v74, v234
	s_waitcnt vmcnt(0)
	v_fma_mix_f32 v181, v7, v1, v181 op_sel:[0,1,0] op_sel_hi:[0,1,0]
	scratch_load_b32 v7, off, off offset:1168 ; 4-byte Folded Reload
	v_mul_f32_e32 v181, v181, v214
	s_delay_alu instid0(VALU_DEP_1) | instskip(SKIP_3) | instid1(VALU_DEP_3)
	v_fma_f32 v180, v180, v135, -v181
	v_mul_i32_i24_e32 v181, v51, v226
	v_mul_i32_i24_e32 v51, v51, v217
	s_waitcnt vmcnt(0)
	v_dual_mov_b32 v226, v221 :: v_dual_add_f32 v7, v7, v180
	v_mul_i32_i24_e32 v180, v4, v227
	v_mul_i32_i24_e32 v4, v4, v59
	v_mov_b32_e32 v227, v73
	scratch_store_b32 off, v7, off offset:1168 ; 4-byte Folded Spill
	scratch_load_b32 v7, off, off offset:184 ; 4-byte Folded Reload
	v_mad_i32_i24 v180, v44, v221, v180
	v_mad_i32_i24 v4, v44, v211, v4
	v_mul_i32_i24_e32 v44, v75, v98
	v_mov_b32_e32 v221, v43
	s_delay_alu instid0(VALU_DEP_4)
	v_add3_u32 v180, v180, v181, v182
	v_mul_i32_i24_e32 v181, v75, v37
	v_mul_i32_i24_e32 v182, v76, v73
	;; [unrolled: 1-line block ×3, first 2 shown]
	scratch_load_b32 v80, off, off offset:1192 ; 4-byte Folded Reload
	v_add3_u32 v4, v4, v51, v74
	v_mul_i32_i24_e32 v51, v76, v36
	v_add3_u32 v180, v180, v181, v182
	v_mul_i32_i24_e32 v181, v81, v50
	v_mul_i32_i24_e32 v182, v82, v38
	v_mul_i32_i24_e32 v74, v77, v66
	v_add3_u32 v4, v4, v44, v51
	v_add3_u32 v180, v180, v183, v184
	v_mul_i32_i24_e32 v183, v83, v58
	v_mul_i32_i24_e32 v184, v108, v250
	v_mul_i32_i24_e32 v44, v81, v35
	v_add3_u32 v4, v4, v74, v75
	v_add3_u32 v180, v180, v181, v182
	v_mul_i32_i24_e32 v181, v109, v249
	v_mul_i32_i24_e32 v182, v110, v99
	v_mul_i32_i24_e32 v51, v82, v68
	v_mul_i32_i24_e32 v74, v83, v69
	v_add3_u32 v180, v180, v183, v184
	v_mul_i32_i24_e32 v183, v111, v254
	v_mul_i32_i24_e32 v184, v112, v100
	v_mul_i32_i24_e32 v75, v108, v48
	v_add3_u32 v4, v4, v44, v51
	v_add3_u32 v180, v180, v181, v182
	v_mul_i32_i24_e32 v181, v114, v237
	v_mul_i32_i24_e32 v182, v116, v220
	v_mul_i32_i24_e32 v44, v109, v45
	v_add3_u32 v4, v4, v74, v75
	v_add3_u32 v180, v180, v183, v184
	v_mul_i32_i24_e32 v183, v117, v241
	v_mul_i32_i24_e32 v184, v118, v144
	v_mul_i32_i24_e32 v51, v110, v101
	;; [unrolled: 15-line block ×4, first 2 shown]
	v_mul_i32_i24_e32 v74, v121, v92
	v_add3_u32 v180, v180, v181, v182
	v_mul_i32_i24_e32 v182, v131, v246
	v_mul_i32_i24_e32 v75, v122, v93
	v_add3_u32 v4, v4, v44, v51
	v_mul_i32_i24_e32 v44, v123, v94
	v_add3_u32 v180, v180, v183, v184
	v_mul_i32_i24_e32 v183, v133, v247
	v_mul_i32_i24_e32 v184, v134, v138
	v_mad_i32_i24 v182, v132, v216, v182
	v_add3_u32 v4, v4, v74, v75
	v_mul_i32_i24_e32 v51, v124, v95
	v_mul_i32_i24_e32 v74, v125, v96
	;; [unrolled: 1-line block ×3, first 2 shown]
	v_add3_u32 v182, v182, v183, v184
	v_mul_i32_i24_e32 v183, v156, v115
	v_mul_i32_i24_e32 v184, v157, v106
	v_add3_u32 v4, v4, v44, v51
	v_mul_i32_i24_e32 v44, v127, v24
	v_mov_b32_e32 v118, v198
	v_mul_i32_i24_e32 v51, v128, v233
	v_add3_u32 v182, v182, v183, v184
	v_mul_i32_i24_e32 v183, v160, v57
	v_mul_i32_i24_e32 v184, v161, v107
	v_add3_u32 v4, v4, v74, v75
	v_mul_i32_i24_e32 v74, v129, v232
	v_add3_u32 v182, v182, v185, v186
	v_mul_i32_i24_e32 v185, v162, v143
	v_mul_i32_i24_e32 v186, v163, v43
	v_add3_u32 v4, v4, v44, v51
	v_mov_b32_e32 v128, v207
	v_add3_u32 v182, v182, v183, v184
	v_mul_i32_i24_e32 v183, v164, v60
	v_mul_i32_i24_e32 v184, v165, v61
	;; [unrolled: 1-line block ×3, first 2 shown]
	v_mov_b32_e32 v114, v195
	v_add3_u32 v182, v182, v185, v186
	v_mul_i32_i24_e32 v185, v166, v62
	v_mul_i32_i24_e32 v186, v167, v212
	;; [unrolled: 1-line block ×3, first 2 shown]
	v_add3_u32 v4, v4, v74, v75
	v_add3_u32 v182, v182, v183, v184
	v_mul_i32_i24_e32 v183, v168, v102
	v_mul_i32_i24_e32 v51, v133, v6
	v_mul_i32_i24_e32 v74, v134, v8
	v_mad_i32_i24 v44, v132, v218, v44
	v_add3_u32 v182, v182, v185, v186
	v_mov_b32_e32 v112, v194
	v_mul_lo_u32 v180, v180, v151
	v_mul_lo_u32 v4, v4, v230
	v_add3_u32 v44, v44, v51, v74
	v_mul_i32_i24_e32 v51, v156, v228
	v_mul_i32_i24_e32 v74, v157, v103
	v_mul_i32_i24_e32 v75, v158, v104
	v_mov_b32_e32 v116, v196
	v_mul_i32_i24_e32 v76, v159, v105
	v_cvt_f32_i32_e32 v180, v180
	v_add3_u32 v44, v44, v51, v74
	v_cvt_f32_i32_e32 v4, v4
	v_mul_i32_i24_e32 v74, v161, v210
	v_mov_b32_e32 v108, v190
	v_mul_i32_i24_e32 v51, v160, v209
	v_add3_u32 v44, v44, v75, v76
	v_fma_mix_f32 v180, v0, v180, 0 op_sel_hi:[1,0,0]
	v_fma_mix_f32 v181, v215, v0, 0 op_sel:[0,1,0] op_sel_hi:[0,1,0]
	v_fma_mix_f32 v4, v0, v4, 0 op_sel_hi:[1,0,0]
	v_mul_i32_i24_e32 v75, v162, v52
	v_add3_u32 v44, v44, v51, v74
	v_mov_b32_e32 v120, v200
	v_fma_mix_f32 v0, v231, v0, 0 op_sel:[0,1,0] op_sel_hi:[0,1,0]
	v_mov_b32_e32 v110, v192
	v_mul_i32_i24_e32 v76, v163, v63
	v_mul_i32_i24_e32 v74, v165, v206
	v_mov_b32_e32 v134, v188
	v_mul_i32_i24_e32 v51, v164, v205
	v_fma_mix_f32 v0, v187, v1, v0 op_sel:[0,1,0] op_sel_hi:[0,1,0]
	v_add3_u32 v44, v44, v75, v76
	v_mul_i32_i24_e32 v76, v167, v208
	v_mov_b32_e32 v50, v6
	scratch_load_b32 v6, off, off offset:272 ; 4-byte Folded Reload
	v_mul_f32_e32 v0, v0, v13
	v_mul_i32_i24_e32 v75, v166, v207
	v_add3_u32 v44, v44, v51, v74
	v_mul_i32_i24_e32 v51, v168, v201
	v_mul_i32_i24_e32 v74, v169, v202
	v_dual_mov_b32 v130, v209 :: v_dual_mov_b32 v129, v208
	s_delay_alu instid0(VALU_DEP_4)
	v_add3_u32 v44, v44, v75, v76
	v_mul_i32_i24_e32 v75, v170, v203
	v_mul_i32_i24_e32 v76, v152, v204
	v_mov_b32_e32 v82, v5
	scratch_load_b32 v5, off, off offset:384 ; 4-byte Folded Reload
	v_add3_u32 v44, v44, v51, v74
	v_mul_i32_i24_e32 v51, v171, v197
	v_mul_i32_i24_e32 v74, v172, v198
	v_mov_b32_e32 v131, v210
	v_mov_b32_e32 v133, v187
	v_add3_u32 v44, v44, v75, v76
	v_mul_i32_i24_e32 v75, v173, v199
	v_mul_i32_i24_e32 v76, v153, v200
	v_dual_mov_b32 v83, v189 :: v_dual_mov_b32 v122, v202
	s_delay_alu instid0(VALU_DEP_4) | instskip(SKIP_3) | instid1(VALU_DEP_4)
	v_add3_u32 v44, v44, v51, v74
	v_mul_i32_i24_e32 v51, v174, v193
	v_mul_i32_i24_e32 v74, v175, v194
	v_dual_mov_b32 v123, v203 :: v_dual_mov_b32 v124, v204
	v_add3_u32 v44, v44, v75, v76
	v_mul_i32_i24_e32 v75, v176, v195
	v_mul_i32_i24_e32 v76, v154, v196
	v_mov_b32_e32 v119, v199
	v_mov_b32_e32 v125, v205
	v_add3_u32 v44, v44, v51, v74
	v_mul_i32_i24_e32 v51, v177, v189
	v_mul_i32_i24_e32 v74, v178, v190
	v_mov_b32_e32 v127, v206
	v_mov_b32_e32 v121, v201
	;; [unrolled: 5-line block ×3, first 2 shown]
	v_add3_u32 v44, v44, v51, v74
	v_dual_mov_b32 v109, v191 :: v_dual_mov_b32 v38, v65
	v_mov_b32_e32 v81, v137
	v_mov_b32_e32 v137, v30
	s_delay_alu instid0(VALU_DEP_4) | instskip(NEXT) | instid1(VALU_DEP_1)
	v_add3_u32 v44, v44, v75, v76
	v_mul_lo_u32 v44, v44, v188
	s_delay_alu instid0(VALU_DEP_1) | instskip(NEXT) | instid1(VALU_DEP_1)
	v_cvt_f32_i32_e32 v44, v44
	v_fma_mix_f32 v4, v1, v44, v4 op_sel_hi:[1,0,0]
	s_delay_alu instid0(VALU_DEP_1)
	v_fma_f32 v0, v4, v14, -v0
	scratch_load_b32 v4, off, off offset:380 ; 4-byte Folded Reload
	s_waitcnt vmcnt(4)
	v_mul_i32_i24_e32 v184, v169, v7
	scratch_load_b32 v7, off, off offset:28 ; 4-byte Folded Reload
	v_add3_u32 v182, v182, v183, v184
	s_waitcnt vmcnt(4)
	v_add_f32_e32 v80, v80, v0
	scratch_load_b32 v0, off, off           ; 4-byte Folded Reload
	v_dual_mov_b32 v132, v13 :: v_dual_mov_b32 v13, v14
	s_waitcnt vmcnt(1)
	v_mul_i32_i24_e32 v185, v170, v7
	scratch_load_b32 v7, off, off offset:188 ; 4-byte Folded Reload
	s_waitcnt vmcnt(0)
	v_mul_i32_i24_e32 v186, v152, v7
	scratch_load_b32 v7, off, off offset:192 ; 4-byte Folded Reload
	v_add3_u32 v182, v182, v185, v186
	s_waitcnt vmcnt(0)
	v_mul_i32_i24_e32 v183, v171, v7
	scratch_load_b32 v7, off, off offset:24 ; 4-byte Folded Reload
	s_waitcnt vmcnt(0)
	v_mul_i32_i24_e32 v184, v172, v7
	scratch_load_b32 v7, off, off offset:200 ; 4-byte Folded Reload
	v_add3_u32 v182, v182, v183, v184
	v_mul_i32_i24_e32 v184, v175, v239
	s_waitcnt vmcnt(0)
	v_mul_i32_i24_e32 v185, v173, v7
	scratch_load_b32 v7, off, off offset:440 ; 4-byte Folded Reload
	s_waitcnt vmcnt(0)
	v_mul_i32_i24_e32 v186, v153, v7
	scratch_load_b32 v7, off, off offset:204 ; 4-byte Folded Reload
	v_add3_u32 v182, v182, v185, v186
	v_mul_i32_i24_e32 v185, v176, v243
	v_mul_i32_i24_e32 v186, v154, v244
	s_waitcnt vmcnt(0)
	v_mul_i32_i24_e32 v183, v174, v7
	scratch_load_b32 v7, off, off offset:196 ; 4-byte Folded Reload
	v_add3_u32 v182, v182, v183, v184
	v_mul_i32_i24_e32 v183, v177, v245
	v_mul_i32_i24_e32 v184, v178, v248
	s_delay_alu instid0(VALU_DEP_3)
	v_add3_u32 v182, v182, v185, v186
	v_mul_i32_i24_e32 v186, v155, v255
	ds_load_b128 v[152:155], v0 offset:7168
	v_mul_i32_i24_e32 v185, v179, v251
	scratch_load_b32 v0, off, off           ; 4-byte Folded Reload
	v_add3_u32 v182, v182, v183, v184
	s_delay_alu instid0(VALU_DEP_1)
	v_add3_u32 v182, v182, v185, v186
	s_waitcnt lgkmcnt(0)
	v_bfe_i32 v209, v152, 16, 8
	v_bfe_i32 v208, v152, 0, 8
	;; [unrolled: 1-line block ×3, first 2 shown]
	v_ashrrev_i32_e32 v210, 24, v152
	v_bfe_i32 v187, v153, 0, 8
	v_mul_i32_i24_e32 v74, v209, v6
	scratch_load_b32 v6, off, off offset:668 ; 4-byte Folded Reload
	v_mul_i32_i24_e32 v4, v208, v4
	v_mul_i32_i24_e32 v75, v210, v5
	scratch_load_b32 v5, off, off offset:680 ; 4-byte Folded Reload
	v_bfe_i32 v188, v153, 8, 8
	v_bfe_i32 v183, v154, 0, 8
	;; [unrolled: 1-line block ×4, first 2 shown]
	v_ashrrev_i32_e32 v190, 24, v153
	v_bfe_i32 v185, v154, 16, 8
	v_ashrrev_i32_e32 v186, 24, v154
	v_bfe_i32 v179, v155, 0, 8
	s_waitcnt vmcnt(3)
	v_mul_lo_u32 v182, v182, v7
	scratch_load_b32 v7, off, off offset:180 ; 4-byte Folded Reload
	v_cvt_f32_i32_e32 v182, v182
	s_delay_alu instid0(VALU_DEP_1)
	v_fma_mix_f32 v180, v1, v182, v180 op_sel_hi:[1,0,0]
	v_ashrrev_i32_e32 v182, 24, v155
	s_waitcnt vmcnt(2)
	v_mad_i32_i24 v4, v207, v6, v4
	scratch_load_b32 v6, off, off offset:676 ; 4-byte Folded Reload
	v_add3_u32 v4, v4, v74, v75
	s_waitcnt vmcnt(1)
	v_fma_mix_f32 v181, v7, v1, v181 op_sel:[0,1,0] op_sel_hi:[0,1,0]
	s_delay_alu instid0(VALU_DEP_1) | instskip(NEXT) | instid1(VALU_DEP_1)
	v_mul_f32_e32 v181, v181, v142
	v_fma_f32 v180, v180, v65, -v181
	v_bfe_i32 v181, v155, 16, 8
	v_mov_b32_e32 v65, v217
	v_mov_b32_e32 v217, v211
	s_delay_alu instid0(VALU_DEP_4)
	v_add_f32_e32 v253, v253, v180
	v_bfe_i32 v180, v155, 8, 8
	ds_load_b128 v[152:155], v0 offset:7184
	scratch_load_b32 v0, off, off           ; 4-byte Folded Reload
	s_waitcnt vmcnt(1)
	v_mul_i32_i24_e32 v74, v187, v6
	scratch_load_b32 v6, off, off offset:672 ; 4-byte Folded Reload
	s_waitcnt lgkmcnt(0)
	v_bfe_i32 v203, v152, 0, 8
	v_bfe_i32 v204, v152, 8, 8
	;; [unrolled: 1-line block ×4, first 2 shown]
	v_ashrrev_i32_e32 v206, 24, v152
	v_bfe_i32 v200, v153, 8, 8
	v_bfe_i32 v201, v153, 16, 8
	v_ashrrev_i32_e32 v202, 24, v153
	v_bfe_i32 v195, v154, 0, 8
	v_bfe_i32 v196, v154, 8, 8
	;; [unrolled: 1-line block ×3, first 2 shown]
	v_ashrrev_i32_e32 v198, 24, v154
	v_bfe_i32 v191, v155, 0, 8
	v_bfe_i32 v192, v155, 8, 8
	;; [unrolled: 1-line block ×3, first 2 shown]
	v_ashrrev_i32_e32 v194, 24, v155
	v_mul_i32_i24_e32 v7, v201, v56
	s_waitcnt vmcnt(1)
	ds_load_b128 v[152:155], v0 offset:7200
	scratch_load_b32 v0, off, off           ; 4-byte Folded Reload
	s_waitcnt vmcnt(1)
	v_mul_i32_i24_e32 v75, v188, v6
	scratch_load_b32 v6, off, off offset:312 ; 4-byte Folded Reload
	s_waitcnt lgkmcnt(0)
	v_bfe_i32 v176, v152, 0, 8
	v_bfe_i32 v175, v152, 8, 8
	v_bfe_i32 v177, v152, 16, 8
	v_add3_u32 v4, v4, v74, v75
	v_mul_i32_i24_e32 v74, v183, v5
	scratch_load_b32 v5, off, off offset:684 ; 4-byte Folded Reload
	v_ashrrev_i32_e32 v178, 24, v152
	v_bfe_i32 v171, v153, 0, 8
	v_bfe_i32 v172, v153, 8, 8
	v_bfe_i32 v173, v153, 16, 8
	v_ashrrev_i32_e32 v174, 24, v153
	v_bfe_i32 v167, v154, 0, 8
	v_bfe_i32 v168, v154, 8, 8
	v_bfe_i32 v169, v154, 16, 8
	;; [unrolled: 4-line block ×3, first 2 shown]
	v_ashrrev_i32_e32 v166, 24, v155
	v_mul_i32_i24_e32 v8, v176, v17
	s_waitcnt vmcnt(2)
	ds_load_b128 v[152:155], v0 offset:7216
	s_waitcnt vmcnt(1)
	v_mul_i32_i24_e32 v76, v189, v6
	scratch_load_b32 v6, off, off offset:316 ; 4-byte Folded Reload
	s_waitcnt lgkmcnt(0)
	v_bfe_i32 v159, v152, 0, 8
	v_bfe_i32 v160, v152, 8, 8
	;; [unrolled: 1-line block ×3, first 2 shown]
	v_ashrrev_i32_e32 v162, 24, v152
	s_waitcnt vmcnt(1)
	v_mul_i32_i24_e32 v75, v184, v5
	scratch_load_b32 v5, off, off offset:688 ; 4-byte Folded Reload
	v_bfe_i32 v211, v153, 0, 8
	v_bfe_i32 v156, v153, 8, 8
	;; [unrolled: 1-line block ×4, first 2 shown]
	v_ashrrev_i32_e32 v158, 24, v153
	v_bfe_i32 v51, v154, 0, 8
	v_bfe_i32 v153, v154, 16, 8
	v_ashrrev_i32_e32 v154, 24, v154
	v_bfe_i32 v152, v155, 16, 8
	v_ashrrev_i32_e32 v44, 24, v155
	v_bfe_i32 v0, v155, 0, 8
	v_bfe_i32 v1, v155, 8, 8
	s_waitcnt vmcnt(1)
	v_mul_i32_i24_e32 v77, v190, v6
	s_delay_alu instid0(VALU_DEP_1)
	v_add3_u32 v4, v4, v76, v77
	s_waitcnt vmcnt(0)
	v_mul_i32_i24_e32 v76, v185, v5
	scratch_load_b32 v5, off, off offset:328 ; 4-byte Folded Reload
	v_add3_u32 v4, v4, v74, v75
	s_waitcnt vmcnt(0)
	v_mul_i32_i24_e32 v77, v186, v5
	scratch_load_b32 v5, off, off offset:324 ; 4-byte Folded Reload
	;; [unrolled: 4-line block ×3, first 2 shown]
	s_waitcnt vmcnt(0)
	v_mul_i32_i24_e32 v75, v180, v5
	scratch_load_b32 v5, off, off offset:692 ; 4-byte Folded Reload
	v_add3_u32 v4, v4, v74, v75
	v_mul_i32_i24_e32 v74, v203, v31
	v_mul_i32_i24_e32 v75, v204, v33
	s_waitcnt vmcnt(0)
	v_mul_i32_i24_e32 v76, v181, v5
	scratch_load_b32 v5, off, off offset:696 ; 4-byte Folded Reload
	s_waitcnt vmcnt(0)
	v_mul_i32_i24_e32 v77, v182, v5
	scratch_load_b32 v5, off, off offset:700 ; 4-byte Folded Reload
	v_add3_u32 v4, v4, v76, v77
	v_mul_i32_i24_e32 v76, v205, v34
	v_mul_i32_i24_e32 v77, v206, v39
	s_delay_alu instid0(VALU_DEP_3) | instskip(SKIP_1) | instid1(VALU_DEP_2)
	v_add3_u32 v4, v4, v74, v75
	v_mul_i32_i24_e32 v75, v200, v40
	v_add3_u32 v4, v4, v76, v77
	v_mul_i32_i24_e32 v76, v202, v136
	s_waitcnt vmcnt(0)
	v_mul_i32_i24_e32 v74, v199, v5
	scratch_load_b32 v5, off, off offset:1040 ; 4-byte Folded Reload
	v_add3_u32 v4, v4, v74, v75
	v_mul_i32_i24_e32 v74, v196, v9
	v_mul_i32_i24_e32 v75, v197, v10
	s_delay_alu instid0(VALU_DEP_3) | instskip(SKIP_1) | instid1(VALU_DEP_1)
	v_add3_u32 v4, v4, v7, v76
	v_mul_i32_i24_e32 v7, v195, v139
	v_add3_u32 v4, v4, v7, v74
	v_mul_i32_i24_e32 v7, v191, v11
	v_mul_i32_i24_e32 v74, v192, v12
	;; [unrolled: 1-line block ×3, first 2 shown]
	s_waitcnt vmcnt(0)
	v_mul_i32_i24_e32 v76, v198, v5
	s_delay_alu instid0(VALU_DEP_1) | instskip(SKIP_2) | instid1(VALU_DEP_3)
	v_add3_u32 v4, v4, v75, v76
	v_mul_i32_i24_e32 v75, v193, v15
	v_mul_i32_i24_e32 v76, v194, v16
	v_add3_u32 v4, v4, v7, v74
	scratch_load_b32 v74, off, off offset:1200 ; 4-byte Folded Reload
	v_add3_u32 v4, v4, v75, v76
	s_clause 0x4
	scratch_load_b32 v75, off, off offset:1268
	scratch_load_b32 v5, off, off offset:704
	;; [unrolled: 1-line block ×5, first 2 shown]
	s_waitcnt vmcnt(3)
	v_mul_lo_u32 v4, v4, v5
	scratch_load_b32 v5, off, off offset:376 ; 4-byte Folded Reload
	s_waitcnt vmcnt(3)
	v_add_nc_u32_e32 v17, 32, v17
	v_cvt_f32_i32_e32 v4, v4
	s_delay_alu instid0(VALU_DEP_1)
	v_fma_mix_f32 v4, v2, v4, 0 op_sel_hi:[1,0,0]
	s_waitcnt vmcnt(0)
	v_fma_mix_f32 v7, v5, v2, 0 op_sel:[0,1,0] op_sel_hi:[0,1,0]
	scratch_load_b32 v5, off, off offset:708 ; 4-byte Folded Reload
	s_waitcnt vmcnt(0)
	v_mul_i32_i24_e32 v9, v177, v5
	scratch_load_b32 v5, off, off offset:712 ; 4-byte Folded Reload
	s_waitcnt vmcnt(0)
	v_mad_i32_i24 v8, v175, v5, v8
	scratch_load_b32 v5, off, off offset:904 ; 4-byte Folded Reload
	v_add3_u32 v8, v8, v9, v11
	s_waitcnt vmcnt(0)
	v_mul_i32_i24_e32 v9, v171, v5
	scratch_load_b32 v5, off, off offset:716 ; 4-byte Folded Reload
	s_waitcnt vmcnt(0)
	v_mul_i32_i24_e32 v10, v172, v5
	scratch_load_b32 v5, off, off offset:396 ; 4-byte Folded Reload
	v_add3_u32 v8, v8, v9, v10
	v_mul_i32_i24_e32 v9, v167, v141
	v_mul_i32_i24_e32 v10, v168, v23
	s_waitcnt vmcnt(0)
	v_mul_i32_i24_e32 v11, v173, v5
	scratch_load_b32 v5, off, off offset:400 ; 4-byte Folded Reload
	s_waitcnt vmcnt(0)
	v_mul_i32_i24_e32 v12, v174, v5
	scratch_load_b32 v5, off, off offset:416 ; 4-byte Folded Reload
	v_add3_u32 v8, v8, v11, v12
	v_mul_i32_i24_e32 v11, v169, v235
	v_mul_i32_i24_e32 v12, v170, v236
	s_delay_alu instid0(VALU_DEP_3) | instskip(NEXT) | instid1(VALU_DEP_1)
	v_add3_u32 v8, v8, v9, v10
	v_add3_u32 v8, v8, v11, v12
	s_waitcnt vmcnt(0)
	v_mul_i32_i24_e32 v9, v163, v5
	scratch_load_b32 v5, off, off offset:420 ; 4-byte Folded Reload
	s_waitcnt vmcnt(0)
	v_mul_i32_i24_e32 v10, v164, v5
	scratch_load_b32 v5, off, off offset:424 ; 4-byte Folded Reload
	v_add3_u32 v8, v8, v9, v10
	s_waitcnt vmcnt(0)
	v_mul_i32_i24_e32 v11, v165, v5
	scratch_load_b32 v5, off, off offset:728 ; 4-byte Folded Reload
	s_waitcnt vmcnt(0)
	v_mul_i32_i24_e32 v12, v166, v5
	scratch_load_b32 v5, off, off offset:732 ; 4-byte Folded Reload
	;; [unrolled: 7-line block ×3, first 2 shown]
	v_add3_u32 v8, v8, v9, v10
	v_mul_i32_i24_e32 v10, v156, v25
	s_waitcnt vmcnt(0)
	v_mul_i32_i24_e32 v11, v161, v5
	scratch_load_b32 v5, off, off offset:428 ; 4-byte Folded Reload
	s_waitcnt vmcnt(0)
	v_mul_i32_i24_e32 v12, v162, v5
	scratch_load_b32 v5, off, off offset:432 ; 4-byte Folded Reload
	v_add3_u32 v8, v8, v11, v12
	v_mul_i32_i24_e32 v11, v157, v26
	v_mul_i32_i24_e32 v12, v158, v27
	s_waitcnt vmcnt(0)
	v_mul_i32_i24_e32 v9, v211, v5
	s_clause 0x2
	scratch_load_b32 v33, off, off offset:1184
	scratch_load_b32 v5, off, off offset:436
	;; [unrolled: 1-line block ×3, first 2 shown]
	v_add3_u32 v8, v8, v9, v10
	v_mul_i32_i24_e32 v9, v51, v28
	s_delay_alu instid0(VALU_DEP_2)
	v_add3_u32 v8, v8, v11, v12
	v_mul_i32_i24_e32 v11, v153, v29
	v_mul_i32_i24_e32 v12, v154, v32
	s_waitcnt vmcnt(1)
	v_mul_i32_i24_e32 v10, v126, v5
	s_clause 0x1
	scratch_load_b32 v39, off, off offset:1260
	scratch_load_b32 v5, off, off offset:720
	v_add3_u32 v8, v8, v9, v10
	v_mul_i32_i24_e32 v9, v0, v20
	v_mul_i32_i24_e32 v10, v1, v21
	s_delay_alu instid0(VALU_DEP_3) | instskip(NEXT) | instid1(VALU_DEP_1)
	v_add3_u32 v8, v8, v11, v12
	v_add3_u32 v8, v8, v9, v10
	v_mul_i32_i24_e32 v9, v189, v42
	s_waitcnt vmcnt(0)
	v_mul_i32_i24_e32 v11, v152, v5
	s_clause 0x2
	scratch_load_b32 v40, off, off offset:1276
	scratch_load_b32 v5, off, off offset:988
	;; [unrolled: 1-line block ×3, first 2 shown]
	s_waitcnt vmcnt(1)
	v_mul_i32_i24_e32 v12, v44, v5
	scratch_load_b32 v5, off, off offset:724 ; 4-byte Folded Reload
	s_waitcnt vmcnt(1)
	v_add_nc_u32_e32 v18, 8, v18
	v_add3_u32 v8, v8, v11, v12
	s_waitcnt vmcnt(0)
	s_delay_alu instid0(VALU_DEP_1) | instskip(SKIP_2) | instid1(VALU_DEP_1)
	v_mul_lo_u32 v8, v8, v5
	scratch_load_b32 v5, off, off offset:412 ; 4-byte Folded Reload
	v_cvt_f32_i32_e32 v8, v8
	v_fma_mix_f32 v4, v3, v8, v4 op_sel_hi:[1,0,0]
	v_mul_i32_i24_e32 v8, v210, v19
	s_waitcnt vmcnt(0)
	v_fma_mix_f32 v7, v5, v3, v7 op_sel:[0,1,0] op_sel_hi:[0,1,0]
	scratch_load_b32 v5, off, off offset:276 ; 4-byte Folded Reload
	v_mul_f32_e32 v7, v7, v22
	s_delay_alu instid0(VALU_DEP_1) | instskip(SKIP_1) | instid1(VALU_DEP_2)
	v_fma_f32 v4, v4, v140, -v7
	v_mul_i32_i24_e32 v7, v209, v78
	v_add_f32_e32 v34, v34, v4
	v_mul_i32_i24_e32 v4, v208, v79
	s_waitcnt vmcnt(0)
	s_delay_alu instid0(VALU_DEP_1)
	v_mad_i32_i24 v4, v207, v5, v4
	scratch_load_b32 v5, off, off offset:300 ; 4-byte Folded Reload
	v_add3_u32 v4, v4, v7, v8
	v_mul_i32_i24_e32 v8, v188, v53
	s_waitcnt vmcnt(0)
	v_mul_i32_i24_e32 v7, v187, v5
	scratch_load_b32 v5, off, off offset:336 ; 4-byte Folded Reload
	v_add3_u32 v4, v4, v7, v8
	s_waitcnt vmcnt(0)
	v_mul_i32_i24_e32 v10, v190, v5
	scratch_load_b32 v5, off, off offset:112 ; 4-byte Folded Reload
	v_add3_u32 v4, v4, v9, v10
	s_waitcnt vmcnt(0)
	v_mul_i32_i24_e32 v7, v183, v5
	scratch_load_b32 v5, off, off offset:136 ; 4-byte Folded Reload
	s_waitcnt vmcnt(0)
	v_mul_i32_i24_e32 v8, v184, v5
	scratch_load_b32 v5, off, off offset:152 ; 4-byte Folded Reload
	v_add3_u32 v4, v4, v7, v8
	v_mul_i32_i24_e32 v8, v180, v238
	s_waitcnt vmcnt(0)
	v_mul_i32_i24_e32 v9, v185, v5
	scratch_load_b32 v5, off, off offset:124 ; 4-byte Folded Reload
	s_waitcnt vmcnt(0)
	v_mul_i32_i24_e32 v10, v186, v5
	scratch_load_b32 v5, off, off offset:116 ; 4-byte Folded Reload
	v_add3_u32 v4, v4, v9, v10
	v_mul_i32_i24_e32 v9, v181, v64
	s_waitcnt vmcnt(0)
	v_mul_i32_i24_e32 v7, v179, v5
	scratch_load_b32 v5, off, off offset:144 ; 4-byte Folded Reload
	v_add3_u32 v4, v4, v7, v8
	v_mul_i32_i24_e32 v7, v203, v67
	;; [unrolled: 5-line block ×4, first 2 shown]
	v_mul_i32_i24_e32 v8, v200, v72
	scratch_load_b32 v72, off, off offset:1196 ; 4-byte Folded Reload
	s_waitcnt vmcnt(1)
	v_mul_i32_i24_e32 v9, v205, v5
	scratch_load_b32 v5, off, off offset:16 ; 4-byte Folded Reload
	v_add3_u32 v4, v4, v9, v10
	v_mul_i32_i24_e32 v10, v202, v54
	s_delay_alu instid0(VALU_DEP_2)
	v_add3_u32 v4, v4, v7, v8
	v_mul_i32_i24_e32 v7, v195, v55
	v_mul_i32_i24_e32 v8, v196, v84
	s_waitcnt vmcnt(0)
	v_mul_i32_i24_e32 v9, v201, v5
	scratch_load_b32 v5, off, off offset:128 ; 4-byte Folded Reload
	v_add3_u32 v4, v4, v9, v10
	v_mul_i32_i24_e32 v9, v197, v85
	v_mul_i32_i24_e32 v10, v198, v87
	s_delay_alu instid0(VALU_DEP_3) | instskip(NEXT) | instid1(VALU_DEP_1)
	v_add3_u32 v4, v4, v7, v8
	v_add3_u32 v4, v4, v9, v10
	v_mul_i32_i24_e32 v9, v193, v46
	s_waitcnt vmcnt(0)
	v_mul_i32_i24_e32 v7, v191, v5
	scratch_load_b32 v5, off, off offset:132 ; 4-byte Folded Reload
	s_waitcnt vmcnt(0)
	v_mul_i32_i24_e32 v8, v192, v5
	scratch_load_b32 v5, off, off offset:368 ; 4-byte Folded Reload
	v_add3_u32 v4, v4, v7, v8
	s_waitcnt vmcnt(0)
	v_mul_i32_i24_e32 v10, v194, v5
	scratch_load_b32 v5, off, off offset:344 ; 4-byte Folded Reload
	v_add3_u32 v4, v4, v9, v10
	s_waitcnt vmcnt(0)
	s_delay_alu instid0(VALU_DEP_1) | instskip(SKIP_2) | instid1(VALU_DEP_1)
	v_mul_lo_u32 v4, v4, v5
	scratch_load_b32 v5, off, off offset:148 ; 4-byte Folded Reload
	v_cvt_f32_i32_e32 v4, v4
	v_fma_mix_f32 v4, v2, v4, 0 op_sel_hi:[1,0,0]
	s_waitcnt vmcnt(0)
	v_fma_mix_f32 v7, v5, v2, 0 op_sel:[0,1,0] op_sel_hi:[0,1,0]
	s_clause 0x1
	scratch_load_b32 v73, off, off offset:1272
	scratch_load_b32 v5, off, off offset:8
	s_waitcnt vmcnt(0)
	v_mul_i32_i24_e32 v8, v176, v5
	scratch_load_b32 v5, off, off offset:308 ; 4-byte Folded Reload
	s_waitcnt vmcnt(0)
	v_mul_i32_i24_e32 v9, v177, v5
	scratch_load_b32 v5, off, off offset:120 ; 4-byte Folded Reload
	;; [unrolled: 3-line block ×3, first 2 shown]
	s_waitcnt vmcnt(0)
	v_mad_i32_i24 v8, v175, v5, v8
	scratch_load_b32 v5, off, off offset:108 ; 4-byte Folded Reload
	v_add3_u32 v8, v8, v9, v10
	s_waitcnt vmcnt(0)
	v_mul_i32_i24_e32 v9, v171, v5
	scratch_load_b32 v5, off, off offset:340 ; 4-byte Folded Reload
	s_waitcnt vmcnt(0)
	v_mul_i32_i24_e32 v10, v172, v5
	scratch_load_b32 v5, off, off offset:360 ; 4-byte Folded Reload
	v_add3_u32 v8, v8, v9, v10
	s_waitcnt vmcnt(0)
	v_mul_i32_i24_e32 v11, v173, v5
	scratch_load_b32 v5, off, off offset:348 ; 4-byte Folded Reload
	s_waitcnt vmcnt(0)
	v_mul_i32_i24_e32 v12, v174, v5
	;; [unrolled: 7-line block ×13, first 2 shown]
	scratch_load_b32 v5, off, off offset:168 ; 4-byte Folded Reload
	v_add3_u32 v8, v8, v9, v10
	v_mul_i32_i24_e32 v9, v173, v113
	v_mul_i32_i24_e32 v10, v174, v47
	s_waitcnt vmcnt(0)
	v_mul_i32_i24_e32 v11, v152, v5
	scratch_load_b32 v5, off, off offset:172 ; 4-byte Folded Reload
	s_waitcnt vmcnt(0)
	v_mul_i32_i24_e32 v12, v44, v5
	scratch_load_b32 v5, off, off offset:404 ; 4-byte Folded Reload
	v_add3_u32 v8, v8, v11, v12
	s_waitcnt vmcnt(0)
	s_delay_alu instid0(VALU_DEP_1) | instskip(SKIP_4) | instid1(VALU_DEP_1)
	v_mul_lo_u32 v6, v8, v5
	s_clause 0x1
	scratch_load_b32 v5, off, off offset:20
	scratch_load_b32 v8, off, off offset:508
	v_cvt_f32_i32_e32 v6, v6
	v_fma_mix_f32 v4, v3, v6, v4 op_sel_hi:[1,0,0]
	v_mul_i32_i24_e32 v6, v210, v225
	s_waitcnt vmcnt(1)
	v_fma_mix_f32 v5, v5, v3, v7 op_sel:[0,1,0] op_sel_hi:[0,1,0]
	scratch_load_b32 v7, off, off offset:504 ; 4-byte Folded Reload
	s_waitcnt vmcnt(1)
	v_mul_i32_i24_e32 v8, v190, v8
	v_mul_f32_e32 v5, v5, v214
	s_delay_alu instid0(VALU_DEP_1)
	v_fma_f32 v4, v4, v135, -v5
	scratch_load_b32 v5, off, off offset:852 ; 4-byte Folded Reload
	v_add_f32_e32 v33, v33, v4
	scratch_load_b32 v4, off, off offset:476 ; 4-byte Folded Reload
	s_waitcnt vmcnt(2)
	v_mul_i32_i24_e32 v7, v189, v7
	s_waitcnt vmcnt(1)
	v_mul_i32_i24_e32 v5, v209, v5
	;; [unrolled: 2-line block ×3, first 2 shown]
	s_delay_alu instid0(VALU_DEP_1) | instskip(NEXT) | instid1(VALU_DEP_1)
	v_mad_i32_i24 v4, v207, v226, v4
	v_add3_u32 v4, v4, v5, v6
	v_mul_i32_i24_e32 v5, v187, v37
	v_mul_i32_i24_e32 v6, v188, v227
	s_delay_alu instid0(VALU_DEP_1)
	v_add3_u32 v4, v4, v5, v6
	s_clause 0x1
	scratch_load_b32 v5, off, off offset:456
	scratch_load_b32 v6, off, off offset:460
	v_add3_u32 v4, v4, v7, v8
	v_mul_i32_i24_e32 v7, v185, v58
	v_mul_i32_i24_e32 v8, v186, v250
	s_waitcnt vmcnt(1)
	v_mul_i32_i24_e32 v5, v183, v5
	s_waitcnt vmcnt(0)
	v_mul_i32_i24_e32 v6, v184, v6
	s_delay_alu instid0(VALU_DEP_1)
	v_add3_u32 v4, v4, v5, v6
	scratch_load_b32 v6, off, off offset:464 ; 4-byte Folded Reload
	v_mul_i32_i24_e32 v5, v179, v249
	v_add3_u32 v4, v4, v7, v8
	scratch_load_b32 v8, off, off offset:468 ; 4-byte Folded Reload
	v_mul_i32_i24_e32 v7, v181, v254
	s_waitcnt vmcnt(1)
	v_mul_i32_i24_e32 v6, v180, v6
	s_waitcnt vmcnt(0)
	v_mul_i32_i24_e32 v8, v182, v8
	s_delay_alu instid0(VALU_DEP_2) | instskip(SKIP_2) | instid1(VALU_DEP_3)
	v_add3_u32 v4, v4, v5, v6
	v_mul_i32_i24_e32 v5, v203, v237
	v_mul_i32_i24_e32 v6, v204, v220
	v_add3_u32 v4, v4, v7, v8
	v_mul_i32_i24_e32 v7, v205, v241
	v_mul_i32_i24_e32 v8, v206, v144
	s_delay_alu instid0(VALU_DEP_3) | instskip(SKIP_2) | instid1(VALU_DEP_3)
	v_add3_u32 v4, v4, v5, v6
	v_mul_i32_i24_e32 v5, v199, v242
	v_mul_i32_i24_e32 v6, v200, v145
	v_add3_u32 v4, v4, v7, v8
	v_mul_i32_i24_e32 v7, v201, v146
	v_mul_i32_i24_e32 v8, v202, v147
	s_delay_alu instid0(VALU_DEP_3) | instskip(SKIP_2) | instid1(VALU_DEP_3)
	;; [unrolled: 7-line block ×4, first 2 shown]
	v_add3_u32 v4, v4, v5, v6
	v_mul_i32_i24_e32 v6, v176, v246
	v_fma_mix_f32 v5, v215, v2, 0 op_sel:[0,1,0] op_sel_hi:[0,1,0]
	v_add3_u32 v4, v4, v7, v8
	v_mul_i32_i24_e32 v7, v177, v247
	v_mul_i32_i24_e32 v8, v178, v138
	v_mad_i32_i24 v6, v175, v216, v6
	s_delay_alu instid0(VALU_DEP_4) | instskip(NEXT) | instid1(VALU_DEP_2)
	v_mul_lo_u32 v4, v4, v151
	v_add3_u32 v6, v6, v7, v8
	v_mul_i32_i24_e32 v7, v171, v115
	v_mul_i32_i24_e32 v8, v172, v106
	s_delay_alu instid0(VALU_DEP_4) | instskip(NEXT) | instid1(VALU_DEP_2)
	v_cvt_f32_i32_e32 v4, v4
	v_add3_u32 v6, v6, v7, v8
	v_mul_i32_i24_e32 v7, v167, v57
	v_mul_i32_i24_e32 v8, v168, v107
	s_delay_alu instid0(VALU_DEP_4) | instskip(NEXT) | instid1(VALU_DEP_4)
	v_fma_mix_f32 v4, v2, v4, 0 op_sel_hi:[1,0,0]
	v_add3_u32 v6, v6, v9, v10
	v_mul_i32_i24_e32 v9, v169, v143
	v_mul_i32_i24_e32 v10, v170, v221
	s_delay_alu instid0(VALU_DEP_3) | instskip(SKIP_2) | instid1(VALU_DEP_3)
	v_add3_u32 v6, v6, v7, v8
	v_mul_i32_i24_e32 v7, v163, v60
	v_mul_i32_i24_e32 v8, v164, v61
	v_add3_u32 v6, v6, v9, v10
	v_mul_i32_i24_e32 v9, v165, v62
	v_mul_i32_i24_e32 v10, v166, v212
	s_delay_alu instid0(VALU_DEP_3)
	v_add3_u32 v6, v6, v7, v8
	scratch_load_b32 v8, off, off offset:184 ; 4-byte Folded Reload
	v_mul_i32_i24_e32 v7, v159, v102
	v_add3_u32 v6, v6, v9, v10
	s_clause 0x1
	scratch_load_b32 v9, off, off offset:28
	scratch_load_b32 v10, off, off offset:188
	s_waitcnt vmcnt(2)
	v_mul_i32_i24_e32 v8, v160, v8
	s_delay_alu instid0(VALU_DEP_1)
	v_add3_u32 v6, v6, v7, v8
	s_clause 0x1
	scratch_load_b32 v7, off, off offset:192
	scratch_load_b32 v8, off, off offset:24
	s_waitcnt vmcnt(3)
	v_mul_i32_i24_e32 v9, v161, v9
	s_waitcnt vmcnt(2)
	v_mul_i32_i24_e32 v10, v162, v10
	s_delay_alu instid0(VALU_DEP_1)
	v_add3_u32 v6, v6, v9, v10
	s_clause 0x1
	scratch_load_b32 v9, off, off offset:200
	scratch_load_b32 v10, off, off offset:440
	s_waitcnt vmcnt(3)
	v_mul_i32_i24_e32 v7, v211, v7
	s_waitcnt vmcnt(2)
	v_mul_i32_i24_e32 v8, v156, v8
	s_delay_alu instid0(VALU_DEP_1)
	v_add3_u32 v6, v6, v7, v8
	scratch_load_b32 v7, off, off offset:204 ; 4-byte Folded Reload
	v_mul_i32_i24_e32 v8, v126, v239
	s_waitcnt vmcnt(2)
	v_mul_i32_i24_e32 v9, v157, v9
	s_waitcnt vmcnt(1)
	v_mul_i32_i24_e32 v10, v158, v10
	s_delay_alu instid0(VALU_DEP_1) | instskip(SKIP_4) | instid1(VALU_DEP_1)
	v_add3_u32 v6, v6, v9, v10
	v_mul_i32_i24_e32 v9, v153, v243
	v_mul_i32_i24_e32 v10, v154, v244
	s_waitcnt vmcnt(0)
	v_mul_i32_i24_e32 v7, v51, v7
	v_add3_u32 v6, v6, v7, v8
	v_mul_i32_i24_e32 v7, v0, v245
	v_mul_i32_i24_e32 v8, v1, v248
	;; [unrolled: 1-line block ×4, first 2 shown]
	v_add3_u32 v6, v6, v9, v10
	v_mul_i32_i24_e32 v9, v152, v251
	v_mul_i32_i24_e32 v10, v44, v255
	s_delay_alu instid0(VALU_DEP_3)
	v_add3_u32 v6, v6, v7, v8
	scratch_load_b32 v7, off, off offset:196 ; 4-byte Folded Reload
	v_mul_i32_i24_e32 v8, v190, v49
	v_add3_u32 v6, v6, v9, v10
	v_mul_i32_i24_e32 v9, v174, v105
	s_waitcnt vmcnt(0)
	s_delay_alu instid0(VALU_DEP_2) | instskip(SKIP_1) | instid1(VALU_DEP_2)
	v_mul_lo_u32 v6, v6, v7
	v_mul_i32_i24_e32 v7, v189, v66
	v_cvt_f32_i32_e32 v6, v6
	s_delay_alu instid0(VALU_DEP_1) | instskip(SKIP_4) | instid1(VALU_DEP_2)
	v_fma_mix_f32 v4, v3, v6, v4 op_sel_hi:[1,0,0]
	scratch_load_b32 v6, off, off offset:180 ; 4-byte Folded Reload
	s_waitcnt vmcnt(0)
	v_fma_mix_f32 v5, v6, v3, v5 op_sel:[0,1,0] op_sel_hi:[0,1,0]
	v_mul_i32_i24_e32 v6, v210, v234
	v_mul_f32_e32 v5, v5, v142
	s_delay_alu instid0(VALU_DEP_1) | instskip(SKIP_1) | instid1(VALU_DEP_2)
	v_fma_f32 v4, v4, v38, -v5
	v_mul_i32_i24_e32 v5, v209, v65
	v_add_f32_e32 v31, v31, v4
	v_mul_i32_i24_e32 v4, v208, v59
	s_delay_alu instid0(VALU_DEP_1) | instskip(NEXT) | instid1(VALU_DEP_1)
	v_mad_i32_i24 v4, v207, v217, v4
	v_add3_u32 v4, v4, v5, v6
	v_mul_i32_i24_e32 v5, v187, v98
	v_mul_i32_i24_e32 v6, v188, v36
	s_delay_alu instid0(VALU_DEP_1) | instskip(SKIP_2) | instid1(VALU_DEP_3)
	v_add3_u32 v4, v4, v5, v6
	v_mul_i32_i24_e32 v5, v183, v35
	v_mul_i32_i24_e32 v6, v184, v68
	v_add3_u32 v4, v4, v7, v8
	v_mul_i32_i24_e32 v7, v185, v69
	v_mul_i32_i24_e32 v8, v186, v48
	s_delay_alu instid0(VALU_DEP_3) | instskip(SKIP_2) | instid1(VALU_DEP_3)
	v_add3_u32 v4, v4, v5, v6
	v_mul_i32_i24_e32 v5, v179, v45
	v_mul_i32_i24_e32 v6, v180, v101
	v_add3_u32 v4, v4, v7, v8
	v_mul_i32_i24_e32 v7, v181, v224
	v_mul_i32_i24_e32 v8, v182, v81
	s_delay_alu instid0(VALU_DEP_3) | instskip(SKIP_2) | instid1(VALU_DEP_3)
	v_add3_u32 v4, v4, v5, v6
	v_mul_i32_i24_e32 v5, v203, v86
	v_mul_i32_i24_e32 v6, v204, v137
	v_add3_u32 v4, v4, v7, v8
	v_mul_i32_i24_e32 v7, v205, v88
	v_mul_i32_i24_e32 v8, v206, v90
	s_delay_alu instid0(VALU_DEP_3) | instskip(SKIP_2) | instid1(VALU_DEP_3)
	v_add3_u32 v4, v4, v5, v6
	v_mul_i32_i24_e32 v5, v199, v89
	v_mul_i32_i24_e32 v6, v200, v91
	v_add3_u32 v4, v4, v7, v8
	v_mul_i32_i24_e32 v7, v201, v92
	v_mul_i32_i24_e32 v8, v202, v93
	s_delay_alu instid0(VALU_DEP_3) | instskip(SKIP_2) | instid1(VALU_DEP_3)
	v_add3_u32 v4, v4, v5, v6
	v_mul_i32_i24_e32 v5, v195, v94
	v_mul_i32_i24_e32 v6, v196, v95
	v_add3_u32 v4, v4, v7, v8
	v_mul_i32_i24_e32 v7, v197, v96
	v_mul_i32_i24_e32 v8, v198, v97
	s_delay_alu instid0(VALU_DEP_3) | instskip(SKIP_2) | instid1(VALU_DEP_3)
	v_add3_u32 v4, v4, v5, v6
	v_mul_i32_i24_e32 v5, v191, v24
	v_mul_i32_i24_e32 v6, v192, v233
	v_add3_u32 v4, v4, v7, v8
	v_mul_i32_i24_e32 v7, v193, v232
	v_mul_i32_i24_e32 v8, v194, v229
	s_delay_alu instid0(VALU_DEP_3) | instskip(SKIP_2) | instid1(VALU_DEP_3)
	v_add3_u32 v4, v4, v5, v6
	v_mul_i32_i24_e32 v5, v176, v82
	v_mul_i32_i24_e32 v6, v177, v50
	v_add3_u32 v4, v4, v7, v8
	v_mul_i32_i24_e32 v7, v178, v41
	s_delay_alu instid0(VALU_DEP_4) | instskip(SKIP_1) | instid1(VALU_DEP_4)
	v_mad_i32_i24 v5, v175, v218, v5
	v_mul_i32_i24_e32 v8, v173, v104
	v_mul_lo_u32 v4, v4, v230
	s_delay_alu instid0(VALU_DEP_3) | instskip(SKIP_2) | instid1(VALU_DEP_4)
	v_add3_u32 v5, v5, v6, v7
	v_mul_i32_i24_e32 v6, v171, v228
	v_mul_i32_i24_e32 v7, v172, v103
	v_cvt_f32_i32_e32 v4, v4
	s_delay_alu instid0(VALU_DEP_2) | instskip(SKIP_2) | instid1(VALU_DEP_4)
	v_add3_u32 v5, v5, v6, v7
	v_mul_i32_i24_e32 v6, v167, v130
	v_mul_i32_i24_e32 v7, v168, v131
	v_fma_mix_f32 v4, v2, v4, 0 op_sel_hi:[1,0,0]
	s_delay_alu instid0(VALU_DEP_4) | instskip(SKIP_3) | instid1(VALU_DEP_4)
	v_add3_u32 v5, v5, v8, v9
	v_mul_i32_i24_e32 v8, v169, v52
	v_mul_i32_i24_e32 v9, v170, v63
	v_fma_mix_f32 v2, v231, v2, 0 op_sel:[0,1,0] op_sel_hi:[0,1,0]
	v_add3_u32 v5, v5, v6, v7
	v_mul_i32_i24_e32 v6, v166, v129
	s_delay_alu instid0(VALU_DEP_2) | instskip(SKIP_3) | instid1(VALU_DEP_2)
	v_add3_u32 v7, v5, v8, v9
	v_mul_i32_i24_e32 v8, v163, v125
	v_mul_i32_i24_e32 v9, v164, v127
	;; [unrolled: 1-line block ×3, first 2 shown]
	v_add3_u32 v7, v7, v8, v9
	v_mul_i32_i24_e32 v8, v161, v123
	v_mul_i32_i24_e32 v9, v162, v124
	s_delay_alu instid0(VALU_DEP_3) | instskip(SKIP_2) | instid1(VALU_DEP_1)
	v_add3_u32 v5, v7, v5, v6
	v_mul_i32_i24_e32 v6, v159, v121
	v_mul_i32_i24_e32 v7, v160, v122
	v_add3_u32 v5, v5, v6, v7
	v_mul_i32_i24_e32 v6, v211, v117
	v_mul_i32_i24_e32 v7, v156, v118
	s_delay_alu instid0(VALU_DEP_3) | instskip(SKIP_2) | instid1(VALU_DEP_3)
	v_add3_u32 v5, v5, v8, v9
	v_mul_i32_i24_e32 v8, v157, v119
	v_mul_i32_i24_e32 v9, v158, v120
	v_add3_u32 v5, v5, v6, v7
	v_mul_i32_i24_e32 v6, v51, v111
	v_mul_i32_i24_e32 v7, v126, v112
	s_delay_alu instid0(VALU_DEP_3) | instskip(SKIP_2) | instid1(VALU_DEP_3)
	v_add3_u32 v5, v5, v8, v9
	v_mul_i32_i24_e32 v8, v153, v114
	v_mul_i32_i24_e32 v9, v154, v116
	v_add3_u32 v5, v5, v6, v7
	v_mul_i32_i24_e32 v6, v152, v109
	v_mul_i32_i24_e32 v7, v44, v110
	s_delay_alu instid0(VALU_DEP_3) | instskip(NEXT) | instid1(VALU_DEP_1)
	v_add3_u32 v5, v5, v8, v9
	v_add3_u32 v0, v5, v0, v1
	scratch_load_b32 v5, off, off           ; 4-byte Folded Reload
	v_fma_mix_f32 v1, v133, v3, v2 op_sel:[0,1,0] op_sel_hi:[0,1,0]
	v_add3_u32 v0, v0, v6, v7
	s_delay_alu instid0(VALU_DEP_2) | instskip(NEXT) | instid1(VALU_DEP_2)
	v_mul_f32_e32 v1, v1, v132
	v_mul_lo_u32 v0, v0, v134
	s_delay_alu instid0(VALU_DEP_1) | instskip(NEXT) | instid1(VALU_DEP_1)
	v_cvt_f32_i32_e32 v0, v0
	v_fma_mix_f32 v0, v3, v0, v4 op_sel_hi:[1,0,0]
	s_delay_alu instid0(VALU_DEP_1) | instskip(SKIP_1) | instid1(VALU_DEP_1)
	v_fma_f32 v0, v0, v13, -v1
	s_waitcnt vmcnt(0)
	v_dual_add_f32 v30, v30, v0 :: v_dual_add_nc_u32 v5, 64, v5
	s_cbranch_scc1 .LBB171_7
; %bb.8:                                ;   in Loop: Header=BB171_6 Depth=2
	s_clause 0x3
	scratch_load_b32 v28, off, off offset:1080
	scratch_load_b32 v35, off, off offset:1076
	;; [unrolled: 1-line block ×4, first 2 shown]
	s_mov_b32 s15, 1
	s_and_b32 vcc_lo, exec_lo, s14
	s_mov_b32 s14, 0
	s_waitcnt vmcnt(0)
	s_waitcnt_vscnt null, 0x0
	s_barrier
	buffer_gl0_inv
	s_cbranch_vccz .LBB171_6
; %bb.9:                                ;   in Loop: Header=BB171_5 Depth=1
	s_add_i32 s13, s13, 1
	s_delay_alu instid0(SALU_CYCLE_1)
	s_cmp_eq_u32 s13, s5
	s_cbranch_scc0 .LBB171_5
; %bb.10:
	s_clause 0x2
	scratch_load_b32 v1, off, off offset:1576
	scratch_load_b32 v0, off, off offset:1284
	;; [unrolled: 1-line block ×3, first 2 shown]
	v_dual_mov_b32 v9, v26 :: v_dual_mov_b32 v10, v37
	v_dual_mov_b32 v8, v35 :: v_dual_mov_b32 v11, v28
.LBB171_11:
	s_mov_b32 s0, exec_lo
	s_waitcnt vmcnt(0)
	v_cmpx_gt_u32_e64 s4, v2
	s_cbranch_execz .LBB171_62
; %bb.12:
	v_add_nc_u32_e32 v0, s10, v0
	v_mul_lo_u32 v5, v2, s6
	s_delay_alu instid0(VALU_DEP_2)
	v_cmp_gt_u32_e32 vcc_lo, s6, v0
	s_and_saveexec_b32 s1, vcc_lo
	s_cbranch_execz .LBB171_14
; %bb.13:
	v_bfe_u32 v3, v72, 16, 1
	s_delay_alu instid0(VALU_DEP_3) | instskip(SKIP_1) | instid1(VALU_DEP_3)
	v_add_nc_u32_e32 v2, v0, v5
	v_cmp_o_f32_e64 s0, v72, v72
	v_add3_u32 v4, v72, v3, 0x7fff
	v_mov_b32_e32 v3, 0
	s_delay_alu instid0(VALU_DEP_2) | instskip(NEXT) | instid1(VALU_DEP_2)
	v_lshrrev_b32_e32 v4, 16, v4
	v_lshlrev_b64 v[2:3], 1, v[2:3]
	s_delay_alu instid0(VALU_DEP_2) | instskip(SKIP_1) | instid1(VALU_DEP_2)
	v_cndmask_b32_e64 v4, 0x7fc0, v4, s0
	s_waitcnt lgkmcnt(0)
	v_add_co_u32 v2, s0, s8, v2
	s_delay_alu instid0(VALU_DEP_1)
	v_add_co_ci_u32_e64 v3, s0, s9, v3, s0
	global_store_b16 v[2:3], v4, off
.LBB171_14:
	s_or_b32 exec_lo, exec_lo, s1
	v_add_nc_u32_e32 v2, 32, v0
	s_delay_alu instid0(VALU_DEP_1) | instskip(NEXT) | instid1(VALU_DEP_1)
	v_cmp_gt_u32_e64 s0, s6, v2
	s_and_saveexec_b32 s2, s0
	s_cbranch_execz .LBB171_16
; %bb.15:
	v_bfe_u32 v4, v74, 16, 1
	v_add_nc_u32_e32 v3, v2, v5
	v_cmp_o_f32_e64 s1, v74, v74
	s_delay_alu instid0(VALU_DEP_3) | instskip(SKIP_1) | instid1(VALU_DEP_2)
	v_add3_u32 v6, v74, v4, 0x7fff
	v_mov_b32_e32 v4, 0
	v_lshrrev_b32_e32 v6, 16, v6
	s_delay_alu instid0(VALU_DEP_2) | instskip(NEXT) | instid1(VALU_DEP_2)
	v_lshlrev_b64 v[3:4], 1, v[3:4]
	v_cndmask_b32_e64 v6, 0x7fc0, v6, s1
	s_waitcnt lgkmcnt(0)
	s_delay_alu instid0(VALU_DEP_2) | instskip(NEXT) | instid1(VALU_DEP_1)
	v_add_co_u32 v3, s1, s8, v3
	v_add_co_ci_u32_e64 v4, s1, s9, v4, s1
	global_store_b16 v[3:4], v6, off
.LBB171_16:
	s_or_b32 exec_lo, exec_lo, s2
	v_add_nc_u32_e32 v3, 64, v0
	s_delay_alu instid0(VALU_DEP_1) | instskip(NEXT) | instid1(VALU_DEP_1)
	v_cmp_gt_u32_e64 s1, s6, v3
	s_and_saveexec_b32 s3, s1
	s_cbranch_execz .LBB171_18
; %bb.17:
	v_bfe_u32 v4, v11, 16, 1
	v_dual_mov_b32 v7, 0 :: v_dual_add_nc_u32 v6, v3, v5
	v_cmp_o_f32_e64 s2, v11, v11
	s_delay_alu instid0(VALU_DEP_3) | instskip(NEXT) | instid1(VALU_DEP_3)
	v_add3_u32 v4, v11, v4, 0x7fff
	v_lshlrev_b64 v[6:7], 1, v[6:7]
	s_delay_alu instid0(VALU_DEP_2) | instskip(NEXT) | instid1(VALU_DEP_1)
	v_lshrrev_b32_e32 v4, 16, v4
	v_cndmask_b32_e64 v4, 0x7fc0, v4, s2
	s_waitcnt lgkmcnt(0)
	s_delay_alu instid0(VALU_DEP_3) | instskip(NEXT) | instid1(VALU_DEP_1)
	v_add_co_u32 v6, s2, s8, v6
	v_add_co_ci_u32_e64 v7, s2, s9, v7, s2
	global_store_b16 v[6:7], v4, off
.LBB171_18:
	s_or_b32 exec_lo, exec_lo, s3
	v_add_nc_u32_e32 v4, 0x60, v0
	s_delay_alu instid0(VALU_DEP_1) | instskip(NEXT) | instid1(VALU_DEP_1)
	v_cmp_gt_u32_e64 s2, s6, v4
	s_and_saveexec_b32 s5, s2
	s_cbranch_execz .LBB171_20
; %bb.19:
	v_bfe_u32 v6, v8, 16, 1
	v_add_nc_u32_e32 v5, v4, v5
	v_cmp_o_f32_e64 s3, v8, v8
	s_delay_alu instid0(VALU_DEP_3) | instskip(SKIP_1) | instid1(VALU_DEP_2)
	v_add3_u32 v7, v8, v6, 0x7fff
	v_mov_b32_e32 v6, 0
	v_lshrrev_b32_e32 v7, 16, v7
	s_delay_alu instid0(VALU_DEP_2) | instskip(NEXT) | instid1(VALU_DEP_2)
	v_lshlrev_b64 v[5:6], 1, v[5:6]
	v_cndmask_b32_e64 v7, 0x7fc0, v7, s3
	s_waitcnt lgkmcnt(0)
	s_delay_alu instid0(VALU_DEP_2) | instskip(NEXT) | instid1(VALU_DEP_1)
	v_add_co_u32 v5, s3, s8, v5
	v_add_co_ci_u32_e64 v6, s3, s9, v6, s3
	global_store_b16 v[5:6], v7, off
.LBB171_20:
	s_or_b32 exec_lo, exec_lo, s5
	v_add3_u32 v5, v1, s7, 8
	s_delay_alu instid0(VALU_DEP_1) | instskip(NEXT) | instid1(VALU_DEP_1)
	v_cmp_gt_u32_e64 s3, s4, v5
	s_and_b32 exec_lo, exec_lo, s3
	s_cbranch_execz .LBB171_62
; %bb.21:
	v_mul_lo_u32 v5, v5, s6
	s_and_saveexec_b32 s5, vcc_lo
	s_cbranch_execnz .LBB171_63
; %bb.22:
	s_or_b32 exec_lo, exec_lo, s5
	s_and_saveexec_b32 s5, s0
	s_cbranch_execnz .LBB171_64
.LBB171_23:
	s_or_b32 exec_lo, exec_lo, s5
	s_and_saveexec_b32 s5, s1
	s_cbranch_execnz .LBB171_65
.LBB171_24:
	s_or_b32 exec_lo, exec_lo, s5
	s_and_saveexec_b32 s5, s2
	s_cbranch_execz .LBB171_26
.LBB171_25:
	scratch_load_b32 v8, off, off offset:1096 ; 4-byte Folded Reload
	v_add_nc_u32_e32 v5, v5, v4
	s_waitcnt vmcnt(0)
	v_bfe_u32 v6, v8, 16, 1
	v_cmp_o_f32_e64 s3, v8, v8
	s_delay_alu instid0(VALU_DEP_2) | instskip(SKIP_1) | instid1(VALU_DEP_2)
	v_add3_u32 v7, v8, v6, 0x7fff
	v_mov_b32_e32 v6, 0
	v_lshrrev_b32_e32 v7, 16, v7
	s_delay_alu instid0(VALU_DEP_2) | instskip(NEXT) | instid1(VALU_DEP_2)
	v_lshlrev_b64 v[5:6], 1, v[5:6]
	v_cndmask_b32_e64 v7, 0x7fc0, v7, s3
	s_waitcnt lgkmcnt(0)
	s_delay_alu instid0(VALU_DEP_2) | instskip(NEXT) | instid1(VALU_DEP_1)
	v_add_co_u32 v5, s3, s8, v5
	v_add_co_ci_u32_e64 v6, s3, s9, v6, s3
	global_store_b16 v[5:6], v7, off
.LBB171_26:
	s_or_b32 exec_lo, exec_lo, s5
	v_add3_u32 v5, v1, s7, 16
	s_delay_alu instid0(VALU_DEP_1) | instskip(NEXT) | instid1(VALU_DEP_1)
	v_cmp_gt_u32_e64 s3, s4, v5
	s_and_b32 exec_lo, exec_lo, s3
	s_cbranch_execz .LBB171_62
; %bb.27:
	v_mul_lo_u32 v5, v5, s6
	s_and_saveexec_b32 s5, vcc_lo
	s_cbranch_execnz .LBB171_66
; %bb.28:
	s_or_b32 exec_lo, exec_lo, s5
	s_and_saveexec_b32 s5, s0
	s_cbranch_execnz .LBB171_67
.LBB171_29:
	s_or_b32 exec_lo, exec_lo, s5
	s_and_saveexec_b32 s5, s1
	s_cbranch_execnz .LBB171_68
.LBB171_30:
	s_or_b32 exec_lo, exec_lo, s5
	s_and_saveexec_b32 s5, s2
	s_cbranch_execz .LBB171_32
.LBB171_31:
	scratch_load_b32 v8, off, off offset:1104 ; 4-byte Folded Reload
	v_add_nc_u32_e32 v5, v5, v4
	s_waitcnt vmcnt(0)
	v_bfe_u32 v6, v8, 16, 1
	v_cmp_o_f32_e64 s3, v8, v8
	s_delay_alu instid0(VALU_DEP_2) | instskip(SKIP_1) | instid1(VALU_DEP_2)
	v_add3_u32 v7, v8, v6, 0x7fff
	v_mov_b32_e32 v6, 0
	v_lshrrev_b32_e32 v7, 16, v7
	s_delay_alu instid0(VALU_DEP_2) | instskip(NEXT) | instid1(VALU_DEP_2)
	v_lshlrev_b64 v[5:6], 1, v[5:6]
	v_cndmask_b32_e64 v7, 0x7fc0, v7, s3
	s_waitcnt lgkmcnt(0)
	s_delay_alu instid0(VALU_DEP_2) | instskip(NEXT) | instid1(VALU_DEP_1)
	v_add_co_u32 v5, s3, s8, v5
	v_add_co_ci_u32_e64 v6, s3, s9, v6, s3
	global_store_b16 v[5:6], v7, off
.LBB171_32:
	s_or_b32 exec_lo, exec_lo, s5
	v_add3_u32 v5, v1, s7, 24
	s_delay_alu instid0(VALU_DEP_1) | instskip(NEXT) | instid1(VALU_DEP_1)
	v_cmp_gt_u32_e64 s3, s4, v5
	s_and_b32 exec_lo, exec_lo, s3
	s_cbranch_execz .LBB171_62
; %bb.33:
	v_mul_lo_u32 v5, v5, s6
	s_and_saveexec_b32 s5, vcc_lo
	s_cbranch_execnz .LBB171_69
; %bb.34:
	s_or_b32 exec_lo, exec_lo, s5
	s_and_saveexec_b32 s5, s0
	s_cbranch_execnz .LBB171_70
.LBB171_35:
	s_or_b32 exec_lo, exec_lo, s5
	s_and_saveexec_b32 s5, s1
	s_cbranch_execnz .LBB171_71
.LBB171_36:
	s_or_b32 exec_lo, exec_lo, s5
	s_and_saveexec_b32 s5, s2
	s_cbranch_execz .LBB171_38
.LBB171_37:
	scratch_load_b32 v8, off, off offset:1120 ; 4-byte Folded Reload
	v_add_nc_u32_e32 v5, v5, v4
	s_waitcnt vmcnt(0)
	v_bfe_u32 v6, v8, 16, 1
	v_cmp_o_f32_e64 s3, v8, v8
	s_delay_alu instid0(VALU_DEP_2) | instskip(SKIP_1) | instid1(VALU_DEP_2)
	v_add3_u32 v7, v8, v6, 0x7fff
	v_mov_b32_e32 v6, 0
	v_lshrrev_b32_e32 v7, 16, v7
	s_delay_alu instid0(VALU_DEP_2) | instskip(NEXT) | instid1(VALU_DEP_2)
	v_lshlrev_b64 v[5:6], 1, v[5:6]
	v_cndmask_b32_e64 v7, 0x7fc0, v7, s3
	s_waitcnt lgkmcnt(0)
	s_delay_alu instid0(VALU_DEP_2) | instskip(NEXT) | instid1(VALU_DEP_1)
	v_add_co_u32 v5, s3, s8, v5
	v_add_co_ci_u32_e64 v6, s3, s9, v6, s3
	global_store_b16 v[5:6], v7, off
.LBB171_38:
	s_or_b32 exec_lo, exec_lo, s5
	v_add3_u32 v5, v1, s7, 32
	s_delay_alu instid0(VALU_DEP_1) | instskip(NEXT) | instid1(VALU_DEP_1)
	v_cmp_gt_u32_e64 s3, s4, v5
	s_and_b32 exec_lo, exec_lo, s3
	s_cbranch_execz .LBB171_62
; %bb.39:
	v_mul_lo_u32 v5, v5, s6
	s_and_saveexec_b32 s5, vcc_lo
	s_cbranch_execnz .LBB171_72
; %bb.40:
	s_or_b32 exec_lo, exec_lo, s5
	s_and_saveexec_b32 s5, s0
	s_cbranch_execnz .LBB171_73
.LBB171_41:
	s_or_b32 exec_lo, exec_lo, s5
	s_and_saveexec_b32 s5, s1
	s_cbranch_execnz .LBB171_74
.LBB171_42:
	s_or_b32 exec_lo, exec_lo, s5
	s_and_saveexec_b32 s5, s2
	s_cbranch_execz .LBB171_44
.LBB171_43:
	scratch_load_b32 v8, off, off offset:1136 ; 4-byte Folded Reload
	v_add_nc_u32_e32 v5, v5, v4
	s_waitcnt vmcnt(0)
	v_bfe_u32 v6, v8, 16, 1
	v_cmp_o_f32_e64 s3, v8, v8
	s_delay_alu instid0(VALU_DEP_2) | instskip(SKIP_1) | instid1(VALU_DEP_2)
	v_add3_u32 v7, v8, v6, 0x7fff
	v_mov_b32_e32 v6, 0
	v_lshrrev_b32_e32 v7, 16, v7
	s_delay_alu instid0(VALU_DEP_2) | instskip(NEXT) | instid1(VALU_DEP_2)
	v_lshlrev_b64 v[5:6], 1, v[5:6]
	v_cndmask_b32_e64 v7, 0x7fc0, v7, s3
	s_waitcnt lgkmcnt(0)
	s_delay_alu instid0(VALU_DEP_2) | instskip(NEXT) | instid1(VALU_DEP_1)
	v_add_co_u32 v5, s3, s8, v5
	v_add_co_ci_u32_e64 v6, s3, s9, v6, s3
	global_store_b16 v[5:6], v7, off
.LBB171_44:
	s_or_b32 exec_lo, exec_lo, s5
	v_add3_u32 v5, v1, s7, 40
	s_delay_alu instid0(VALU_DEP_1) | instskip(NEXT) | instid1(VALU_DEP_1)
	v_cmp_gt_u32_e64 s3, s4, v5
	s_and_b32 exec_lo, exec_lo, s3
	s_cbranch_execz .LBB171_62
; %bb.45:
	v_mul_lo_u32 v5, v5, s6
	s_and_saveexec_b32 s5, vcc_lo
	s_cbranch_execnz .LBB171_75
; %bb.46:
	s_or_b32 exec_lo, exec_lo, s5
	s_and_saveexec_b32 s5, s0
	s_cbranch_execnz .LBB171_76
.LBB171_47:
	s_or_b32 exec_lo, exec_lo, s5
	s_and_saveexec_b32 s5, s1
	s_cbranch_execnz .LBB171_77
.LBB171_48:
	s_or_b32 exec_lo, exec_lo, s5
	s_and_saveexec_b32 s5, s2
	s_cbranch_execz .LBB171_50
.LBB171_49:
	scratch_load_b32 v136, off, off offset:1152 ; 4-byte Folded Reload
	v_add_nc_u32_e32 v5, v5, v4
	s_waitcnt vmcnt(0)
	v_bfe_u32 v6, v136, 16, 1
	v_cmp_o_f32_e64 s3, v136, v136
	s_delay_alu instid0(VALU_DEP_2) | instskip(SKIP_1) | instid1(VALU_DEP_2)
	v_add3_u32 v7, v136, v6, 0x7fff
	v_mov_b32_e32 v6, 0
	v_lshrrev_b32_e32 v7, 16, v7
	s_delay_alu instid0(VALU_DEP_2) | instskip(NEXT) | instid1(VALU_DEP_2)
	v_lshlrev_b64 v[5:6], 1, v[5:6]
	v_cndmask_b32_e64 v7, 0x7fc0, v7, s3
	s_waitcnt lgkmcnt(0)
	s_delay_alu instid0(VALU_DEP_2) | instskip(NEXT) | instid1(VALU_DEP_1)
	v_add_co_u32 v5, s3, s8, v5
	v_add_co_ci_u32_e64 v6, s3, s9, v6, s3
	global_store_b16 v[5:6], v7, off
.LBB171_50:
	s_or_b32 exec_lo, exec_lo, s5
	v_add3_u32 v5, v1, s7, 48
	s_delay_alu instid0(VALU_DEP_1) | instskip(NEXT) | instid1(VALU_DEP_1)
	v_cmp_gt_u32_e64 s3, s4, v5
	s_and_b32 exec_lo, exec_lo, s3
	s_cbranch_execz .LBB171_62
; %bb.51:
	v_mul_lo_u32 v5, v5, s6
	s_and_saveexec_b32 s5, vcc_lo
	s_cbranch_execnz .LBB171_78
; %bb.52:
	s_or_b32 exec_lo, exec_lo, s5
	s_and_saveexec_b32 s5, s0
	s_cbranch_execnz .LBB171_79
.LBB171_53:
	s_or_b32 exec_lo, exec_lo, s5
	s_and_saveexec_b32 s5, s1
	s_cbranch_execnz .LBB171_80
.LBB171_54:
	s_or_b32 exec_lo, exec_lo, s5
	s_and_saveexec_b32 s5, s2
	s_cbranch_execz .LBB171_56
.LBB171_55:
	v_bfe_u32 v6, v80, 16, 1
	v_add_nc_u32_e32 v5, v5, v4
	v_cmp_o_f32_e64 s3, v80, v80
	s_delay_alu instid0(VALU_DEP_3) | instskip(SKIP_1) | instid1(VALU_DEP_2)
	v_add3_u32 v7, v80, v6, 0x7fff
	v_mov_b32_e32 v6, 0
	v_lshrrev_b32_e32 v7, 16, v7
	s_delay_alu instid0(VALU_DEP_2) | instskip(NEXT) | instid1(VALU_DEP_2)
	v_lshlrev_b64 v[5:6], 1, v[5:6]
	v_cndmask_b32_e64 v7, 0x7fc0, v7, s3
	s_waitcnt lgkmcnt(0)
	s_delay_alu instid0(VALU_DEP_2) | instskip(NEXT) | instid1(VALU_DEP_1)
	v_add_co_u32 v5, s3, s8, v5
	v_add_co_ci_u32_e64 v6, s3, s9, v6, s3
	global_store_b16 v[5:6], v7, off
.LBB171_56:
	s_or_b32 exec_lo, exec_lo, s5
	v_add3_u32 v1, v1, s7, 56
	s_delay_alu instid0(VALU_DEP_1) | instskip(NEXT) | instid1(VALU_DEP_1)
	v_cmp_gt_u32_e64 s3, s4, v1
	s_and_b32 exec_lo, exec_lo, s3
	s_cbranch_execz .LBB171_62
; %bb.57:
	v_mul_lo_u32 v1, v1, s6
	s_and_saveexec_b32 s3, vcc_lo
	s_cbranch_execnz .LBB171_81
; %bb.58:
	s_or_b32 exec_lo, exec_lo, s3
	s_and_saveexec_b32 s3, s0
	s_cbranch_execnz .LBB171_82
.LBB171_59:
	s_or_b32 exec_lo, exec_lo, s3
	s_and_saveexec_b32 s0, s1
	s_cbranch_execnz .LBB171_83
.LBB171_60:
	s_or_b32 exec_lo, exec_lo, s0
	s_delay_alu instid0(SALU_CYCLE_1)
	s_and_b32 exec_lo, exec_lo, s2
	s_cbranch_execz .LBB171_62
.LBB171_61:
	v_bfe_u32 v2, v30, 16, 1
	v_dual_mov_b32 v1, 0 :: v_dual_add_nc_u32 v0, v1, v4
	v_cmp_o_f32_e32 vcc_lo, v30, v30
	s_delay_alu instid0(VALU_DEP_3) | instskip(NEXT) | instid1(VALU_DEP_3)
	v_add3_u32 v2, v30, v2, 0x7fff
	v_lshlrev_b64 v[0:1], 1, v[0:1]
	s_delay_alu instid0(VALU_DEP_2) | instskip(NEXT) | instid1(VALU_DEP_1)
	v_lshrrev_b32_e32 v2, 16, v2
	v_cndmask_b32_e32 v2, 0x7fc0, v2, vcc_lo
	s_waitcnt lgkmcnt(0)
	s_delay_alu instid0(VALU_DEP_3) | instskip(NEXT) | instid1(VALU_DEP_4)
	v_add_co_u32 v0, vcc_lo, s8, v0
	v_add_co_ci_u32_e32 v1, vcc_lo, s9, v1, vcc_lo
	global_store_b16 v[0:1], v2, off
.LBB171_62:
	s_endpgm
.LBB171_63:
	v_bfe_u32 v7, v10, 16, 1
	s_delay_alu instid0(VALU_DEP_2) | instskip(SKIP_1) | instid1(VALU_DEP_3)
	v_add_nc_u32_e32 v6, v5, v0
	v_cmp_o_f32_e64 s3, v10, v10
	v_add3_u32 v8, v10, v7, 0x7fff
	v_mov_b32_e32 v7, 0
	s_delay_alu instid0(VALU_DEP_2) | instskip(NEXT) | instid1(VALU_DEP_2)
	v_lshrrev_b32_e32 v8, 16, v8
	v_lshlrev_b64 v[6:7], 1, v[6:7]
	s_delay_alu instid0(VALU_DEP_2) | instskip(SKIP_1) | instid1(VALU_DEP_2)
	v_cndmask_b32_e64 v8, 0x7fc0, v8, s3
	s_waitcnt lgkmcnt(0)
	v_add_co_u32 v6, s3, s8, v6
	s_delay_alu instid0(VALU_DEP_1)
	v_add_co_ci_u32_e64 v7, s3, s9, v7, s3
	global_store_b16 v[6:7], v8, off
	s_or_b32 exec_lo, exec_lo, s5
	s_and_saveexec_b32 s5, s0
	s_cbranch_execz .LBB171_23
.LBB171_64:
	v_bfe_u32 v7, v9, 16, 1
	s_delay_alu instid0(VALU_DEP_2) | instskip(SKIP_1) | instid1(VALU_DEP_3)
	v_add_nc_u32_e32 v6, v5, v2
	v_cmp_o_f32_e64 s3, v9, v9
	v_add3_u32 v8, v9, v7, 0x7fff
	v_mov_b32_e32 v7, 0
	s_delay_alu instid0(VALU_DEP_2) | instskip(NEXT) | instid1(VALU_DEP_2)
	v_lshrrev_b32_e32 v8, 16, v8
	v_lshlrev_b64 v[6:7], 1, v[6:7]
	s_delay_alu instid0(VALU_DEP_2) | instskip(SKIP_1) | instid1(VALU_DEP_2)
	v_cndmask_b32_e64 v8, 0x7fc0, v8, s3
	s_waitcnt lgkmcnt(0)
	v_add_co_u32 v6, s3, s8, v6
	s_delay_alu instid0(VALU_DEP_1)
	v_add_co_ci_u32_e64 v7, s3, s9, v7, s3
	global_store_b16 v[6:7], v8, off
	s_or_b32 exec_lo, exec_lo, s5
	s_and_saveexec_b32 s5, s1
	s_cbranch_execz .LBB171_24
.LBB171_65:
	scratch_load_b32 v9, off, off offset:1100 ; 4-byte Folded Reload
	v_add_nc_u32_e32 v6, v5, v3
	s_waitcnt vmcnt(0)
	v_bfe_u32 v7, v9, 16, 1
	v_cmp_o_f32_e64 s3, v9, v9
	s_delay_alu instid0(VALU_DEP_2) | instskip(SKIP_1) | instid1(VALU_DEP_2)
	v_add3_u32 v8, v9, v7, 0x7fff
	v_mov_b32_e32 v7, 0
	v_lshrrev_b32_e32 v8, 16, v8
	s_delay_alu instid0(VALU_DEP_2) | instskip(NEXT) | instid1(VALU_DEP_2)
	v_lshlrev_b64 v[6:7], 1, v[6:7]
	v_cndmask_b32_e64 v8, 0x7fc0, v8, s3
	s_waitcnt lgkmcnt(0)
	s_delay_alu instid0(VALU_DEP_2) | instskip(NEXT) | instid1(VALU_DEP_1)
	v_add_co_u32 v6, s3, s8, v6
	v_add_co_ci_u32_e64 v7, s3, s9, v7, s3
	global_store_b16 v[6:7], v8, off
	s_or_b32 exec_lo, exec_lo, s5
	s_and_saveexec_b32 s5, s2
	s_cbranch_execnz .LBB171_25
	s_branch .LBB171_26
.LBB171_66:
	scratch_load_b32 v9, off, off offset:1116 ; 4-byte Folded Reload
	v_add_nc_u32_e32 v6, v5, v0
	s_waitcnt vmcnt(0)
	v_bfe_u32 v7, v9, 16, 1
	v_cmp_o_f32_e64 s3, v9, v9
	s_delay_alu instid0(VALU_DEP_2) | instskip(SKIP_1) | instid1(VALU_DEP_2)
	v_add3_u32 v8, v9, v7, 0x7fff
	v_mov_b32_e32 v7, 0
	v_lshrrev_b32_e32 v8, 16, v8
	s_delay_alu instid0(VALU_DEP_2) | instskip(NEXT) | instid1(VALU_DEP_2)
	v_lshlrev_b64 v[6:7], 1, v[6:7]
	v_cndmask_b32_e64 v8, 0x7fc0, v8, s3
	s_waitcnt lgkmcnt(0)
	s_delay_alu instid0(VALU_DEP_2) | instskip(NEXT) | instid1(VALU_DEP_1)
	v_add_co_u32 v6, s3, s8, v6
	v_add_co_ci_u32_e64 v7, s3, s9, v7, s3
	global_store_b16 v[6:7], v8, off
	s_or_b32 exec_lo, exec_lo, s5
	s_and_saveexec_b32 s5, s0
	s_cbranch_execz .LBB171_29
.LBB171_67:
	scratch_load_b32 v9, off, off offset:1112 ; 4-byte Folded Reload
	v_add_nc_u32_e32 v6, v5, v2
	s_waitcnt vmcnt(0)
	v_bfe_u32 v7, v9, 16, 1
	v_cmp_o_f32_e64 s3, v9, v9
	s_delay_alu instid0(VALU_DEP_2) | instskip(SKIP_1) | instid1(VALU_DEP_2)
	v_add3_u32 v8, v9, v7, 0x7fff
	v_mov_b32_e32 v7, 0
	v_lshrrev_b32_e32 v8, 16, v8
	s_delay_alu instid0(VALU_DEP_2) | instskip(NEXT) | instid1(VALU_DEP_2)
	v_lshlrev_b64 v[6:7], 1, v[6:7]
	v_cndmask_b32_e64 v8, 0x7fc0, v8, s3
	s_waitcnt lgkmcnt(0)
	s_delay_alu instid0(VALU_DEP_2) | instskip(NEXT) | instid1(VALU_DEP_1)
	v_add_co_u32 v6, s3, s8, v6
	v_add_co_ci_u32_e64 v7, s3, s9, v7, s3
	global_store_b16 v[6:7], v8, off
	s_or_b32 exec_lo, exec_lo, s5
	s_and_saveexec_b32 s5, s1
	s_cbranch_execz .LBB171_30
.LBB171_68:
	scratch_load_b32 v9, off, off offset:1108 ; 4-byte Folded Reload
	v_add_nc_u32_e32 v6, v5, v3
	s_waitcnt vmcnt(0)
	v_bfe_u32 v7, v9, 16, 1
	v_cmp_o_f32_e64 s3, v9, v9
	s_delay_alu instid0(VALU_DEP_2) | instskip(SKIP_1) | instid1(VALU_DEP_2)
	v_add3_u32 v8, v9, v7, 0x7fff
	v_mov_b32_e32 v7, 0
	v_lshrrev_b32_e32 v8, 16, v8
	s_delay_alu instid0(VALU_DEP_2) | instskip(NEXT) | instid1(VALU_DEP_2)
	v_lshlrev_b64 v[6:7], 1, v[6:7]
	v_cndmask_b32_e64 v8, 0x7fc0, v8, s3
	s_waitcnt lgkmcnt(0)
	s_delay_alu instid0(VALU_DEP_2) | instskip(NEXT) | instid1(VALU_DEP_1)
	v_add_co_u32 v6, s3, s8, v6
	v_add_co_ci_u32_e64 v7, s3, s9, v7, s3
	global_store_b16 v[6:7], v8, off
	s_or_b32 exec_lo, exec_lo, s5
	s_and_saveexec_b32 s5, s2
	s_cbranch_execnz .LBB171_31
	s_branch .LBB171_32
.LBB171_69:
	scratch_load_b32 v9, off, off offset:1132 ; 4-byte Folded Reload
	v_add_nc_u32_e32 v6, v5, v0
	s_waitcnt vmcnt(0)
	v_bfe_u32 v7, v9, 16, 1
	v_cmp_o_f32_e64 s3, v9, v9
	s_delay_alu instid0(VALU_DEP_2) | instskip(SKIP_1) | instid1(VALU_DEP_2)
	v_add3_u32 v8, v9, v7, 0x7fff
	v_mov_b32_e32 v7, 0
	v_lshrrev_b32_e32 v8, 16, v8
	s_delay_alu instid0(VALU_DEP_2) | instskip(NEXT) | instid1(VALU_DEP_2)
	v_lshlrev_b64 v[6:7], 1, v[6:7]
	v_cndmask_b32_e64 v8, 0x7fc0, v8, s3
	s_waitcnt lgkmcnt(0)
	s_delay_alu instid0(VALU_DEP_2) | instskip(NEXT) | instid1(VALU_DEP_1)
	v_add_co_u32 v6, s3, s8, v6
	v_add_co_ci_u32_e64 v7, s3, s9, v7, s3
	global_store_b16 v[6:7], v8, off
	s_or_b32 exec_lo, exec_lo, s5
	s_and_saveexec_b32 s5, s0
	s_cbranch_execz .LBB171_35
.LBB171_70:
	scratch_load_b32 v9, off, off offset:1128 ; 4-byte Folded Reload
	v_add_nc_u32_e32 v6, v5, v2
	s_waitcnt vmcnt(0)
	v_bfe_u32 v7, v9, 16, 1
	v_cmp_o_f32_e64 s3, v9, v9
	s_delay_alu instid0(VALU_DEP_2) | instskip(SKIP_1) | instid1(VALU_DEP_2)
	v_add3_u32 v8, v9, v7, 0x7fff
	v_mov_b32_e32 v7, 0
	v_lshrrev_b32_e32 v8, 16, v8
	s_delay_alu instid0(VALU_DEP_2) | instskip(NEXT) | instid1(VALU_DEP_2)
	v_lshlrev_b64 v[6:7], 1, v[6:7]
	v_cndmask_b32_e64 v8, 0x7fc0, v8, s3
	s_waitcnt lgkmcnt(0)
	s_delay_alu instid0(VALU_DEP_2) | instskip(NEXT) | instid1(VALU_DEP_1)
	v_add_co_u32 v6, s3, s8, v6
	v_add_co_ci_u32_e64 v7, s3, s9, v7, s3
	global_store_b16 v[6:7], v8, off
	s_or_b32 exec_lo, exec_lo, s5
	s_and_saveexec_b32 s5, s1
	s_cbranch_execz .LBB171_36
.LBB171_71:
	scratch_load_b32 v9, off, off offset:1124 ; 4-byte Folded Reload
	v_add_nc_u32_e32 v6, v5, v3
	s_waitcnt vmcnt(0)
	v_bfe_u32 v7, v9, 16, 1
	v_cmp_o_f32_e64 s3, v9, v9
	s_delay_alu instid0(VALU_DEP_2) | instskip(SKIP_1) | instid1(VALU_DEP_2)
	v_add3_u32 v8, v9, v7, 0x7fff
	v_mov_b32_e32 v7, 0
	v_lshrrev_b32_e32 v8, 16, v8
	s_delay_alu instid0(VALU_DEP_2) | instskip(NEXT) | instid1(VALU_DEP_2)
	v_lshlrev_b64 v[6:7], 1, v[6:7]
	v_cndmask_b32_e64 v8, 0x7fc0, v8, s3
	s_waitcnt lgkmcnt(0)
	s_delay_alu instid0(VALU_DEP_2) | instskip(NEXT) | instid1(VALU_DEP_1)
	v_add_co_u32 v6, s3, s8, v6
	v_add_co_ci_u32_e64 v7, s3, s9, v7, s3
	global_store_b16 v[6:7], v8, off
	s_or_b32 exec_lo, exec_lo, s5
	s_and_saveexec_b32 s5, s2
	s_cbranch_execnz .LBB171_37
	s_branch .LBB171_38
.LBB171_72:
	scratch_load_b32 v9, off, off offset:1148 ; 4-byte Folded Reload
	v_add_nc_u32_e32 v6, v5, v0
	s_waitcnt vmcnt(0)
	v_bfe_u32 v7, v9, 16, 1
	v_cmp_o_f32_e64 s3, v9, v9
	s_delay_alu instid0(VALU_DEP_2) | instskip(SKIP_1) | instid1(VALU_DEP_2)
	v_add3_u32 v8, v9, v7, 0x7fff
	v_mov_b32_e32 v7, 0
	v_lshrrev_b32_e32 v8, 16, v8
	s_delay_alu instid0(VALU_DEP_2) | instskip(NEXT) | instid1(VALU_DEP_2)
	v_lshlrev_b64 v[6:7], 1, v[6:7]
	v_cndmask_b32_e64 v8, 0x7fc0, v8, s3
	s_waitcnt lgkmcnt(0)
	s_delay_alu instid0(VALU_DEP_2) | instskip(NEXT) | instid1(VALU_DEP_1)
	v_add_co_u32 v6, s3, s8, v6
	v_add_co_ci_u32_e64 v7, s3, s9, v7, s3
	global_store_b16 v[6:7], v8, off
	s_or_b32 exec_lo, exec_lo, s5
	s_and_saveexec_b32 s5, s0
	s_cbranch_execz .LBB171_41
.LBB171_73:
	scratch_load_b32 v9, off, off offset:1144 ; 4-byte Folded Reload
	v_add_nc_u32_e32 v6, v5, v2
	s_waitcnt vmcnt(0)
	v_bfe_u32 v7, v9, 16, 1
	v_cmp_o_f32_e64 s3, v9, v9
	s_delay_alu instid0(VALU_DEP_2) | instskip(SKIP_1) | instid1(VALU_DEP_2)
	v_add3_u32 v8, v9, v7, 0x7fff
	v_mov_b32_e32 v7, 0
	v_lshrrev_b32_e32 v8, 16, v8
	s_delay_alu instid0(VALU_DEP_2) | instskip(NEXT) | instid1(VALU_DEP_2)
	v_lshlrev_b64 v[6:7], 1, v[6:7]
	v_cndmask_b32_e64 v8, 0x7fc0, v8, s3
	s_waitcnt lgkmcnt(0)
	s_delay_alu instid0(VALU_DEP_2) | instskip(NEXT) | instid1(VALU_DEP_1)
	v_add_co_u32 v6, s3, s8, v6
	v_add_co_ci_u32_e64 v7, s3, s9, v7, s3
	global_store_b16 v[6:7], v8, off
	s_or_b32 exec_lo, exec_lo, s5
	s_and_saveexec_b32 s5, s1
	s_cbranch_execz .LBB171_42
.LBB171_74:
	scratch_load_b32 v9, off, off offset:1140 ; 4-byte Folded Reload
	v_add_nc_u32_e32 v6, v5, v3
	s_waitcnt vmcnt(0)
	v_bfe_u32 v7, v9, 16, 1
	v_cmp_o_f32_e64 s3, v9, v9
	s_delay_alu instid0(VALU_DEP_2) | instskip(SKIP_1) | instid1(VALU_DEP_2)
	v_add3_u32 v8, v9, v7, 0x7fff
	v_mov_b32_e32 v7, 0
	v_lshrrev_b32_e32 v8, 16, v8
	s_delay_alu instid0(VALU_DEP_2) | instskip(NEXT) | instid1(VALU_DEP_2)
	v_lshlrev_b64 v[6:7], 1, v[6:7]
	v_cndmask_b32_e64 v8, 0x7fc0, v8, s3
	s_waitcnt lgkmcnt(0)
	s_delay_alu instid0(VALU_DEP_2) | instskip(NEXT) | instid1(VALU_DEP_1)
	v_add_co_u32 v6, s3, s8, v6
	v_add_co_ci_u32_e64 v7, s3, s9, v7, s3
	global_store_b16 v[6:7], v8, off
	s_or_b32 exec_lo, exec_lo, s5
	s_and_saveexec_b32 s5, s2
	s_cbranch_execnz .LBB171_43
	s_branch .LBB171_44
.LBB171_75:
	scratch_load_b32 v139, off, off offset:1164 ; 4-byte Folded Reload
	v_add_nc_u32_e32 v6, v5, v0
	s_waitcnt vmcnt(0)
	v_bfe_u32 v7, v139, 16, 1
	v_cmp_o_f32_e64 s3, v139, v139
	s_delay_alu instid0(VALU_DEP_2) | instskip(SKIP_1) | instid1(VALU_DEP_2)
	v_add3_u32 v8, v139, v7, 0x7fff
	v_mov_b32_e32 v7, 0
	v_lshrrev_b32_e32 v8, 16, v8
	s_delay_alu instid0(VALU_DEP_2) | instskip(NEXT) | instid1(VALU_DEP_2)
	v_lshlrev_b64 v[6:7], 1, v[6:7]
	v_cndmask_b32_e64 v8, 0x7fc0, v8, s3
	s_waitcnt lgkmcnt(0)
	s_delay_alu instid0(VALU_DEP_2) | instskip(NEXT) | instid1(VALU_DEP_1)
	v_add_co_u32 v6, s3, s8, v6
	v_add_co_ci_u32_e64 v7, s3, s9, v7, s3
	global_store_b16 v[6:7], v8, off
	s_or_b32 exec_lo, exec_lo, s5
	s_and_saveexec_b32 s5, s0
	s_cbranch_execz .LBB171_47
.LBB171_76:
	scratch_load_b32 v138, off, off offset:1160 ; 4-byte Folded Reload
	v_add_nc_u32_e32 v6, v5, v2
	s_waitcnt vmcnt(0)
	v_bfe_u32 v7, v138, 16, 1
	v_cmp_o_f32_e64 s3, v138, v138
	s_delay_alu instid0(VALU_DEP_2) | instskip(SKIP_1) | instid1(VALU_DEP_2)
	v_add3_u32 v8, v138, v7, 0x7fff
	v_mov_b32_e32 v7, 0
	v_lshrrev_b32_e32 v8, 16, v8
	s_delay_alu instid0(VALU_DEP_2) | instskip(NEXT) | instid1(VALU_DEP_2)
	v_lshlrev_b64 v[6:7], 1, v[6:7]
	v_cndmask_b32_e64 v8, 0x7fc0, v8, s3
	s_waitcnt lgkmcnt(0)
	s_delay_alu instid0(VALU_DEP_2) | instskip(NEXT) | instid1(VALU_DEP_1)
	v_add_co_u32 v6, s3, s8, v6
	v_add_co_ci_u32_e64 v7, s3, s9, v7, s3
	global_store_b16 v[6:7], v8, off
	s_or_b32 exec_lo, exec_lo, s5
	s_and_saveexec_b32 s5, s1
	s_cbranch_execz .LBB171_48
.LBB171_77:
	scratch_load_b32 v137, off, off offset:1156 ; 4-byte Folded Reload
	v_add_nc_u32_e32 v6, v5, v3
	s_waitcnt vmcnt(0)
	v_bfe_u32 v7, v137, 16, 1
	v_cmp_o_f32_e64 s3, v137, v137
	s_delay_alu instid0(VALU_DEP_2) | instskip(SKIP_1) | instid1(VALU_DEP_2)
	v_add3_u32 v8, v137, v7, 0x7fff
	v_mov_b32_e32 v7, 0
	v_lshrrev_b32_e32 v8, 16, v8
	s_delay_alu instid0(VALU_DEP_2) | instskip(NEXT) | instid1(VALU_DEP_2)
	v_lshlrev_b64 v[6:7], 1, v[6:7]
	v_cndmask_b32_e64 v8, 0x7fc0, v8, s3
	s_waitcnt lgkmcnt(0)
	s_delay_alu instid0(VALU_DEP_2) | instskip(NEXT) | instid1(VALU_DEP_1)
	v_add_co_u32 v6, s3, s8, v6
	v_add_co_ci_u32_e64 v7, s3, s9, v7, s3
	global_store_b16 v[6:7], v8, off
	s_or_b32 exec_lo, exec_lo, s5
	s_and_saveexec_b32 s5, s2
	s_cbranch_execnz .LBB171_49
	s_branch .LBB171_50
.LBB171_78:
	scratch_load_b32 v9, off, off offset:1172 ; 4-byte Folded Reload
	v_add_nc_u32_e32 v6, v5, v0
	s_waitcnt vmcnt(0)
	v_bfe_u32 v7, v9, 16, 1
	v_cmp_o_f32_e64 s3, v9, v9
	s_delay_alu instid0(VALU_DEP_2) | instskip(SKIP_1) | instid1(VALU_DEP_2)
	v_add3_u32 v8, v9, v7, 0x7fff
	v_mov_b32_e32 v7, 0
	v_lshrrev_b32_e32 v8, 16, v8
	s_delay_alu instid0(VALU_DEP_2) | instskip(NEXT) | instid1(VALU_DEP_2)
	v_lshlrev_b64 v[6:7], 1, v[6:7]
	v_cndmask_b32_e64 v8, 0x7fc0, v8, s3
	s_waitcnt lgkmcnt(0)
	s_delay_alu instid0(VALU_DEP_2) | instskip(NEXT) | instid1(VALU_DEP_1)
	v_add_co_u32 v6, s3, s8, v6
	v_add_co_ci_u32_e64 v7, s3, s9, v7, s3
	global_store_b16 v[6:7], v8, off
	s_or_b32 exec_lo, exec_lo, s5
	s_and_saveexec_b32 s5, s0
	s_cbranch_execz .LBB171_53
.LBB171_79:
	scratch_load_b32 v9, off, off offset:1168 ; 4-byte Folded Reload
	v_add_nc_u32_e32 v6, v5, v2
	s_waitcnt vmcnt(0)
	v_bfe_u32 v7, v9, 16, 1
	v_cmp_o_f32_e64 s3, v9, v9
	s_delay_alu instid0(VALU_DEP_2) | instskip(SKIP_1) | instid1(VALU_DEP_2)
	v_add3_u32 v8, v9, v7, 0x7fff
	v_mov_b32_e32 v7, 0
	v_lshrrev_b32_e32 v8, 16, v8
	s_delay_alu instid0(VALU_DEP_2) | instskip(NEXT) | instid1(VALU_DEP_2)
	v_lshlrev_b64 v[6:7], 1, v[6:7]
	v_cndmask_b32_e64 v8, 0x7fc0, v8, s3
	s_waitcnt lgkmcnt(0)
	s_delay_alu instid0(VALU_DEP_2) | instskip(NEXT) | instid1(VALU_DEP_1)
	v_add_co_u32 v6, s3, s8, v6
	v_add_co_ci_u32_e64 v7, s3, s9, v7, s3
	global_store_b16 v[6:7], v8, off
	s_or_b32 exec_lo, exec_lo, s5
	s_and_saveexec_b32 s5, s1
	s_cbranch_execz .LBB171_54
.LBB171_80:
	v_bfe_u32 v7, v253, 16, 1
	v_add_nc_u32_e32 v6, v5, v3
	v_cmp_o_f32_e64 s3, v253, v253
	s_delay_alu instid0(VALU_DEP_3) | instskip(SKIP_1) | instid1(VALU_DEP_2)
	v_add3_u32 v8, v253, v7, 0x7fff
	v_mov_b32_e32 v7, 0
	v_lshrrev_b32_e32 v8, 16, v8
	s_delay_alu instid0(VALU_DEP_2) | instskip(NEXT) | instid1(VALU_DEP_2)
	v_lshlrev_b64 v[6:7], 1, v[6:7]
	v_cndmask_b32_e64 v8, 0x7fc0, v8, s3
	s_waitcnt lgkmcnt(0)
	s_delay_alu instid0(VALU_DEP_2) | instskip(NEXT) | instid1(VALU_DEP_1)
	v_add_co_u32 v6, s3, s8, v6
	v_add_co_ci_u32_e64 v7, s3, s9, v7, s3
	global_store_b16 v[6:7], v8, off
	s_or_b32 exec_lo, exec_lo, s5
	s_and_saveexec_b32 s5, s2
	s_cbranch_execnz .LBB171_55
	s_branch .LBB171_56
.LBB171_81:
	v_bfe_u32 v6, v34, 16, 1
	s_delay_alu instid0(VALU_DEP_2) | instskip(SKIP_1) | instid1(VALU_DEP_3)
	v_add_nc_u32_e32 v5, v1, v0
	v_cmp_o_f32_e32 vcc_lo, v34, v34
	v_add3_u32 v0, v34, v6, 0x7fff
	v_mov_b32_e32 v6, 0
	s_delay_alu instid0(VALU_DEP_2) | instskip(NEXT) | instid1(VALU_DEP_2)
	v_lshrrev_b32_e32 v0, 16, v0
	v_lshlrev_b64 v[5:6], 1, v[5:6]
	s_delay_alu instid0(VALU_DEP_2) | instskip(SKIP_1) | instid1(VALU_DEP_2)
	v_cndmask_b32_e32 v0, 0x7fc0, v0, vcc_lo
	s_waitcnt lgkmcnt(0)
	v_add_co_u32 v5, vcc_lo, s8, v5
	s_delay_alu instid0(VALU_DEP_3)
	v_add_co_ci_u32_e32 v6, vcc_lo, s9, v6, vcc_lo
	global_store_b16 v[5:6], v0, off
	s_or_b32 exec_lo, exec_lo, s3
	s_and_saveexec_b32 s3, s0
	s_cbranch_execz .LBB171_59
.LBB171_82:
	v_bfe_u32 v0, v33, 16, 1
	s_delay_alu instid0(VALU_DEP_2) | instskip(SKIP_1) | instid1(VALU_DEP_3)
	v_dual_mov_b32 v6, 0 :: v_dual_add_nc_u32 v5, v1, v2
	v_cmp_o_f32_e32 vcc_lo, v33, v33
	v_add3_u32 v0, v33, v0, 0x7fff
	s_delay_alu instid0(VALU_DEP_3) | instskip(NEXT) | instid1(VALU_DEP_2)
	v_lshlrev_b64 v[5:6], 1, v[5:6]
	v_lshrrev_b32_e32 v0, 16, v0
	s_delay_alu instid0(VALU_DEP_1) | instskip(SKIP_1) | instid1(VALU_DEP_3)
	v_cndmask_b32_e32 v0, 0x7fc0, v0, vcc_lo
	s_waitcnt lgkmcnt(0)
	v_add_co_u32 v5, vcc_lo, s8, v5
	s_delay_alu instid0(VALU_DEP_4)
	v_add_co_ci_u32_e32 v6, vcc_lo, s9, v6, vcc_lo
	global_store_b16 v[5:6], v0, off
	s_or_b32 exec_lo, exec_lo, s3
	s_and_saveexec_b32 s0, s1
	s_cbranch_execz .LBB171_60
.LBB171_83:
	v_bfe_u32 v0, v31, 16, 1
	v_dual_mov_b32 v3, 0 :: v_dual_add_nc_u32 v2, v1, v3
	v_cmp_o_f32_e32 vcc_lo, v31, v31
	s_delay_alu instid0(VALU_DEP_3) | instskip(NEXT) | instid1(VALU_DEP_3)
	v_add3_u32 v0, v31, v0, 0x7fff
	v_lshlrev_b64 v[2:3], 1, v[2:3]
	s_delay_alu instid0(VALU_DEP_2) | instskip(NEXT) | instid1(VALU_DEP_1)
	v_lshrrev_b32_e32 v0, 16, v0
	v_cndmask_b32_e32 v0, 0x7fc0, v0, vcc_lo
	s_waitcnt lgkmcnt(0)
	s_delay_alu instid0(VALU_DEP_3) | instskip(NEXT) | instid1(VALU_DEP_4)
	v_add_co_u32 v2, vcc_lo, s8, v2
	v_add_co_ci_u32_e32 v3, vcc_lo, s9, v3, vcc_lo
	global_store_b16 v[2:3], v0, off
	s_or_b32 exec_lo, exec_lo, s0
	s_delay_alu instid0(SALU_CYCLE_1)
	s_and_b32 exec_lo, exec_lo, s2
	s_cbranch_execnz .LBB171_61
	s_branch .LBB171_62
	.section	.rodata,"a",@progbits
	.p2align	6, 0x0
	.amdhsa_kernel _ZL12mul_mat_q4_KIN3c108BFloat16ELb0EEvPKvS3_PT_iiiii
		.amdhsa_group_segment_fixed_size 28752
		.amdhsa_private_segment_fixed_size 1588
		.amdhsa_kernarg_size 44
		.amdhsa_user_sgpr_count 14
		.amdhsa_user_sgpr_dispatch_ptr 0
		.amdhsa_user_sgpr_queue_ptr 0
		.amdhsa_user_sgpr_kernarg_segment_ptr 1
		.amdhsa_user_sgpr_dispatch_id 0
		.amdhsa_user_sgpr_private_segment_size 0
		.amdhsa_wavefront_size32 1
		.amdhsa_uses_dynamic_stack 0
		.amdhsa_enable_private_segment 1
		.amdhsa_system_sgpr_workgroup_id_x 1
		.amdhsa_system_sgpr_workgroup_id_y 1
		.amdhsa_system_sgpr_workgroup_id_z 0
		.amdhsa_system_sgpr_workgroup_info 0
		.amdhsa_system_vgpr_workitem_id 1
		.amdhsa_next_free_vgpr 256
		.amdhsa_next_free_sgpr 18
		.amdhsa_reserve_vcc 1
		.amdhsa_float_round_mode_32 0
		.amdhsa_float_round_mode_16_64 0
		.amdhsa_float_denorm_mode_32 3
		.amdhsa_float_denorm_mode_16_64 3
		.amdhsa_dx10_clamp 1
		.amdhsa_ieee_mode 1
		.amdhsa_fp16_overflow 0
		.amdhsa_workgroup_processor_mode 1
		.amdhsa_memory_ordered 1
		.amdhsa_forward_progress 0
		.amdhsa_shared_vgpr_count 0
		.amdhsa_exception_fp_ieee_invalid_op 0
		.amdhsa_exception_fp_denorm_src 0
		.amdhsa_exception_fp_ieee_div_zero 0
		.amdhsa_exception_fp_ieee_overflow 0
		.amdhsa_exception_fp_ieee_underflow 0
		.amdhsa_exception_fp_ieee_inexact 0
		.amdhsa_exception_int_div_zero 0
	.end_amdhsa_kernel
	.section	.text._ZL12mul_mat_q4_KIN3c108BFloat16ELb0EEvPKvS3_PT_iiiii,"axG",@progbits,_ZL12mul_mat_q4_KIN3c108BFloat16ELb0EEvPKvS3_PT_iiiii,comdat
.Lfunc_end171:
	.size	_ZL12mul_mat_q4_KIN3c108BFloat16ELb0EEvPKvS3_PT_iiiii, .Lfunc_end171-_ZL12mul_mat_q4_KIN3c108BFloat16ELb0EEvPKvS3_PT_iiiii
                                        ; -- End function
	.section	.AMDGPU.csdata,"",@progbits
; Kernel info:
; codeLenInByte = 50544
; NumSgprs: 20
; NumVgprs: 256
; ScratchSize: 1588
; MemoryBound: 0
; FloatMode: 240
; IeeeMode: 1
; LDSByteSize: 28752 bytes/workgroup (compile time only)
; SGPRBlocks: 2
; VGPRBlocks: 31
; NumSGPRsForWavesPerEU: 20
; NumVGPRsForWavesPerEU: 256
; Occupancy: 5
; WaveLimiterHint : 0
; COMPUTE_PGM_RSRC2:SCRATCH_EN: 1
; COMPUTE_PGM_RSRC2:USER_SGPR: 14
; COMPUTE_PGM_RSRC2:TRAP_HANDLER: 0
; COMPUTE_PGM_RSRC2:TGID_X_EN: 1
; COMPUTE_PGM_RSRC2:TGID_Y_EN: 1
; COMPUTE_PGM_RSRC2:TGID_Z_EN: 0
; COMPUTE_PGM_RSRC2:TIDIG_COMP_CNT: 1
	.section	.text._ZL12mul_mat_q4_KIN3c108BFloat16ELb1EEvPKvS3_PT_iiiii,"axG",@progbits,_ZL12mul_mat_q4_KIN3c108BFloat16ELb1EEvPKvS3_PT_iiiii,comdat
	.globl	_ZL12mul_mat_q4_KIN3c108BFloat16ELb1EEvPKvS3_PT_iiiii ; -- Begin function _ZL12mul_mat_q4_KIN3c108BFloat16ELb1EEvPKvS3_PT_iiiii
	.p2align	8
	.type	_ZL12mul_mat_q4_KIN3c108BFloat16ELb1EEvPKvS3_PT_iiiii,@function
_ZL12mul_mat_q4_KIN3c108BFloat16ELb1EEvPKvS3_PT_iiiii: ; @_ZL12mul_mat_q4_KIN3c108BFloat16ELb1EEvPKvS3_PT_iiiii
; %bb.0:
	s_clause 0x1
	s_load_b128 s[4:7], s[0:1], 0x18
	s_load_b32 s10, s[0:1], 0x28
	v_bfe_u32 v36, v0, 10, 10
	v_and_b32_e32 v1, 0x3ff, v0
	s_lshl_b32 s11, s15, 6
	scratch_store_b32 off, v1, off offset:1280 ; 4-byte Folded Spill
	s_waitcnt lgkmcnt(0)
	s_cmpk_gt_i32 s4, 0xff
	s_cbranch_scc1 .LBB172_2
; %bb.1:
	v_bfe_u32 v1, v0, 10, 10
	v_and_b32_e32 v0, 0x3ff, v0
	s_mov_b32 s2, 0
	s_mov_b32 s3, 0
	s_delay_alu instid0(VALU_DEP_2)
	v_add_nc_u32_e32 v2, s11, v1
	s_branch .LBB172_3
.LBB172_2:
	s_mov_b32 s2, -1
                                        ; implicit-def: $sgpr3
                                        ; implicit-def: $vgpr1
                                        ; implicit-def: $vgpr0
                                        ; implicit-def: $vgpr2
.LBB172_3:
	s_load_b64 s[8:9], s[0:1], 0x10
	v_dual_mov_b32 v30, s3 :: v_dual_mov_b32 v31, s3
	v_dual_mov_b32 v76, s3 :: v_dual_mov_b32 v95, s3
	;; [unrolled: 1-line block ×4, first 2 shown]
	v_mov_b32_e32 v72, s3
	s_and_not1_b32 vcc_lo, exec_lo, s2
	s_lshl_b32 s12, s14, 7
	s_clause 0x16
	scratch_store_b32 off, v30, off offset:1136
	scratch_store_b32 off, v30, off offset:1120
	;; [unrolled: 1-line block ×23, first 2 shown]
	s_cbranch_vccnz .LBB172_11
; %bb.4:
	scratch_load_b32 v37, off, off offset:1280 ; 4-byte Folded Reload
	s_load_b128 s[0:3], s[0:1], 0x0
	s_ashr_i32 s13, s4, 31
	s_ashr_i32 s14, s7, 31
	s_lshr_b32 s13, s13, 24
	v_mov_b32_e32 v71, 0
	s_add_i32 s4, s4, s13
	s_lshr_b32 s13, s14, 27
	s_ashr_i32 s4, s4, 8
	s_add_i32 s7, s7, s13
	s_mul_i32 s13, s4, s12
	s_ashr_i32 s14, s7, 5
	s_mul_i32 s7, s13, 0x90
	s_mul_hi_i32 s13, s13, 0x90
	v_add_nc_u32_e32 v20, 8, v36
	v_dual_mov_b32 v72, 0 :: v_dual_add_nc_u32 v9, 0x60, v36
	v_add_nc_u32_e32 v21, 16, v36
	v_dual_mov_b32 v95, 0 :: v_dual_add_nc_u32 v22, 24, v36
	v_add_nc_u32_e32 v23, 32, v36
	s_waitcnt lgkmcnt(0)
	s_add_u32 s7, s0, s7
	s_addc_u32 s13, s1, s13
	s_not_b32 s0, s12
	v_add_nc_u32_e32 v28, s11, v36
	s_add_i32 s0, s0, s5
	v_add_nc_u32_e32 v24, 40, v36
	v_min_i32_e32 v1, s0, v36
	v_min_i32_e32 v19, s0, v9
	;; [unrolled: 1-line block ×3, first 2 shown]
	v_add_nc_u32_e32 v25, 48, v36
	v_add_nc_u32_e32 v26, 56, v36
	v_mul_lo_u32 v4, v1, s4
	v_mul_lo_u32 v29, v19, s4
	s_add_i32 s1, s6, -1
	v_add_nc_u32_e32 v10, 24, v28
	v_lshlrev_b32_e32 v27, 5, v36
	v_add_nc_u32_e32 v7, 16, v28
	v_add_nc_u32_e32 v17, 0x68, v36
	;; [unrolled: 1-line block ×3, first 2 shown]
	v_cvt_f64_u32_e32 v[9:10], v10
	v_add_nc_u32_e32 v13, 40, v28
	v_add_nc_u32_e32 v16, 48, v28
	v_cvt_f64_u32_e32 v[7:8], v7
	v_cvt_f64_u32_e32 v[11:12], v11
	v_add_nc_u32_e32 v30, 0x70, v36
	v_cvt_f64_u32_e32 v[13:14], v13
	s_mov_b32 s5, 0
	s_clause 0x1
	scratch_store_b32 off, v4, off offset:1396
	scratch_store_b32 off, v28, off offset:1640
	v_mov_b32_e32 v212, 0
	v_mov_b32_e32 v76, 0
	s_waitcnt vmcnt(0)
	v_lshlrev_b32_e32 v0, 2, v37
	v_add_nc_u32_e32 v15, v27, v37
	v_lshrrev_b32_e32 v38, 5, v37
	s_delay_alu instid0(VALU_DEP_3) | instskip(SKIP_1) | instid1(VALU_DEP_4)
	v_and_b32_e32 v2, 0x7c, v0
	v_mad_u64_u32 v[4:5], null, 0x84, v1, v[0:1]
	v_and_b32_e32 v18, 0x7f, v15
	v_cvt_f64_u32_e32 v[15:16], v16
	scratch_store_b32 off, v2, off offset:1392 ; 4-byte Folded Spill
	v_min_i32_e32 v2, s0, v20
	scratch_store_b32 off, v38, off offset:1388 ; 4-byte Folded Spill
	v_min_i32_e32 v31, s0, v18
	v_mul_lo_u32 v1, v2, s4
	scratch_store_b64 off, v[4:5], off offset:1400 ; 8-byte Folded Spill
	v_mad_u64_u32 v[4:5], null, 0x84, v2, v[0:1]
	scratch_store_b32 off, v1, off offset:1408 ; 4-byte Folded Spill
	v_mul_lo_u32 v1, v3, s4
	v_min_i32_e32 v2, s0, v23
	s_clause 0x1
	scratch_store_b64 off, v[4:5], off offset:1412
	scratch_store_b32 off, v1, off offset:1420
	v_min_i32_e32 v1, s0, v22
	s_delay_alu instid0(VALU_DEP_1)
	v_mad_u64_u32 v[4:5], null, 0x84, v3, v[0:1]
	v_mul_lo_u32 v3, v1, s4
	s_clause 0x1
	scratch_store_b64 off, v[4:5], off offset:1424
	scratch_store_b32 off, v3, off offset:1432
	v_mad_u64_u32 v[3:4], null, 0x84, v1, v[0:1]
	v_min_i32_e32 v1, s0, v24
	scratch_store_b64 off, v[3:4], off offset:1436 ; 8-byte Folded Spill
	v_mul_lo_u32 v3, v2, s4
	scratch_store_b32 off, v3, off offset:1444 ; 4-byte Folded Spill
	v_mad_u64_u32 v[3:4], null, 0x84, v2, v[0:1]
	v_mul_lo_u32 v2, v1, s4
	scratch_store_b64 off, v[3:4], off offset:1448 ; 8-byte Folded Spill
	v_mad_u64_u32 v[3:4], null, 0x84, v1, v[0:1]
	scratch_store_b32 off, v2, off offset:1456 ; 4-byte Folded Spill
	v_min_i32_e32 v2, s0, v25
	v_add_nc_u32_e32 v1, 64, v36
	scratch_store_b64 off, v[3:4], off offset:1460 ; 8-byte Folded Spill
	v_mul_lo_u32 v4, v2, s4
	v_min_i32_e32 v3, s0, v26
	scratch_store_b32 off, v4, off offset:1468 ; 4-byte Folded Spill
	v_mad_u64_u32 v[4:5], null, 0x84, v2, v[0:1]
	v_min_i32_e32 v1, s0, v1
	v_mul_lo_u32 v2, v3, s4
	scratch_store_b64 off, v[4:5], off offset:1472 ; 8-byte Folded Spill
	v_mad_u64_u32 v[4:5], null, 0x84, v3, v[0:1]
	scratch_store_b32 off, v2, off offset:1480 ; 4-byte Folded Spill
	v_add_nc_u32_e32 v2, 0x48, v36
	v_mul_lo_u32 v3, v1, s4
	scratch_store_b64 off, v[4:5], off offset:1484 ; 8-byte Folded Spill
	v_mad_u64_u32 v[4:5], null, 0x84, v1, v[0:1]
	v_min_i32_e32 v2, s0, v2
	scratch_store_b32 off, v3, off offset:1492 ; 4-byte Folded Spill
	v_add_nc_u32_e32 v3, 0x50, v36
	v_add_nc_u32_e32 v1, 0x58, v36
	scratch_store_b64 off, v[4:5], off offset:1496 ; 8-byte Folded Spill
	v_mul_lo_u32 v4, v2, s4
	v_min_i32_e32 v3, s0, v3
	scratch_store_b32 off, v4, off offset:1504 ; 4-byte Folded Spill
	v_mad_u64_u32 v[4:5], null, 0x84, v2, v[0:1]
	v_mul_lo_u32 v2, v3, s4
	v_min_i32_e32 v1, s0, v1
	scratch_store_b64 off, v[4:5], off offset:1508 ; 8-byte Folded Spill
	v_mad_u64_u32 v[4:5], null, 0x84, v3, v[0:1]
	scratch_store_b32 off, v2, off offset:1516 ; 4-byte Folded Spill
	v_mul_lo_u32 v2, v1, s4
	scratch_store_b64 off, v[4:5], off offset:1520 ; 8-byte Folded Spill
	v_add_nc_u32_e32 v5, 8, v28
	scratch_store_b32 off, v2, off offset:1528 ; 4-byte Folded Spill
	v_mad_u64_u32 v[2:3], null, 0x84, v1, v[0:1]
	v_cvt_f64_u32_e32 v[5:6], v5
	scratch_store_b64 off, v[2:3], off offset:1532 ; 8-byte Folded Spill
	v_cvt_f64_i32_e32 v[1:2], s1
	v_cvt_f64_u32_e32 v[3:4], v28
	v_add_nc_u32_e32 v28, 56, v28
	s_delay_alu instid0(VALU_DEP_3)
	v_mad_u64_u32 v[32:33], null, 0x84, v19, v[0:1]
	scratch_store_b32 off, v29, off offset:1540 ; 4-byte Folded Spill
	v_min_i32_e32 v29, s0, v17
	v_cvt_f64_u32_e32 v[17:18], v28
	v_min_f64 v[3:4], v[3:4], v[1:2]
	v_ashrrev_i32_e32 v28, 31, v31
	v_min_f64 v[9:10], v[9:10], v[1:2]
	v_mul_lo_u32 v19, v29, s4
	scratch_store_b64 off, v[32:33], off offset:1544 ; 8-byte Folded Spill
	v_mad_u64_u32 v[32:33], null, 0x84, v29, v[0:1]
	v_min_f64 v[5:6], v[5:6], v[1:2]
	v_lshrrev_b32_e32 v28, 27, v28
	v_min_f64 v[7:8], v[7:8], v[1:2]
	v_min_f64 v[11:12], v[11:12], v[1:2]
	scratch_store_b32 off, v19, off offset:1552 ; 4-byte Folded Spill
	v_min_i32_e32 v19, s0, v30
	v_add_nc_u32_e32 v30, 0x78, v36
	v_min_f64 v[13:14], v[13:14], v[1:2]
	v_min_f64 v[15:16], v[15:16], v[1:2]
	s_delay_alu instid0(VALU_DEP_4)
	v_mul_lo_u32 v29, v19, s4
	scratch_store_b64 off, v[32:33], off offset:1556 ; 8-byte Folded Spill
	v_mad_u64_u32 v[32:33], null, 0x84, v19, v[0:1]
	v_add_nc_u32_e32 v19, v31, v28
	scratch_store_b32 off, v29, off offset:1564 ; 4-byte Folded Spill
	v_min_i32_e32 v29, s0, v30
	v_lshrrev_b32_e32 v30, 2, v37
	v_ashrrev_i32_e32 v19, 5, v19
	s_delay_alu instid0(VALU_DEP_3)
	v_mul_lo_u32 v28, v29, s4
	scratch_store_b64 off, v[32:33], off offset:1568 ; 8-byte Folded Spill
	v_mad_u64_u32 v[32:33], null, 0x84, v29, v[0:1]
	v_min_f64 v[1:2], v[17:18], v[1:2]
	v_mul_lo_u32 v17, v31, s4
	scratch_store_b32 off, v28, off offset:1576 ; 4-byte Folded Spill
	v_lshl_add_u32 v28, v36, 3, v30
	v_lshlrev_b32_e32 v30, 2, v19
	v_and_b32_e32 v19, 3, v37
	scratch_store_b64 off, v[32:33], off offset:1580 ; 8-byte Folded Spill
	v_lshlrev_b32_e32 v33, 2, v31
	v_and_b32_e32 v29, 0x7f, v28
	v_cvt_i32_f64_e32 v3, v[3:4]
	v_add_nc_u32_e32 v34, 0xfe, v19
	v_cmp_gt_u32_e32 vcc_lo, 2, v19
	v_cvt_i32_f64_e32 v9, v[9:10]
	v_min_i32_e32 v32, s0, v29
	v_xor_b32_e32 v29, 64, v29
	v_cvt_i32_f64_e32 v5, v[5:6]
	v_cndmask_b32_e32 v34, v34, v19, vcc_lo
	v_cmp_ne_u32_e32 vcc_lo, 0, v19
	v_ashrrev_i32_e32 v35, 31, v32
	v_min_i32_e32 v18, s0, v29
	v_add3_u32 v29, v30, v33, 0x6e40
	scratch_store_b32 off, v17, off offset:1588 ; 4-byte Folded Spill
	v_mul_lo_u32 v10, v32, s4
	v_lshrrev_b32_e32 v17, 29, v35
	v_and_b32_e32 v30, 4, v0
	scratch_store_b32 off, v29, off offset:1592 ; 4-byte Folded Spill
	v_and_b32_e32 v29, 0xff, v34
	v_ashrrev_i32_e32 v31, 31, v18
	v_add_nc_u32_e32 v17, v32, v17
	v_cvt_i32_f64_e32 v7, v[7:8]
	scratch_store_b32 off, v10, off offset:1604 ; 4-byte Folded Spill
	v_add_co_ci_u32_e32 v33, vcc_lo, 0, v29, vcc_lo
	v_cmp_lt_u32_e32 vcc_lo, 1, v19
	v_lshrrev_b32_e32 v31, 29, v31
	v_ashrrev_i32_e32 v17, 3, v17
	v_cvt_i32_f64_e32 v10, v[11:12]
	v_cvt_i32_f64_e32 v12, v[13:14]
	v_cndmask_b32_e32 v30, 0, v30, vcc_lo
	v_mul_lo_u32 v14, v18, s4
	v_lshlrev_b32_e32 v6, 2, v17
	v_lshlrev_b32_e32 v17, 1, v29
	v_cvt_i32_f64_e32 v1, v[1:2]
	scratch_store_b32 off, v30, off offset:1596 ; 4-byte Folded Spill
	v_add_nc_u32_e32 v30, v18, v31
	v_lshlrev_b32_e32 v8, 2, v19
	s_clause 0x1
	scratch_store_b32 off, v17, off offset:1600
	scratch_store_b32 off, v14, off offset:1608
	v_cvt_i32_f64_e32 v14, v[15:16]
	v_ashrrev_i32_e32 v17, 3, v30
	v_and_b32_e32 v15, 63, v28
	v_and_b32_e32 v2, 31, v37
	v_add3_u32 v6, v6, v8, 0x6200
	v_mul_lo_u32 v3, s14, v3
	v_lshlrev_b32_e32 v11, 2, v17
	v_and_b32_e32 v17, 28, v0
	v_lshlrev_b32_e32 v16, 4, v18
	v_or_b32_e32 v18, s11, v15
	v_mov_b32_e32 v30, 0
	v_add3_u32 v11, v11, v8, 0x6200
	v_lshl_or_b32 v8, v15, 4, v8
	v_add_co_u32 v28, s0, s2, v17
	v_lshlrev_b32_e32 v15, 2, v2
	v_or_b32_e32 v2, v27, v2
	v_add_co_ci_u32_e64 v29, null, s3, 0, s0
	v_add_nc_u32_e32 v8, 0x6a40, v8
	v_min_i32_e32 v17, s1, v18
	s_delay_alu instid0(VALU_DEP_4)
	v_lshl_add_u32 v2, v2, 2, 0x4200
	s_clause 0x2
	scratch_store_b64 off, v[28:29], off offset:1284
	scratch_store_b32 off, v3, off offset:1296
	scratch_store_b32 off, v8, off offset:1292
	v_mul_lo_u32 v3, s14, v5
	v_lshl_or_b32 v8, v20, 7, v15
	scratch_store_b32 off, v2, off offset:1300 ; 4-byte Folded Spill
	v_lshl_or_b32 v2, v21, 7, v15
	v_mul_lo_u32 v5, s14, v9
	v_lshl_or_b32 v9, v26, 7, v15
	v_mad_u64_u32 v[27:28], null, v17, s14, v[19:20]
	s_delay_alu instid0(VALU_DEP_4)
	v_add_nc_u32_e32 v2, 0x4200, v2
	scratch_store_b32 off, v3, off offset:1304 ; 4-byte Folded Spill
	v_add_nc_u32_e32 v3, 0x4200, v8
	v_mul_lo_u32 v1, s14, v1
	v_add_nc_u32_e32 v9, 0x4200, v9
	scratch_store_b32 off, v2, off offset:1316 ; 4-byte Folded Spill
	v_lshl_or_b32 v2, v23, 7, v15
	scratch_store_b32 off, v3, off offset:1308 ; 4-byte Folded Spill
	v_mul_lo_u32 v3, s14, v7
	scratch_store_b32 off, v9, off offset:1356 ; 4-byte Folded Spill
	v_add_nc_u32_e32 v7, 0x60, v37
	v_add_nc_u32_e32 v2, 0x4200, v2
	scratch_store_b32 off, v1, off offset:1352 ; 4-byte Folded Spill
	v_cndmask_b32_e64 v4, 0, 1, vcc_lo
	v_lshlrev_b32_e32 v13, 4, v32
	v_lshrrev_b32_e32 v8, 3, v7
	s_clause 0x1
	scratch_store_b32 off, v3, off offset:1312
	scratch_store_b32 off, v2, off offset:1332
	v_lshl_or_b32 v3, v22, 7, v15
	v_mul_lo_u32 v2, s14, v12
	scratch_store_b64 off, v[27:28], off offset:1612 ; 8-byte Folded Spill
	v_and_b32_e32 v8, 60, v8
	v_lshlrev_b32_e32 v35, 4, v37
	v_add_nc_u32_e32 v3, 0x4200, v3
	scratch_store_b32 off, v5, off offset:1320 ; 4-byte Folded Spill
	v_lshl_or_b32 v5, v24, 7, v15
	v_dual_mov_b32 v32, 0 :: v_dual_mov_b32 v31, 0
	scratch_store_b32 off, v3, off offset:1324 ; 4-byte Folded Spill
	v_mul_lo_u32 v3, s14, v10
	v_lshlrev_b32_e32 v10, 2, v38
	s_delay_alu instid0(VALU_DEP_1)
	v_add3_u32 v9, v10, v0, 0x6e40
	scratch_store_b32 off, v2, off offset:1336 ; 4-byte Folded Spill
	v_add_nc_u32_e32 v2, 0x4200, v5
	scratch_store_b32 off, v3, off offset:1328 ; 4-byte Folded Spill
	v_mul_lo_u32 v3, s14, v14
	v_add_nc_u32_e32 v5, 64, v37
	scratch_store_b32 off, v2, off offset:1340 ; 4-byte Folded Spill
	v_lshl_or_b32 v2, v25, 7, v15
	s_delay_alu instid0(VALU_DEP_1) | instskip(SKIP_2) | instid1(VALU_DEP_1)
	v_add_nc_u32_e32 v2, 0x4200, v2
	scratch_store_b32 off, v3, off offset:1344 ; 4-byte Folded Spill
	v_add_nc_u32_e32 v3, 32, v37
	v_lshrrev_b32_e32 v1, 3, v3
	s_delay_alu instid0(VALU_DEP_1) | instskip(NEXT) | instid1(VALU_DEP_1)
	v_and_b32_e32 v1, 60, v1
	v_add3_u32 v1, v0, v1, 0x6e40
	scratch_store_b32 off, v2, off offset:1348 ; 4-byte Folded Spill
	v_lshrrev_b32_e32 v2, 3, v5
	scratch_store_b32 off, v1, off offset:1364 ; 4-byte Folded Spill
	v_and_b32_e32 v2, 60, v2
	s_delay_alu instid0(VALU_DEP_1)
	v_add3_u32 v1, v0, v2, 0x6e40
	v_add3_u32 v0, v0, v8, 0x6e40
	scratch_store_b32 off, v9, off offset:1360 ; 4-byte Folded Spill
	v_lshrrev_b32_e32 v2, 1, v3
	v_lshrrev_b32_e32 v3, 1, v37
	s_clause 0x1
	scratch_store_b32 off, v1, off offset:1368
	scratch_store_b32 off, v0, off offset:1372
	v_mul_u32_u24_e32 v0, 0x84, v37
	v_lshrrev_b32_e32 v1, 1, v5
	v_and_b32_e32 v75, 0xfc, v2
	scratch_store_b32 off, v0, off offset:1376 ; 4-byte Folded Spill
	v_lshl_add_u32 v0, v36, 4, 0x6a40
	s_clause 0x1
	scratch_store_b32 off, v0, off offset:1380
	scratch_store_b32 off, v36, off offset:1636
	v_lshl_add_u32 v0, v36, 7, 0x4200
	v_and_b32_e32 v73, 0xfc, v1
	v_and_b32_e32 v36, 0x7c, v3
	scratch_store_b32 off, v0, off offset:1384 ; 4-byte Folded Spill
	v_lshrrev_b32_e32 v0, 1, v7
	s_delay_alu instid0(VALU_DEP_1)
	v_and_b32_e32 v0, 0xfc, v0
	scratch_store_b32 off, v0, off offset:1272 ; 4-byte Folded Spill
	v_dual_mov_b32 v33, 0 :: v_dual_lshlrev_b32 v0, 2, v33
	scratch_store_b32 off, v0, off offset:1620 ; 4-byte Folded Spill
	v_lshlrev_b32_e32 v0, 2, v4
	scratch_store_b32 off, v0, off offset:1624 ; 4-byte Folded Spill
	v_add_nc_u32_e32 v0, v6, v13
	scratch_store_b32 off, v0, off offset:1628 ; 4-byte Folded Spill
	v_add_nc_u32_e32 v0, v11, v16
	scratch_store_b32 off, v0, off offset:1632 ; 4-byte Folded Spill
	v_mov_b32_e32 v0, 0
	scratch_store_b32 off, v0, off offset:1084 ; 4-byte Folded Spill
	v_mov_b32_e32 v0, 0
	;; [unrolled: 2-line block ×23, first 2 shown]
	s_clause 0x4
	scratch_store_b32 off, v0, off offset:1136
	scratch_store_b32 off, v35, off offset:1256
	;; [unrolled: 1-line block ×5, first 2 shown]
.LBB172_5:                              ; =>This Loop Header: Depth=1
                                        ;     Child Loop BB172_6 Depth 2
                                        ;       Child Loop BB172_7 Depth 3
	s_clause 0x5
	scratch_load_b32 v2, off, off offset:1388
	scratch_load_b32 v4, off, off offset:1396
	;; [unrolled: 1-line block ×6, first 2 shown]
	s_mul_i32 s0, s5, 0x90
	s_mul_hi_u32 s1, s5, 0x90
	s_add_u32 s0, s7, s0
	s_addc_u32 s1, s13, s1
	s_mov_b32 s14, -1
	s_mov_b32 s15, 0
	s_clause 0x3
	scratch_load_b32 v6, off, off offset:1408
	scratch_load_b32 v10, off, off offset:1432
	scratch_load_b32 v14, off, off offset:1456
	scratch_load_b32 v18, off, off offset:1480
	s_waitcnt vmcnt(9)
	v_mad_u64_u32 v[0:1], null, 0x90, v2, s[0:1]
	scratch_load_b32 v2, off, off offset:1392 ; 4-byte Folded Reload
	s_waitcnt vmcnt(0)
	v_add_co_u32 v0, vcc_lo, v0, v2
	v_add_co_ci_u32_e32 v1, vcc_lo, 0, v1, vcc_lo
	s_delay_alu instid0(VALU_DEP_2) | instskip(NEXT) | instid1(VALU_DEP_2)
	v_add_co_u32 v0, vcc_lo, v0, 16
	v_add_co_ci_u32_e32 v1, vcc_lo, 0, v1, vcc_lo
	s_delay_alu instid0(VALU_DEP_1)
	v_mad_i64_i32 v[2:3], null, 0x90, v4, v[0:1]
	v_mad_i64_i32 v[4:5], null, 0x90, v6, v[0:1]
	;; [unrolled: 1-line block ×9, first 2 shown]
	s_clause 0x7
	global_load_b32 v20, v[2:3], off
	global_load_b32 v37, v[4:5], off
	;; [unrolled: 1-line block ×8, first 2 shown]
	s_clause 0x5
	scratch_load_b32 v4, off, off offset:1492
	scratch_load_b32 v6, off, off offset:1504
	;; [unrolled: 1-line block ×6, first 2 shown]
	v_add_co_u32 v12, vcc_lo, v18, 4
	v_add_co_ci_u32_e32 v13, vcc_lo, 0, v19, vcc_lo
	s_waitcnt vmcnt(5)
	v_mad_i64_i32 v[2:3], null, 0x90, v4, v[0:1]
	s_waitcnt vmcnt(4)
	v_mad_i64_i32 v[4:5], null, 0x90, v6, v[0:1]
	;; [unrolled: 2-line block ×4, first 2 shown]
	v_add_co_u32 v10, vcc_lo, v12, v16
	v_add_co_ci_u32_e32 v11, vcc_lo, 0, v13, vcc_lo
	s_delay_alu instid0(VALU_DEP_4) | instskip(SKIP_3) | instid1(VALU_DEP_4)
	v_add_co_u32 v14, vcc_lo, v6, 4
	v_add_co_ci_u32_e32 v15, vcc_lo, 0, v7, vcc_lo
	v_add_co_u32 v6, vcc_lo, v12, v17
	v_add_co_ci_u32_e32 v7, vcc_lo, 0, v13, vcc_lo
	v_add_co_u32 v12, vcc_lo, v14, v16
	s_delay_alu instid0(VALU_DEP_4)
	v_add_co_ci_u32_e32 v13, vcc_lo, 0, v15, vcc_lo
	v_add_co_u32 v14, vcc_lo, v14, v17
	v_add_co_ci_u32_e32 v15, vcc_lo, 0, v15, vcc_lo
	s_clause 0x2
	global_load_b32 v18, v[10:11], off
	global_load_b32 v19, v[6:7], off
	global_load_b32 v28, v[12:13], off
	scratch_load_b32 v10, off, off offset:1528 ; 4-byte Folded Reload
	global_load_b32 v21, v[14:15], off
	s_clause 0x3
	scratch_load_b32 v12, off, off offset:1540
	scratch_load_b32 v14, off, off offset:1552
	;; [unrolled: 1-line block ×4, first 2 shown]
	s_waitcnt vmcnt(5)
	v_mad_i64_i32 v[6:7], null, 0x90, v10, v[0:1]
	s_waitcnt vmcnt(3)
	v_mad_i64_i32 v[10:11], null, 0x90, v12, v[0:1]
	;; [unrolled: 2-line block ×5, first 2 shown]
	scratch_load_b32 v34, off, off offset:1588 ; 4-byte Folded Reload
	s_waitcnt vmcnt(0)
	v_mad_i64_i32 v[0:1], null, 0x90, v34, s[0:1]
	s_clause 0x8
	global_load_b32 v2, v[2:3], off
	global_load_b32 v3, v[4:5], off
	;; [unrolled: 1-line block ×9, first 2 shown]
	s_clause 0x3
	scratch_load_b32 v10, off, off offset:1596
	scratch_load_b64 v[11:12], off, off offset:1612
	scratch_load_b64 v[13:14], off, off offset:1400
	scratch_load_b32 v12, off, off offset:1600
	s_lshl_b32 s0, s5, 3
	s_waitcnt vmcnt(3)
	v_ashrrev_i32_e32 v1, v10, v18
	s_waitcnt vmcnt(2)
	v_add_nc_u32_e32 v11, s0, v11
	s_waitcnt vmcnt(1)
	ds_store_b32 v13, v20
	scratch_load_b64 v[13:14], off, off offset:1412 ; 8-byte Folded Reload
	v_ashrrev_i32_e32 v10, v10, v28
	v_and_b32_e32 v1, 0xf0f0f0f, v1
	scratch_store_b32 off, v11, off offset:1276 ; 4-byte Folded Spill
	s_waitcnt vmcnt(1)
	v_ashrrev_i32_e32 v11, v12, v19
	v_ashrrev_i32_e32 v12, v12, v21
	v_and_b32_e32 v10, 0xf0f0f0f, v10
	s_delay_alu instid0(VALU_DEP_3)
	v_and_or_b32 v1, 0x30303030, v11, v1
	s_waitcnt vmcnt(0)
	ds_store_b32 v13, v37
	scratch_load_b64 v[13:14], off, off offset:1424 ; 8-byte Folded Reload
	s_waitcnt vmcnt(0)
	ds_store_b32 v13, v22
	scratch_load_b64 v[13:14], off, off offset:1436 ; 8-byte Folded Reload
	;; [unrolled: 3-line block ×11, first 2 shown]
	s_waitcnt vmcnt(0)
	ds_store_b32 v2, v6
	s_clause 0x1
	scratch_load_b64 v[2:3], off, off offset:1556
	scratch_load_b64 v[3:4], off, off offset:1568
	s_waitcnt vmcnt(1)
	ds_store_b32 v2, v7
	s_waitcnt vmcnt(0)
	ds_store_b32 v3, v8
	scratch_load_b64 v[3:4], off, off offset:1580 ; 8-byte Folded Reload
	v_and_or_b32 v2, 0x30303030, v12, v10
	s_waitcnt vmcnt(0)
	ds_store_b32 v3, v9
	scratch_load_b32 v3, off, off offset:1592 ; 4-byte Folded Reload
	s_waitcnt vmcnt(0)
	ds_store_b32 v3, v0
	scratch_load_b32 v0, off, off offset:1628 ; 4-byte Folded Reload
	;; [unrolled: 3-line block ×3, first 2 shown]
	s_waitcnt vmcnt(0)
	ds_store_b32 v0, v2
.LBB172_6:                              ;   Parent Loop BB172_5 Depth=1
                                        ; =>  This Loop Header: Depth=2
                                        ;       Child Loop BB172_7 Depth 3
	s_clause 0x1
	scratch_load_b32 v0, off, off offset:1280
	scratch_load_b64 v[19:20], off, off offset:1284
	s_lshl_b32 s1, s15, 4
	s_xor_b32 s14, s14, -1
	s_mov_b32 s16, 0
	s_waitcnt vmcnt(1)
	v_lshl_add_u32 v0, s15, 5, v0
	s_delay_alu instid0(VALU_DEP_1) | instskip(NEXT) | instid1(VALU_DEP_1)
	v_lshrrev_b32_e32 v0, 3, v0
	v_add_nc_u32_e32 v12, s0, v0
	scratch_load_b32 v0, off, off offset:1296 ; 4-byte Folded Reload
	s_waitcnt vmcnt(0)
	v_add_nc_u32_e32 v2, v12, v0
	scratch_load_b32 v0, off, off offset:1304 ; 4-byte Folded Reload
	s_waitcnt vmcnt(0)
	;; [unrolled: 3-line block ×7, first 2 shown]
	v_add_nc_u32_e32 v14, v12, v0
	v_mad_i64_i32 v[0:1], null, v2, 36, v[19:20]
	v_mad_i64_i32 v[2:3], null, v4, 36, v[19:20]
	;; [unrolled: 1-line block ×6, first 2 shown]
	scratch_load_b32 v13, off, off offset:1352 ; 4-byte Folded Reload
	s_waitcnt vmcnt(0)
	v_add_nc_u32_e32 v16, v12, v13
	scratch_load_b32 v12, off, off offset:1276 ; 4-byte Folded Reload
	s_waitcnt vmcnt(0)
	v_lshl_add_u32 v18, s15, 2, v12
	v_mad_i64_i32 v[12:13], null, v14, 36, v[19:20]
	v_mad_i64_i32 v[14:15], null, v16, 36, v[19:20]
	s_delay_alu instid0(VALU_DEP_3)
	v_mad_u64_u32 v[16:17], null, v18, 36, s[2:3]
	s_clause 0x8
	global_load_b32 v0, v[0:1], off offset:4
	global_load_b32 v1, v[2:3], off offset:4
	;; [unrolled: 1-line block ×8, first 2 shown]
	global_load_b32 v8, v[16:17], off
	scratch_load_b32 v9, off, off offset:1300 ; 4-byte Folded Reload
	s_waitcnt vmcnt(0)
	ds_store_b32 v9, v0
	scratch_load_b32 v0, off, off offset:1308 ; 4-byte Folded Reload
	s_waitcnt vmcnt(0)
	ds_store_b32 v0, v1
	;; [unrolled: 3-line block ×9, first 2 shown]
	s_waitcnt lgkmcnt(0)
	s_waitcnt_vscnt null, 0x0
	s_barrier
	buffer_gl0_inv
	s_clause 0x6
	scratch_load_b32 v0, off, off offset:1360
	scratch_load_b32 v1, off, off offset:1364
	;; [unrolled: 1-line block ×7, first 2 shown]
	s_waitcnt vmcnt(6)
	ds_load_b32 v0, v0
	s_waitcnt vmcnt(5)
	ds_load_b32 v1, v1 offset:128
	s_waitcnt vmcnt(4)
	ds_load_b32 v2, v2 offset:256
	;; [unrolled: 2-line block ×3, first 2 shown]
	s_waitcnt vmcnt(2)
	v_lshl_add_u32 v18, s15, 6, v4
	s_add_i32 s15, s1, 16
	s_waitcnt lgkmcnt(3)
	v_cvt_f32_f16_e32 v4, v0
	v_lshrrev_b32_e32 v0, 16, v0
	scratch_store_b32 off, v4, off offset:1048 ; 4-byte Folded Spill
	s_waitcnt lgkmcnt(2)
	v_cvt_f32_f16_e32 v4, v1
	v_lshrrev_b32_e32 v1, 16, v1
	v_cvt_f32_f16_e32 v0, v0
	scratch_store_b32 off, v4, off offset:1244 ; 4-byte Folded Spill
	s_waitcnt lgkmcnt(1)
	v_cvt_f32_f16_e32 v4, v2
	v_lshrrev_b32_e32 v2, 16, v2
	scratch_store_b32 off, v0, off offset:1052 ; 4-byte Folded Spill
	v_cvt_f32_f16_e32 v0, v1
	scratch_store_b32 off, v4, off offset:960 ; 4-byte Folded Spill
	s_waitcnt lgkmcnt(0)
	v_lshrrev_b32_e32 v4, 16, v3
	v_cvt_f32_f16_e32 v3, v3
	scratch_store_b32 off, v0, off offset:1056 ; 4-byte Folded Spill
	v_cvt_f32_f16_e32 v0, v2
	s_clause 0x1
	scratch_store_b32 off, v3, off offset:1248
	scratch_store_b32 off, v0, off offset:1060
	v_cvt_f32_f16_e32 v0, v4
	scratch_store_b32 off, v0, off offset:1252 ; 4-byte Folded Spill
.LBB172_7:                              ;   Parent Loop BB172_5 Depth=1
                                        ;     Parent Loop BB172_6 Depth=2
                                        ; =>    This Inner Loop Header: Depth=3
	s_clause 0x2
	scratch_store_b32 off, v18, off
	scratch_store_b32 off, v95, off offset:1188
	scratch_store_b32 off, v212, off offset:1184
	s_waitcnt vmcnt(1)
	s_clause 0x5
	scratch_store_b32 off, v17, off offset:184
	scratch_store_b32 off, v76, off offset:1172
	;; [unrolled: 1-line block ×6, first 2 shown]
	s_waitcnt vmcnt(0)
	ds_load_b128 v[0:3], v216
	ds_load_b128 v[5:8], v216 offset:16
	ds_load_b128 v[9:12], v216 offset:32
	;; [unrolled: 1-line block ×3, first 2 shown]
	v_add_nc_u32_e32 v213, s16, v35
	s_lshr_b32 s17, s1, 2
	s_add_i32 s1, s1, 8
	s_and_b32 s17, s17, 0x3ffffffc
	s_add_i32 s16, s16, 2
	s_cmp_lt_u32 s1, s15
	s_waitcnt lgkmcnt(3)
	v_bfe_i32 v211, v0, 0, 8
	s_waitcnt lgkmcnt(2)
	v_bfe_i32 v189, v7, 0, 8
	v_bfe_i32 v188, v7, 8, 8
	;; [unrolled: 1-line block ×3, first 2 shown]
	v_ashrrev_i32_e32 v186, 24, v7
	scratch_load_b32 v7, off, off           ; 4-byte Folded Reload
	v_bfe_i32 v197, v5, 0, 8
	v_bfe_i32 v196, v5, 8, 8
	v_bfe_i32 v195, v5, 16, 8
	v_ashrrev_i32_e32 v194, 24, v5
	v_bfe_i32 v193, v6, 0, 8
	v_bfe_i32 v192, v6, 8, 8
	;; [unrolled: 1-line block ×3, first 2 shown]
	v_ashrrev_i32_e32 v190, 24, v6
	ds_load_2addr_b32 v[5:6], v18 offset1:1
	v_bfe_i32 v185, v8, 0, 8
	v_bfe_i32 v184, v8, 8, 8
	;; [unrolled: 1-line block ×3, first 2 shown]
	v_ashrrev_i32_e32 v182, 24, v8
	v_bfe_i32 v4, v0, 8, 8
	v_bfe_i32 v174, v1, 0, 8
	;; [unrolled: 1-line block ×3, first 2 shown]
	s_waitcnt lgkmcnt(2)
	v_bfe_i32 v181, v9, 0, 8
	v_bfe_i32 v180, v9, 8, 8
	;; [unrolled: 1-line block ×3, first 2 shown]
	v_ashrrev_i32_e32 v178, 24, v9
	s_waitcnt lgkmcnt(1)
	v_bfe_i32 v161, v14, 0, 8
	v_bfe_i32 v160, v14, 8, 8
	;; [unrolled: 1-line block ×3, first 2 shown]
	v_ashrrev_i32_e32 v158, 24, v14
	v_bfe_i32 v210, v0, 16, 8
	v_ashrrev_i32_e32 v209, 24, v0
	v_bfe_i32 v157, v15, 0, 8
	v_bfe_i32 v156, v15, 8, 8
	s_waitcnt lgkmcnt(0)
	v_and_b32_e32 v52, 15, v5
	v_bfe_u32 v58, v5, 8, 4
	v_and_b32_e32 v23, 15, v6
	v_bfe_i32 v155, v15, 16, 8
	v_ashrrev_i32_e32 v154, 24, v15
	v_mul_i32_i24_e32 v14, v52, v211
	v_mul_i32_i24_e32 v15, v58, v4
	v_bfe_u32 v46, v5, 16, 4
	v_bfe_u32 v48, v5, 24, 4
	v_bfe_i32 v208, v1, 8, 8
	v_mad_i32_i24 v14, v23, v174, v14
	v_bfe_i32 v207, v1, 16, 8
	v_ashrrev_i32_e32 v206, 24, v1
	v_bfe_i32 v204, v2, 8, 8
	v_bfe_i32 v203, v2, 16, 8
	v_ashrrev_i32_e32 v202, 24, v2
	v_bfe_i32 v201, v3, 0, 8
	v_bfe_i32 v200, v3, 8, 8
	;; [unrolled: 1-line block ×3, first 2 shown]
	v_ashrrev_i32_e32 v198, 24, v3
	ds_load_2addr_b64 v[0:3], v17 offset1:16
	v_bfe_i32 v153, v16, 0, 8
	v_bfe_i32 v152, v16, 8, 8
	;; [unrolled: 1-line block ×3, first 2 shown]
	v_ashrrev_i32_e32 v74, 24, v16
	v_mul_i32_i24_e32 v16, v46, v210
	v_mul_i32_i24_e32 v17, v48, v209
	v_bfe_u32 v129, v6, 8, 4
	v_ashrrev_i32_e32 v5, 4, v5
	v_bfe_i32 v173, v11, 0, 8
	v_bfe_i32 v172, v11, 8, 8
	;; [unrolled: 1-line block ×3, first 2 shown]
	v_mul_i32_i24_e32 v18, v129, v208
	v_ashrrev_i32_e32 v170, 24, v11
	scratch_load_b32 v11, off, off          ; 4-byte Folded Reload
	v_bfe_i32 v70, v10, 0, 8
	v_bfe_i32 v177, v10, 8, 8
	;; [unrolled: 1-line block ×3, first 2 shown]
	v_ashrrev_i32_e32 v175, 24, v10
	v_bfe_u32 v132, v6, 16, 4
	v_bfe_u32 v137, v6, 24, 4
	v_bfe_i32 v169, v12, 0, 8
	v_bfe_i32 v168, v12, 8, 8
	;; [unrolled: 1-line block ×3, first 2 shown]
	v_ashrrev_i32_e32 v166, 24, v12
	v_mul_i32_i24_e32 v19, v132, v207
	v_mul_i32_i24_e32 v20, v137, v206
	v_bfe_i32 v165, v13, 0, 8
	v_bfe_i32 v164, v13, 8, 8
	;; [unrolled: 1-line block ×3, first 2 shown]
	v_ashrrev_i32_e32 v162, 24, v13
	v_add3_u32 v13, v36, s17, v213
	s_clause 0x4
	scratch_store_b32 off, v48, off offset:784
	scratch_store_b32 off, v23, off offset:592
	scratch_store_b32 off, v129, off offset:248
	scratch_store_b32 off, v132, off offset:252
	scratch_store_b32 off, v137, off offset:256
	v_ashrrev_i32_e32 v6, 4, v6
	s_waitcnt vmcnt(1)
	ds_load_2addr_b32 v[7:8], v7 offset0:2 offset1:3
	s_waitcnt lgkmcnt(0)
	v_and_b32_e32 v9, 15, v7
	v_bfe_u32 v147, v7, 24, 4
	v_bfe_u32 v215, v7, 8, 4
	;; [unrolled: 1-line block ×4, first 2 shown]
	v_mul_i32_i24_e32 v21, v9, v205
	s_clause 0x1
	scratch_store_b32 off, v9, off offset:596
	scratch_store_b32 off, v147, off offset:600
	v_and_b32_e32 v9, 15, v8
	v_mul_i32_i24_e32 v22, v215, v204
	v_add3_u32 v14, v14, v21, v15
	v_mul_i32_i24_e32 v24, v150, v203
	v_mul_i32_i24_e32 v25, v147, v202
	;; [unrolled: 1-line block ×4, first 2 shown]
	v_add3_u32 v14, v14, v16, v17
	v_bfe_u32 v142, v8, 16, 4
	v_bfe_u32 v138, v8, 24, 4
	s_clause 0x1
	scratch_store_b32 off, v46, off offset:260
	scratch_store_b32 off, v215, off offset:264
	v_add3_u32 v14, v14, v26, v18
	v_bfe_u32 v18, v5, 8, 4
	scratch_store_b32 off, v9, off offset:224 ; 4-byte Folded Spill
	scratch_load_b32 v9, off, off           ; 4-byte Folded Reload
	v_mul_i32_i24_e32 v28, v142, v199
	v_add3_u32 v14, v14, v19, v20
	v_mul_i32_i24_e32 v29, v138, v198
	s_clause 0x2
	scratch_store_b32 off, v58, off offset:232
	scratch_store_b32 off, v150, off offset:268
	scratch_store_b32 off, v142, off offset:272
	v_ashrrev_i32_e32 v7, 4, v7
	v_ashrrev_i32_e32 v8, 4, v8
	s_waitcnt vmcnt(1)
	ds_load_2addr_b32 v[11:12], v11 offset0:6 offset1:7
	s_waitcnt lgkmcnt(0)
	v_and_b32_e32 v68, 15, v11
	v_bfe_u32 v143, v11, 8, 4
	v_bfe_u32 v65, v11, 16, 4
	;; [unrolled: 1-line block ×3, first 2 shown]
	v_and_b32_e32 v151, 15, v12
	v_bfe_u32 v43, v12, 8, 4
	v_bfe_u32 v44, v12, 16, 4
	;; [unrolled: 1-line block ×3, first 2 shown]
	s_clause 0x5
	scratch_store_b32 off, v143, off offset:300
	scratch_store_b32 off, v65, off offset:304
	;; [unrolled: 1-line block ×6, first 2 shown]
	v_ashrrev_i32_e32 v11, 4, v11
	v_mul_i32_i24_e32 v38, v68, v189
	v_ashrrev_i32_e32 v12, 4, v12
	v_mul_i32_i24_e32 v42, v151, v185
	v_mul_i32_i24_e32 v39, v143, v188
	;; [unrolled: 1-line block ×7, first 2 shown]
	s_clause 0x1
	scratch_store_b32 off, v68, off offset:296
	scratch_store_b32 off, v151, off offset:624
	s_waitcnt vmcnt(0)
	ds_load_2addr_b32 v[9:10], v9 offset0:4 offset1:5
	s_waitcnt lgkmcnt(0)
	v_and_b32_e32 v145, 15, v9
	v_and_b32_e32 v148, 15, v10
	v_bfe_u32 v146, v9, 8, 4
	v_bfe_u32 v127, v9, 16, 4
	;; [unrolled: 1-line block ×3, first 2 shown]
	v_mul_i32_i24_e32 v30, v145, v197
	v_mul_i32_i24_e32 v34, v148, v193
	v_ashrrev_i32_e32 v9, 4, v9
	v_bfe_u32 v139, v10, 8, 4
	v_bfe_u32 v140, v10, 16, 4
	v_add3_u32 v14, v14, v30, v22
	v_bfe_u32 v141, v10, 24, 4
	v_ashrrev_i32_e32 v10, 4, v10
	s_clause 0x4
	scratch_store_b32 off, v149, off offset:604
	scratch_store_b32 off, v146, off offset:608
	scratch_store_b32 off, v127, off offset:612
	scratch_store_b32 off, v139, off offset:616
	scratch_store_b32 off, v140, off offset:620
	v_add3_u32 v14, v14, v24, v25
	v_bfe_u32 v24, v9, 16, 4
	s_clause 0x2
	scratch_store_b32 off, v138, off offset:276
	scratch_store_b32 off, v145, off offset:280
	;; [unrolled: 1-line block ×3, first 2 shown]
	v_add3_u32 v14, v14, v34, v27
	s_clause 0x1
	scratch_store_b32 off, v69, off offset:288
	scratch_store_b32 off, v141, off offset:292
	ds_load_u16 v15, v13 offset:25088
	ds_load_u16 v13, v13 offset:25096
	v_bfe_u32 v27, v9, 8, 4
	v_add3_u32 v14, v14, v28, v29
	v_and_b32_e32 v29, 15, v9
	v_mul_i32_i24_e32 v54, v24, v163
	v_bfe_u32 v9, v9, 24, 4
	scratch_store_b32 off, v24, off offset:692 ; 4-byte Folded Spill
	v_and_b32_e32 v24, 15, v10
	v_mul_i32_i24_e32 v31, v146, v196
	v_mul_i32_i24_e32 v32, v127, v195
	scratch_store_b32 off, v9, off offset:696 ; 4-byte Folded Spill
	v_mul_i32_i24_e32 v33, v69, v194
	scratch_store_b32 off, v24, off offset:700 ; 4-byte Folded Spill
	v_mul_i32_i24_e32 v55, v24, v161
	v_bfe_u32 v24, v10, 8, 4
	v_add3_u32 v14, v14, v38, v31
	v_mul_i32_i24_e32 v35, v139, v192
	v_mul_i32_i24_e32 v36, v140, v191
	;; [unrolled: 1-line block ×3, first 2 shown]
	scratch_store_b32 off, v24, off offset:704 ; 4-byte Folded Spill
	v_mul_i32_i24_e32 v56, v24, v160
	v_bfe_u32 v24, v10, 16, 4
	v_bfe_u32 v10, v10, 24, 4
	v_add3_u32 v14, v14, v32, v33
	v_and_b32_e32 v38, 15, v5
	v_bfe_u32 v32, v5, 16, 4
	scratch_store_b32 off, v24, off offset:708 ; 4-byte Folded Spill
	v_mul_i32_i24_e32 v57, v24, v159
	v_and_b32_e32 v24, 15, v11
	scratch_store_b32 off, v10, off offset:712 ; 4-byte Folded Spill
	v_add3_u32 v14, v14, v42, v35
	scratch_load_b32 v35, off, off offset:1052 ; 4-byte Folded Reload
	v_mul_i32_i24_e32 v17, v38, v181
	scratch_store_b32 off, v24, off offset:716 ; 4-byte Folded Spill
	v_mul_i32_i24_e32 v59, v24, v157
	v_bfe_u32 v24, v11, 8, 4
	v_add3_u32 v14, v14, v36, v37
	v_bfe_u32 v30, v5, 24, 4
	v_and_b32_e32 v23, 15, v6
	v_and_b32_e32 v42, 15, v7
	scratch_store_b32 off, v24, off offset:720 ; 4-byte Folded Spill
	v_mul_i32_i24_e32 v60, v24, v156
	v_bfe_u32 v24, v11, 16, 4
	v_bfe_u32 v11, v11, 24, 4
	v_add3_u32 v14, v14, v39, v40
	scratch_store_b32 off, v18, off offset:220 ; 4-byte Folded Spill
	v_mul_i32_i24_e32 v18, v18, v180
	scratch_store_b32 off, v24, off offset:724 ; 4-byte Folded Spill
	v_mul_i32_i24_e32 v61, v24, v155
	v_and_b32_e32 v24, 15, v12
	scratch_store_b32 off, v11, off offset:728 ; 4-byte Folded Spill
	v_add3_u32 v14, v14, v41, v43
	v_mul_i32_i24_e32 v22, v42, v173
	v_mad_i32_i24 v17, v23, v70, v17
	scratch_store_b32 off, v24, off offset:732 ; 4-byte Folded Spill
	v_mul_i32_i24_e32 v62, v24, v153
	v_bfe_u32 v24, v12, 8, 4
	v_add3_u32 v14, v14, v44, v45
	v_mul_i32_i24_e32 v19, v32, v179
	v_mul_i32_i24_e32 v5, v30, v178
	v_bfe_u32 v45, v6, 8, 4
	scratch_store_b32 off, v24, off offset:736 ; 4-byte Folded Spill
	v_mul_i32_i24_e32 v64, v24, v152
	v_bfe_u32 v24, v12, 16, 4
	v_bfe_u32 v12, v12, 24, 4
	;; [unrolled: 1-line block ×3, first 2 shown]
	v_and_b32_e32 v34, 15, v8
	v_add3_u32 v17, v17, v22, v18
	scratch_store_b32 off, v24, off offset:740 ; 4-byte Folded Spill
	v_mul_i32_i24_e32 v67, v24, v126
	scratch_load_b32 v24, off, off offset:1048 ; 4-byte Folded Reload
	v_mul_i32_i24_e32 v20, v45, v177
	v_bfe_u32 v44, v6, 16, 4
	v_bfe_u32 v43, v6, 24, 4
	v_mul_i32_i24_e32 v47, v34, v169
	v_add3_u32 v5, v17, v19, v5
	v_mul_i32_i24_e32 v39, v41, v172
	v_mul_i32_i24_e32 v21, v44, v176
	;; [unrolled: 1-line block ×3, first 2 shown]
	v_bfe_u32 v37, v7, 16, 4
	v_add3_u32 v5, v5, v47, v20
	v_bfe_u32 v36, v7, 24, 4
	v_mul_i32_i24_e32 v51, v29, v165
	v_bfe_u32 v33, v8, 8, 4
	v_mul_i32_i24_e32 v40, v37, v171
	v_add3_u32 v5, v5, v21, v6
	v_mul_i32_i24_e32 v7, v36, v170
	v_bfe_u32 v31, v8, 16, 4
	v_mul_i32_i24_e32 v49, v33, v168
	v_bfe_u32 v28, v8, 24, 4
	v_add3_u32 v5, v5, v51, v39
	v_mul_i32_i24_e32 v53, v27, v164
	v_mul_i32_i24_e32 v50, v31, v167
	;; [unrolled: 1-line block ×4, first 2 shown]
	v_add3_u32 v5, v5, v40, v7
	v_mul_i32_i24_e32 v10, v10, v158
	s_waitcnt lgkmcnt(1)
	v_lshrrev_b16 v16, 8, v15
	v_mul_i32_i24_e32 v11, v11, v154
	v_and_b32_e32 v26, 0xff, v15
	v_add3_u32 v5, v5, v55, v49
	s_waitcnt lgkmcnt(0)
	v_cvt_f32_ubyte0_e32 v25, v13
	s_clause 0x2
	scratch_store_b32 off, v38, off offset:648
	scratch_store_b32 off, v43, off offset:652
	;; [unrolled: 1-line block ×3, first 2 shown]
	v_add3_u32 v5, v5, v50, v8
	v_mul_lo_u32 v14, v14, v26
	v_fma_mix_f32 v15, v0, v25, 0 op_sel:[1,0,0] op_sel_hi:[1,0,0]
	v_cvt_f32_ubyte1_e32 v8, v13
	v_add3_u32 v13, v75, s17, v213
	v_add3_u32 v5, v5, v59, v53
	s_clause 0x1
	scratch_store_b32 off, v26, off offset:640
	scratch_store_b32 off, v25, off offset:644
	v_fma_mix_f32 v6, v1, v8, v15 op_sel:[1,0,0] op_sel_hi:[1,0,0]
	v_cvt_f32_i32_e32 v14, v14
	v_add3_u32 v5, v5, v54, v9
	v_and_b32_e32 v9, 0xffff, v16
	scratch_store_b32 off, v12, off offset:744 ; 4-byte Folded Spill
	v_mul_i32_i24_e32 v12, v12, v74
	v_fma_mix_f32 v14, v0, v14, 0 op_sel_hi:[1,0,0]
	v_add3_u32 v5, v5, v62, v56
	s_clause 0x3
	scratch_store_b32 off, v9, off offset:748
	scratch_store_b32 off, v8, off offset:752
	;; [unrolled: 1-line block ×4, first 2 shown]
	v_add3_u32 v5, v5, v57, v10
	s_clause 0x7
	scratch_store_b32 off, v37, off offset:660
	scratch_store_b32 off, v36, off offset:664
	;; [unrolled: 1-line block ×8, first 2 shown]
	v_add3_u32 v5, v5, v60, v61
	s_delay_alu instid0(VALU_DEP_1) | instskip(NEXT) | instid1(VALU_DEP_1)
	v_add3_u32 v5, v5, v11, v64
	v_add3_u32 v5, v5, v67, v12
	s_delay_alu instid0(VALU_DEP_1) | instskip(NEXT) | instid1(VALU_DEP_1)
	v_mul_lo_u32 v5, v5, v9
	v_cvt_f32_i32_e32 v5, v5
	s_delay_alu instid0(VALU_DEP_1) | instskip(SKIP_3) | instid1(VALU_DEP_1)
	v_fma_mix_f32 v5, v1, v5, v14 op_sel_hi:[1,0,0]
	s_waitcnt vmcnt(1)
	v_mul_f32_e32 v6, v6, v35
	s_waitcnt vmcnt(0)
	v_fma_f32 v5, v5, v24, -v6
	s_delay_alu instid0(VALU_DEP_1)
	v_add_f32_e32 v71, v71, v5
	scratch_load_b32 v5, off, off           ; 4-byte Folded Reload
	scratch_store_b32 off, v71, off offset:1176 ; 4-byte Folded Spill
	s_waitcnt vmcnt(0)
	v_add_nc_u32_e32 v5, 0x1080, v5
	ds_load_2addr_b32 v[18:19], v5 offset1:1
	s_waitcnt lgkmcnt(0)
	v_bfe_u32 v5, v18, 8, 4
	v_bfe_u32 v39, v18, 24, 4
	v_and_b32_e32 v60, 15, v18
	v_and_b32_e32 v56, 15, v19
	scratch_store_b32 off, v5, off offset:240 ; 4-byte Folded Spill
	v_mul_i32_i24_e32 v15, v5, v4
	v_bfe_u32 v5, v18, 16, 4
	v_mul_i32_i24_e32 v14, v60, v211
	v_mul_i32_i24_e32 v17, v39, v209
	scratch_store_b32 off, v39, off offset:236 ; 4-byte Folded Spill
	v_ashrrev_i32_e32 v18, 4, v18
	scratch_store_b32 off, v5, off offset:32 ; 4-byte Folded Spill
	v_mul_i32_i24_e32 v16, v5, v210
	v_bfe_u32 v5, v19, 8, 4
	v_mad_i32_i24 v14, v56, v174, v14
	scratch_store_b32 off, v5, off offset:28 ; 4-byte Folded Spill
	v_mul_i32_i24_e32 v22, v5, v208
	v_bfe_u32 v5, v19, 16, 4
	scratch_store_b32 off, v5, off offset:144 ; 4-byte Folded Spill
	v_mul_i32_i24_e32 v40, v5, v207
	v_bfe_u32 v5, v19, 24, 4
	scratch_store_b32 off, v5, off offset:148 ; 4-byte Folded Spill
	v_mul_i32_i24_e32 v51, v5, v206
	scratch_load_b32 v5, off, off           ; 4-byte Folded Reload
	s_waitcnt vmcnt(0)
	v_add_nc_u32_e32 v5, 0x1088, v5
	ds_load_2addr_b32 v[20:21], v5 offset1:1
	s_waitcnt lgkmcnt(0)
	v_and_b32_e32 v5, 15, v20
	scratch_store_b32 off, v5, off offset:152 ; 4-byte Folded Spill
	v_mul_i32_i24_e32 v55, v5, v205
	v_bfe_u32 v5, v20, 8, 4
	s_delay_alu instid0(VALU_DEP_2)
	v_add3_u32 v14, v14, v55, v15
	scratch_store_b32 off, v5, off offset:512 ; 4-byte Folded Spill
	v_mul_i32_i24_e32 v82, v5, v204
	v_bfe_u32 v5, v20, 16, 4
	v_add3_u32 v14, v14, v16, v17
	scratch_store_b32 off, v5, off offset:516 ; 4-byte Folded Spill
	v_mul_i32_i24_e32 v83, v5, v203
	v_bfe_u32 v5, v20, 24, 4
	v_ashrrev_i32_e32 v20, 4, v20
	scratch_store_b32 off, v5, off offset:912 ; 4-byte Folded Spill
	v_mul_i32_i24_e32 v84, v5, v202
	v_and_b32_e32 v5, 15, v21
	scratch_store_b32 off, v5, off offset:156 ; 4-byte Folded Spill
	v_mul_i32_i24_e32 v85, v5, v201
	v_bfe_u32 v5, v21, 8, 4
	s_delay_alu instid0(VALU_DEP_2)
	v_add3_u32 v14, v14, v85, v22
	scratch_store_b32 off, v5, off offset:160 ; 4-byte Folded Spill
	v_mul_i32_i24_e32 v86, v5, v200
	v_bfe_u32 v5, v21, 16, 4
	v_add3_u32 v14, v14, v40, v51
	v_ashrrev_i32_e32 v40, 4, v19
	scratch_store_b32 off, v5, off offset:164 ; 4-byte Folded Spill
	v_mul_i32_i24_e32 v87, v5, v199
	v_bfe_u32 v5, v21, 24, 4
	v_and_b32_e32 v7, 15, v40
	v_ashrrev_i32_e32 v21, 4, v21
	scratch_store_b32 off, v5, off offset:520 ; 4-byte Folded Spill
	v_mul_i32_i24_e32 v88, v5, v198
	scratch_load_b32 v5, off, off           ; 4-byte Folded Reload
	s_waitcnt vmcnt(0)
	v_add_nc_u32_e32 v5, 0x1090, v5
	ds_load_2addr_b32 v[49:50], v5 offset1:1
	s_waitcnt lgkmcnt(0)
	v_and_b32_e32 v5, 15, v49
	v_bfe_u32 v47, v50, 16, 4
	scratch_store_b32 off, v5, off offset:524 ; 4-byte Folded Spill
	v_mul_i32_i24_e32 v89, v5, v197
	v_bfe_u32 v5, v49, 8, 4
	v_mul_i32_i24_e32 v95, v47, v191
	scratch_store_b32 off, v47, off offset:880 ; 4-byte Folded Spill
	v_add3_u32 v14, v14, v89, v82
	scratch_store_b32 off, v5, off offset:12 ; 4-byte Folded Spill
	v_mul_i32_i24_e32 v90, v5, v196
	v_bfe_u32 v5, v49, 16, 4
	v_add3_u32 v14, v14, v83, v84
	scratch_store_b32 off, v5, off offset:124 ; 4-byte Folded Spill
	v_mul_i32_i24_e32 v91, v5, v195
	v_bfe_u32 v5, v49, 24, 4
	scratch_store_b32 off, v5, off offset:168 ; 4-byte Folded Spill
	v_mul_i32_i24_e32 v92, v5, v194
	v_and_b32_e32 v5, 15, v50
	scratch_store_b32 off, v5, off offset:132 ; 4-byte Folded Spill
	v_mul_i32_i24_e32 v93, v5, v193
	v_bfe_u32 v5, v50, 8, 4
	s_delay_alu instid0(VALU_DEP_2)
	v_add3_u32 v14, v14, v93, v86
	scratch_store_b32 off, v5, off offset:528 ; 4-byte Folded Spill
	v_mul_i32_i24_e32 v94, v5, v192
	v_bfe_u32 v5, v50, 24, 4
	v_bfe_u32 v93, v21, 8, 4
	v_add3_u32 v14, v14, v87, v88
	scratch_store_b32 off, v5, off offset:916 ; 4-byte Folded Spill
	v_mul_i32_i24_e32 v96, v5, v190
	scratch_load_b32 v5, off, off           ; 4-byte Folded Reload
	v_mul_i32_i24_e32 v227, v93, v168
	s_waitcnt vmcnt(0)
	v_add_nc_u32_e32 v5, 0x1098, v5
	ds_load_2addr_b32 v[53:54], v5 offset1:1
	s_waitcnt lgkmcnt(0)
	v_and_b32_e32 v5, 15, v53
	scratch_store_b32 off, v5, off offset:172 ; 4-byte Folded Spill
	v_mul_i32_i24_e32 v97, v5, v189
	v_bfe_u32 v5, v53, 8, 4
	s_delay_alu instid0(VALU_DEP_2)
	v_add3_u32 v14, v14, v97, v90
	scratch_store_b32 off, v5, off offset:920 ; 4-byte Folded Spill
	v_mul_i32_i24_e32 v98, v5, v188
	v_bfe_u32 v5, v53, 16, 4
	v_bfe_u32 v97, v20, 8, 4
	v_add3_u32 v14, v14, v91, v92
	v_bfe_u32 v90, v21, 24, 4
	scratch_store_b32 off, v5, off offset:532 ; 4-byte Folded Spill
	v_mul_i32_i24_e32 v99, v5, v187
	v_bfe_u32 v5, v53, 24, 4
	v_mul_i32_i24_e32 v224, v97, v172
	scratch_store_b32 off, v5, off offset:928 ; 4-byte Folded Spill
	v_mul_i32_i24_e32 v100, v5, v186
	v_and_b32_e32 v5, 15, v54
	s_delay_alu instid0(VALU_DEP_1) | instskip(SKIP_4) | instid1(VALU_DEP_3)
	v_mul_i32_i24_e32 v101, v5, v185
	scratch_store_b32 off, v5, off offset:924 ; 4-byte Folded Spill
	v_bfe_u32 v5, v54, 8, 4
	v_add3_u32 v14, v14, v101, v94
	v_bfe_u32 v94, v20, 24, 4
	v_mul_i32_i24_e32 v102, v5, v184
	scratch_store_b32 off, v5, off offset:536 ; 4-byte Folded Spill
	v_bfe_u32 v5, v54, 16, 4
	v_add3_u32 v14, v14, v95, v96
	v_and_b32_e32 v95, 15, v21
	v_bfe_u32 v96, v20, 16, 4
	v_bfe_u32 v101, v21, 16, 4
	scratch_store_b32 off, v5, off offset:176 ; 4-byte Folded Spill
	v_add3_u32 v14, v14, v98, v99
	v_bfe_u32 v98, v40, 24, 4
	v_mul_i32_i24_e32 v103, v5, v183
	v_bfe_u32 v5, v54, 24, 4
	v_and_b32_e32 v99, 15, v20
	v_add3_u32 v14, v14, v100, v102
	v_bfe_u32 v102, v40, 8, 4
	v_bfe_u32 v100, v40, 16, 4
	v_ashrrev_i32_e32 v40, 4, v49
	v_mul_i32_i24_e32 v104, v5, v182
	v_mul_i32_i24_e32 v223, v99, v173
	;; [unrolled: 1-line block ×4, first 2 shown]
	v_and_b32_e32 v89, 15, v40
	v_bfe_u32 v88, v40, 8, 4
	v_bfe_u32 v87, v40, 16, 4
	;; [unrolled: 1-line block ×3, first 2 shown]
	v_ashrrev_i32_e32 v40, 4, v50
	v_add3_u32 v14, v14, v103, v104
	v_bfe_u32 v104, v18, 16, 4
	v_bfe_u32 v103, v18, 24, 4
	v_mul_i32_i24_e32 v221, v100, v176
	v_bfe_u32 v84, v40, 8, 4
	scratch_store_b32 off, v5, off offset:932 ; 4-byte Folded Spill
	ds_load_u16 v15, v13 offset:25600
	ds_load_u16 v51, v13 offset:25608
	s_clause 0x1
	scratch_load_b32 v128, off, off offset:1056
	scratch_load_b32 v19, off, off offset:1244
	scratch_store_b32 off, v84, off offset:936 ; 4-byte Folded Spill
	v_mul_i32_i24_e32 v218, v104, v179
	v_mul_i32_i24_e32 v219, v103, v178
	;; [unrolled: 1-line block ×6, first 2 shown]
	v_and_b32_e32 v85, 15, v40
	v_bfe_u32 v83, v40, 16, 4
	v_bfe_u32 v66, v40, 24, 4
	v_ashrrev_i32_e32 v40, 4, v53
	v_mul_i32_i24_e32 v228, v101, v167
	v_mul_i32_i24_e32 v50, v85, v161
	;; [unrolled: 1-line block ×4, first 2 shown]
	v_and_b32_e32 v67, 15, v40
	s_waitcnt lgkmcnt(1)
	v_and_b32_e32 v5, 0xff, v15
	v_ashrrev_i32_e32 v54, 4, v54
	v_mul_i32_i24_e32 v230, v87, v163
	v_mul_i32_i24_e32 v231, v86, v162
	;; [unrolled: 1-line block ×3, first 2 shown]
	scratch_store_b32 off, v5, off offset:540 ; 4-byte Folded Spill
	v_mul_lo_u32 v14, v14, v5
	s_waitcnt lgkmcnt(0)
	v_cvt_f32_ubyte0_e32 v5, v51
	v_and_b32_e32 v61, 15, v54
	v_mul_i32_i24_e32 v232, v84, v160
	v_mul_i32_i24_e32 v233, v83, v159
	;; [unrolled: 1-line block ×3, first 2 shown]
	scratch_store_b32 off, v5, off offset:940 ; 4-byte Folded Spill
	v_fma_mix_f32 v117, v0, v5, 0 op_sel:[1,0,0] op_sel_hi:[1,0,0]
	v_and_b32_e32 v5, 15, v18
	v_mul_i32_i24_e32 v238, v61, v153
	v_bfe_u32 v64, v40, 8, 4
	v_bfe_u32 v62, v40, 16, 4
	;; [unrolled: 1-line block ×3, first 2 shown]
	s_clause 0x4
	scratch_store_b32 off, v5, off offset:804
	scratch_store_b32 off, v93, off offset:808
	;; [unrolled: 1-line block ×5, first 2 shown]
	v_mul_i32_i24_e32 v212, v5, v181
	v_bfe_u32 v5, v18, 8, 4
	v_mul_i32_i24_e32 v235, v64, v156
	v_mul_i32_i24_e32 v236, v62, v155
	v_bfe_u32 v57, v54, 8, 4
	v_mad_i32_i24 v212, v7, v70, v212
	s_clause 0x5
	scratch_store_b32 off, v5, off offset:996
	scratch_store_b32 off, v98, off offset:1000
	scratch_store_b32 off, v99, off offset:1004
	scratch_store_b32 off, v97, off offset:1008
	scratch_store_b32 off, v96, off offset:1012
	scratch_store_b32 off, v94, off offset:1016
	v_mul_i32_i24_e32 v217, v5, v180
	scratch_load_b32 v5, off, off           ; 4-byte Folded Reload
	v_lshrrev_b16 v55, 8, v15
	v_mul_i32_i24_e32 v237, v59, v154
	v_mul_i32_i24_e32 v239, v57, v152
	v_add3_u32 v212, v212, v223, v217
	v_bfe_u32 v22, v54, 16, 4
	v_bfe_u32 v15, v54, 24, 4
	v_and_b32_e32 v12, 0xffff, v55
	v_cvt_f32_i32_e32 v14, v14
	v_add3_u32 v212, v212, v218, v219
	v_mul_i32_i24_e32 v240, v22, v126
	v_mul_i32_i24_e32 v54, v15, v74
	v_cvt_f32_ubyte1_e32 v10, v51
	v_fma_mix_f32 v116, v0, v14, 0 op_sel_hi:[1,0,0]
	v_add3_u32 v212, v212, v226, v220
	s_clause 0x3
	scratch_store_b32 off, v67, off offset:1020
	scratch_store_b32 off, v104, off offset:1240
	;; [unrolled: 1-line block ×4, first 2 shown]
	v_add3_u32 v212, v212, v221, v222
	s_clause 0x7
	scratch_store_b32 off, v88, off offset:824
	scratch_store_b32 off, v87, off offset:828
	;; [unrolled: 1-line block ×8, first 2 shown]
	v_add3_u32 v49, v212, v49, v224
	s_clause 0x5
	scratch_store_b32 off, v59, off offset:856
	scratch_store_b32 off, v61, off offset:860
	;; [unrolled: 1-line block ×6, first 2 shown]
	v_add3_u32 v20, v49, v225, v20
	scratch_store_b32 off, v7, off offset:128 ; 4-byte Folded Spill
	v_add3_u32 v20, v20, v50, v227
	v_fma_mix_f32 v50, v1, v10, v117 op_sel:[1,0,0] op_sel_hi:[1,0,0]
	s_delay_alu instid0(VALU_DEP_2) | instskip(NEXT) | instid1(VALU_DEP_1)
	v_add3_u32 v20, v20, v228, v21
	v_add3_u32 v20, v20, v53, v229
	s_delay_alu instid0(VALU_DEP_1) | instskip(NEXT) | instid1(VALU_DEP_1)
	v_add3_u32 v20, v20, v230, v231
	v_add3_u32 v20, v20, v238, v232
	s_delay_alu instid0(VALU_DEP_1) | instskip(NEXT) | instid1(VALU_DEP_1)
	;; [unrolled: 3-line block ×4, first 2 shown]
	v_mul_lo_u32 v21, v21, v12
	v_cvt_f32_i32_e32 v21, v21
	s_delay_alu instid0(VALU_DEP_1) | instskip(SKIP_4) | instid1(VALU_DEP_2)
	v_fma_mix_f32 v49, v1, v21, v116 op_sel_hi:[1,0,0]
	s_waitcnt vmcnt(2)
	v_mul_f32_e32 v50, v50, v128
	v_add3_u32 v51, v73, s17, v213
	s_waitcnt vmcnt(1)
	v_fma_f32 v49, v49, v19, -v50
	s_delay_alu instid0(VALU_DEP_1)
	v_add_f32_e32 v72, v72, v49
	scratch_store_b32 off, v72, off offset:1180 ; 4-byte Folded Spill
	s_waitcnt vmcnt(0)
	v_add_nc_u32_e32 v49, 0x2100, v5
	ds_load_2addr_b32 v[49:50], v49 offset1:1
	s_waitcnt lgkmcnt(0)
	v_and_b32_e32 v5, 15, v49
	v_and_b32_e32 v11, 15, v50
	scratch_store_b32 off, v5, off offset:16 ; 4-byte Folded Spill
	v_mul_i32_i24_e32 v55, v5, v211
	v_bfe_u32 v5, v49, 8, 4
	s_delay_alu instid0(VALU_DEP_2)
	v_mad_i32_i24 v55, v11, v174, v55
	scratch_store_b32 off, v5, off offset:140 ; 4-byte Folded Spill
	v_mul_i32_i24_e32 v212, v5, v4
	v_bfe_u32 v5, v49, 16, 4
	scratch_store_b32 off, v5, off offset:20 ; 4-byte Folded Spill
	v_mul_i32_i24_e32 v227, v5, v210
	v_bfe_u32 v5, v49, 24, 4
	v_ashrrev_i32_e32 v49, 4, v49
	scratch_store_b32 off, v5, off offset:24 ; 4-byte Folded Spill
	v_mul_i32_i24_e32 v228, v5, v209
	v_bfe_u32 v5, v50, 8, 4
	scratch_store_b32 off, v5, off offset:136 ; 4-byte Folded Spill
	v_mul_i32_i24_e32 v229, v5, v208
	v_bfe_u32 v5, v50, 16, 4
	;; [unrolled: 3-line block ×3, first 2 shown]
	scratch_store_b32 off, v5, off offset:460 ; 4-byte Folded Spill
	v_mul_i32_i24_e32 v231, v5, v206
	scratch_load_b32 v5, off, off           ; 4-byte Folded Reload
	s_waitcnt vmcnt(0)
	v_add_nc_u32_e32 v53, 0x2108, v5
	ds_load_2addr_b32 v[53:54], v53 offset1:1
	s_waitcnt lgkmcnt(0)
	v_and_b32_e32 v5, 15, v53
	scratch_store_b32 off, v5, off offset:884 ; 4-byte Folded Spill
	v_mul_i32_i24_e32 v232, v5, v205
	v_bfe_u32 v5, v53, 8, 4
	s_delay_alu instid0(VALU_DEP_2)
	v_add3_u32 v55, v55, v232, v212
	scratch_store_b32 off, v5, off offset:464 ; 4-byte Folded Spill
	v_mul_i32_i24_e32 v233, v5, v204
	v_bfe_u32 v5, v53, 16, 4
	v_add3_u32 v55, v55, v227, v228
	scratch_store_b32 off, v5, off offset:468 ; 4-byte Folded Spill
	v_mul_i32_i24_e32 v234, v5, v203
	v_bfe_u32 v5, v53, 24, 4
	scratch_store_b32 off, v5, off offset:472 ; 4-byte Folded Spill
	v_mul_i32_i24_e32 v235, v5, v202
	v_and_b32_e32 v5, 15, v54
	scratch_store_b32 off, v5, off offset:888 ; 4-byte Folded Spill
	v_mul_i32_i24_e32 v236, v5, v201
	v_bfe_u32 v5, v54, 8, 4
	s_delay_alu instid0(VALU_DEP_2)
	v_add3_u32 v55, v55, v236, v229
	scratch_store_b32 off, v5, off offset:476 ; 4-byte Folded Spill
	v_mul_i32_i24_e32 v237, v5, v200
	v_bfe_u32 v5, v54, 16, 4
	v_add3_u32 v55, v55, v230, v231
	scratch_store_b32 off, v5, off offset:480 ; 4-byte Folded Spill
	v_mul_i32_i24_e32 v238, v5, v199
	v_bfe_u32 v5, v54, 24, 4
	scratch_store_b32 off, v5, off offset:484 ; 4-byte Folded Spill
	v_mul_i32_i24_e32 v239, v5, v198
	scratch_load_b32 v5, off, off           ; 4-byte Folded Reload
	s_waitcnt vmcnt(0)
	v_add_nc_u32_e32 v116, 0x2110, v5
	ds_load_2addr_b32 v[248:249], v116 offset1:1
	s_waitcnt lgkmcnt(0)
	v_and_b32_e32 v5, 15, v248
	scratch_store_b32 off, v5, off offset:488 ; 4-byte Folded Spill
	v_mul_i32_i24_e32 v240, v5, v197
	v_bfe_u32 v5, v248, 8, 4
	s_delay_alu instid0(VALU_DEP_2)
	v_add3_u32 v55, v55, v240, v233
	scratch_store_b32 off, v5, off offset:892 ; 4-byte Folded Spill
	v_mul_i32_i24_e32 v241, v5, v196
	v_bfe_u32 v5, v248, 16, 4
	v_add3_u32 v55, v55, v234, v235
	scratch_store_b32 off, v5, off offset:492 ; 4-byte Folded Spill
	v_mul_i32_i24_e32 v242, v5, v195
	v_bfe_u32 v5, v248, 24, 4
	s_clause 0x3
	scratch_store_b32 off, v22, off offset:1024
	scratch_store_b32 off, v102, off offset:1040
	;; [unrolled: 1-line block ×4, first 2 shown]
	v_mul_i32_i24_e32 v243, v5, v194
	v_and_b32_e32 v5, 15, v249
	scratch_store_b32 off, v5, off offset:896 ; 4-byte Folded Spill
	v_mul_i32_i24_e32 v244, v5, v193
	v_bfe_u32 v5, v249, 8, 4
	s_delay_alu instid0(VALU_DEP_2)
	v_add3_u32 v55, v55, v244, v237
	scratch_store_b32 off, v5, off offset:496 ; 4-byte Folded Spill
	v_mul_i32_i24_e32 v245, v5, v192
	v_bfe_u32 v5, v249, 16, 4
	v_add3_u32 v55, v55, v238, v239
	scratch_store_b32 off, v5, off offset:500 ; 4-byte Folded Spill
	v_mul_i32_i24_e32 v246, v5, v191
	v_bfe_u32 v5, v249, 24, 4
	s_clause 0x1
	scratch_store_b32 off, v11, off offset:508
	scratch_store_b32 off, v5, off offset:504
	v_mul_i32_i24_e32 v247, v5, v190
	scratch_load_b32 v5, off, off           ; 4-byte Folded Reload
	s_waitcnt vmcnt(0)
	v_add_nc_u32_e32 v116, 0x2118, v5
	ds_load_2addr_b32 v[116:117], v116 offset1:1
	s_waitcnt lgkmcnt(0)
	v_and_b32_e32 v5, 15, v116
	scratch_store_b32 off, v5, off offset:48 ; 4-byte Folded Spill
	v_mul_i32_i24_e32 v250, v5, v189
	v_bfe_u32 v5, v116, 8, 4
	s_delay_alu instid0(VALU_DEP_2)
	v_add3_u32 v55, v55, v250, v241
	scratch_store_b32 off, v5, off offset:760 ; 4-byte Folded Spill
	v_mul_i32_i24_e32 v251, v5, v188
	v_bfe_u32 v5, v116, 16, 4
	v_add3_u32 v55, v55, v242, v243
	scratch_store_b32 off, v5, off offset:8 ; 4-byte Folded Spill
	v_mul_i32_i24_e32 v252, v5, v187
	v_bfe_u32 v5, v116, 24, 4
	scratch_store_b32 off, v5, off offset:56 ; 4-byte Folded Spill
	v_mul_i32_i24_e32 v253, v5, v186
	v_and_b32_e32 v5, 15, v117
	s_delay_alu instid0(VALU_DEP_1)
	v_mul_i32_i24_e32 v254, v5, v185
	scratch_store_b32 off, v5, off offset:52 ; 4-byte Folded Spill
	v_bfe_u32 v5, v117, 8, 4
	v_add3_u32 v55, v55, v254, v245
	scratch_store_b32 off, v5, off offset:60 ; 4-byte Folded Spill
	v_mul_i32_i24_e32 v255, v5, v184
	v_bfe_u32 v5, v117, 16, 4
	v_add3_u32 v55, v55, v246, v247
	scratch_store_b32 off, v5, off offset:64 ; 4-byte Folded Spill
	v_mul_i32_i24_e32 v214, v5, v183
	;; [unrolled: 4-line block ×3, first 2 shown]
	v_add3_u32 v55, v55, v253, v255
	s_delay_alu instid0(VALU_DEP_1)
	v_add3_u32 v55, v55, v214, v71
	ds_load_u16 v71, v51 offset:26112
	ds_load_u16 v214, v51 offset:26120
	s_waitcnt lgkmcnt(1)
	v_and_b32_e32 v5, 0xff, v71
	v_lshrrev_b16 v227, 8, v71
	s_waitcnt lgkmcnt(0)
	v_cvt_f32_ubyte1_e32 v21, v214
	scratch_store_b32 off, v5, off offset:72 ; 4-byte Folded Spill
	v_mul_lo_u32 v51, v55, v5
	v_cvt_f32_ubyte0_e32 v5, v214
	scratch_store_b32 off, v5, off offset:76 ; 4-byte Folded Spill
	v_fma_mix_f32 v72, v0, v5, 0 op_sel:[1,0,0] op_sel_hi:[1,0,0]
	v_and_b32_e32 v5, 15, v49
	v_cvt_f32_i32_e32 v51, v51
	s_delay_alu instid0(VALU_DEP_3)
	v_fma_mix_f32 v72, v1, v21, v72 op_sel:[1,0,0] op_sel_hi:[1,0,0]
	scratch_store_b32 off, v5, off offset:84 ; 4-byte Folded Spill
	v_mul_i32_i24_e32 v73, v5, v181
	v_bfe_u32 v5, v49, 8, 4
	v_fma_mix_f32 v55, v0, v51, 0 op_sel_hi:[1,0,0]
	scratch_store_b32 off, v5, off offset:80 ; 4-byte Folded Spill
	v_mul_i32_i24_e32 v75, v5, v180
	v_bfe_u32 v5, v49, 16, 4
	scratch_store_b32 off, v5, off offset:88 ; 4-byte Folded Spill
	v_mul_i32_i24_e32 v76, v5, v179
	v_bfe_u32 v5, v49, 24, 4
	v_ashrrev_i32_e32 v49, 4, v50
	scratch_store_b32 off, v5, off offset:900 ; 4-byte Folded Spill
	v_mul_i32_i24_e32 v77, v5, v178
	v_bfe_u32 v5, v49, 8, 4
	v_and_b32_e32 v20, 15, v49
	scratch_store_b32 off, v5, off offset:904 ; 4-byte Folded Spill
	v_mul_i32_i24_e32 v80, v5, v177
	v_bfe_u32 v5, v49, 16, 4
	v_mad_i32_i24 v73, v20, v70, v73
	s_clause 0x1
	scratch_store_b32 off, v20, off offset:40
	scratch_store_b32 off, v5, off offset:344
	v_mul_i32_i24_e32 v81, v5, v176
	v_bfe_u32 v5, v49, 24, 4
	v_ashrrev_i32_e32 v49, 4, v53
	v_ashrrev_i32_e32 v53, 4, v117
	scratch_store_b32 off, v5, off offset:908 ; 4-byte Folded Spill
	v_mul_i32_i24_e32 v113, v5, v175
	v_and_b32_e32 v5, 15, v49
	scratch_store_b32 off, v5, off offset:348 ; 4-byte Folded Spill
	v_mul_i32_i24_e32 v114, v5, v173
	v_bfe_u32 v5, v49, 8, 4
	s_delay_alu instid0(VALU_DEP_2)
	v_add3_u32 v73, v73, v114, v75
	scratch_store_b32 off, v5, off offset:352 ; 4-byte Folded Spill
	v_mul_i32_i24_e32 v78, v5, v172
	v_bfe_u32 v5, v49, 16, 4
	v_add3_u32 v73, v73, v76, v77
	scratch_store_b32 off, v5, off offset:356 ; 4-byte Folded Spill
	v_mul_i32_i24_e32 v79, v5, v171
	v_bfe_u32 v5, v49, 24, 4
	v_ashrrev_i32_e32 v49, 4, v54
	scratch_store_b32 off, v5, off offset:360 ; 4-byte Folded Spill
	v_mul_i32_i24_e32 v111, v5, v170
	v_and_b32_e32 v5, 15, v49
	scratch_store_b32 off, v5, off offset:764 ; 4-byte Folded Spill
	v_mul_i32_i24_e32 v54, v5, v169
	v_bfe_u32 v5, v49, 8, 4
	s_delay_alu instid0(VALU_DEP_2)
	v_add3_u32 v54, v73, v54, v80
	scratch_store_b32 off, v5, off offset:768 ; 4-byte Folded Spill
	v_mul_i32_i24_e32 v112, v5, v168
	v_bfe_u32 v5, v49, 16, 4
	v_add3_u32 v54, v54, v81, v113
	scratch_store_b32 off, v5, off offset:92 ; 4-byte Folded Spill
	v_mul_i32_i24_e32 v105, v5, v167
	v_bfe_u32 v5, v49, 24, 4
	;; [unrolled: 16-line block ×3, first 2 shown]
	v_ashrrev_i32_e32 v49, 4, v249
	scratch_store_b32 off, v5, off offset:108 ; 4-byte Folded Spill
	v_mul_i32_i24_e32 v109, v5, v162
	v_and_b32_e32 v5, 15, v49
	v_bfe_u32 v212, v49, 24, 4
	scratch_store_b32 off, v5, off offset:112 ; 4-byte Folded Spill
	v_mul_i32_i24_e32 v110, v5, v161
	v_bfe_u32 v5, v49, 8, 4
	v_mul_i32_i24_e32 v120, v212, v158
	s_delay_alu instid0(VALU_DEP_3)
	v_add3_u32 v54, v54, v110, v112
	scratch_store_b32 off, v5, off offset:368 ; 4-byte Folded Spill
	v_mul_i32_i24_e32 v118, v5, v160
	v_bfe_u32 v5, v49, 16, 4
	v_ashrrev_i32_e32 v49, 4, v116
	v_add3_u32 v54, v54, v105, v115
	scratch_store_b32 off, v5, off offset:116 ; 4-byte Folded Spill
	v_mul_i32_i24_e32 v119, v5, v159
	v_and_b32_e32 v5, 15, v49
	scratch_store_b32 off, v5, off offset:372 ; 4-byte Folded Spill
	v_mul_i32_i24_e32 v116, v5, v157
	v_bfe_u32 v5, v49, 8, 4
	s_delay_alu instid0(VALU_DEP_2)
	v_add3_u32 v54, v54, v116, v107
	scratch_store_b32 off, v5, off offset:376 ; 4-byte Folded Spill
	v_mul_i32_i24_e32 v121, v5, v156
	v_bfe_u32 v5, v49, 16, 4
	v_add3_u32 v54, v54, v108, v109
	scratch_store_b32 off, v5, off offset:380 ; 4-byte Folded Spill
	v_mul_i32_i24_e32 v122, v5, v155
	v_bfe_u32 v5, v49, 24, 4
	scratch_store_b32 off, v5, off offset:776 ; 4-byte Folded Spill
	v_mul_i32_i24_e32 v123, v5, v154
	v_and_b32_e32 v5, 15, v53
	s_delay_alu instid0(VALU_DEP_1)
	v_mul_i32_i24_e32 v117, v5, v153
	scratch_store_b32 off, v5, off offset:780 ; 4-byte Folded Spill
	v_bfe_u32 v5, v53, 8, 4
	v_add3_u32 v54, v54, v117, v118
	scratch_store_b32 off, v5, off offset:384 ; 4-byte Folded Spill
	v_mul_i32_i24_e32 v124, v5, v152
	v_bfe_u32 v5, v53, 16, 4
	v_add3_u32 v54, v54, v119, v120
	scratch_store_b32 off, v5, off offset:388 ; 4-byte Folded Spill
	v_mul_i32_i24_e32 v125, v5, v126
	;; [unrolled: 4-line block ×3, first 2 shown]
	v_and_b32_e32 v5, 0xffff, v227
	v_add3_u32 v54, v54, v123, v124
	scratch_store_b32 off, v5, off offset:392 ; 4-byte Folded Spill
	v_add3_u32 v23, v54, v125, v23
	s_clause 0x2
	scratch_load_b32 v11, off, off offset:1064
	scratch_load_b32 v73, off, off offset:1272
	;; [unrolled: 1-line block ×3, first 2 shown]
	scratch_store_b32 off, v21, off offset:244 ; 4-byte Folded Spill
	v_mul_lo_u32 v23, v23, v5
	scratch_load_b32 v5, off, off offset:960 ; 4-byte Folded Reload
	v_cvt_f32_i32_e32 v23, v23
	s_delay_alu instid0(VALU_DEP_1) | instskip(SKIP_3) | instid1(VALU_DEP_1)
	v_fma_mix_f32 v23, v1, v23, v55 op_sel_hi:[1,0,0]
	s_waitcnt vmcnt(1)
	v_mul_f32_e32 v72, v72, v6
	s_waitcnt vmcnt(0)
	v_fma_f32 v23, v23, v5, -v72
	s_delay_alu instid0(VALU_DEP_1)
	v_add_f32_e32 v11, v11, v23
	v_add3_u32 v23, v73, s17, v213
	scratch_store_b32 off, v11, off offset:1064 ; 4-byte Folded Spill
	s_clause 0x6
	scratch_load_b32 v144, off, off offset:1100
	scratch_load_b32 v136, off, off offset:1072
	;; [unrolled: 1-line block ×6, first 2 shown]
	scratch_load_b32 v11, off, off
	s_waitcnt vmcnt(0)
	v_add_nc_u32_e32 v72, 0x3180, v11
	ds_load_2addr_b32 v[116:117], v72 offset1:1
	s_waitcnt lgkmcnt(0)
	v_bfe_u32 v14, v117, 8, 4
	v_bfe_u32 v224, v117, 24, 4
	v_and_b32_e32 v11, 15, v116
	v_and_b32_e32 v71, 15, v117
	v_bfe_u32 v13, v116, 24, 4
	scratch_store_b32 off, v14, off offset:428 ; 4-byte Folded Spill
	v_mul_i32_i24_e32 v76, v14, v208
	v_bfe_u32 v14, v117, 16, 4
	v_mul_i32_i24_e32 v78, v224, v206
	v_mul_i32_i24_e32 v72, v11, v211
	scratch_store_b32 off, v13, off offset:180 ; 4-byte Folded Spill
	v_mul_i32_i24_e32 v75, v13, v209
	scratch_store_b32 off, v14, off offset:432 ; 4-byte Folded Spill
	v_mul_i32_i24_e32 v77, v14, v207
	scratch_load_b32 v14, off, off          ; 4-byte Folded Reload
	v_mad_i32_i24 v72, v71, v174, v72
	scratch_store_b32 off, v71, off offset:564 ; 4-byte Folded Spill
	s_waitcnt vmcnt(0)
	v_add_nc_u32_e32 v79, 0x3188, v14
	ds_load_2addr_b32 v[206:207], v79 offset1:1
	s_waitcnt lgkmcnt(0)
	v_and_b32_e32 v14, 15, v206
	v_bfe_u32 v241, v206, 8, 4
	v_bfe_u32 v226, v206, 16, 4
	;; [unrolled: 1-line block ×3, first 2 shown]
	scratch_store_b32 off, v14, off offset:228 ; 4-byte Folded Spill
	v_mul_i32_i24_e32 v79, v14, v205
	v_and_b32_e32 v14, 15, v207
	s_clause 0x2
	scratch_store_b32 off, v226, off offset:572
	scratch_store_b32 off, v225, off offset:576
	;; [unrolled: 1-line block ×3, first 2 shown]
	v_mul_i32_i24_e32 v80, v241, v204
	scratch_store_b32 off, v14, off offset:396 ; 4-byte Folded Spill
	v_mul_i32_i24_e32 v106, v14, v201
	v_bfe_u32 v14, v207, 8, 4
	v_mul_i32_i24_e32 v81, v226, v203
	v_mul_i32_i24_e32 v105, v225, v202
	scratch_store_b32 off, v14, off offset:400 ; 4-byte Folded Spill
	v_mul_i32_i24_e32 v107, v14, v200
	v_bfe_u32 v14, v207, 16, 4
	scratch_store_b32 off, v14, off offset:788 ; 4-byte Folded Spill
	v_mul_i32_i24_e32 v108, v14, v199
	v_bfe_u32 v14, v207, 24, 4
	scratch_store_b32 off, v14, off offset:404 ; 4-byte Folded Spill
	v_mul_i32_i24_e32 v109, v14, v198
	scratch_load_b32 v14, off, off          ; 4-byte Folded Reload
	s_waitcnt vmcnt(0)
	v_add_nc_u32_e32 v110, 0x3190, v14
	ds_load_2addr_b32 v[198:199], v110 offset1:1
	s_waitcnt lgkmcnt(0)
	v_and_b32_e32 v14, 15, v198
	scratch_store_b32 off, v14, off offset:792 ; 4-byte Folded Spill
	v_mul_i32_i24_e32 v110, v14, v197
	v_bfe_u32 v14, v198, 8, 4
	scratch_store_b32 off, v14, off offset:408 ; 4-byte Folded Spill
	v_mul_i32_i24_e32 v111, v14, v196
	v_bfe_u32 v14, v198, 16, 4
	;; [unrolled: 3-line block ×3, first 2 shown]
	scratch_store_b32 off, v14, off offset:420 ; 4-byte Folded Spill
	v_mul_i32_i24_e32 v113, v14, v194
	v_and_b32_e32 v14, 15, v199
	scratch_store_b32 off, v14, off offset:416 ; 4-byte Folded Spill
	v_mul_i32_i24_e32 v114, v14, v193
	v_bfe_u32 v14, v199, 8, 4
	scratch_store_b32 off, v14, off offset:424 ; 4-byte Folded Spill
	v_mul_i32_i24_e32 v115, v14, v192
	v_bfe_u32 v14, v199, 16, 4
	scratch_store_b32 off, v14, off offset:436 ; 4-byte Folded Spill
	v_mul_i32_i24_e32 v118, v14, v191
	v_bfe_u32 v14, v199, 24, 4
	scratch_store_b32 off, v14, off offset:440 ; 4-byte Folded Spill
	v_mul_i32_i24_e32 v119, v14, v190
	scratch_load_b32 v14, off, off          ; 4-byte Folded Reload
	s_waitcnt vmcnt(0)
	v_add_nc_u32_e32 v120, 0x3198, v14
	ds_load_2addr_b32 v[190:191], v120 offset1:1
	s_waitcnt lgkmcnt(0)
	v_and_b32_e32 v14, 15, v190
	v_and_b32_e32 v223, 15, v191
	v_bfe_u32 v222, v191, 8, 4
	v_bfe_u32 v220, v191, 16, 4
	;; [unrolled: 1-line block ×3, first 2 shown]
	scratch_store_b32 off, v14, off offset:444 ; 4-byte Folded Spill
	v_mul_i32_i24_e32 v120, v14, v189
	v_bfe_u32 v14, v190, 8, 4
	s_clause 0x4
	scratch_store_b32 off, v223, off offset:312
	scratch_store_b32 off, v222, off offset:316
	;; [unrolled: 1-line block ×5, first 2 shown]
	v_mul_i32_i24_e32 v121, v14, v188
	v_bfe_u32 v14, v190, 16, 4
	v_mul_i32_i24_e32 v124, v223, v185
	v_mul_i32_i24_e32 v125, v222, v184
	;; [unrolled: 1-line block ×4, first 2 shown]
	scratch_store_b32 off, v14, off offset:800 ; 4-byte Folded Spill
	v_mul_i32_i24_e32 v122, v14, v187
	v_bfe_u32 v14, v190, 24, 4
	scratch_store_b32 off, v11, off offset:452 ; 4-byte Folded Spill
	v_bfe_u32 v11, v116, 8, 4
	scratch_store_b32 off, v14, off offset:448 ; 4-byte Folded Spill
	v_mul_i32_i24_e32 v123, v14, v186
	scratch_store_b32 off, v11, off offset:4 ; 4-byte Folded Spill
	v_mul_i32_i24_e32 v4, v11, v4
	v_bfe_u32 v11, v116, 16, 4
	s_delay_alu instid0(VALU_DEP_2)
	v_add3_u32 v4, v72, v79, v4
	s_clause 0x1
	scratch_store_b32 off, v11, off offset:560
	scratch_store_b32 off, v241, off offset:568
	ds_load_u16 v72, v23 offset:26624
	ds_load_u16 v23, v23 offset:26632
	v_mul_i32_i24_e32 v73, v11, v210
	s_clause 0x6
	scratch_load_b32 v130, off, off offset:1252
	scratch_load_b32 v240, off, off offset:744
	;; [unrolled: 1-line block ×7, first 2 shown]
	v_add3_u32 v4, v4, v73, v75
	s_clause 0x7
	scratch_load_b32 v16, off, off offset:224
	scratch_load_b32 v228, off, off offset:696
	;; [unrolled: 1-line block ×8, first 2 shown]
	v_add3_u32 v4, v4, v106, v76
	s_waitcnt lgkmcnt(1)
	v_lshrrev_b16 v73, 8, v72
	v_and_b32_e32 v218, 0xff, v72
	v_ashrrev_i32_e32 v72, 4, v116
	v_ashrrev_i32_e32 v116, 4, v199
	v_add3_u32 v4, v4, v77, v78
	v_ashrrev_i32_e32 v78, 4, v117
	s_waitcnt lgkmcnt(0)
	v_cvt_f32_ubyte0_e32 v217, v23
	v_and_b32_e32 v13, 15, v72
	v_cvt_f32_ubyte1_e32 v23, v23
	v_add3_u32 v4, v4, v110, v80
	v_and_b32_e32 v14, 15, v78
	s_clause 0x2
	scratch_store_b32 off, v218, off offset:324
	scratch_store_b32 off, v217, off offset:328
	;; [unrolled: 1-line block ×3, first 2 shown]
	v_mul_i32_i24_e32 v75, v13, v181
	v_bfe_u32 v13, v72, 8, 4
	v_add3_u32 v4, v4, v81, v105
	v_ashrrev_i32_e32 v81, 4, v206
	s_delay_alu instid0(VALU_DEP_4)
	v_mad_i32_i24 v70, v14, v70, v75
	scratch_store_b32 off, v13, off offset:956 ; 4-byte Folded Spill
	v_mul_i32_i24_e32 v76, v13, v180
	v_bfe_u32 v13, v72, 16, 4
	v_add3_u32 v4, v4, v114, v107
	scratch_store_b32 off, v13, off offset:44 ; 4-byte Folded Spill
	v_mul_i32_i24_e32 v77, v13, v179
	v_bfe_u32 v13, v72, 24, 4
	v_add3_u32 v4, v4, v108, v109
	v_ashrrev_i32_e32 v108, 4, v207
	scratch_store_b32 off, v13, off offset:548 ; 4-byte Folded Spill
	v_mul_i32_i24_e32 v72, v13, v178
	v_bfe_u32 v13, v78, 8, 4
	v_add3_u32 v4, v4, v120, v111
	v_ashrrev_i32_e32 v120, 4, v190
	;; [unrolled: 5-line block ×4, first 2 shown]
	scratch_store_b32 off, v13, off offset:556 ; 4-byte Folded Spill
	v_mul_i32_i24_e32 v78, v13, v175
	v_and_b32_e32 v13, 15, v81
	v_add3_u32 v4, v4, v118, v119
	scratch_store_b32 off, v13, off offset:1224 ; 4-byte Folded Spill
	v_mul_i32_i24_e32 v105, v13, v173
	v_bfe_u32 v13, v81, 8, 4
	v_add3_u32 v4, v4, v121, v122
	s_delay_alu instid0(VALU_DEP_3)
	v_add3_u32 v70, v70, v105, v76
	scratch_store_b32 off, v13, off offset:1220 ; 4-byte Folded Spill
	v_mul_i32_i24_e32 v106, v13, v172
	v_bfe_u32 v13, v81, 16, 4
	v_add3_u32 v4, v4, v123, v125
	v_add3_u32 v70, v70, v77, v72
	scratch_store_b32 off, v13, off offset:1228 ; 4-byte Folded Spill
	v_mul_i32_i24_e32 v107, v13, v171
	v_bfe_u32 v13, v81, 24, 4
	v_add3_u32 v4, v4, v183, v182
	scratch_store_b32 off, v13, off offset:1232 ; 4-byte Folded Spill
	v_mul_i32_i24_e32 v81, v13, v170
	v_and_b32_e32 v13, 15, v108
	v_mul_lo_u32 v4, v4, v218
	scratch_store_b32 off, v13, off offset:1208 ; 4-byte Folded Spill
	v_mul_i32_i24_e32 v109, v13, v169
	v_bfe_u32 v13, v108, 8, 4
	v_cvt_f32_i32_e32 v4, v4
	s_delay_alu instid0(VALU_DEP_3)
	v_add3_u32 v70, v70, v109, v79
	scratch_store_b32 off, v13, off offset:1204 ; 4-byte Folded Spill
	v_mul_i32_i24_e32 v110, v13, v168
	v_bfe_u32 v13, v108, 16, 4
	v_fma_mix_f32 v4, v0, v4, 0 op_sel_hi:[1,0,0]
	v_add3_u32 v70, v70, v80, v78
	v_fma_mix_f32 v0, v0, v217, 0 op_sel:[1,0,0] op_sel_hi:[1,0,0]
	v_mov_b32_e32 v79, v23
	scratch_store_b32 off, v13, off offset:1212 ; 4-byte Folded Spill
	v_mul_i32_i24_e32 v111, v13, v167
	v_bfe_u32 v13, v108, 24, 4
	v_fma_mix_f32 v0, v1, v23, v0 op_sel:[1,0,0] op_sel_hi:[1,0,0]
	scratch_store_b32 off, v13, off offset:1216 ; 4-byte Folded Spill
	v_mul_i32_i24_e32 v108, v13, v166
	v_and_b32_e32 v13, 15, v112
	scratch_store_b32 off, v13, off offset:1200 ; 4-byte Folded Spill
	v_mul_i32_i24_e32 v113, v13, v165
	v_bfe_u32 v13, v112, 8, 4
	s_delay_alu instid0(VALU_DEP_2)
	v_add3_u32 v70, v70, v113, v106
	scratch_store_b32 off, v13, off offset:1192 ; 4-byte Folded Spill
	v_mul_i32_i24_e32 v114, v13, v164
	v_bfe_u32 v13, v112, 16, 4
	v_add3_u32 v70, v70, v107, v81
	scratch_store_b32 off, v13, off offset:1196 ; 4-byte Folded Spill
	v_mul_i32_i24_e32 v115, v13, v163
	v_bfe_u32 v13, v112, 24, 4
	scratch_store_b32 off, v13, off offset:992 ; 4-byte Folded Spill
	v_mul_i32_i24_e32 v112, v13, v162
	v_and_b32_e32 v13, 15, v116
	scratch_store_b32 off, v13, off offset:756 ; 4-byte Folded Spill
	v_mul_i32_i24_e32 v117, v13, v161
	v_bfe_u32 v13, v116, 8, 4
	s_delay_alu instid0(VALU_DEP_2)
	v_add3_u32 v70, v70, v117, v110
	scratch_store_b32 off, v13, off offset:980 ; 4-byte Folded Spill
	v_mul_i32_i24_e32 v118, v13, v160
	v_bfe_u32 v13, v116, 16, 4
	v_add3_u32 v70, v70, v111, v108
	scratch_store_b32 off, v13, off offset:984 ; 4-byte Folded Spill
	v_mul_i32_i24_e32 v119, v13, v159
	v_bfe_u32 v13, v116, 24, 4
	;; [unrolled: 15-line block ×3, first 2 shown]
	scratch_store_b32 off, v13, off offset:216 ; 4-byte Folded Spill
	v_mul_i32_i24_e32 v120, v13, v154
	v_and_b32_e32 v13, 15, v124
	s_delay_alu instid0(VALU_DEP_1)
	v_mul_i32_i24_e32 v125, v13, v153
	scratch_store_b32 off, v13, off offset:188 ; 4-byte Folded Spill
	v_bfe_u32 v13, v124, 8, 4
	v_add3_u32 v70, v70, v125, v118
	scratch_store_b32 off, v13, off offset:192 ; 4-byte Folded Spill
	v_mul_i32_i24_e32 v152, v13, v152
	v_bfe_u32 v13, v124, 16, 4
	v_add3_u32 v70, v70, v119, v116
	scratch_store_b32 off, v13, off offset:200 ; 4-byte Folded Spill
	v_mul_i32_i24_e32 v126, v13, v126
	v_bfe_u32 v13, v124, 24, 4
	v_add3_u32 v70, v70, v122, v123
	v_mov_b32_e32 v124, v14
	scratch_load_b32 v14, off, off offset:592 ; 4-byte Folded Reload
	scratch_store_b32 off, v13, off offset:196 ; 4-byte Folded Spill
	v_mul_i32_i24_e32 v74, v13, v74
	v_add3_u32 v70, v70, v120, v152
	v_and_b32_e32 v13, 0xffff, v73
	ds_load_b128 v[152:155], v216 offset:1024
	scratch_store_b32 off, v124, off offset:1044 ; 4-byte Folded Spill
	v_add3_u32 v70, v70, v126, v74
	v_mov_b32_e32 v80, v13
	s_delay_alu instid0(VALU_DEP_2) | instskip(SKIP_4) | instid1(VALU_DEP_2)
	v_mul_lo_u32 v70, v70, v13
	scratch_load_b32 v13, off, off offset:1248 ; 4-byte Folded Reload
	v_cvt_f32_i32_e32 v70, v70
	s_waitcnt lgkmcnt(0)
	v_bfe_i32 v208, v152, 0, 8
	v_fma_mix_f32 v4, v1, v70, v4 op_sel_hi:[1,0,0]
	v_bfe_i32 v207, v152, 8, 8
	v_bfe_i32 v209, v152, 16, 8
	v_ashrrev_i32_e32 v210, 24, v152
	v_mul_i32_i24_e32 v23, v208, v52
	v_bfe_i32 v190, v153, 0, 8
	v_bfe_i32 v187, v153, 8, 8
	v_mul_i32_i24_e32 v72, v209, v46
	v_mul_i32_i24_e32 v73, v210, v48
	v_mad_i32_i24 v23, v207, v58, v23
	v_bfe_i32 v188, v153, 16, 8
	v_ashrrev_i32_e32 v189, 24, v153
	v_bfe_i32 v183, v154, 0, 8
	v_bfe_i32 v184, v154, 8, 8
	;; [unrolled: 1-line block ×3, first 2 shown]
	v_ashrrev_i32_e32 v186, 24, v154
	v_bfe_i32 v167, v155, 0, 8
	v_bfe_i32 v180, v155, 8, 8
	;; [unrolled: 1-line block ×3, first 2 shown]
	v_ashrrev_i32_e32 v182, 24, v155
	ds_load_b128 v[152:155], v216 offset:1040
	v_add3_u32 v23, v23, v72, v73
	v_mul_i32_i24_e32 v73, v187, v129
	v_mul_i32_i24_e32 v75, v188, v132
	;; [unrolled: 1-line block ×3, first 2 shown]
	scratch_load_b32 v46, off, off offset:632 ; 4-byte Folded Reload
	v_mov_b32_e32 v129, v32
	v_mov_b32_e32 v48, v52
	s_waitcnt lgkmcnt(0)
	v_bfe_i32 v203, v152, 0, 8
	v_bfe_i32 v204, v152, 8, 8
	v_bfe_i32 v205, v152, 16, 8
	v_ashrrev_i32_e32 v206, 24, v152
	v_bfe_i32 v199, v153, 0, 8
	v_bfe_i32 v200, v153, 8, 8
	v_bfe_i32 v201, v153, 16, 8
	v_ashrrev_i32_e32 v202, 24, v153
	;; [unrolled: 4-line block ×3, first 2 shown]
	v_bfe_i32 v191, v155, 0, 8
	v_bfe_i32 v192, v155, 8, 8
	;; [unrolled: 1-line block ×3, first 2 shown]
	s_waitcnt vmcnt(17)
	v_mul_f32_e32 v0, v0, v130
	v_ashrrev_i32_e32 v194, 24, v155
	ds_load_b128 v[152:155], v216 offset:1056
	v_mov_b32_e32 v81, v130
	s_waitcnt lgkmcnt(0)
	v_bfe_i32 v177, v152, 0, 8
	v_bfe_i32 v176, v152, 8, 8
	;; [unrolled: 1-line block ×3, first 2 shown]
	v_ashrrev_i32_e32 v179, 24, v152
	v_bfe_i32 v175, v153, 0, 8
	v_bfe_i32 v172, v153, 8, 8
	;; [unrolled: 1-line block ×3, first 2 shown]
	v_ashrrev_i32_e32 v174, 24, v153
	v_bfe_i32 v171, v154, 0, 8
	v_bfe_i32 v168, v154, 8, 8
	;; [unrolled: 1-line block ×3, first 2 shown]
	v_mul_i32_i24_e32 v77, v173, v44
	v_mul_i32_i24_e32 v78, v174, v43
	v_bfe_i32 v169, v154, 16, 8
	v_ashrrev_i32_e32 v170, 24, v154
	v_bfe_i32 v163, v155, 8, 8
	v_bfe_i32 v164, v155, 16, 8
	v_ashrrev_i32_e32 v165, 24, v155
	ds_load_b128 v[152:155], v216 offset:1072
	s_waitcnt lgkmcnt(0)
	v_bfe_i32 v162, v152, 0, 8
	v_bfe_i32 v159, v152, 8, 8
	;; [unrolled: 1-line block ×3, first 2 shown]
	v_ashrrev_i32_e32 v161, 24, v152
	v_bfe_i32 v158, v153, 0, 8
	v_bfe_i32 v211, v153, 8, 8
	;; [unrolled: 1-line block ×3, first 2 shown]
	v_ashrrev_i32_e32 v157, 24, v153
	v_bfe_i32 v153, v154, 0, 8
	v_bfe_i32 v126, v154, 8, 8
	v_ashrrev_i32_e32 v152, 24, v154
	v_bfe_i32 v1, v155, 8, 8
	v_bfe_i32 v70, v155, 16, 8
	v_ashrrev_i32_e32 v74, 24, v155
	s_waitcnt vmcnt(2)
	v_mul_i32_i24_e32 v72, v190, v14
	s_delay_alu instid0(VALU_DEP_1) | instskip(SKIP_1) | instid1(VALU_DEP_2)
	v_add3_u32 v23, v23, v72, v73
	v_mul_i32_i24_e32 v73, v184, v215
	v_add3_u32 v23, v23, v75, v76
	v_mul_i32_i24_e32 v75, v185, v150
	v_mul_i32_i24_e32 v76, v186, v147
	scratch_load_b32 v147, off, off offset:628 ; 4-byte Folded Reload
	s_waitcnt vmcnt(2)
	v_fma_f32 v0, v4, v13, -v0
	v_bfe_i32 v4, v154, 16, 8
	s_delay_alu instid0(VALU_DEP_2)
	v_add_f32_e32 v131, v131, v0
	v_bfe_i32 v0, v155, 0, 8
	scratch_store_b32 off, v131, off offset:1068 ; 4-byte Folded Spill
	scratch_load_b32 v131, off, off offset:596 ; 4-byte Folded Reload
	s_waitcnt vmcnt(0)
	v_mul_i32_i24_e32 v72, v183, v131
	s_delay_alu instid0(VALU_DEP_1)
	v_add3_u32 v23, v23, v72, v73
	v_mul_i32_i24_e32 v72, v167, v16
	v_mul_i32_i24_e32 v73, v180, v149
	scratch_load_b32 v16, off, off offset:220 ; 4-byte Folded Reload
	v_mov_b32_e32 v149, v14
	v_add3_u32 v23, v23, v75, v76
	v_mul_i32_i24_e32 v75, v181, v142
	v_mul_i32_i24_e32 v76, v182, v138
	s_delay_alu instid0(VALU_DEP_3)
	v_add3_u32 v23, v23, v72, v73
	v_mul_i32_i24_e32 v72, v203, v145
	scratch_load_b32 v145, off, off offset:636 ; 4-byte Folded Reload
	v_mul_i32_i24_e32 v73, v204, v146
	scratch_load_b32 v146, off, off offset:340 ; 4-byte Folded Reload
	v_add3_u32 v23, v23, v75, v76
	v_mul_i32_i24_e32 v75, v205, v127
	v_mul_i32_i24_e32 v76, v206, v69
	s_delay_alu instid0(VALU_DEP_3) | instskip(SKIP_3) | instid1(VALU_DEP_4)
	v_add3_u32 v23, v23, v72, v73
	v_mul_i32_i24_e32 v72, v199, v148
	v_mul_i32_i24_e32 v73, v200, v139
	v_mov_b32_e32 v148, v30
	v_add3_u32 v23, v23, v75, v76
	v_mul_i32_i24_e32 v75, v201, v140
	v_mul_i32_i24_e32 v76, v202, v141
	s_delay_alu instid0(VALU_DEP_3) | instskip(SKIP_2) | instid1(VALU_DEP_3)
	v_add3_u32 v23, v23, v72, v73
	v_mul_i32_i24_e32 v72, v195, v68
	v_mul_i32_i24_e32 v73, v196, v143
	v_add3_u32 v23, v23, v75, v76
	v_mul_i32_i24_e32 v75, v197, v65
	v_mul_i32_i24_e32 v76, v198, v63
	s_delay_alu instid0(VALU_DEP_3) | instskip(SKIP_3) | instid1(VALU_DEP_4)
	v_add3_u32 v23, v23, v72, v73
	v_mul_i32_i24_e32 v72, v191, v151
	v_mul_i32_i24_e32 v73, v192, v147
	v_mov_b32_e32 v151, v41
	v_add3_u32 v23, v23, v75, v76
	v_mul_i32_i24_e32 v75, v193, v46
	s_delay_alu instid0(VALU_DEP_2) | instskip(SKIP_2) | instid1(VALU_DEP_1)
	v_add3_u32 v23, v23, v72, v73
	v_mul_i32_i24_e32 v73, v177, v38
	v_fma_mix_f32 v72, v25, v2, 0 op_sel:[0,1,0] op_sel_hi:[0,1,0]
	v_fma_mix_f32 v72, v8, v3, v72 op_sel:[0,1,0] op_sel_hi:[0,1,0]
	s_delay_alu instid0(VALU_DEP_1)
	v_mul_f32_e32 v72, v72, v35
	s_waitcnt vmcnt(2)
	v_mad_i32_i24 v73, v176, v16, v73
	s_waitcnt vmcnt(1)
	v_mul_i32_i24_e32 v76, v194, v145
	s_waitcnt vmcnt(0)
	v_mov_b32_e32 v44, v146
	s_delay_alu instid0(VALU_DEP_2) | instskip(SKIP_2) | instid1(VALU_DEP_3)
	v_add3_u32 v23, v23, v75, v76
	v_mul_i32_i24_e32 v75, v178, v32
	v_mul_i32_i24_e32 v76, v179, v30
	v_mul_lo_u32 v23, v23, v26
	s_delay_alu instid0(VALU_DEP_2) | instskip(SKIP_4) | instid1(VALU_DEP_3)
	v_add3_u32 v73, v73, v75, v76
	v_mul_i32_i24_e32 v75, v175, v146
	v_mul_i32_i24_e32 v76, v172, v45
	v_mov_b32_e32 v146, v45
	v_cvt_f32_i32_e32 v23, v23
	v_add3_u32 v73, v73, v75, v76
	v_mul_i32_i24_e32 v75, v171, v42
	v_mul_i32_i24_e32 v76, v168, v41
	s_delay_alu instid0(VALU_DEP_4) | instskip(NEXT) | instid1(VALU_DEP_4)
	v_fma_mix_f32 v23, v2, v23, 0 op_sel_hi:[1,0,0]
	v_add3_u32 v73, v73, v77, v78
	v_mul_i32_i24_e32 v77, v169, v37
	v_mul_i32_i24_e32 v78, v170, v36
	s_delay_alu instid0(VALU_DEP_3)
	v_add3_u32 v73, v73, v75, v76
	v_mul_i32_i24_e32 v75, v166, v34
	scratch_load_b32 v34, off, off offset:692 ; 4-byte Folded Reload
	v_mul_i32_i24_e32 v76, v163, v33
	v_add3_u32 v73, v73, v77, v78
	v_mul_i32_i24_e32 v77, v164, v31
	v_mul_i32_i24_e32 v78, v165, v28
	s_delay_alu instid0(VALU_DEP_3) | instskip(SKIP_2) | instid1(VALU_DEP_3)
	v_add3_u32 v73, v73, v75, v76
	v_mul_i32_i24_e32 v75, v162, v29
	v_mul_i32_i24_e32 v76, v159, v27
	v_add3_u32 v73, v73, v77, v78
	v_mul_i32_i24_e32 v78, v161, v228
	s_delay_alu instid0(VALU_DEP_2) | instskip(SKIP_4) | instid1(VALU_DEP_1)
	v_add3_u32 v73, v73, v75, v76
	v_mul_i32_i24_e32 v75, v158, v229
	v_mul_i32_i24_e32 v76, v211, v230
	s_waitcnt vmcnt(0)
	v_mul_i32_i24_e32 v77, v160, v34
	v_add3_u32 v73, v73, v77, v78
	v_mul_i32_i24_e32 v77, v156, v231
	v_mul_i32_i24_e32 v78, v157, v232
	s_delay_alu instid0(VALU_DEP_3) | instskip(SKIP_2) | instid1(VALU_DEP_3)
	v_add3_u32 v73, v73, v75, v76
	v_mul_i32_i24_e32 v75, v153, v233
	v_mul_i32_i24_e32 v76, v126, v234
	v_add3_u32 v73, v73, v77, v78
	v_mul_i32_i24_e32 v77, v4, v235
	v_mul_i32_i24_e32 v78, v152, v236
	s_delay_alu instid0(VALU_DEP_3) | instskip(SKIP_2) | instid1(VALU_DEP_3)
	v_add3_u32 v73, v73, v75, v76
	v_mul_i32_i24_e32 v75, v0, v237
	v_mul_i32_i24_e32 v76, v1, v238
	v_add3_u32 v73, v73, v77, v78
	v_mul_i32_i24_e32 v77, v70, v239
	v_mul_i32_i24_e32 v78, v74, v240
	s_delay_alu instid0(VALU_DEP_3) | instskip(NEXT) | instid1(VALU_DEP_1)
	v_add3_u32 v73, v73, v75, v76
	v_add3_u32 v73, v73, v77, v78
	v_mul_i32_i24_e32 v77, v173, v100
	v_mul_i32_i24_e32 v78, v174, v98
	v_mov_b32_e32 v98, v147
	s_delay_alu instid0(VALU_DEP_4) | instskip(NEXT) | instid1(VALU_DEP_1)
	v_mul_lo_u32 v73, v73, v9
	v_cvt_f32_i32_e32 v73, v73
	s_delay_alu instid0(VALU_DEP_1) | instskip(SKIP_1) | instid1(VALU_DEP_2)
	v_fma_mix_f32 v23, v3, v73, v23 op_sel_hi:[1,0,0]
	v_mul_i32_i24_e32 v73, v210, v39
	v_fma_f32 v23, v23, v24, -v72
	s_delay_alu instid0(VALU_DEP_1)
	v_add_f32_e32 v133, v133, v23
	s_clause 0x1
	scratch_store_b32 off, v133, off offset:1084
	scratch_store_b32 off, v60, off offset:584
	s_clause 0x14
	scratch_load_b32 v8, off, off offset:32
	scratch_load_b32 v250, off, off offset:136
	;; [unrolled: 1-line block ×21, first 2 shown]
	v_mul_i32_i24_e32 v23, v208, v60
	s_clause 0xb
	scratch_load_b32 v55, off, off offset:912
	scratch_load_b32 v41, off, off offset:916
	;; [unrolled: 1-line block ×12, first 2 shown]
	scratch_store_b32 off, v56, off offset:36 ; 4-byte Folded Spill
	s_clause 0x18
	scratch_load_b32 v65, off, off offset:456
	scratch_load_b32 v17, off, off offset:460
	scratch_load_b32 v100, off, off offset:884
	scratch_load_b32 v132, off, off offset:464
	scratch_load_b32 v244, off, off offset:468
	scratch_load_b32 v18, off, off offset:472
	scratch_load_b32 v248, off, off offset:480
	scratch_load_b32 v243, off, off offset:484
	scratch_load_b32 v227, off, off offset:488
	scratch_load_b32 v247, off, off offset:492
	scratch_load_b32 v252, off, off offset:500
	scratch_load_b32 v245, off, off offset:888
	scratch_load_b32 v246, off, off offset:892
	scratch_load_b32 v249, off, off offset:896
	scratch_load_b32 v253, off, off offset:372
	scratch_load_b32 v142, off, off offset:376
	scratch_load_b32 v143, off, off offset:380
	scratch_load_b32 v214, off, off offset:384
	scratch_load_b32 v251, off, off offset:388
	scratch_load_b32 v221, off, off offset:392
	scratch_load_b32 v137, off, off offset:768
	scratch_load_b32 v28, off, off offset:788
	scratch_load_b32 v33, off, off offset:792
	scratch_load_b32 v26, off, off offset:796
	scratch_load_b32 v27, off, off offset:800
	scratch_store_b32 off, v212, off offset:772 ; 4-byte Folded Spill
	s_waitcnt vmcnt(57)
	v_mul_i32_i24_e32 v72, v209, v8
	scratch_load_b32 v8, off, off offset:28 ; 4-byte Folded Reload
	s_waitcnt vmcnt(56)
	v_mad_i32_i24 v23, v207, v16, v23
	s_delay_alu instid0(VALU_DEP_1)
	v_add3_u32 v23, v23, v72, v73
	v_mul_i32_i24_e32 v72, v190, v56
	s_waitcnt vmcnt(50)
	v_mul_i32_i24_e32 v75, v188, v63
	s_waitcnt vmcnt(49)
	v_mul_i32_i24_e32 v76, v189, v58
	scratch_load_b32 v56, off, off offset:172 ; 4-byte Folded Reload
	s_waitcnt vmcnt(1)
	v_mul_i32_i24_e32 v73, v187, v8
	scratch_load_b32 v8, off, off offset:524 ; 4-byte Folded Reload
	v_add3_u32 v23, v23, v72, v73
	v_mul_i32_i24_e32 v72, v183, v82
	v_mul_i32_i24_e32 v73, v184, v31
	s_delay_alu instid0(VALU_DEP_3) | instskip(SKIP_2) | instid1(VALU_DEP_3)
	v_add3_u32 v23, v23, v75, v76
	v_mul_i32_i24_e32 v75, v185, v40
	v_mul_i32_i24_e32 v76, v186, v55
	v_add3_u32 v23, v23, v72, v73
	v_mul_i32_i24_e32 v72, v167, v38
	v_mul_i32_i24_e32 v73, v180, v43
	s_delay_alu instid0(VALU_DEP_3) | instskip(SKIP_2) | instid1(VALU_DEP_3)
	v_add3_u32 v23, v23, v75, v76
	v_mul_i32_i24_e32 v75, v181, v53
	v_mul_i32_i24_e32 v76, v182, v39
	v_add3_u32 v23, v23, v72, v73
	s_delay_alu instid0(VALU_DEP_1)
	v_add3_u32 v23, v23, v75, v76
	v_mul_i32_i24_e32 v76, v206, v30
	s_waitcnt vmcnt(0)
	v_mul_i32_i24_e32 v72, v203, v8
	scratch_load_b32 v8, off, off offset:12 ; 4-byte Folded Reload
	s_waitcnt vmcnt(0)
	v_mul_i32_i24_e32 v73, v204, v8
	scratch_load_b32 v8, off, off offset:124 ; 4-byte Folded Reload
	v_add3_u32 v23, v23, v72, v73
	s_waitcnt vmcnt(0)
	v_mul_i32_i24_e32 v75, v205, v8
	scratch_load_b32 v8, off, off offset:132 ; 4-byte Folded Reload
	v_add3_u32 v23, v23, v75, v76
	v_mul_i32_i24_e32 v75, v201, v47
	v_mul_i32_i24_e32 v76, v202, v41
	scratch_load_b32 v47, off, off offset:176 ; 4-byte Folded Reload
	s_waitcnt vmcnt(1)
	v_mul_i32_i24_e32 v72, v199, v8
	scratch_load_b32 v8, off, off offset:528 ; 4-byte Folded Reload
	s_waitcnt vmcnt(0)
	v_mul_i32_i24_e32 v73, v200, v8
	scratch_load_b32 v8, off, off offset:804 ; 4-byte Folded Reload
	v_add3_u32 v23, v23, v72, v73
	v_mul_i32_i24_e32 v72, v195, v56
	v_mul_i32_i24_e32 v73, v196, v54
	s_delay_alu instid0(VALU_DEP_3) | instskip(SKIP_2) | instid1(VALU_DEP_3)
	v_add3_u32 v23, v23, v75, v76
	v_mul_i32_i24_e32 v75, v197, v42
	v_mul_i32_i24_e32 v76, v198, v37
	v_add3_u32 v23, v23, v72, v73
	v_mul_i32_i24_e32 v72, v191, v51
	v_mul_i32_i24_e32 v73, v192, v50
	s_delay_alu instid0(VALU_DEP_3) | instskip(SKIP_2) | instid1(VALU_DEP_3)
	v_add3_u32 v23, v23, v75, v76
	v_mul_i32_i24_e32 v75, v193, v47
	v_mul_i32_i24_e32 v76, v194, v49
	v_add3_u32 v23, v23, v72, v73
	v_fma_mix_f32 v72, v91, v2, 0 op_sel:[0,1,0] op_sel_hi:[0,1,0]
	s_delay_alu instid0(VALU_DEP_2) | instskip(SKIP_2) | instid1(VALU_DEP_4)
	v_add3_u32 v23, v23, v75, v76
	v_mul_i32_i24_e32 v75, v178, v104
	v_mul_i32_i24_e32 v76, v179, v103
	v_fma_mix_f32 v72, v10, v3, v72 op_sel:[0,1,0] op_sel_hi:[0,1,0]
	v_mov_b32_e32 v10, v131
	v_mul_lo_u32 v23, v23, v92
	v_mov_b32_e32 v104, v46
	s_delay_alu instid0(VALU_DEP_4) | instskip(NEXT) | instid1(VALU_DEP_3)
	v_mul_f32_e32 v72, v72, v128
	v_cvt_f32_i32_e32 v23, v23
	s_delay_alu instid0(VALU_DEP_1)
	v_fma_mix_f32 v23, v2, v23, 0 op_sel_hi:[1,0,0]
	s_waitcnt vmcnt(0)
	v_mul_i32_i24_e32 v73, v177, v8
	scratch_load_b32 v8, off, off offset:996 ; 4-byte Folded Reload
	s_waitcnt vmcnt(0)
	v_mad_i32_i24 v73, v176, v8, v73
	scratch_load_b32 v8, off, off offset:1220 ; 4-byte Folded Reload
	v_add3_u32 v73, v73, v75, v76
	v_mul_i32_i24_e32 v75, v175, v7
	scratch_load_b32 v7, off, off offset:16 ; 4-byte Folded Reload
	v_mul_i32_i24_e32 v76, v172, v102
	s_delay_alu instid0(VALU_DEP_1)
	v_add3_u32 v73, v73, v75, v76
	v_mul_i32_i24_e32 v75, v171, v99
	v_mul_i32_i24_e32 v76, v168, v97
	s_clause 0x1
	scratch_load_b32 v97, off, off offset:904
	scratch_load_b32 v99, off, off offset:776
	v_add3_u32 v73, v73, v77, v78
	v_mul_i32_i24_e32 v77, v169, v96
	v_mul_i32_i24_e32 v78, v170, v94
	scratch_load_b32 v96, off, off offset:900 ; 4-byte Folded Reload
	v_add3_u32 v73, v73, v75, v76
	v_mul_i32_i24_e32 v75, v166, v95
	v_mul_i32_i24_e32 v76, v163, v93
	s_clause 0x1
	scratch_load_b32 v93, off, off offset:496
	scratch_load_b32 v95, off, off offset:504
	v_add3_u32 v73, v73, v77, v78
	v_mul_i32_i24_e32 v77, v164, v101
	v_mul_i32_i24_e32 v78, v165, v90
	scratch_load_b32 v101, off, off offset:348 ; 4-byte Folded Reload
	v_add3_u32 v73, v73, v75, v76
	v_mul_i32_i24_e32 v75, v162, v89
	v_mul_i32_i24_e32 v76, v159, v88
	s_delay_alu instid0(VALU_DEP_3) | instskip(SKIP_2) | instid1(VALU_DEP_3)
	v_add3_u32 v73, v73, v77, v78
	v_mul_i32_i24_e32 v77, v160, v87
	v_mul_i32_i24_e32 v78, v161, v86
	v_add3_u32 v73, v73, v75, v76
	v_mul_i32_i24_e32 v75, v158, v85
	v_mul_i32_i24_e32 v76, v211, v84
	s_delay_alu instid0(VALU_DEP_3)
	v_add3_u32 v73, v73, v77, v78
	v_mul_i32_i24_e32 v77, v156, v83
	v_mul_i32_i24_e32 v78, v157, v66
	scratch_load_b32 v66, off, off offset:476 ; 4-byte Folded Reload
	v_add3_u32 v73, v73, v75, v76
	v_mul_i32_i24_e32 v75, v153, v67
	v_mul_i32_i24_e32 v76, v126, v64
	s_delay_alu instid0(VALU_DEP_3)
	v_add3_u32 v73, v73, v77, v78
	v_mul_i32_i24_e32 v77, v4, v62
	v_mul_i32_i24_e32 v78, v152, v59
	s_clause 0x1
	scratch_load_b32 v62, off, off offset:1028
	scratch_load_b32 v59, off, off offset:908
	v_add3_u32 v73, v73, v75, v76
	v_mul_i32_i24_e32 v75, v0, v61
	v_mul_i32_i24_e32 v76, v1, v57
	s_clause 0x1
	scratch_load_b32 v61, off, off offset:360
	scratch_load_b32 v57, off, off offset:452
	v_add3_u32 v73, v73, v77, v78
	v_mul_i32_i24_e32 v77, v70, v22
	v_mul_i32_i24_e32 v78, v74, v15
	s_delay_alu instid0(VALU_DEP_3) | instskip(SKIP_2) | instid1(VALU_DEP_3)
	v_add3_u32 v73, v73, v75, v76
	v_mul_i32_i24_e32 v75, v188, v65
	v_mul_i32_i24_e32 v76, v189, v17
	v_add3_u32 v73, v73, v77, v78
	v_mul_i32_i24_e32 v77, v173, v213
	s_delay_alu instid0(VALU_DEP_2) | instskip(NEXT) | instid1(VALU_DEP_1)
	v_mul_lo_u32 v73, v73, v12
	v_cvt_f32_i32_e32 v73, v73
	s_delay_alu instid0(VALU_DEP_1) | instskip(NEXT) | instid1(VALU_DEP_1)
	v_fma_mix_f32 v23, v3, v73, v23 op_sel_hi:[1,0,0]
	v_fma_f32 v23, v23, v19, -v72
	s_delay_alu instid0(VALU_DEP_1)
	v_add_f32_e32 v134, v134, v23
	s_waitcnt vmcnt(11)
	v_mul_i32_i24_e32 v23, v208, v7
	scratch_load_b32 v7, off, off offset:20 ; 4-byte Folded Reload
	v_mad_i32_i24 v23, v207, v255, v23
	s_waitcnt vmcnt(3)
	v_mul_i32_i24_e32 v78, v174, v59
	s_waitcnt vmcnt(0)
	v_mul_i32_i24_e32 v72, v209, v7
	scratch_load_b32 v7, off, off offset:24 ; 4-byte Folded Reload
	s_waitcnt vmcnt(0)
	v_mul_i32_i24_e32 v73, v210, v7
	scratch_load_b32 v7, off, off offset:48 ; 4-byte Folded Reload
	v_add3_u32 v23, v23, v72, v73
	v_mul_i32_i24_e32 v72, v190, v141
	v_mul_i32_i24_e32 v73, v187, v250
	s_delay_alu instid0(VALU_DEP_1) | instskip(SKIP_2) | instid1(VALU_DEP_3)
	v_add3_u32 v23, v23, v72, v73
	v_mul_i32_i24_e32 v72, v183, v100
	v_mul_i32_i24_e32 v73, v184, v132
	v_add3_u32 v23, v23, v75, v76
	v_mul_i32_i24_e32 v75, v185, v244
	v_mul_i32_i24_e32 v76, v186, v18
	s_delay_alu instid0(VALU_DEP_3) | instskip(SKIP_2) | instid1(VALU_DEP_3)
	v_add3_u32 v23, v23, v72, v73
	v_mul_i32_i24_e32 v72, v167, v245
	v_mul_i32_i24_e32 v73, v180, v66
	v_add3_u32 v23, v23, v75, v76
	v_mul_i32_i24_e32 v75, v181, v248
	v_mul_i32_i24_e32 v76, v182, v243
	s_delay_alu instid0(VALU_DEP_3) | instskip(SKIP_2) | instid1(VALU_DEP_3)
	;; [unrolled: 7-line block ×3, first 2 shown]
	v_add3_u32 v23, v23, v72, v73
	v_mul_i32_i24_e32 v72, v199, v249
	v_mul_i32_i24_e32 v73, v200, v93
	v_add3_u32 v23, v23, v75, v76
	v_mul_i32_i24_e32 v75, v201, v252
	v_mul_i32_i24_e32 v76, v202, v95
	s_delay_alu instid0(VALU_DEP_3) | instskip(SKIP_1) | instid1(VALU_DEP_2)
	v_add3_u32 v23, v23, v72, v73
	v_mul_i32_i24_e32 v73, v196, v150
	v_add3_u32 v23, v23, v75, v76
	s_waitcnt vmcnt(0)
	v_mul_i32_i24_e32 v72, v195, v7
	scratch_load_b32 v7, off, off offset:8  ; 4-byte Folded Reload
	v_add3_u32 v23, v23, v72, v73
	s_waitcnt vmcnt(0)
	v_mul_i32_i24_e32 v75, v197, v7
	scratch_load_b32 v7, off, off offset:56 ; 4-byte Folded Reload
	s_waitcnt vmcnt(0)
	v_mul_i32_i24_e32 v76, v198, v7
	scratch_load_b32 v7, off, off offset:52 ; 4-byte Folded Reload
	v_add3_u32 v23, v23, v75, v76
	s_waitcnt vmcnt(0)
	v_mul_i32_i24_e32 v72, v191, v7
	scratch_load_b32 v7, off, off offset:60 ; 4-byte Folded Reload
	s_waitcnt vmcnt(0)
	v_mul_i32_i24_e32 v73, v192, v7
	scratch_load_b32 v7, off, off offset:64 ; 4-byte Folded Reload
	;; [unrolled: 7-line block ×3, first 2 shown]
	v_add3_u32 v23, v23, v75, v76
	v_mul_i32_i24_e32 v76, v179, v96
	s_waitcnt vmcnt(0)
	s_delay_alu instid0(VALU_DEP_2) | instskip(SKIP_2) | instid1(VALU_DEP_1)
	v_mul_lo_u32 v23, v23, v7
	scratch_load_b32 v7, off, off offset:76 ; 4-byte Folded Reload
	v_cvt_f32_i32_e32 v23, v23
	v_fma_mix_f32 v23, v2, v23, 0 op_sel_hi:[1,0,0]
	s_waitcnt vmcnt(0)
	v_fma_mix_f32 v72, v7, v2, 0 op_sel:[0,1,0] op_sel_hi:[0,1,0]
	scratch_load_b32 v7, off, off offset:84 ; 4-byte Folded Reload
	v_fma_mix_f32 v72, v21, v3, v72 op_sel:[0,1,0] op_sel_hi:[0,1,0]
	s_delay_alu instid0(VALU_DEP_1)
	v_mul_f32_e32 v72, v72, v6
	scratch_load_b32 v6, off, off offset:1228 ; 4-byte Folded Reload
	s_waitcnt vmcnt(1)
	v_mul_i32_i24_e32 v73, v177, v7
	scratch_load_b32 v7, off, off offset:88 ; 4-byte Folded Reload
	s_waitcnt vmcnt(0)
	v_mul_i32_i24_e32 v75, v178, v7
	scratch_load_b32 v7, off, off offset:80 ; 4-byte Folded Reload
	s_waitcnt vmcnt(0)
	v_mad_i32_i24 v73, v176, v7, v73
	scratch_load_b32 v7, off, off offset:92 ; 4-byte Folded Reload
	v_add3_u32 v73, v73, v75, v76
	v_mul_i32_i24_e32 v75, v175, v20
	v_mul_i32_i24_e32 v76, v172, v97
	s_delay_alu instid0(VALU_DEP_1) | instskip(SKIP_2) | instid1(VALU_DEP_3)
	v_add3_u32 v73, v73, v75, v76
	v_mul_i32_i24_e32 v75, v171, v101
	v_mul_i32_i24_e32 v76, v168, v254
	v_add3_u32 v73, v73, v77, v78
	v_mul_i32_i24_e32 v77, v169, v130
	v_mul_i32_i24_e32 v78, v170, v61
	s_delay_alu instid0(VALU_DEP_3) | instskip(SKIP_2) | instid1(VALU_DEP_3)
	v_add3_u32 v73, v73, v75, v76
	v_mul_i32_i24_e32 v75, v166, v133
	v_mul_i32_i24_e32 v76, v163, v137
	v_add3_u32 v73, v73, v77, v78
	s_delay_alu instid0(VALU_DEP_1)
	v_add3_u32 v73, v73, v75, v76
	v_mul_i32_i24_e32 v76, v159, v138
	s_waitcnt vmcnt(0)
	v_mul_i32_i24_e32 v77, v164, v7
	scratch_load_b32 v7, off, off offset:96 ; 4-byte Folded Reload
	s_waitcnt vmcnt(0)
	v_mul_i32_i24_e32 v78, v165, v7
	scratch_load_b32 v7, off, off offset:100 ; 4-byte Folded Reload
	v_add3_u32 v73, v73, v77, v78
	s_waitcnt vmcnt(0)
	v_mul_i32_i24_e32 v75, v162, v7
	scratch_load_b32 v7, off, off offset:104 ; 4-byte Folded Reload
	v_add3_u32 v73, v73, v75, v76
	v_mul_i32_i24_e32 v76, v211, v139
	s_waitcnt vmcnt(0)
	v_mul_i32_i24_e32 v77, v160, v7
	scratch_load_b32 v7, off, off offset:108 ; 4-byte Folded Reload
	s_waitcnt vmcnt(0)
	v_mul_i32_i24_e32 v78, v161, v7
	scratch_load_b32 v7, off, off offset:112 ; 4-byte Folded Reload
	v_add3_u32 v73, v73, v77, v78
	v_mul_i32_i24_e32 v78, v157, v212
	scratch_load_b32 v212, off, off offset:780 ; 4-byte Folded Reload
	s_waitcnt vmcnt(1)
	v_mul_i32_i24_e32 v75, v158, v7
	scratch_load_b32 v7, off, off offset:116 ; 4-byte Folded Reload
	v_add3_u32 v73, v73, v75, v76
	v_mul_i32_i24_e32 v75, v153, v253
	v_mul_i32_i24_e32 v76, v126, v142
	s_waitcnt vmcnt(0)
	v_mul_i32_i24_e32 v77, v156, v7
	scratch_load_b32 v7, off, off offset:120 ; 4-byte Folded Reload
	v_add3_u32 v73, v73, v77, v78
	v_mul_i32_i24_e32 v77, v4, v143
	v_mul_i32_i24_e32 v78, v152, v99
	s_delay_alu instid0(VALU_DEP_3) | instskip(SKIP_2) | instid1(VALU_DEP_3)
	v_add3_u32 v73, v73, v75, v76
	v_mul_i32_i24_e32 v75, v0, v212
	v_mul_i32_i24_e32 v76, v1, v214
	v_add3_u32 v73, v73, v77, v78
	v_mul_i32_i24_e32 v77, v70, v251
	s_delay_alu instid0(VALU_DEP_2)
	v_add3_u32 v73, v73, v75, v76
	v_mul_i32_i24_e32 v76, v189, v224
	v_mov_b32_e32 v189, v81
	s_waitcnt vmcnt(0)
	v_mul_i32_i24_e32 v78, v74, v7
	scratch_load_b32 v7, off, off offset:1232 ; 4-byte Folded Reload
	v_add3_u32 v73, v73, v77, v78
	s_delay_alu instid0(VALU_DEP_1) | instskip(NEXT) | instid1(VALU_DEP_1)
	v_mul_lo_u32 v73, v73, v221
	v_cvt_f32_i32_e32 v73, v73
	s_delay_alu instid0(VALU_DEP_1) | instskip(NEXT) | instid1(VALU_DEP_1)
	v_fma_mix_f32 v23, v3, v73, v23 op_sel_hi:[1,0,0]
	v_fma_f32 v23, v23, v5, -v72
	scratch_load_b32 v5, off, off offset:180 ; 4-byte Folded Reload
	v_mul_i32_i24_e32 v72, v209, v11
	scratch_load_b32 v209, off, off offset:1204 ; 4-byte Folded Reload
	v_add_f32_e32 v135, v135, v23
	v_mul_i32_i24_e32 v23, v208, v57
	scratch_load_b32 v208, off, off offset:1216 ; 4-byte Folded Reload
	s_waitcnt vmcnt(2)
	v_mul_i32_i24_e32 v73, v210, v5
	s_clause 0x1
	scratch_load_b32 v5, off, off offset:4
	scratch_load_b32 v210, off, off offset:1212
	s_waitcnt vmcnt(1)
	v_mad_i32_i24 v23, v207, v5, v23
	s_clause 0x1
	scratch_load_b32 v5, off, off offset:428
	scratch_load_b32 v207, off, off offset:1200
	v_add3_u32 v23, v23, v72, v73
	v_mul_i32_i24_e32 v72, v190, v71
	v_mov_b32_e32 v190, v13
	s_waitcnt vmcnt(1)
	v_mul_i32_i24_e32 v73, v187, v5
	scratch_load_b32 v5, off, off offset:432 ; 4-byte Folded Reload
	v_add3_u32 v23, v23, v72, v73
	v_mul_i32_i24_e32 v73, v184, v241
	s_waitcnt vmcnt(0)
	v_mul_i32_i24_e32 v75, v188, v5
	scratch_load_b32 v5, off, off offset:228 ; 4-byte Folded Reload
	v_mov_b32_e32 v188, v79
	v_add3_u32 v23, v23, v75, v76
	v_mul_i32_i24_e32 v75, v185, v226
	v_mul_i32_i24_e32 v76, v186, v225
	s_waitcnt vmcnt(0)
	v_mul_i32_i24_e32 v72, v183, v5
	scratch_load_b32 v5, off, off offset:396 ; 4-byte Folded Reload
	v_add3_u32 v23, v23, v72, v73
	s_delay_alu instid0(VALU_DEP_1)
	v_add3_u32 v23, v23, v75, v76
	v_mul_i32_i24_e32 v75, v181, v28
	s_waitcnt vmcnt(0)
	v_mul_i32_i24_e32 v72, v167, v5
	scratch_load_b32 v5, off, off offset:400 ; 4-byte Folded Reload
	s_waitcnt vmcnt(0)
	v_mul_i32_i24_e32 v73, v180, v5
	scratch_load_b32 v5, off, off offset:404 ; 4-byte Folded Reload
	v_add3_u32 v23, v23, v72, v73
	v_mul_i32_i24_e32 v72, v203, v33
	scratch_load_b32 v203, off, off offset:988 ; 4-byte Folded Reload
	s_waitcnt vmcnt(1)
	v_mul_i32_i24_e32 v76, v182, v5
	scratch_load_b32 v5, off, off offset:408 ; 4-byte Folded Reload
	v_add3_u32 v23, v23, v75, v76
	s_waitcnt vmcnt(0)
	v_mul_i32_i24_e32 v73, v204, v5
	s_clause 0x1
	scratch_load_b32 v5, off, off offset:412
	scratch_load_b32 v204, off, off offset:1192
	v_add3_u32 v23, v23, v72, v73
	s_waitcnt vmcnt(1)
	v_mul_i32_i24_e32 v75, v205, v5
	s_clause 0x1
	scratch_load_b32 v5, off, off offset:420
	scratch_load_b32 v205, off, off offset:1196
	s_waitcnt vmcnt(1)
	v_mul_i32_i24_e32 v76, v206, v5
	s_clause 0x1
	scratch_load_b32 v5, off, off offset:416
	scratch_load_b32 v206, off, off offset:992
	v_add3_u32 v23, v23, v75, v76
	s_waitcnt vmcnt(1)
	v_mul_i32_i24_e32 v72, v199, v5
	s_clause 0x1
	scratch_load_b32 v5, off, off offset:424
	scratch_load_b32 v199, off, off offset:216
	s_waitcnt vmcnt(1)
	v_mul_i32_i24_e32 v73, v200, v5
	s_clause 0x1
	scratch_load_b32 v5, off, off offset:436
	scratch_load_b32 v200, off, off offset:756
	v_add3_u32 v23, v23, v72, v73
	v_mul_i32_i24_e32 v73, v196, v26
	scratch_load_b32 v196, off, off offset:204 ; 4-byte Folded Reload
	s_waitcnt vmcnt(2)
	v_mul_i32_i24_e32 v75, v201, v5
	s_clause 0x1
	scratch_load_b32 v5, off, off offset:440
	scratch_load_b32 v201, off, off offset:980
	s_waitcnt vmcnt(1)
	v_mul_i32_i24_e32 v76, v202, v5
	s_clause 0x1
	scratch_load_b32 v5, off, off offset:444
	scratch_load_b32 v202, off, off offset:984
	v_add3_u32 v23, v23, v75, v76
	v_mul_i32_i24_e32 v75, v197, v27
	scratch_load_b32 v197, off, off offset:208 ; 4-byte Folded Reload
	s_waitcnt vmcnt(2)
	v_mul_i32_i24_e32 v72, v195, v5
	s_clause 0x1
	scratch_load_b32 v5, off, off offset:448
	scratch_load_b32 v195, off, off offset:196
	v_add3_u32 v23, v23, v72, v73
	v_mul_i32_i24_e32 v72, v191, v223
	v_mul_i32_i24_e32 v73, v192, v222
	scratch_load_b32 v192, off, off offset:188 ; 4-byte Folded Reload
	v_mov_b32_e32 v191, v80
	scratch_store_b32 off, v191, off offset:544 ; 4-byte Folded Spill
	s_waitcnt vmcnt(2)
	v_mul_i32_i24_e32 v76, v198, v5
	s_clause 0x1
	scratch_load_b32 v5, off, off offset:952
	scratch_load_b32 v198, off, off offset:212
	v_add3_u32 v23, v23, v75, v76
	v_mul_i32_i24_e32 v75, v193, v220
	v_mul_i32_i24_e32 v76, v194, v219
	s_clause 0x1
	scratch_load_b32 v193, off, off offset:192
	scratch_load_b32 v194, off, off offset:200
	v_add3_u32 v23, v23, v72, v73
	s_waitcnt vmcnt(4)
	v_mul_i32_i24_e32 v0, v0, v192
	s_delay_alu instid0(VALU_DEP_2) | instskip(NEXT) | instid1(VALU_DEP_1)
	v_add3_u32 v23, v23, v75, v76
	v_mul_lo_u32 v23, v23, v218
	s_delay_alu instid0(VALU_DEP_1) | instskip(NEXT) | instid1(VALU_DEP_1)
	v_cvt_f32_i32_e32 v23, v23
	v_fma_mix_f32 v167, v2, v23, 0 op_sel_hi:[1,0,0]
	v_fma_mix_f32 v2, v217, v2, 0 op_sel:[0,1,0] op_sel_hi:[0,1,0]
	s_waitcnt vmcnt(3)
	v_mul_i32_i24_e32 v23, v177, v5
	scratch_load_b32 v5, off, off offset:44 ; 4-byte Folded Reload
	s_waitcnt vmcnt(3)
	v_mul_i32_i24_e32 v4, v4, v198
	s_waitcnt vmcnt(2)
	v_mul_i32_i24_e32 v1, v1, v193
	;; [unrolled: 2-line block ×3, first 2 shown]
	scratch_load_b32 v5, off, off offset:548 ; 4-byte Folded Reload
	s_waitcnt vmcnt(0)
	v_mul_i32_i24_e32 v73, v179, v5
	scratch_load_b32 v5, off, off offset:956 ; 4-byte Folded Reload
	s_waitcnt vmcnt(0)
	v_mad_i32_i24 v23, v176, v5, v23
	scratch_load_b32 v5, off, off offset:944 ; 4-byte Folded Reload
	v_add3_u32 v23, v23, v72, v73
	v_mul_i32_i24_e32 v72, v175, v124
	s_waitcnt vmcnt(0)
	v_mul_i32_i24_e32 v73, v172, v5
	scratch_load_b32 v5, off, off offset:552 ; 4-byte Folded Reload
	v_add3_u32 v23, v23, v72, v73
	v_mul_i32_i24_e32 v72, v171, v9
	v_mul_i32_i24_e32 v73, v168, v8
	s_waitcnt vmcnt(0)
	v_mul_i32_i24_e32 v75, v173, v5
	scratch_load_b32 v5, off, off offset:556 ; 4-byte Folded Reload
	s_waitcnt vmcnt(0)
	v_mul_i32_i24_e32 v76, v174, v5
	scratch_load_b32 v5, off, off offset:1208 ; 4-byte Folded Reload
	v_add3_u32 v23, v23, v75, v76
	v_mul_i32_i24_e32 v75, v169, v6
	v_mul_i32_i24_e32 v76, v170, v7
	s_delay_alu instid0(VALU_DEP_3) | instskip(SKIP_1) | instid1(VALU_DEP_2)
	v_add3_u32 v23, v23, v72, v73
	v_mul_i32_i24_e32 v73, v163, v209
	v_add3_u32 v23, v23, v75, v76
	v_mul_i32_i24_e32 v75, v164, v210
	v_mul_i32_i24_e32 v76, v165, v208
	s_waitcnt vmcnt(0)
	v_mul_i32_i24_e32 v72, v166, v5
	s_delay_alu instid0(VALU_DEP_1) | instskip(SKIP_2) | instid1(VALU_DEP_3)
	v_add3_u32 v23, v23, v72, v73
	v_mul_i32_i24_e32 v72, v162, v207
	v_mul_i32_i24_e32 v73, v159, v204
	v_add3_u32 v23, v23, v75, v76
	v_mul_i32_i24_e32 v75, v160, v205
	v_mul_i32_i24_e32 v76, v161, v206
	s_delay_alu instid0(VALU_DEP_3) | instskip(SKIP_2) | instid1(VALU_DEP_3)
	v_add3_u32 v23, v23, v72, v73
	v_mul_i32_i24_e32 v72, v158, v200
	v_mul_i32_i24_e32 v73, v211, v201
	v_add3_u32 v23, v23, v75, v76
	v_mul_i32_i24_e32 v75, v156, v202
	v_mul_i32_i24_e32 v76, v157, v203
	s_delay_alu instid0(VALU_DEP_3) | instskip(SKIP_2) | instid1(VALU_DEP_3)
	v_add3_u32 v23, v23, v72, v73
	v_mul_i32_i24_e32 v72, v153, v196
	v_mul_i32_i24_e32 v73, v126, v197
	v_add3_u32 v23, v23, v75, v76
	v_mul_i32_i24_e32 v75, v152, v199
	s_delay_alu instid0(VALU_DEP_2) | instskip(NEXT) | instid1(VALU_DEP_1)
	v_add3_u32 v23, v23, v72, v73
	v_add3_u32 v4, v23, v4, v75
	v_mul_i32_i24_e32 v23, v70, v194
	v_mul_i32_i24_e32 v70, v74, v195
	s_delay_alu instid0(VALU_DEP_3) | instskip(SKIP_1) | instid1(VALU_DEP_2)
	v_add3_u32 v0, v4, v0, v1
	v_fma_mix_f32 v1, v188, v3, v2 op_sel:[0,1,0] op_sel_hi:[0,1,0]
	v_add3_u32 v0, v0, v23, v70
	s_delay_alu instid0(VALU_DEP_2) | instskip(NEXT) | instid1(VALU_DEP_2)
	v_mul_f32_e32 v1, v1, v189
	v_mul_lo_u32 v0, v0, v191
	s_delay_alu instid0(VALU_DEP_1) | instskip(NEXT) | instid1(VALU_DEP_1)
	v_cvt_f32_i32_e32 v0, v0
	v_fma_mix_f32 v0, v3, v0, v167 op_sel_hi:[1,0,0]
	s_delay_alu instid0(VALU_DEP_1) | instskip(NEXT) | instid1(VALU_DEP_1)
	v_fma_f32 v0, v0, v190, -v1
	v_add_f32_e32 v136, v136, v0
	ds_load_b128 v[0:3], v216 offset:2048
	s_clause 0x3
	scratch_store_b32 off, v188, off offset:1032
	scratch_store_b32 off, v134, off offset:1080
	;; [unrolled: 1-line block ×4, first 2 shown]
	s_waitcnt lgkmcnt(0)
	v_bfe_i32 v161, v0, 0, 8
	v_bfe_i32 v156, v0, 8, 8
	v_bfe_i32 v162, v0, 16, 8
	v_ashrrev_i32_e32 v163, 24, v0
	v_bfe_i32 v157, v1, 0, 8
	v_bfe_i32 v158, v1, 8, 8
	v_bfe_i32 v159, v1, 16, 8
	v_ashrrev_i32_e32 v160, 24, v1
	;; [unrolled: 4-line block ×4, first 2 shown]
	ds_load_b128 v[0:3], v216 offset:2064
	v_mul_i32_i24_e32 v181, v161, v48
	s_waitcnt lgkmcnt(0)
	v_bfe_i32 v23, v0, 0, 8
	v_bfe_i32 v72, v0, 8, 8
	;; [unrolled: 1-line block ×3, first 2 shown]
	v_ashrrev_i32_e32 v75, 24, v0
	scratch_load_b32 v0, off, off offset:184 ; 4-byte Folded Reload
	v_bfe_i32 v76, v1, 0, 8
	v_bfe_i32 v77, v1, 8, 8
	v_bfe_i32 v78, v1, 16, 8
	v_ashrrev_i32_e32 v79, 24, v1
	v_bfe_i32 v80, v2, 0, 8
	v_bfe_i32 v81, v2, 8, 8
	v_bfe_i32 v105, v2, 16, 8
	v_ashrrev_i32_e32 v106, 24, v2
	;; [unrolled: 4-line block ×3, first 2 shown]
	s_waitcnt vmcnt(0)
	ds_load_2addr_b64 v[0:3], v0 offset0:32 offset1:48
	ds_load_b128 v[164:167], v216 offset:2080
	s_clause 0x1f
	scratch_load_b32 v52, off, off offset:260
	scratch_load_b32 v215, off, off offset:784
	;; [unrolled: 1-line block ×32, first 2 shown]
	s_clause 0xd
	scratch_load_b32 v217, off, off offset:656
	scratch_load_b32 v218, off, off offset:660
	;; [unrolled: 1-line block ×14, first 2 shown]
	s_waitcnt lgkmcnt(0)
	v_bfe_i32 v111, v164, 0, 8
	v_bfe_i32 v112, v164, 8, 8
	v_bfe_i32 v113, v164, 16, 8
	v_ashrrev_i32_e32 v114, 24, v164
	v_bfe_i32 v115, v165, 0, 8
	v_bfe_i32 v116, v165, 8, 8
	v_bfe_i32 v117, v165, 16, 8
	v_ashrrev_i32_e32 v118, 24, v165
	;; [unrolled: 4-line block ×4, first 2 shown]
	ds_load_b128 v[164:167], v216 offset:2096
	s_clause 0x5
	scratch_load_b32 v85, off, off offset:1240
	scratch_load_b32 v140, off, off offset:1236
	;; [unrolled: 1-line block ×6, first 2 shown]
	scratch_store_b32 off, v48, off offset:588 ; 4-byte Folded Spill
	s_waitcnt lgkmcnt(0)
	v_bfe_i32 v169, v164, 0, 8
	v_bfe_i32 v170, v164, 8, 8
	v_bfe_i32 v171, v164, 16, 8
	v_ashrrev_i32_e32 v164, 24, v164
	v_bfe_i32 v172, v165, 0, 8
	v_bfe_i32 v173, v165, 8, 8
	v_bfe_i32 v174, v165, 16, 8
	v_ashrrev_i32_e32 v165, 24, v165
	;; [unrolled: 4-line block ×4, first 2 shown]
	s_waitcnt vmcnt(51)
	v_mul_i32_i24_e32 v182, v162, v52
	s_waitcnt vmcnt(50)
	v_mul_i32_i24_e32 v183, v163, v215
	s_waitcnt vmcnt(46)
	v_mad_i32_i24 v181, v156, v71, v181
	s_waitcnt vmcnt(44)
	v_mul_i32_i24_e32 v184, v159, v135
	s_waitcnt vmcnt(43)
	v_mul_i32_i24_e32 v185, v160, v136
	v_add3_u32 v181, v181, v182, v183
	v_mul_i32_i24_e32 v182, v157, v149
	v_mul_i32_i24_e32 v183, v158, v134
	s_delay_alu instid0(VALU_DEP_1) | instskip(SKIP_3) | instid1(VALU_DEP_3)
	v_add3_u32 v181, v181, v182, v183
	v_mul_i32_i24_e32 v182, v152, v10
	s_waitcnt vmcnt(42)
	v_mul_i32_i24_e32 v183, v153, v22
	v_add3_u32 v181, v181, v184, v185
	s_waitcnt vmcnt(41)
	v_mul_i32_i24_e32 v184, v154, v128
	s_waitcnt vmcnt(38)
	v_mul_i32_i24_e32 v185, v155, v211
	v_add3_u32 v181, v181, v182, v183
	s_waitcnt vmcnt(30)
	v_mul_i32_i24_e32 v182, v4, v131
	v_mul_i32_i24_e32 v183, v70, v84
	s_waitcnt vmcnt(23)
	v_mul_i32_i24_e32 v186, v117, v36
	v_add3_u32 v181, v181, v184, v185
	v_mul_i32_i24_e32 v184, v74, v21
	v_mul_i32_i24_e32 v185, v126, v25
	s_delay_alu instid0(VALU_DEP_3)
	v_add3_u32 v181, v181, v182, v183
	v_mul_i32_i24_e32 v182, v23, v29
	v_mul_i32_i24_e32 v183, v72, v83
	s_waitcnt vmcnt(11)
	v_mul_i32_i24_e32 v187, v118, v45
	v_add3_u32 v181, v181, v184, v185
	v_mul_i32_i24_e32 v184, v73, v86
	v_mul_i32_i24_e32 v185, v75, v11
	s_delay_alu instid0(VALU_DEP_3) | instskip(SKIP_2) | instid1(VALU_DEP_3)
	v_add3_u32 v181, v181, v182, v183
	v_mul_i32_i24_e32 v182, v76, v32
	v_mul_i32_i24_e32 v183, v77, v87
	v_add3_u32 v181, v181, v184, v185
	v_mul_i32_i24_e32 v184, v78, v88
	v_mul_i32_i24_e32 v185, v79, v12
	s_delay_alu instid0(VALU_DEP_3) | instskip(SKIP_2) | instid1(VALU_DEP_3)
	v_add3_u32 v181, v181, v182, v183
	v_mul_i32_i24_e32 v182, v80, v13
	;; [unrolled: 7-line block ×4, first 2 shown]
	v_fma_mix_f32 v182, v102, v0, 0 op_sel:[0,1,0] op_sel_hi:[0,1,0]
	v_add3_u32 v181, v181, v184, v185
	v_mul_i32_i24_e32 v184, v113, v129
	v_mul_i32_i24_e32 v185, v114, v148
	v_mad_i32_i24 v183, v112, v46, v183
	s_waitcnt vmcnt(7)
	v_fma_mix_f32 v182, v242, v1, v182 op_sel:[0,1,0] op_sel_hi:[0,1,0]
	s_waitcnt vmcnt(6)
	v_mul_lo_u32 v181, v181, v147
	v_add3_u32 v183, v183, v184, v185
	v_mul_i32_i24_e32 v184, v115, v44
	v_mul_i32_i24_e32 v185, v116, v146
	v_mul_f32_e32 v182, v182, v35
	v_cvt_f32_i32_e32 v181, v181
	s_delay_alu instid0(VALU_DEP_3) | instskip(SKIP_2) | instid1(VALU_DEP_4)
	v_add3_u32 v183, v183, v184, v185
	v_mul_i32_i24_e32 v184, v119, v217
	v_mul_i32_i24_e32 v185, v120, v151
	v_fma_mix_f32 v181, v0, v181, 0 op_sel_hi:[1,0,0]
	s_delay_alu instid0(VALU_DEP_4) | instskip(SKIP_2) | instid1(VALU_DEP_3)
	v_add3_u32 v183, v183, v186, v187
	v_mul_i32_i24_e32 v186, v121, v218
	v_mul_i32_i24_e32 v187, v122, v219
	v_add3_u32 v183, v183, v184, v185
	v_mul_i32_i24_e32 v184, v123, v220
	v_mul_i32_i24_e32 v185, v124, v222
	s_delay_alu instid0(VALU_DEP_3) | instskip(SKIP_2) | instid1(VALU_DEP_3)
	v_add3_u32 v183, v183, v186, v187
	v_mul_i32_i24_e32 v186, v125, v223
	v_mul_i32_i24_e32 v187, v168, v224
	v_add3_u32 v183, v183, v184, v185
	v_mul_i32_i24_e32 v184, v169, v225
	v_mul_i32_i24_e32 v185, v170, v226
	s_delay_alu instid0(VALU_DEP_3) | instskip(SKIP_2) | instid1(VALU_DEP_3)
	;; [unrolled: 7-line block ×5, first 2 shown]
	v_add3_u32 v183, v183, v186, v187
	v_mul_i32_i24_e32 v186, v180, v239
	v_mul_i32_i24_e32 v187, v167, v240
	v_add3_u32 v183, v183, v184, v185
	v_mul_i32_i24_e32 v184, v159, v63
	v_mul_i32_i24_e32 v185, v160, v58
	s_clause 0x1
	scratch_load_b32 v58, off, off offset:832
	scratch_load_b32 v63, off, off offset:936
	v_add3_u32 v183, v183, v186, v187
	s_waitcnt vmcnt(6)
	v_mul_i32_i24_e32 v186, v117, v140
	s_waitcnt vmcnt(3)
	v_mul_i32_i24_e32 v187, v118, v67
	v_mul_lo_u32 v183, v183, v241
	s_delay_alu instid0(VALU_DEP_1) | instskip(NEXT) | instid1(VALU_DEP_1)
	v_cvt_f32_i32_e32 v183, v183
	v_fma_mix_f32 v181, v1, v183, v181 op_sel_hi:[1,0,0]
	s_delay_alu instid0(VALU_DEP_1) | instskip(NEXT) | instid1(VALU_DEP_1)
	v_fma_f32 v181, v181, v24, -v182
	v_add_f32_e32 v144, v144, v181
	v_mul_i32_i24_e32 v181, v161, v60
	scratch_load_b32 v60, off, off offset:32 ; 4-byte Folded Reload
	scratch_store_b32 off, v144, off offset:1100 ; 4-byte Folded Spill
	v_mad_i32_i24 v181, v156, v16, v181
	s_clause 0x1
	scratch_load_b32 v16, off, off offset:36
	scratch_load_b32 v144, off, off offset:816
	s_waitcnt vmcnt(2)
	v_mul_i32_i24_e32 v182, v162, v60
	scratch_load_b32 v60, off, off offset:236 ; 4-byte Folded Reload
	s_waitcnt vmcnt(0)
	v_mul_i32_i24_e32 v183, v163, v60
	scratch_load_b32 v60, off, off offset:808 ; 4-byte Folded Reload
	v_add3_u32 v181, v181, v182, v183
	v_mul_i32_i24_e32 v182, v157, v16
	scratch_load_b32 v16, off, off offset:28 ; 4-byte Folded Reload
	s_waitcnt vmcnt(0)
	v_mul_i32_i24_e32 v183, v158, v16
	scratch_load_b32 v16, off, off offset:1056 ; 4-byte Folded Reload
	v_add3_u32 v181, v181, v182, v183
	v_mul_i32_i24_e32 v183, v153, v31
	scratch_load_b32 v31, off, off offset:524 ; 4-byte Folded Reload
	v_mul_i32_i24_e32 v182, v152, v82
	scratch_load_b32 v82, off, off offset:876 ; 4-byte Folded Reload
	v_add3_u32 v181, v181, v184, v185
	v_mul_i32_i24_e32 v184, v154, v40
	v_mul_i32_i24_e32 v185, v155, v55
	s_clause 0x1
	scratch_load_b32 v55, off, off offset:824
	scratch_load_b32 v40, off, off offset:856
	v_add3_u32 v181, v181, v182, v183
	v_mul_i32_i24_e32 v182, v4, v38
	v_mul_i32_i24_e32 v183, v70, v43
	s_clause 0x1
	scratch_load_b32 v38, off, off offset:1020
	scratch_load_b32 v43, off, off offset:864
	;; [unrolled: 6-line block ×3, first 2 shown]
	v_add3_u32 v181, v181, v182, v183
	s_delay_alu instid0(VALU_DEP_1)
	v_add3_u32 v181, v181, v184, v185
	v_mul_i32_i24_e32 v185, v75, v30
	scratch_load_b32 v30, off, off offset:132 ; 4-byte Folded Reload
	s_waitcnt vmcnt(8)
	v_mul_i32_i24_e32 v182, v23, v31
	scratch_load_b32 v31, off, off offset:12 ; 4-byte Folded Reload
	s_waitcnt vmcnt(0)
	v_mul_i32_i24_e32 v183, v72, v31
	scratch_load_b32 v31, off, off offset:124 ; 4-byte Folded Reload
	v_add3_u32 v181, v181, v182, v183
	v_mul_i32_i24_e32 v182, v76, v30
	scratch_load_b32 v30, off, off offset:528 ; 4-byte Folded Reload
	s_waitcnt vmcnt(1)
	v_mul_i32_i24_e32 v184, v73, v31
	scratch_load_b32 v31, off, off offset:128 ; 4-byte Folded Reload
	v_add3_u32 v181, v181, v184, v185
	s_waitcnt vmcnt(1)
	v_mul_i32_i24_e32 v183, v77, v30
	scratch_load_b32 v30, off, off offset:880 ; 4-byte Folded Reload
	v_mul_i32_i24_e32 v185, v79, v41
	scratch_load_b32 v41, off, off offset:852 ; 4-byte Folded Reload
	v_add3_u32 v181, v181, v182, v183
	v_mul_i32_i24_e32 v182, v80, v56
	v_mul_i32_i24_e32 v183, v81, v54
	s_clause 0x1
	scratch_load_b32 v54, off, off offset:820
	scratch_load_b32 v56, off, off offset:828
	s_waitcnt vmcnt(3)
	v_mul_i32_i24_e32 v184, v78, v30
	scratch_load_b32 v30, off, off offset:948 ; 4-byte Folded Reload
	v_add3_u32 v181, v181, v184, v185
	v_mul_i32_i24_e32 v184, v105, v42
	v_mul_i32_i24_e32 v185, v106, v37
	s_clause 0x1
	scratch_load_b32 v42, off, off offset:860
	scratch_load_b32 v37, off, off offset:872
	v_add3_u32 v181, v181, v182, v183
	v_mul_i32_i24_e32 v182, v107, v51
	v_mul_i32_i24_e32 v183, v108, v50
	s_clause 0x1
	scratch_load_b32 v50, off, off offset:1012
	scratch_load_b32 v51, off, off offset:1016
	;; [unrolled: 6-line block ×3, first 2 shown]
	v_add3_u32 v181, v181, v182, v183
	v_fma_mix_f32 v182, v91, v0, 0 op_sel:[0,1,0] op_sel_hi:[0,1,0]
	scratch_load_b32 v91, off, off offset:812 ; 4-byte Folded Reload
	v_mul_i32_i24_e32 v183, v111, v127
	v_add3_u32 v181, v181, v184, v185
	v_mul_i32_i24_e32 v184, v113, v85
	v_fma_mix_f32 v182, v82, v1, v182 op_sel:[0,1,0] op_sel_hi:[0,1,0]
	s_delay_alu instid0(VALU_DEP_4) | instskip(NEXT) | instid1(VALU_DEP_4)
	v_mad_i32_i24 v183, v112, v69, v183
	v_mul_lo_u32 v181, v181, v92
	scratch_load_b32 v92, off, off offset:1024 ; 4-byte Folded Reload
	v_mul_f32_e32 v182, v182, v16
	v_cvt_f32_i32_e32 v181, v181
	s_delay_alu instid0(VALU_DEP_1)
	v_fma_mix_f32 v181, v0, v181, 0 op_sel_hi:[1,0,0]
	s_waitcnt vmcnt(8)
	v_mul_i32_i24_e32 v185, v114, v30
	scratch_load_b32 v30, off, off offset:1040 ; 4-byte Folded Reload
	v_add3_u32 v183, v183, v184, v185
	v_mul_i32_i24_e32 v184, v115, v31
	s_waitcnt vmcnt(0)
	v_mul_i32_i24_e32 v185, v116, v30
	s_delay_alu instid0(VALU_DEP_1) | instskip(SKIP_2) | instid1(VALU_DEP_3)
	v_add3_u32 v183, v183, v184, v185
	v_mul_i32_i24_e32 v184, v119, v94
	v_mul_i32_i24_e32 v185, v120, v49
	v_add3_u32 v183, v183, v186, v187
	v_mul_i32_i24_e32 v186, v121, v50
	v_mul_i32_i24_e32 v187, v122, v51
	s_delay_alu instid0(VALU_DEP_3) | instskip(SKIP_2) | instid1(VALU_DEP_3)
	v_add3_u32 v183, v183, v184, v185
	v_mul_i32_i24_e32 v184, v123, v53
	v_mul_i32_i24_e32 v185, v124, v60
	v_add3_u32 v183, v183, v186, v187
	v_mul_i32_i24_e32 v186, v125, v91
	v_mul_i32_i24_e32 v187, v168, v144
	s_delay_alu instid0(VALU_DEP_3) | instskip(SKIP_2) | instid1(VALU_DEP_3)
	v_add3_u32 v183, v183, v184, v185
	v_mul_i32_i24_e32 v184, v169, v54
	v_mul_i32_i24_e32 v185, v170, v55
	v_add3_u32 v183, v183, v186, v187
	v_mul_i32_i24_e32 v186, v171, v56
	v_mul_i32_i24_e32 v187, v164, v58
	s_delay_alu instid0(VALU_DEP_3) | instskip(SKIP_2) | instid1(VALU_DEP_3)
	v_add3_u32 v183, v183, v184, v185
	v_mul_i32_i24_e32 v184, v172, v64
	v_mul_i32_i24_e32 v185, v173, v63
	v_add3_u32 v183, v183, v186, v187
	v_mul_i32_i24_e32 v186, v174, v90
	v_mul_i32_i24_e32 v187, v165, v68
	s_delay_alu instid0(VALU_DEP_3) | instskip(SKIP_2) | instid1(VALU_DEP_3)
	v_add3_u32 v183, v183, v184, v185
	v_mul_i32_i24_e32 v184, v175, v38
	v_mul_i32_i24_e32 v185, v176, v39
	v_add3_u32 v183, v183, v186, v187
	v_mul_i32_i24_e32 v186, v177, v41
	v_mul_i32_i24_e32 v187, v166, v40
	s_delay_alu instid0(VALU_DEP_3) | instskip(SKIP_2) | instid1(VALU_DEP_3)
	v_add3_u32 v183, v183, v184, v185
	v_mul_i32_i24_e32 v184, v178, v42
	v_mul_i32_i24_e32 v185, v179, v43
	v_add3_u32 v183, v183, v186, v187
	v_mul_i32_i24_e32 v186, v180, v92
	v_mul_i32_i24_e32 v187, v167, v47
	s_delay_alu instid0(VALU_DEP_3)
	v_add3_u32 v183, v183, v184, v185
	v_mul_i32_i24_e32 v185, v160, v17
	scratch_load_b32 v17, off, off offset:48 ; 4-byte Folded Reload
	v_mul_i32_i24_e32 v184, v159, v65
	scratch_load_b32 v65, off, off offset:132 ; 4-byte Folded Reload
	v_add3_u32 v183, v183, v186, v187
	v_mul_i32_i24_e32 v186, v117, v213
	v_mul_i32_i24_e32 v187, v118, v59
	v_mov_b32_e32 v213, v137
	s_delay_alu instid0(VALU_DEP_4) | instskip(NEXT) | instid1(VALU_DEP_1)
	v_mul_lo_u32 v183, v183, v37
	v_cvt_f32_i32_e32 v183, v183
	s_delay_alu instid0(VALU_DEP_1)
	v_fma_mix_f32 v181, v1, v183, v181 op_sel_hi:[1,0,0]
	scratch_load_b32 v183, off, off offset:24 ; 4-byte Folded Reload
	v_fma_f32 v181, v181, v19, -v182
	scratch_load_b32 v182, off, off offset:1096 ; 4-byte Folded Reload
	s_waitcnt vmcnt(1)
	v_mul_i32_i24_e32 v183, v163, v183
	s_waitcnt vmcnt(0)
	v_add_f32_e32 v182, v182, v181
	scratch_load_b32 v181, off, off offset:16 ; 4-byte Folded Reload
	scratch_store_b32 off, v182, off offset:1096 ; 4-byte Folded Spill
	scratch_load_b32 v182, off, off offset:20 ; 4-byte Folded Reload
	s_waitcnt vmcnt(1)
	v_mul_i32_i24_e32 v181, v161, v181
	v_mul_i32_i24_e32 v161, v161, v57
	scratch_load_b32 v57, off, off offset:180 ; 4-byte Folded Reload
	s_waitcnt vmcnt(1)
	v_mul_i32_i24_e32 v182, v162, v182
	v_mad_i32_i24 v181, v156, v255, v181
	s_delay_alu instid0(VALU_DEP_1)
	v_add3_u32 v181, v181, v182, v183
	v_mul_i32_i24_e32 v182, v157, v141
	v_mul_i32_i24_e32 v183, v158, v250
	scratch_load_b32 v250, off, off offset:32 ; 4-byte Folded Reload
	v_add3_u32 v181, v181, v182, v183
	v_mul_i32_i24_e32 v182, v152, v100
	v_mul_i32_i24_e32 v183, v153, v132
	v_mov_b32_e32 v100, v212
	scratch_load_b32 v132, off, off offset:536 ; 4-byte Folded Reload
	v_add3_u32 v181, v181, v184, v185
	v_mul_i32_i24_e32 v184, v154, v244
	v_mul_i32_i24_e32 v185, v155, v18
	scratch_load_b32 v18, off, off offset:1060 ; 4-byte Folded Reload
	v_mov_b32_e32 v244, v249
	v_add3_u32 v181, v181, v182, v183
	v_mul_i32_i24_e32 v182, v4, v245
	v_mul_i32_i24_e32 v183, v70, v66
	s_clause 0x1
	scratch_load_b32 v66, off, off offset:1092
	scratch_load_b32 v245, off, off offset:512
	v_add3_u32 v181, v181, v184, v185
	v_mul_i32_i24_e32 v184, v74, v248
	v_mul_i32_i24_e32 v185, v126, v243
	;; [unrolled: 1-line block ×3, first 2 shown]
	scratch_load_b32 v28, off, off offset:404 ; 4-byte Folded Reload
	v_add3_u32 v181, v181, v182, v183
	v_mul_i32_i24_e32 v182, v23, v227
	v_mul_i32_i24_e32 v183, v72, v246
	v_mul_i32_i24_e32 v23, v23, v33
	v_mov_b32_e32 v227, v246
	v_add3_u32 v181, v181, v184, v185
	v_mul_i32_i24_e32 v184, v73, v247
	v_mul_i32_i24_e32 v185, v75, v62
	scratch_load_b32 v247, off, off offset:516 ; 4-byte Folded Reload
	v_mov_b32_e32 v243, v62
	v_add3_u32 v181, v181, v182, v183
	v_mul_i32_i24_e32 v182, v76, v249
	v_mul_i32_i24_e32 v183, v77, v93
	s_clause 0x1
	scratch_load_b32 v93, off, off offset:772
	scratch_load_b32 v249, off, off offset:912
	v_add3_u32 v181, v181, v184, v185
	v_mul_i32_i24_e32 v184, v78, v252
	v_mul_i32_i24_e32 v185, v79, v95
	s_clause 0x1
	scratch_load_b32 v95, off, off offset:40
	scratch_load_b32 v252, off, off offset:520
	v_add3_u32 v181, v181, v182, v183
	v_mul_i32_i24_e32 v182, v80, v17
	scratch_load_b32 v17, off, off offset:8 ; 4-byte Folded Reload
	v_mul_i32_i24_e32 v183, v81, v150
	scratch_load_b32 v62, off, off offset:412 ; 4-byte Folded Reload
	v_add3_u32 v181, v181, v184, v185
	s_delay_alu instid0(VALU_DEP_1)
	v_add3_u32 v181, v181, v182, v183
	s_waitcnt vmcnt(13)
	v_mul_i32_i24_e32 v163, v163, v57
	scratch_load_b32 v57, off, off offset:4 ; 4-byte Folded Reload
	s_waitcnt vmcnt(8)
	v_mul_i32_i24_e32 v126, v126, v28
	scratch_load_b32 v28, off, off offset:408 ; 4-byte Folded Reload
	;; [unrolled: 3-line block ×3, first 2 shown]
	s_waitcnt vmcnt(2)
	v_mad_i32_i24 v156, v156, v57, v161
	scratch_load_b32 v57, off, off offset:428 ; 4-byte Folded Reload
	s_waitcnt vmcnt(1)
	v_mul_i32_i24_e32 v185, v106, v17
	scratch_load_b32 v17, off, off offset:52 ; 4-byte Folded Reload
	v_add3_u32 v181, v181, v184, v185
	s_waitcnt vmcnt(1)
	v_mul_i32_i24_e32 v158, v158, v57
	scratch_load_b32 v57, off, off offset:432 ; 4-byte Folded Reload
	s_waitcnt vmcnt(1)
	v_mul_i32_i24_e32 v182, v107, v17
	scratch_load_b32 v17, off, off offset:60 ; 4-byte Folded Reload
	;; [unrolled: 3-line block ×4, first 2 shown]
	v_add3_u32 v181, v181, v182, v183
	s_waitcnt vmcnt(1)
	v_mul_i32_i24_e32 v4, v4, v57
	scratch_load_b32 v57, off, off offset:400 ; 4-byte Folded Reload
	s_waitcnt vmcnt(1)
	v_mul_i32_i24_e32 v184, v109, v17
	scratch_load_b32 v17, off, off offset:68 ; 4-byte Folded Reload
	s_waitcnt vmcnt(1)
	v_mul_i32_i24_e32 v70, v70, v57
	v_mov_b32_e32 v57, v46
	s_waitcnt vmcnt(0)
	v_mul_i32_i24_e32 v185, v110, v17
	scratch_load_b32 v17, off, off offset:72 ; 4-byte Folded Reload
	v_add3_u32 v181, v181, v184, v185
	v_mul_i32_i24_e32 v185, v114, v96
	s_waitcnt vmcnt(0)
	s_delay_alu instid0(VALU_DEP_2) | instskip(SKIP_2) | instid1(VALU_DEP_1)
	v_mul_lo_u32 v181, v181, v17
	scratch_load_b32 v17, off, off offset:76 ; 4-byte Folded Reload
	v_cvt_f32_i32_e32 v181, v181
	v_fma_mix_f32 v181, v0, v181, 0 op_sel_hi:[1,0,0]
	s_waitcnt vmcnt(0)
	v_fma_mix_f32 v182, v17, v0, 0 op_sel:[0,1,0] op_sel_hi:[0,1,0]
	scratch_load_b32 v17, off, off offset:84 ; 4-byte Folded Reload
	s_waitcnt vmcnt(0)
	v_mul_i32_i24_e32 v183, v111, v17
	scratch_load_b32 v17, off, off offset:88 ; 4-byte Folded Reload
	s_waitcnt vmcnt(0)
	v_mul_i32_i24_e32 v184, v113, v17
	scratch_load_b32 v17, off, off offset:80 ; 4-byte Folded Reload
	s_waitcnt vmcnt(0)
	v_mad_i32_i24 v183, v112, v17, v183
	scratch_load_b32 v17, off, off offset:92 ; 4-byte Folded Reload
	v_add3_u32 v183, v183, v184, v185
	v_mul_i32_i24_e32 v184, v115, v95
	v_mul_i32_i24_e32 v185, v116, v97
	v_mov_b32_e32 v97, v143
	s_delay_alu instid0(VALU_DEP_2)
	v_add3_u32 v183, v183, v184, v185
	v_mul_i32_i24_e32 v184, v119, v101
	v_mul_i32_i24_e32 v185, v120, v254
	scratch_load_b32 v101, off, off offset:880 ; 4-byte Folded Reload
	v_add3_u32 v183, v183, v186, v187
	v_mul_i32_i24_e32 v186, v121, v130
	v_mul_i32_i24_e32 v187, v122, v61
	scratch_load_b32 v61, off, off offset:920 ; 4-byte Folded Reload
	v_mov_b32_e32 v130, v133
	v_add3_u32 v183, v183, v184, v185
	v_mul_i32_i24_e32 v184, v123, v133
	v_mul_i32_i24_e32 v185, v124, v137
	v_mov_b32_e32 v137, v85
	s_delay_alu instid0(VALU_DEP_4) | instskip(NEXT) | instid1(VALU_DEP_1)
	v_add3_u32 v183, v183, v186, v187
	v_add3_u32 v183, v183, v184, v185
	v_mul_i32_i24_e32 v185, v170, v138
	s_waitcnt vmcnt(2)
	v_mul_i32_i24_e32 v186, v125, v17
	scratch_load_b32 v17, off, off offset:96 ; 4-byte Folded Reload
	s_waitcnt vmcnt(0)
	v_mul_i32_i24_e32 v187, v168, v17
	scratch_load_b32 v17, off, off offset:100 ; 4-byte Folded Reload
	v_add3_u32 v183, v183, v186, v187
	s_waitcnt vmcnt(0)
	v_mul_i32_i24_e32 v184, v169, v17
	scratch_load_b32 v17, off, off offset:104 ; 4-byte Folded Reload
	v_add3_u32 v183, v183, v184, v185
	v_mul_i32_i24_e32 v185, v173, v139
	scratch_load_b32 v139, off, off offset:928 ; 4-byte Folded Reload
	s_waitcnt vmcnt(1)
	v_mul_i32_i24_e32 v186, v171, v17
	scratch_load_b32 v17, off, off offset:108 ; 4-byte Folded Reload
	s_waitcnt vmcnt(0)
	v_mul_i32_i24_e32 v187, v164, v17
	scratch_load_b32 v17, off, off offset:112 ; 4-byte Folded Reload
	v_add3_u32 v183, v183, v186, v187
	v_mul_i32_i24_e32 v187, v165, v93
	s_waitcnt vmcnt(0)
	v_mul_i32_i24_e32 v184, v172, v17
	scratch_load_b32 v17, off, off offset:116 ; 4-byte Folded Reload
	v_add3_u32 v183, v183, v184, v185
	v_mul_i32_i24_e32 v184, v175, v253
	v_mul_i32_i24_e32 v185, v176, v142
	s_waitcnt vmcnt(0)
	v_mul_i32_i24_e32 v186, v174, v17
	scratch_load_b32 v17, off, off offset:120 ; 4-byte Folded Reload
	v_add3_u32 v183, v183, v186, v187
	v_mul_i32_i24_e32 v186, v177, v143
	v_mul_i32_i24_e32 v187, v166, v99
	s_delay_alu instid0(VALU_DEP_3)
	v_add3_u32 v183, v183, v184, v185
	v_mul_i32_i24_e32 v184, v178, v212
	scratch_load_b32 v212, off, off offset:244 ; 4-byte Folded Reload
	v_mul_i32_i24_e32 v185, v179, v214
	scratch_load_b32 v214, off, off offset:932 ; 4-byte Folded Reload
	v_add3_u32 v183, v183, v186, v187
	v_mul_i32_i24_e32 v186, v180, v251
	s_delay_alu instid0(VALU_DEP_2) | instskip(SKIP_4) | instid1(VALU_DEP_1)
	v_add3_u32 v183, v183, v184, v185
	s_waitcnt vmcnt(2)
	v_mul_i32_i24_e32 v187, v167, v17
	scratch_load_b32 v17, off, off offset:960 ; 4-byte Folded Reload
	v_add3_u32 v183, v183, v186, v187
	v_mul_lo_u32 v183, v183, v221
	s_waitcnt vmcnt(2)
	v_fma_mix_f32 v182, v212, v1, v182 op_sel:[0,1,0] op_sel_hi:[0,1,0]
	s_delay_alu instid0(VALU_DEP_1) | instskip(NEXT) | instid1(VALU_DEP_3)
	v_mul_f32_e32 v182, v182, v18
	v_cvt_f32_i32_e32 v183, v183
	s_delay_alu instid0(VALU_DEP_1) | instskip(SKIP_1) | instid1(VALU_DEP_1)
	v_fma_mix_f32 v181, v1, v183, v181 op_sel_hi:[1,0,0]
	s_waitcnt vmcnt(0)
	v_fma_f32 v181, v181, v17, -v182
	s_delay_alu instid0(VALU_DEP_1)
	v_add_f32_e32 v66, v66, v181
	scratch_store_b32 off, v66, off offset:1092 ; 4-byte Folded Spill
	scratch_load_b32 v66, off, off offset:560 ; 4-byte Folded Reload
	s_waitcnt vmcnt(0)
	v_mul_i32_i24_e32 v162, v162, v66
	scratch_load_b32 v66, off, off offset:564 ; 4-byte Folded Reload
	v_add3_u32 v156, v156, v162, v163
	s_waitcnt vmcnt(0)
	v_mul_i32_i24_e32 v157, v157, v66
	scratch_load_b32 v66, off, off offset:580 ; 4-byte Folded Reload
	v_add3_u32 v156, v156, v157, v158
	;; [unrolled: 4-line block ×3, first 2 shown]
	s_waitcnt vmcnt(0)
	v_mul_i32_i24_e32 v152, v152, v66
	scratch_load_b32 v66, off, off offset:568 ; 4-byte Folded Reload
	s_waitcnt vmcnt(0)
	v_mul_i32_i24_e32 v153, v153, v66
	scratch_load_b32 v66, off, off offset:572 ; 4-byte Folded Reload
	v_add3_u32 v152, v156, v152, v153
	s_waitcnt vmcnt(0)
	v_mul_i32_i24_e32 v154, v154, v66
	scratch_load_b32 v66, off, off offset:576 ; 4-byte Folded Reload
	s_waitcnt vmcnt(0)
	v_mul_i32_i24_e32 v155, v155, v66
	scratch_load_b32 v66, off, off offset:580 ; 4-byte Folded Reload
	v_add3_u32 v152, v152, v154, v155
	s_delay_alu instid0(VALU_DEP_1) | instskip(SKIP_4) | instid1(VALU_DEP_1)
	v_add3_u32 v4, v152, v4, v70
	v_mul_i32_i24_e32 v70, v72, v28
	scratch_load_b32 v28, off, off offset:412 ; 4-byte Folded Reload
	ds_load_b128 v[152:155], v216 offset:3072
	v_add3_u32 v4, v4, v74, v126
	v_add3_u32 v4, v4, v23, v70
	scratch_load_b32 v23, off, off offset:416 ; 4-byte Folded Reload
	s_waitcnt lgkmcnt(0)
	v_bfe_i32 v187, v153, 0, 8
	v_bfe_i32 v183, v154, 0, 8
	;; [unrolled: 1-line block ×4, first 2 shown]
	v_ashrrev_i32_e32 v186, 24, v154
	v_bfe_i32 v163, v155, 0, 8
	v_bfe_i32 v181, v155, 16, 8
	v_ashrrev_i32_e32 v182, 24, v155
	s_waitcnt vmcnt(1)
	v_mul_i32_i24_e32 v72, v73, v28
	scratch_load_b32 v28, off, off offset:420 ; 4-byte Folded Reload
	s_waitcnt vmcnt(1)
	v_mul_i32_i24_e32 v23, v76, v23
	s_waitcnt vmcnt(0)
	v_mul_i32_i24_e32 v73, v75, v28
	scratch_load_b32 v28, off, off offset:424 ; 4-byte Folded Reload
	v_add3_u32 v4, v4, v72, v73
	s_waitcnt vmcnt(0)
	v_mul_i32_i24_e32 v70, v77, v28
	scratch_load_b32 v28, off, off offset:436 ; 4-byte Folded Reload
	v_add3_u32 v4, v4, v23, v70
	scratch_load_b32 v23, off, off offset:444 ; 4-byte Folded Reload
	v_mul_i32_i24_e32 v70, v81, v26
	s_clause 0x1
	scratch_load_b32 v26, off, off offset:448
	scratch_load_b32 v81, off, off offset:320
	s_waitcnt vmcnt(3)
	v_mul_i32_i24_e32 v72, v78, v28
	scratch_load_b32 v28, off, off offset:440 ; 4-byte Folded Reload
	s_waitcnt vmcnt(3)
	v_mul_i32_i24_e32 v23, v80, v23
	scratch_load_b32 v80, off, off offset:336 ; 4-byte Folded Reload
	s_waitcnt vmcnt(1)
	v_mul_i32_i24_e32 v73, v79, v28
	s_clause 0x1
	scratch_load_b32 v79, off, off offset:316
	scratch_load_b32 v28, off, off offset:328
	v_add3_u32 v4, v4, v72, v73
	v_mul_i32_i24_e32 v72, v105, v27
	s_clause 0x1
	scratch_load_b32 v27, off, off offset:312
	scratch_load_b32 v105, off, off offset:324
	v_mul_i32_i24_e32 v73, v106, v26
	v_add3_u32 v4, v4, v23, v70
	scratch_load_b32 v106, off, off offset:956 ; 4-byte Folded Reload
	v_mov_b32_e32 v26, v189
	v_add3_u32 v4, v4, v72, v73
	v_mul_i32_i24_e32 v73, v110, v81
	scratch_load_b32 v110, off, off offset:548 ; 4-byte Folded Reload
	s_waitcnt vmcnt(6)
	v_mul_i32_i24_e32 v72, v109, v80
	scratch_load_b32 v109, off, off offset:944 ; 4-byte Folded Reload
	s_waitcnt vmcnt(6)
	;; [unrolled: 3-line block ×3, first 2 shown]
	v_mul_i32_i24_e32 v23, v107, v27
	scratch_load_b32 v107, off, off offset:952 ; 4-byte Folded Reload
	v_add3_u32 v4, v4, v23, v70
	s_delay_alu instid0(VALU_DEP_1) | instskip(SKIP_3) | instid1(VALU_DEP_3)
	v_add3_u32 v4, v4, v72, v73
	s_waitcnt vmcnt(3)
	v_mul_i32_i24_e32 v72, v114, v110
	v_mov_b32_e32 v114, v190
	v_mul_lo_u32 v4, v4, v105
	s_delay_alu instid0(VALU_DEP_1) | instskip(NEXT) | instid1(VALU_DEP_1)
	v_cvt_f32_i32_e32 v4, v4
	v_fma_mix_f32 v4, v0, v4, 0 op_sel_hi:[1,0,0]
	v_fma_mix_f32 v0, v28, v0, 0 op_sel:[0,1,0] op_sel_hi:[0,1,0]
	s_delay_alu instid0(VALU_DEP_1) | instskip(SKIP_1) | instid1(VALU_DEP_2)
	v_fma_mix_f32 v0, v188, v1, v0 op_sel:[0,1,0] op_sel_hi:[0,1,0]
	v_bfe_i32 v188, v153, 8, 8
	v_mul_f32_e32 v0, v0, v189
	v_bfe_i32 v189, v153, 16, 8
	s_delay_alu instid0(VALU_DEP_1)
	v_mul_i32_i24_e32 v75, v189, v135
	scratch_load_b32 v135, off, off offset:924 ; 4-byte Folded Reload
	s_waitcnt vmcnt(2)
	v_mul_i32_i24_e32 v70, v113, v108
	scratch_load_b32 v113, off, off offset:1044 ; 4-byte Folded Reload
	s_waitcnt vmcnt(2)
	v_mul_i32_i24_e32 v23, v111, v107
	scratch_load_b32 v111, off, off offset:552 ; 4-byte Folded Reload
	v_mad_i32_i24 v23, v112, v106, v23
	scratch_load_b32 v112, off, off offset:556 ; 4-byte Folded Reload
	v_add3_u32 v23, v23, v70, v72
	v_mul_i32_i24_e32 v72, v116, v109
	s_waitcnt vmcnt(2)
	v_mul_i32_i24_e32 v70, v115, v113
	v_mov_b32_e32 v115, v8
	s_delay_alu instid0(VALU_DEP_2)
	v_add3_u32 v23, v23, v70, v72
	s_waitcnt vmcnt(1)
	v_mul_i32_i24_e32 v73, v117, v111
	v_mul_i32_i24_e32 v70, v119, v9
	;; [unrolled: 1-line block ×3, first 2 shown]
	v_dual_mov_b32 v120, v5 :: v_dual_mov_b32 v119, v208
	s_waitcnt vmcnt(0)
	v_mul_i32_i24_e32 v74, v118, v112
	v_mov_b32_e32 v118, v210
	v_mov_b32_e32 v117, v6
	scratch_load_b32 v8, off, off offset:364 ; 4-byte Folded Reload
	v_add3_u32 v23, v23, v73, v74
	v_mul_i32_i24_e32 v73, v121, v6
	v_mul_i32_i24_e32 v74, v122, v7
	v_mov_b32_e32 v122, v209
	scratch_load_b32 v6, off, off offset:16 ; 4-byte Folded Reload
	v_add3_u32 v23, v23, v70, v72
	v_mul_i32_i24_e32 v70, v123, v5
	v_mul_i32_i24_e32 v72, v124, v209
	scratch_load_b32 v5, off, off offset:1116 ; 4-byte Folded Reload
	v_mov_b32_e32 v123, v207
	v_add3_u32 v23, v23, v73, v74
	v_mul_i32_i24_e32 v73, v125, v210
	v_mul_i32_i24_e32 v74, v168, v208
	v_bfe_i32 v208, v152, 0, 8
	v_bfe_i32 v209, v152, 16, 8
	v_add3_u32 v23, v23, v70, v72
	v_mul_i32_i24_e32 v70, v169, v207
	v_mul_i32_i24_e32 v72, v170, v204
	v_bfe_i32 v207, v152, 8, 8
	v_ashrrev_i32_e32 v210, 24, v152
	v_add3_u32 v23, v23, v73, v74
	v_mul_i32_i24_e32 v73, v171, v205
	v_mul_i32_i24_e32 v74, v164, v206
	v_dual_mov_b32 v124, v204 :: v_dual_mov_b32 v125, v205
	s_delay_alu instid0(VALU_DEP_4) | instskip(SKIP_2) | instid1(VALU_DEP_3)
	v_add3_u32 v23, v23, v70, v72
	v_mul_i32_i24_e32 v70, v172, v200
	v_mul_i32_i24_e32 v72, v173, v201
	v_add3_u32 v23, v23, v73, v74
	v_mul_i32_i24_e32 v73, v174, v202
	v_mul_i32_i24_e32 v74, v165, v203
	s_delay_alu instid0(VALU_DEP_3) | instskip(SKIP_2) | instid1(VALU_DEP_3)
	v_add3_u32 v23, v23, v70, v72
	v_mul_i32_i24_e32 v70, v175, v196
	v_mul_i32_i24_e32 v72, v176, v197
	v_add3_u32 v23, v23, v73, v74
	v_mul_i32_i24_e32 v73, v177, v198
	v_mul_i32_i24_e32 v74, v166, v199
	s_delay_alu instid0(VALU_DEP_3) | instskip(SKIP_2) | instid1(VALU_DEP_3)
	v_add3_u32 v23, v23, v70, v72
	v_mul_i32_i24_e32 v70, v178, v192
	v_mul_i32_i24_e32 v72, v179, v193
	v_add3_u32 v23, v23, v73, v74
	v_mul_i32_i24_e32 v73, v180, v194
	v_mul_i32_i24_e32 v74, v167, v195
	v_bfe_i32 v180, v155, 8, 8
	s_delay_alu instid0(VALU_DEP_4) | instskip(SKIP_2) | instid1(VALU_DEP_3)
	v_add3_u32 v23, v23, v70, v72
	v_mul_i32_i24_e32 v72, v209, v52
	v_mov_b32_e32 v52, v35
	v_add3_u32 v23, v23, v73, v74
	v_mul_i32_i24_e32 v73, v210, v215
	s_delay_alu instid0(VALU_DEP_2) | instskip(NEXT) | instid1(VALU_DEP_1)
	v_mul_lo_u32 v23, v23, v191
	v_cvt_f32_i32_e32 v23, v23
	s_delay_alu instid0(VALU_DEP_1)
	v_fma_mix_f32 v4, v1, v23, v4 op_sel_hi:[1,0,0]
	scratch_load_b32 v1, off, off offset:1088 ; 4-byte Folded Reload
	v_mul_i32_i24_e32 v23, v208, v48
	v_mov_b32_e32 v48, v211
	v_fma_f32 v0, v4, v190, -v0
	v_ashrrev_i32_e32 v190, 24, v153
	s_delay_alu instid0(VALU_DEP_4)
	v_mad_i32_i24 v23, v207, v71, v23
	ds_load_b128 v[152:155], v216 offset:3088
	v_mov_b32_e32 v71, v10
	v_mul_i32_i24_e32 v76, v190, v136
	v_add3_u32 v23, v23, v72, v73
	v_mul_i32_i24_e32 v72, v187, v149
	v_mul_i32_i24_e32 v73, v188, v134
	scratch_load_b32 v134, off, off offset:584 ; 4-byte Folded Reload
	v_add3_u32 v23, v23, v72, v73
	v_mul_i32_i24_e32 v72, v183, v10
	v_mul_i32_i24_e32 v73, v184, v22
	scratch_load_b32 v22, off, off offset:528 ; 4-byte Folded Reload
	v_mov_b32_e32 v10, v117
	v_add3_u32 v23, v23, v75, v76
	v_mul_i32_i24_e32 v75, v185, v128
	v_mul_i32_i24_e32 v76, v186, v211
	scratch_load_b32 v128, off, off offset:916 ; 4-byte Folded Reload
	s_waitcnt lgkmcnt(0)
	v_bfe_i32 v203, v152, 0, 8
	v_add3_u32 v23, v23, v72, v73
	v_mul_i32_i24_e32 v72, v163, v131
	v_mul_i32_i24_e32 v73, v180, v84
	v_bfe_i32 v204, v152, 8, 8
	v_bfe_i32 v205, v152, 16, 8
	v_add3_u32 v23, v23, v75, v76
	v_mul_i32_i24_e32 v75, v181, v21
	v_mul_i32_i24_e32 v76, v182, v25
	v_ashrrev_i32_e32 v206, 24, v152
	v_bfe_i32 v199, v153, 0, 8
	v_add3_u32 v23, v23, v72, v73
	v_mul_i32_i24_e32 v72, v203, v29
	v_mul_i32_i24_e32 v73, v204, v83
	v_bfe_i32 v200, v153, 8, 8
	v_bfe_i32 v201, v153, 16, 8
	v_add3_u32 v23, v23, v75, v76
	v_mul_i32_i24_e32 v75, v205, v86
	v_mul_i32_i24_e32 v76, v206, v11
	v_ashrrev_i32_e32 v202, 24, v153
	v_bfe_i32 v195, v154, 0, 8
	v_add3_u32 v23, v23, v72, v73
	v_bfe_i32 v196, v154, 8, 8
	v_bfe_i32 v197, v154, 16, 8
	v_ashrrev_i32_e32 v198, 24, v154
	v_bfe_i32 v191, v155, 0, 8
	v_bfe_i32 v192, v155, 8, 8
	;; [unrolled: 1-line block ×3, first 2 shown]
	v_ashrrev_i32_e32 v194, 24, v155
	ds_load_b128 v[152:155], v216 offset:3104
	v_add3_u32 v23, v23, v75, v76
	v_mul_i32_i24_e32 v72, v199, v32
	v_mul_i32_i24_e32 v73, v200, v87
	;; [unrolled: 1-line block ×4, first 2 shown]
	s_clause 0x1
	scratch_load_b32 v12, off, off offset:236
	scratch_load_b32 v131, off, off offset:4
	v_add3_u32 v23, v23, v72, v73
	v_mul_i32_i24_e32 v72, v195, v13
	v_mul_i32_i24_e32 v73, v196, v14
	s_clause 0x1
	scratch_load_b32 v13, off, off offset:240
	scratch_load_b32 v14, off, off offset:884
	v_add3_u32 v23, v23, v75, v76
	v_mul_i32_i24_e32 v75, v197, v15
	v_mul_i32_i24_e32 v76, v198, v20
	s_clause 0x1
	scratch_load_b32 v20, off, off offset:1112
	scratch_load_b32 v15, off, off offset:888
	v_add3_u32 v23, v23, v72, v73
	v_mul_i32_i24_e32 v72, v191, v89
	s_waitcnt lgkmcnt(0)
	v_bfe_i32 v177, v152, 0, 8
	v_mul_i32_i24_e32 v73, v192, v98
	v_bfe_i32 v176, v152, 8, 8
	v_add3_u32 v23, v23, v75, v76
	v_bfe_i32 v178, v152, 16, 8
	v_ashrrev_i32_e32 v179, 24, v152
	v_mul_i32_i24_e32 v75, v193, v104
	v_mul_i32_i24_e32 v76, v194, v145
	v_add3_u32 v23, v23, v72, v73
	v_mul_i32_i24_e32 v73, v177, v103
	v_bfe_i32 v172, v153, 0, 8
	v_bfe_i32 v173, v153, 8, 8
	;; [unrolled: 1-line block ×3, first 2 shown]
	v_add3_u32 v23, v23, v75, v76
	v_mul_i32_i24_e32 v75, v178, v129
	v_mul_i32_i24_e32 v76, v179, v148
	v_mad_i32_i24 v73, v176, v46, v73
	v_ashrrev_i32_e32 v175, 24, v153
	v_bfe_i32 v168, v154, 0, 8
	v_bfe_i32 v169, v154, 8, 8
	;; [unrolled: 1-line block ×3, first 2 shown]
	v_add3_u32 v73, v73, v75, v76
	v_mul_i32_i24_e32 v75, v172, v44
	v_mul_i32_i24_e32 v76, v173, v146
	v_ashrrev_i32_e32 v171, 24, v154
	v_bfe_i32 v164, v155, 0, 8
	v_bfe_i32 v165, v155, 8, 8
	;; [unrolled: 1-line block ×3, first 2 shown]
	v_ashrrev_i32_e32 v167, 24, v155
	ds_load_b128 v[152:155], v216 offset:3120
	v_mul_i32_i24_e32 v77, v174, v36
	v_mul_i32_i24_e32 v78, v175, v45
	v_add3_u32 v73, v73, v75, v76
	v_mul_i32_i24_e32 v75, v168, v217
	v_mul_i32_i24_e32 v76, v169, v151
	v_mul_lo_u32 v23, v23, v147
	v_fma_mix_f32 v72, v102, v2, 0 op_sel:[0,1,0] op_sel_hi:[0,1,0]
	v_add3_u32 v73, v73, v77, v78
	v_mul_i32_i24_e32 v77, v170, v218
	v_mul_i32_i24_e32 v78, v171, v219
	scratch_load_b32 v44, off, off offset:424 ; 4-byte Folded Reload
	v_fma_mix_f32 v72, v242, v3, v72 op_sel:[0,1,0] op_sel_hi:[0,1,0]
	v_add3_u32 v73, v73, v75, v76
	v_mul_i32_i24_e32 v75, v164, v220
	v_mul_i32_i24_e32 v76, v165, v222
	v_cvt_f32_i32_e32 v23, v23
	v_mul_f32_e32 v72, v72, v35
	v_add3_u32 v73, v73, v77, v78
	v_mul_i32_i24_e32 v77, v166, v223
	s_waitcnt lgkmcnt(0)
	v_bfe_i32 v162, v152, 0, 8
	v_bfe_i32 v159, v152, 8, 8
	v_mul_i32_i24_e32 v78, v167, v224
	v_add3_u32 v73, v73, v75, v76
	v_bfe_i32 v160, v152, 16, 8
	v_ashrrev_i32_e32 v161, 24, v152
	v_mul_i32_i24_e32 v75, v162, v225
	v_mul_i32_i24_e32 v76, v159, v226
	v_add3_u32 v73, v73, v77, v78
	v_bfe_i32 v33, v153, 0, 8
	v_bfe_i32 v156, v153, 8, 8
	v_mul_i32_i24_e32 v77, v160, v34
	v_mul_i32_i24_e32 v78, v161, v228
	v_add3_u32 v73, v73, v75, v76
	v_bfe_i32 v157, v153, 16, 8
	v_ashrrev_i32_e32 v158, 24, v153
	v_mul_i32_i24_e32 v75, v33, v229
	v_mul_i32_i24_e32 v76, v156, v230
	v_add3_u32 v73, v73, v77, v78
	v_bfe_i32 v126, v154, 0, 8
	v_bfe_i32 v4, v154, 8, 8
	v_mul_i32_i24_e32 v77, v157, v231
	v_mul_i32_i24_e32 v78, v158, v232
	v_add3_u32 v73, v73, v75, v76
	v_bfe_i32 v152, v154, 16, 8
	v_ashrrev_i32_e32 v153, 24, v154
	v_mul_i32_i24_e32 v75, v126, v233
	v_mul_i32_i24_e32 v76, v4, v234
	v_add3_u32 v73, v73, v77, v78
	v_mul_i32_i24_e32 v77, v152, v235
	v_mul_i32_i24_e32 v78, v153, v236
	v_bfe_i32 v70, v155, 16, 8
	v_ashrrev_i32_e32 v74, 24, v155
	v_add3_u32 v73, v73, v75, v76
	v_fma_mix_f32 v23, v2, v23, 0 op_sel_hi:[1,0,0]
	scratch_load_b32 v46, off, off offset:436 ; 4-byte Folded Reload
	v_mov_b32_e32 v211, v7
	v_mov_b32_e32 v25, v71
	v_add3_u32 v73, v73, v77, v78
	v_mul_i32_i24_e32 v77, v70, v239
	v_mul_i32_i24_e32 v78, v74, v240
	v_mov_b32_e32 v11, v250
	s_waitcnt vmcnt(11)
	v_add_f32_e32 v1, v1, v0
	v_bfe_i32 v0, v155, 0, 8
	scratch_store_b32 off, v1, off offset:1088 ; 4-byte Folded Spill
	v_bfe_i32 v1, v155, 8, 8
	v_mul_i32_i24_e32 v75, v0, v237
	s_delay_alu instid0(VALU_DEP_2) | instskip(NEXT) | instid1(VALU_DEP_1)
	v_mul_i32_i24_e32 v76, v1, v238
	v_add3_u32 v73, v73, v75, v76
	s_delay_alu instid0(VALU_DEP_1)
	v_add3_u32 v73, v73, v77, v78
	v_mul_i32_i24_e32 v77, v174, v140
	v_mul_i32_i24_e32 v78, v175, v67
	scratch_load_b32 v67, off, off offset:564 ; 4-byte Folded Reload
	v_mul_lo_u32 v73, v73, v241
	s_waitcnt vmcnt(9)
	v_mov_b32_e32 v21, v128
	s_delay_alu instid0(VALU_DEP_2) | instskip(NEXT) | instid1(VALU_DEP_1)
	v_cvt_f32_i32_e32 v73, v73
	v_fma_mix_f32 v23, v3, v73, v23 op_sel_hi:[1,0,0]
	s_delay_alu instid0(VALU_DEP_1) | instskip(SKIP_1) | instid1(VALU_DEP_2)
	v_fma_f32 v23, v23, v24, -v72
	v_mul_i32_i24_e32 v72, v209, v250
	v_add_f32_e32 v5, v5, v23
	v_mul_i32_i24_e32 v23, v208, v134
	scratch_store_b32 off, v5, off offset:1116 ; 4-byte Folded Spill
	scratch_load_b32 v5, off, off offset:36 ; 4-byte Folded Reload
	s_waitcnt vmcnt(9)
	v_mul_i32_i24_e32 v73, v210, v12
	s_waitcnt vmcnt(7)
	v_mad_i32_i24 v23, v207, v13, v23
	s_delay_alu instid0(VALU_DEP_1)
	v_add3_u32 v23, v23, v72, v73
	s_waitcnt vmcnt(0)
	v_mul_i32_i24_e32 v72, v187, v5
	scratch_load_b32 v5, off, off offset:28 ; 4-byte Folded Reload
	s_waitcnt vmcnt(0)
	v_mul_i32_i24_e32 v73, v188, v5
	scratch_load_b32 v5, off, off offset:144 ; 4-byte Folded Reload
	v_add3_u32 v23, v23, v72, v73
	v_mul_i32_i24_e32 v73, v184, v245
	s_waitcnt vmcnt(0)
	v_mul_i32_i24_e32 v75, v189, v5
	scratch_load_b32 v5, off, off offset:148 ; 4-byte Folded Reload
	s_waitcnt vmcnt(0)
	v_mul_i32_i24_e32 v76, v190, v5
	scratch_load_b32 v5, off, off offset:152 ; 4-byte Folded Reload
	v_add3_u32 v23, v23, v75, v76
	v_mul_i32_i24_e32 v75, v185, v247
	v_mul_i32_i24_e32 v76, v186, v249
	s_waitcnt vmcnt(0)
	v_mul_i32_i24_e32 v72, v183, v5
	scratch_load_b32 v5, off, off offset:156 ; 4-byte Folded Reload
	v_add3_u32 v23, v23, v72, v73
	s_delay_alu instid0(VALU_DEP_1)
	v_add3_u32 v23, v23, v75, v76
	v_mul_i32_i24_e32 v76, v182, v252
	s_waitcnt vmcnt(0)
	v_mul_i32_i24_e32 v72, v163, v5
	scratch_load_b32 v5, off, off offset:160 ; 4-byte Folded Reload
	s_waitcnt vmcnt(0)
	v_mul_i32_i24_e32 v73, v180, v5
	scratch_load_b32 v5, off, off offset:164 ; 4-byte Folded Reload
	v_add3_u32 v23, v23, v72, v73
	s_waitcnt vmcnt(0)
	v_mul_i32_i24_e32 v75, v181, v5
	scratch_load_b32 v5, off, off offset:524 ; 4-byte Folded Reload
	v_add3_u32 v23, v23, v75, v76
	s_waitcnt vmcnt(0)
	v_mul_i32_i24_e32 v72, v203, v5
	scratch_load_b32 v5, off, off offset:12 ; 4-byte Folded Reload
	s_waitcnt vmcnt(0)
	v_mul_i32_i24_e32 v73, v204, v5
	scratch_load_b32 v5, off, off offset:124 ; 4-byte Folded Reload
	v_add3_u32 v23, v23, v72, v73
	v_mul_i32_i24_e32 v72, v199, v65
	v_mul_i32_i24_e32 v73, v200, v22
	s_waitcnt vmcnt(0)
	v_mul_i32_i24_e32 v75, v205, v5
	scratch_load_b32 v5, off, off offset:168 ; 4-byte Folded Reload
	s_waitcnt vmcnt(0)
	v_mul_i32_i24_e32 v76, v206, v5
	scratch_load_b32 v5, off, off offset:172 ; 4-byte Folded Reload
	v_add3_u32 v23, v23, v75, v76
	v_mul_i32_i24_e32 v75, v201, v101
	v_mul_i32_i24_e32 v76, v202, v128
	s_delay_alu instid0(VALU_DEP_3) | instskip(SKIP_1) | instid1(VALU_DEP_2)
	v_add3_u32 v23, v23, v72, v73
	v_mul_i32_i24_e32 v73, v196, v61
	v_add3_u32 v23, v23, v75, v76
	v_mul_i32_i24_e32 v76, v198, v139
	s_waitcnt vmcnt(0)
	v_mul_i32_i24_e32 v72, v195, v5
	scratch_load_b32 v5, off, off offset:532 ; 4-byte Folded Reload
	v_add3_u32 v23, v23, v72, v73
	v_mul_i32_i24_e32 v72, v191, v135
	v_mul_i32_i24_e32 v73, v192, v132
	s_waitcnt vmcnt(0)
	v_mul_i32_i24_e32 v75, v197, v5
	scratch_load_b32 v5, off, off offset:176 ; 4-byte Folded Reload
	v_add3_u32 v23, v23, v75, v76
	v_mul_i32_i24_e32 v76, v194, v214
	s_delay_alu instid0(VALU_DEP_2) | instskip(SKIP_1) | instid1(VALU_DEP_1)
	v_add3_u32 v23, v23, v72, v73
	v_mul_i32_i24_e32 v73, v177, v127
	v_mad_i32_i24 v73, v176, v69, v73
	s_waitcnt vmcnt(0)
	v_mul_i32_i24_e32 v75, v193, v5
	scratch_load_b32 v5, off, off offset:540 ; 4-byte Folded Reload
	v_add3_u32 v23, v23, v75, v76
	v_mul_i32_i24_e32 v75, v178, v137
	s_waitcnt vmcnt(0)
	s_delay_alu instid0(VALU_DEP_2) | instskip(SKIP_2) | instid1(VALU_DEP_1)
	v_mul_lo_u32 v23, v23, v5
	scratch_load_b32 v5, off, off offset:940 ; 4-byte Folded Reload
	v_cvt_f32_i32_e32 v23, v23
	v_fma_mix_f32 v23, v2, v23, 0 op_sel_hi:[1,0,0]
	s_waitcnt vmcnt(0)
	v_fma_mix_f32 v72, v5, v2, 0 op_sel:[0,1,0] op_sel_hi:[0,1,0]
	scratch_load_b32 v5, off, off offset:948 ; 4-byte Folded Reload
	v_fma_mix_f32 v72, v82, v3, v72 op_sel:[0,1,0] op_sel_hi:[0,1,0]
	scratch_load_b32 v82, off, off offset:428 ; 4-byte Folded Reload
	v_mul_f32_e32 v72, v72, v16
	s_waitcnt vmcnt(1)
	v_mul_i32_i24_e32 v76, v179, v5
	v_mov_b32_e32 v5, v16
	scratch_load_b32 v16, off, off offset:48 ; 4-byte Folded Reload
	v_add3_u32 v73, v73, v75, v76
	v_mul_i32_i24_e32 v75, v172, v31
	v_mul_i32_i24_e32 v76, v173, v30
	s_delay_alu instid0(VALU_DEP_1)
	v_add3_u32 v73, v73, v75, v76
	v_mul_i32_i24_e32 v75, v168, v94
	v_mul_i32_i24_e32 v76, v169, v49
	scratch_load_b32 v49, off, off offset:444 ; 4-byte Folded Reload
	v_add3_u32 v73, v73, v77, v78
	v_mul_i32_i24_e32 v77, v170, v50
	v_mul_i32_i24_e32 v78, v171, v51
	s_clause 0x1
	scratch_load_b32 v50, off, off offset:796
	scratch_load_b32 v51, off, off offset:800
	v_add3_u32 v73, v73, v75, v76
	v_mul_i32_i24_e32 v75, v164, v53
	v_mul_i32_i24_e32 v76, v165, v60
	s_clause 0x1
	scratch_load_b32 v53, off, off offset:228
	scratch_load_b32 v60, off, off offset:568
	v_add3_u32 v73, v73, v77, v78
	v_mul_i32_i24_e32 v77, v166, v91
	v_mul_i32_i24_e32 v78, v167, v144
	s_delay_alu instid0(VALU_DEP_3)
	v_add3_u32 v73, v73, v75, v76
	v_mul_i32_i24_e32 v75, v162, v54
	v_mul_i32_i24_e32 v76, v159, v55
	s_clause 0x1
	scratch_load_b32 v55, off, off offset:396
	scratch_load_b32 v54, off, off offset:400
	v_add3_u32 v73, v73, v77, v78
	v_mul_i32_i24_e32 v77, v160, v56
	v_mul_i32_i24_e32 v78, v161, v58
	s_clause 0x1
	scratch_load_b32 v56, off, off offset:788
	scratch_load_b32 v58, off, off offset:792
	v_add3_u32 v73, v73, v75, v76
	v_mul_i32_i24_e32 v75, v33, v64
	v_mul_i32_i24_e32 v76, v156, v63
	scratch_load_b32 v64, off, off offset:572 ; 4-byte Folded Reload
	v_add3_u32 v73, v73, v77, v78
	v_mul_i32_i24_e32 v77, v157, v90
	v_mul_i32_i24_e32 v78, v158, v68
	scratch_load_b32 v68, off, off offset:432 ; 4-byte Folded Reload
	;; [unrolled: 4-line block ×3, first 2 shown]
	v_add3_u32 v73, v73, v77, v78
	v_mul_i32_i24_e32 v77, v152, v41
	v_mul_i32_i24_e32 v78, v153, v40
	s_clause 0x1
	scratch_load_b32 v41, off, off offset:420
	scratch_load_b32 v40, off, off offset:448
	v_add3_u32 v73, v73, v75, v76
	v_mul_i32_i24_e32 v75, v0, v42
	v_mul_i32_i24_e32 v76, v1, v43
	s_clause 0x1
	scratch_load_b32 v43, off, off offset:404
	scratch_load_b32 v42, off, off offset:416
	v_add3_u32 v73, v73, v77, v78
	v_mul_i32_i24_e32 v77, v70, v92
	v_mul_i32_i24_e32 v78, v74, v47
	scratch_load_b32 v47, off, off offset:576 ; 4-byte Folded Reload
	v_add3_u32 v73, v73, v75, v76
	s_delay_alu instid0(VALU_DEP_1) | instskip(SKIP_3) | instid1(VALU_DEP_1)
	v_add3_u32 v73, v73, v77, v78
	v_mul_i32_i24_e32 v78, v175, v59
	scratch_load_b32 v59, off, off offset:408 ; 4-byte Folded Reload
	v_mul_lo_u32 v73, v73, v37
	v_cvt_f32_i32_e32 v73, v73
	s_delay_alu instid0(VALU_DEP_1) | instskip(NEXT) | instid1(VALU_DEP_1)
	v_fma_mix_f32 v23, v3, v73, v23 op_sel_hi:[1,0,0]
	v_fma_f32 v23, v23, v19, -v72
	s_delay_alu instid0(VALU_DEP_1)
	v_add_f32_e32 v20, v20, v23
	v_mul_i32_i24_e32 v23, v208, v6
	scratch_load_b32 v6, off, off offset:20 ; 4-byte Folded Reload
	scratch_store_b32 off, v20, off offset:1112 ; 4-byte Folded Spill
	scratch_load_b32 v20, off, off offset:92 ; 4-byte Folded Reload
	s_waitcnt vmcnt(1)
	v_mul_i32_i24_e32 v72, v209, v6
	scratch_load_b32 v6, off, off offset:24 ; 4-byte Folded Reload
	s_waitcnt vmcnt(0)
	v_mul_i32_i24_e32 v73, v210, v6
	scratch_load_b32 v6, off, off offset:140 ; 4-byte Folded Reload
	s_waitcnt vmcnt(0)
	v_mad_i32_i24 v23, v207, v6, v23
	scratch_load_b32 v6, off, off offset:508 ; 4-byte Folded Reload
	v_add3_u32 v23, v23, v72, v73
	s_waitcnt vmcnt(0)
	v_mul_i32_i24_e32 v72, v187, v6
	scratch_load_b32 v6, off, off offset:136 ; 4-byte Folded Reload
	s_waitcnt vmcnt(0)
	v_mul_i32_i24_e32 v73, v188, v6
	scratch_load_b32 v6, off, off offset:456 ; 4-byte Folded Reload
	v_add3_u32 v23, v23, v72, v73
	v_mul_i32_i24_e32 v72, v183, v14
	s_waitcnt vmcnt(0)
	v_mul_i32_i24_e32 v75, v189, v6
	scratch_load_b32 v6, off, off offset:460 ; 4-byte Folded Reload
	s_waitcnt vmcnt(0)
	v_mul_i32_i24_e32 v76, v190, v6
	scratch_load_b32 v6, off, off offset:464 ; 4-byte Folded Reload
	v_add3_u32 v23, v23, v75, v76
	s_waitcnt vmcnt(0)
	v_mul_i32_i24_e32 v73, v184, v6
	scratch_load_b32 v6, off, off offset:468 ; 4-byte Folded Reload
	v_add3_u32 v23, v23, v72, v73
	v_mul_i32_i24_e32 v72, v163, v15
	s_waitcnt vmcnt(0)
	v_mul_i32_i24_e32 v75, v185, v6
	scratch_load_b32 v6, off, off offset:472 ; 4-byte Folded Reload
	s_waitcnt vmcnt(0)
	v_mul_i32_i24_e32 v76, v186, v6
	scratch_load_b32 v6, off, off offset:476 ; 4-byte Folded Reload
	v_add3_u32 v23, v23, v75, v76
	s_waitcnt vmcnt(0)
	v_mul_i32_i24_e32 v73, v180, v6
	scratch_load_b32 v6, off, off offset:480 ; 4-byte Folded Reload
	v_add3_u32 v23, v23, v72, v73
	v_mul_i32_i24_e32 v73, v204, v227
	s_waitcnt vmcnt(0)
	v_mul_i32_i24_e32 v75, v181, v6
	scratch_load_b32 v6, off, off offset:484 ; 4-byte Folded Reload
	s_waitcnt vmcnt(0)
	v_mul_i32_i24_e32 v76, v182, v6
	scratch_load_b32 v6, off, off offset:488 ; 4-byte Folded Reload
	v_add3_u32 v23, v23, v75, v76
	v_mul_i32_i24_e32 v76, v206, v243
	s_waitcnt vmcnt(0)
	v_mul_i32_i24_e32 v72, v203, v6
	scratch_load_b32 v6, off, off offset:492 ; 4-byte Folded Reload
	v_add3_u32 v23, v23, v72, v73
	v_mul_i32_i24_e32 v72, v199, v244
	s_waitcnt vmcnt(0)
	v_mul_i32_i24_e32 v75, v205, v6
	scratch_load_b32 v6, off, off offset:496 ; 4-byte Folded Reload
	v_add3_u32 v23, v23, v75, v76
	s_waitcnt vmcnt(0)
	v_mul_i32_i24_e32 v73, v200, v6
	scratch_load_b32 v6, off, off offset:500 ; 4-byte Folded Reload
	v_add3_u32 v23, v23, v72, v73
	v_mul_i32_i24_e32 v72, v195, v16
	scratch_load_b32 v16, off, off offset:8 ; 4-byte Folded Reload
	v_mul_i32_i24_e32 v73, v196, v150
	scratch_load_b32 v150, off, off offset:1032 ; 4-byte Folded Reload
	s_waitcnt vmcnt(2)
	v_mul_i32_i24_e32 v75, v201, v6
	scratch_load_b32 v6, off, off offset:504 ; 4-byte Folded Reload
	s_waitcnt vmcnt(0)
	v_mul_i32_i24_e32 v76, v202, v6
	scratch_load_b32 v6, off, off offset:904 ; 4-byte Folded Reload
	v_add3_u32 v23, v23, v75, v76
	v_mul_i32_i24_e32 v75, v197, v16
	scratch_load_b32 v16, off, off offset:56 ; 4-byte Folded Reload
	v_add3_u32 v23, v23, v72, v73
	s_waitcnt vmcnt(0)
	v_mul_i32_i24_e32 v76, v198, v16
	scratch_load_b32 v16, off, off offset:52 ; 4-byte Folded Reload
	v_add3_u32 v23, v23, v75, v76
	s_waitcnt vmcnt(0)
	v_mul_i32_i24_e32 v72, v191, v16
	scratch_load_b32 v16, off, off offset:60 ; 4-byte Folded Reload
	s_waitcnt vmcnt(0)
	v_mul_i32_i24_e32 v73, v192, v16
	scratch_load_b32 v16, off, off offset:64 ; 4-byte Folded Reload
	v_add3_u32 v23, v23, v72, v73
	s_waitcnt vmcnt(0)
	v_mul_i32_i24_e32 v75, v193, v16
	scratch_load_b32 v16, off, off offset:68 ; 4-byte Folded Reload
	s_waitcnt vmcnt(0)
	v_mul_i32_i24_e32 v76, v194, v16
	scratch_load_b32 v16, off, off offset:72 ; 4-byte Folded Reload
	v_add3_u32 v23, v23, v75, v76
	v_mul_i32_i24_e32 v76, v179, v96
	s_waitcnt vmcnt(0)
	s_delay_alu instid0(VALU_DEP_2) | instskip(SKIP_2) | instid1(VALU_DEP_1)
	v_mul_lo_u32 v23, v23, v16
	scratch_load_b32 v16, off, off offset:76 ; 4-byte Folded Reload
	v_cvt_f32_i32_e32 v23, v23
	v_fma_mix_f32 v23, v2, v23, 0 op_sel_hi:[1,0,0]
	s_waitcnt vmcnt(0)
	v_fma_mix_f32 v72, v16, v2, 0 op_sel:[0,1,0] op_sel_hi:[0,1,0]
	scratch_load_b32 v16, off, off offset:84 ; 4-byte Folded Reload
	v_fma_mix_f32 v72, v212, v3, v72 op_sel:[0,1,0] op_sel_hi:[0,1,0]
	s_delay_alu instid0(VALU_DEP_1)
	v_mul_f32_e32 v72, v72, v18
	s_waitcnt vmcnt(0)
	v_mul_i32_i24_e32 v73, v177, v16
	scratch_load_b32 v16, off, off offset:88 ; 4-byte Folded Reload
	s_waitcnt vmcnt(0)
	v_mul_i32_i24_e32 v75, v178, v16
	scratch_load_b32 v16, off, off offset:80 ; 4-byte Folded Reload
	s_waitcnt vmcnt(0)
	v_mad_i32_i24 v73, v176, v16, v73
	scratch_load_b32 v16, off, off offset:344 ; 4-byte Folded Reload
	v_add3_u32 v73, v73, v75, v76
	v_mul_i32_i24_e32 v75, v172, v95
	v_mul_i32_i24_e32 v76, v173, v6
	s_delay_alu instid0(VALU_DEP_1)
	v_add3_u32 v73, v73, v75, v76
	s_waitcnt vmcnt(0)
	v_mul_i32_i24_e32 v77, v174, v16
	scratch_load_b32 v16, off, off offset:348 ; 4-byte Folded Reload
	v_add3_u32 v73, v73, v77, v78
	s_waitcnt vmcnt(0)
	v_mul_i32_i24_e32 v75, v168, v16
	scratch_load_b32 v16, off, off offset:352 ; 4-byte Folded Reload
	s_waitcnt vmcnt(0)
	v_mul_i32_i24_e32 v76, v169, v16
	scratch_load_b32 v16, off, off offset:356 ; 4-byte Folded Reload
	v_add3_u32 v73, v73, v75, v76
	v_mul_i32_i24_e32 v75, v164, v130
	v_mul_i32_i24_e32 v76, v165, v213
	v_mov_b32_e32 v130, v26
	s_waitcnt vmcnt(0)
	v_mul_i32_i24_e32 v77, v170, v16
	scratch_load_b32 v16, off, off offset:360 ; 4-byte Folded Reload
	s_waitcnt vmcnt(0)
	v_mul_i32_i24_e32 v78, v171, v16
	v_mov_b32_e32 v16, v18
	s_delay_alu instid0(VALU_DEP_2)
	v_add3_u32 v73, v73, v77, v78
	v_mul_i32_i24_e32 v77, v166, v20
	scratch_load_b32 v20, off, off offset:96 ; 4-byte Folded Reload
	v_add3_u32 v73, v73, v75, v76
	v_mul_i32_i24_e32 v76, v159, v8
	scratch_load_b32 v8, off, off offset:368 ; 4-byte Folded Reload
	s_waitcnt vmcnt(1)
	v_mul_i32_i24_e32 v78, v167, v20
	scratch_load_b32 v20, off, off offset:100 ; 4-byte Folded Reload
	v_add3_u32 v73, v73, v77, v78
	s_waitcnt vmcnt(0)
	v_mul_i32_i24_e32 v75, v162, v20
	scratch_load_b32 v20, off, off offset:104 ; 4-byte Folded Reload
	v_add3_u32 v73, v73, v75, v76
	v_mul_i32_i24_e32 v76, v156, v8
	scratch_load_b32 v8, off, off offset:372 ; 4-byte Folded Reload
	s_waitcnt vmcnt(1)
	v_mul_i32_i24_e32 v77, v160, v20
	scratch_load_b32 v20, off, off offset:108 ; 4-byte Folded Reload
	s_waitcnt vmcnt(0)
	v_mul_i32_i24_e32 v78, v161, v20
	scratch_load_b32 v20, off, off offset:112 ; 4-byte Folded Reload
	v_add3_u32 v73, v73, v77, v78
	v_mul_i32_i24_e32 v78, v158, v93
	s_waitcnt vmcnt(0)
	v_mul_i32_i24_e32 v75, v33, v20
	scratch_load_b32 v20, off, off offset:116 ; 4-byte Folded Reload
	v_add3_u32 v73, v73, v75, v76
	v_mul_i32_i24_e32 v75, v126, v8
	scratch_load_b32 v8, off, off offset:376 ; 4-byte Folded Reload
	s_waitcnt vmcnt(1)
	v_mul_i32_i24_e32 v77, v157, v20
	scratch_load_b32 v20, off, off offset:120 ; 4-byte Folded Reload
	v_add3_u32 v73, v73, v77, v78
	s_waitcnt vmcnt(1)
	v_mul_i32_i24_e32 v76, v4, v8
	scratch_load_b32 v8, off, off offset:384 ; 4-byte Folded Reload
	v_mul_i32_i24_e32 v77, v152, v97
	v_mul_i32_i24_e32 v78, v153, v99
	v_add3_u32 v73, v73, v75, v76
	v_mul_i32_i24_e32 v75, v0, v100
	s_delay_alu instid0(VALU_DEP_2)
	v_add3_u32 v73, v73, v77, v78
	s_waitcnt vmcnt(1)
	v_mul_i32_i24_e32 v78, v74, v20
	scratch_load_b32 v20, off, off offset:560 ; 4-byte Folded Reload
	s_waitcnt vmcnt(1)
	v_mul_i32_i24_e32 v76, v1, v8
	scratch_load_b32 v8, off, off offset:388 ; 4-byte Folded Reload
	v_add3_u32 v73, v73, v75, v76
	v_mul_i32_i24_e32 v75, v189, v68
	v_mul_i32_i24_e32 v76, v190, v66
	s_clause 0x1
	scratch_load_b32 v189, off, off offset:188
	scratch_load_b32 v190, off, off offset:192
	s_waitcnt vmcnt(2)
	v_mul_i32_i24_e32 v77, v70, v8
	scratch_load_b32 v8, off, off offset:392 ; 4-byte Folded Reload
	v_add3_u32 v73, v73, v77, v78
	s_waitcnt vmcnt(2)
	v_mul_i32_i24_e32 v0, v0, v189
	s_waitcnt vmcnt(1)
	v_mul_i32_i24_e32 v1, v1, v190
	s_waitcnt vmcnt(0)
	v_mul_lo_u32 v73, v73, v8
	v_mov_b32_e32 v8, v9
	s_delay_alu instid0(VALU_DEP_2) | instskip(NEXT) | instid1(VALU_DEP_1)
	v_cvt_f32_i32_e32 v73, v73
	v_fma_mix_f32 v23, v3, v73, v23 op_sel_hi:[1,0,0]
	s_delay_alu instid0(VALU_DEP_1)
	v_fma_f32 v23, v23, v17, -v72
	scratch_load_b32 v17, off, off offset:1108 ; 4-byte Folded Reload
	v_mul_i32_i24_e32 v72, v209, v20
	v_mov_b32_e32 v209, v20
	s_waitcnt vmcnt(0)
	v_add_f32_e32 v17, v17, v23
	scratch_store_b32 off, v17, off offset:1108 ; 4-byte Folded Spill
	scratch_load_b32 v17, off, off offset:452 ; 4-byte Folded Reload
	s_waitcnt vmcnt(0)
	v_mul_i32_i24_e32 v23, v208, v17
	scratch_load_b32 v208, off, off offset:180 ; 4-byte Folded Reload
	v_mov_b32_e32 v17, v114
	v_mad_i32_i24 v23, v207, v131, v23
	v_mov_b32_e32 v207, v118
	s_waitcnt vmcnt(0)
	v_mul_i32_i24_e32 v73, v210, v208
	v_mov_b32_e32 v210, v119
	s_delay_alu instid0(VALU_DEP_2)
	v_add3_u32 v23, v23, v72, v73
	v_mul_i32_i24_e32 v72, v187, v67
	v_mul_i32_i24_e32 v73, v188, v82
	scratch_load_b32 v188, off, off offset:544 ; 4-byte Folded Reload
	v_add3_u32 v23, v23, v72, v73
	v_mul_i32_i24_e32 v72, v183, v53
	v_mul_i32_i24_e32 v73, v184, v60
	s_delay_alu instid0(VALU_DEP_3) | instskip(SKIP_2) | instid1(VALU_DEP_3)
	v_add3_u32 v23, v23, v75, v76
	v_mul_i32_i24_e32 v75, v185, v64
	v_mul_i32_i24_e32 v76, v186, v47
	v_add3_u32 v23, v23, v72, v73
	v_mul_i32_i24_e32 v72, v163, v55
	v_mul_i32_i24_e32 v73, v180, v54
	s_delay_alu instid0(VALU_DEP_3) | instskip(SKIP_2) | instid1(VALU_DEP_3)
	v_add3_u32 v23, v23, v75, v76
	v_mul_i32_i24_e32 v75, v181, v56
	v_mul_i32_i24_e32 v76, v182, v43
	v_add3_u32 v23, v23, v72, v73
	v_mul_i32_i24_e32 v72, v203, v58
	v_mul_i32_i24_e32 v73, v204, v59
	scratch_load_b32 v204, off, off offset:992 ; 4-byte Folded Reload
	v_mov_b32_e32 v203, v125
	v_add3_u32 v23, v23, v75, v76
	v_mul_i32_i24_e32 v75, v205, v62
	v_mul_i32_i24_e32 v76, v206, v41
	v_dual_mov_b32 v205, v120 :: v_dual_mov_b32 v206, v122
	s_delay_alu instid0(VALU_DEP_4)
	v_add3_u32 v23, v23, v72, v73
	v_mul_i32_i24_e32 v72, v199, v42
	v_mul_i32_i24_e32 v73, v200, v44
	s_clause 0x1
	scratch_load_b32 v199, off, off offset:984
	scratch_load_b32 v200, off, off offset:988
	v_add3_u32 v23, v23, v75, v76
	v_mul_i32_i24_e32 v75, v201, v46
	v_mul_i32_i24_e32 v76, v202, v39
	v_dual_mov_b32 v201, v123 :: v_dual_mov_b32 v202, v124
	s_delay_alu instid0(VALU_DEP_4)
	v_add3_u32 v23, v23, v72, v73
	v_mul_i32_i24_e32 v72, v195, v49
	v_mul_i32_i24_e32 v73, v196, v50
	s_clause 0x1
	scratch_load_b32 v195, off, off offset:212
	scratch_load_b32 v196, off, off offset:216
	v_add3_u32 v23, v23, v75, v76
	v_mul_i32_i24_e32 v75, v197, v51
	v_mul_i32_i24_e32 v76, v198, v40
	s_clause 0x1
	scratch_load_b32 v197, off, off offset:756
	scratch_load_b32 v198, off, off offset:980
	;; [unrolled: 6-line block ×4, first 2 shown]
	v_add3_u32 v23, v23, v72, v73
	v_mul_i32_i24_e32 v72, v178, v108
	v_mul_i32_i24_e32 v73, v179, v110
	s_delay_alu instid0(VALU_DEP_3) | instskip(SKIP_2) | instid1(VALU_DEP_3)
	v_add3_u32 v23, v23, v75, v76
	v_mul_i32_i24_e32 v75, v174, v111
	v_mul_i32_i24_e32 v76, v175, v112
	v_mul_lo_u32 v23, v23, v105
	s_delay_alu instid0(VALU_DEP_1) | instskip(NEXT) | instid1(VALU_DEP_1)
	v_cvt_f32_i32_e32 v23, v23
	v_fma_mix_f32 v163, v2, v23, 0 op_sel_hi:[1,0,0]
	v_mul_i32_i24_e32 v23, v177, v107
	v_fma_mix_f32 v2, v28, v2, 0 op_sel:[0,1,0] op_sel_hi:[0,1,0]
	s_delay_alu instid0(VALU_DEP_2) | instskip(NEXT) | instid1(VALU_DEP_1)
	v_mad_i32_i24 v23, v176, v106, v23
	v_add3_u32 v23, v23, v72, v73
	v_mul_i32_i24_e32 v72, v172, v113
	v_mul_i32_i24_e32 v73, v173, v109
	s_delay_alu instid0(VALU_DEP_1) | instskip(SKIP_2) | instid1(VALU_DEP_3)
	v_add3_u32 v23, v23, v72, v73
	v_mul_i32_i24_e32 v72, v168, v9
	v_mov_b32_e32 v9, v115
	v_add3_u32 v23, v23, v75, v76
	v_mul_i32_i24_e32 v75, v170, v10
	s_delay_alu instid0(VALU_DEP_3) | instskip(SKIP_1) | instid1(VALU_DEP_2)
	v_mul_i32_i24_e32 v73, v169, v9
	v_mul_i32_i24_e32 v76, v171, v211
	v_add3_u32 v23, v23, v72, v73
	v_mul_i32_i24_e32 v72, v164, v205
	v_mul_i32_i24_e32 v73, v165, v206
	s_delay_alu instid0(VALU_DEP_3) | instskip(SKIP_2) | instid1(VALU_DEP_3)
	v_add3_u32 v23, v23, v75, v76
	v_mul_i32_i24_e32 v75, v166, v207
	v_mul_i32_i24_e32 v76, v167, v210
	v_add3_u32 v23, v23, v72, v73
	v_mul_i32_i24_e32 v72, v162, v201
	v_mul_i32_i24_e32 v73, v159, v202
	s_delay_alu instid0(VALU_DEP_3) | instskip(SKIP_1) | instid1(VALU_DEP_2)
	v_add3_u32 v23, v23, v75, v76
	v_mul_i32_i24_e32 v75, v160, v203
	v_add3_u32 v23, v23, v72, v73
	s_waitcnt vmcnt(10)
	v_mul_i32_i24_e32 v76, v161, v204
	s_delay_alu instid0(VALU_DEP_1)
	v_add3_u32 v23, v23, v75, v76
	s_waitcnt vmcnt(9)
	v_mul_i32_i24_e32 v75, v157, v199
	s_waitcnt vmcnt(8)
	v_mul_i32_i24_e32 v76, v158, v200
	;; [unrolled: 2-line block ×4, first 2 shown]
	s_delay_alu instid0(VALU_DEP_1) | instskip(SKIP_3) | instid1(VALU_DEP_3)
	v_add3_u32 v23, v23, v72, v73
	v_mul_i32_i24_e32 v73, v152, v195
	s_waitcnt vmcnt(1)
	v_mul_i32_i24_e32 v72, v126, v193
	v_add3_u32 v23, v23, v75, v76
	s_waitcnt vmcnt(0)
	v_mul_i32_i24_e32 v4, v4, v194
	v_mul_i32_i24_e32 v75, v153, v196
	s_delay_alu instid0(VALU_DEP_2) | instskip(SKIP_2) | instid1(VALU_DEP_3)
	v_add3_u32 v4, v23, v72, v4
	v_mul_i32_i24_e32 v23, v70, v191
	v_mul_i32_i24_e32 v70, v74, v192
	v_add3_u32 v4, v4, v73, v75
	s_delay_alu instid0(VALU_DEP_1) | instskip(SKIP_1) | instid1(VALU_DEP_2)
	v_add3_u32 v0, v4, v0, v1
	v_fma_mix_f32 v1, v150, v3, v2 op_sel:[0,1,0] op_sel_hi:[0,1,0]
	v_add3_u32 v0, v0, v23, v70
	s_delay_alu instid0(VALU_DEP_2) | instskip(NEXT) | instid1(VALU_DEP_2)
	v_mul_f32_e32 v1, v1, v130
	v_mul_lo_u32 v0, v0, v188
	s_delay_alu instid0(VALU_DEP_1) | instskip(NEXT) | instid1(VALU_DEP_1)
	v_cvt_f32_i32_e32 v0, v0
	v_fma_mix_f32 v0, v3, v0, v163 op_sel_hi:[1,0,0]
	s_delay_alu instid0(VALU_DEP_1)
	v_fma_f32 v0, v0, v17, -v1
	scratch_load_b32 v1, off, off offset:1104 ; 4-byte Folded Reload
	s_waitcnt vmcnt(0)
	v_add_f32_e32 v1, v1, v0
	scratch_store_b32 off, v1, off offset:1104 ; 4-byte Folded Spill
	ds_load_b128 v[0:3], v216 offset:4096
	s_waitcnt lgkmcnt(0)
	v_bfe_i32 v161, v0, 0, 8
	v_bfe_i32 v156, v0, 8, 8
	v_bfe_i32 v162, v0, 16, 8
	v_ashrrev_i32_e32 v163, 24, v0
	v_bfe_i32 v157, v1, 0, 8
	v_bfe_i32 v158, v1, 8, 8
	v_bfe_i32 v159, v1, 16, 8
	v_ashrrev_i32_e32 v160, 24, v1
	;; [unrolled: 4-line block ×4, first 2 shown]
	ds_load_b128 v[0:3], v216 offset:4112
	s_waitcnt lgkmcnt(0)
	v_bfe_i32 v23, v0, 0, 8
	v_bfe_i32 v72, v0, 8, 8
	;; [unrolled: 1-line block ×3, first 2 shown]
	v_ashrrev_i32_e32 v75, 24, v0
	scratch_load_b32 v0, off, off offset:184 ; 4-byte Folded Reload
	v_bfe_i32 v76, v1, 0, 8
	v_bfe_i32 v77, v1, 8, 8
	v_bfe_i32 v78, v1, 16, 8
	v_ashrrev_i32_e32 v79, 24, v1
	v_bfe_i32 v80, v2, 0, 8
	v_bfe_i32 v81, v2, 8, 8
	v_bfe_i32 v105, v2, 16, 8
	v_ashrrev_i32_e32 v106, 24, v2
	;; [unrolled: 4-line block ×3, first 2 shown]
	s_waitcnt vmcnt(0)
	ds_load_2addr_b64 v[0:3], v0 offset0:64 offset1:80
	ds_load_b128 v[164:167], v216 offset:4128
	s_clause 0x1f
	scratch_load_b32 v97, off, off offset:588
	scratch_load_b32 v37, off, off offset:540
	;; [unrolled: 1-line block ×32, first 2 shown]
	s_clause 0x4
	scratch_load_b32 v7, off, off offset:1132
	scratch_load_b32 v136, off, off offset:1040
	;; [unrolled: 1-line block ×5, first 2 shown]
	s_waitcnt lgkmcnt(0)
	v_bfe_i32 v111, v164, 0, 8
	v_bfe_i32 v112, v164, 8, 8
	;; [unrolled: 1-line block ×3, first 2 shown]
	v_ashrrev_i32_e32 v114, 24, v164
	v_bfe_i32 v115, v165, 0, 8
	v_bfe_i32 v116, v165, 8, 8
	;; [unrolled: 1-line block ×3, first 2 shown]
	v_ashrrev_i32_e32 v118, 24, v165
	v_mov_b32_e32 v213, v45
	v_bfe_i32 v119, v166, 0, 8
	v_bfe_i32 v120, v166, 8, 8
	;; [unrolled: 1-line block ×3, first 2 shown]
	v_ashrrev_i32_e32 v122, 24, v166
	v_bfe_i32 v123, v167, 0, 8
	v_bfe_i32 v124, v167, 8, 8
	;; [unrolled: 1-line block ×3, first 2 shown]
	v_ashrrev_i32_e32 v168, 24, v167
	ds_load_b128 v[164:167], v216 offset:4144
	v_mul_i32_i24_e32 v187, v118, v213
	v_mov_b32_e32 v227, v34
	v_mov_b32_e32 v243, v24
	s_clause 0xc
	scratch_load_b32 v20, off, off offset:36
	scratch_load_b32 v255, off, off offset:124
	;; [unrolled: 1-line block ×13, first 2 shown]
	s_clause 0x3
	scratch_store_b32 off, v129, off offset:964
	scratch_store_b32 off, v148, off offset:968
	;; [unrolled: 1-line block ×4, first 2 shown]
	s_waitcnt lgkmcnt(0)
	v_bfe_i32 v169, v164, 0, 8
	v_bfe_i32 v170, v164, 8, 8
	v_bfe_i32 v171, v164, 16, 8
	v_ashrrev_i32_e32 v164, 24, v164
	v_bfe_i32 v172, v165, 0, 8
	v_bfe_i32 v173, v165, 8, 8
	v_bfe_i32 v174, v165, 16, 8
	v_ashrrev_i32_e32 v165, 24, v165
	;; [unrolled: 4-line block ×4, first 2 shown]
	s_waitcnt vmcnt(49)
	v_mul_i32_i24_e32 v181, v161, v97
	s_waitcnt vmcnt(47)
	v_mul_i32_i24_e32 v182, v162, v99
	;; [unrolled: 2-line block ×4, first 2 shown]
	s_waitcnt vmcnt(37)
	v_mad_i32_i24 v181, v156, v36, v181
	s_waitcnt vmcnt(35)
	v_mul_i32_i24_e32 v184, v159, v31
	s_delay_alu instid0(VALU_DEP_2) | instskip(SKIP_2) | instid1(VALU_DEP_1)
	v_add3_u32 v181, v181, v182, v183
	v_mul_i32_i24_e32 v182, v157, v149
	v_mul_i32_i24_e32 v183, v158, v30
	v_add3_u32 v181, v181, v182, v183
	v_mul_i32_i24_e32 v182, v152, v25
	s_waitcnt vmcnt(34)
	v_mul_i32_i24_e32 v183, v153, v26
	s_delay_alu instid0(VALU_DEP_3)
	v_add3_u32 v181, v181, v184, v185
	s_waitcnt vmcnt(33)
	v_mul_i32_i24_e32 v184, v154, v27
	v_mul_i32_i24_e32 v185, v155, v48
	s_waitcnt vmcnt(18)
	v_mul_i32_i24_e32 v186, v117, v212
	v_add3_u32 v181, v181, v182, v183
	v_mul_i32_i24_e32 v182, v4, v28
	v_mul_i32_i24_e32 v183, v70, v84
	s_delay_alu instid0(VALU_DEP_3) | instskip(SKIP_2) | instid1(VALU_DEP_3)
	v_add3_u32 v181, v181, v184, v185
	v_mul_i32_i24_e32 v184, v74, v90
	v_mul_i32_i24_e32 v185, v126, v33
	v_add3_u32 v181, v181, v182, v183
	v_mul_i32_i24_e32 v182, v23, v35
	v_mul_i32_i24_e32 v183, v72, v83
	s_delay_alu instid0(VALU_DEP_3) | instskip(SKIP_2) | instid1(VALU_DEP_3)
	v_add3_u32 v181, v181, v184, v185
	v_mul_i32_i24_e32 v184, v73, v86
	;; [unrolled: 7-line block ×5, first 2 shown]
	v_mul_i32_i24_e32 v185, v110, v145
	v_add3_u32 v181, v181, v182, v183
	v_mul_i32_i24_e32 v183, v111, v103
	v_fma_mix_f32 v182, v102, v0, 0 op_sel:[0,1,0] op_sel_hi:[0,1,0]
	s_delay_alu instid0(VALU_DEP_3)
	v_add3_u32 v181, v181, v184, v185
	v_mul_i32_i24_e32 v184, v113, v129
	v_mul_i32_i24_e32 v185, v114, v148
	v_mad_i32_i24 v183, v112, v57, v183
	v_fma_mix_f32 v182, v242, v1, v182 op_sel:[0,1,0] op_sel_hi:[0,1,0]
	v_mul_lo_u32 v181, v181, v147
	s_delay_alu instid0(VALU_DEP_3) | instskip(SKIP_4) | instid1(VALU_DEP_3)
	v_add3_u32 v183, v183, v184, v185
	v_mul_i32_i24_e32 v184, v115, v244
	v_mul_i32_i24_e32 v185, v116, v146
	v_mul_f32_e32 v182, v182, v52
	v_cvt_f32_i32_e32 v181, v181
	v_add3_u32 v183, v183, v184, v185
	v_mul_i32_i24_e32 v184, v119, v217
	v_mul_i32_i24_e32 v185, v120, v151
	s_delay_alu instid0(VALU_DEP_4) | instskip(NEXT) | instid1(VALU_DEP_4)
	v_fma_mix_f32 v181, v0, v181, 0 op_sel_hi:[1,0,0]
	v_add3_u32 v183, v183, v186, v187
	v_mul_i32_i24_e32 v186, v121, v218
	v_mul_i32_i24_e32 v187, v122, v219
	s_delay_alu instid0(VALU_DEP_3) | instskip(SKIP_2) | instid1(VALU_DEP_3)
	v_add3_u32 v183, v183, v184, v185
	v_mul_i32_i24_e32 v184, v123, v220
	v_mul_i32_i24_e32 v185, v124, v222
	v_add3_u32 v183, v183, v186, v187
	v_mul_i32_i24_e32 v186, v125, v223
	v_mul_i32_i24_e32 v187, v168, v224
	s_delay_alu instid0(VALU_DEP_3) | instskip(SKIP_2) | instid1(VALU_DEP_3)
	v_add3_u32 v183, v183, v184, v185
	v_mul_i32_i24_e32 v184, v169, v225
	v_mul_i32_i24_e32 v185, v170, v226
	;; [unrolled: 7-line block ×5, first 2 shown]
	v_add3_u32 v183, v183, v186, v187
	v_mul_i32_i24_e32 v186, v180, v239
	v_mul_i32_i24_e32 v187, v167, v240
	s_delay_alu instid0(VALU_DEP_3) | instskip(SKIP_2) | instid1(VALU_DEP_2)
	v_add3_u32 v183, v183, v184, v185
	s_waitcnt vmcnt(10)
	v_mul_i32_i24_e32 v184, v159, v133
	v_add3_u32 v183, v183, v186, v187
	v_mul_i32_i24_e32 v186, v117, v140
	v_mul_i32_i24_e32 v187, v118, v141
	s_delay_alu instid0(VALU_DEP_3) | instskip(NEXT) | instid1(VALU_DEP_1)
	v_mul_lo_u32 v183, v183, v241
	v_cvt_f32_i32_e32 v183, v183
	s_delay_alu instid0(VALU_DEP_1) | instskip(SKIP_1) | instid1(VALU_DEP_2)
	v_fma_mix_f32 v181, v1, v183, v181 op_sel_hi:[1,0,0]
	v_mul_i32_i24_e32 v183, v163, v12
	v_fma_f32 v181, v181, v243, -v182
	v_mul_i32_i24_e32 v182, v162, v11
	s_delay_alu instid0(VALU_DEP_2) | instskip(SKIP_4) | instid1(VALU_DEP_1)
	v_add_f32_e32 v7, v7, v181
	scratch_store_b32 off, v7, off offset:1132 ; 4-byte Folded Spill
	v_mov_b32_e32 v7, v134
	scratch_load_b32 v134, off, off offset:148 ; 4-byte Folded Reload
	v_mul_i32_i24_e32 v181, v161, v7
	v_mad_i32_i24 v181, v156, v13, v181
	s_delay_alu instid0(VALU_DEP_1) | instskip(SKIP_3) | instid1(VALU_DEP_1)
	v_add3_u32 v181, v181, v182, v183
	v_mul_i32_i24_e32 v182, v157, v20
	s_waitcnt vmcnt(7)
	v_mul_i32_i24_e32 v183, v158, v63
	v_add3_u32 v181, v181, v182, v183
	v_mul_i32_i24_e32 v182, v152, v215
	v_mul_i32_i24_e32 v183, v153, v245
	s_waitcnt vmcnt(0)
	v_mul_i32_i24_e32 v185, v160, v134
	s_delay_alu instid0(VALU_DEP_1) | instskip(SKIP_2) | instid1(VALU_DEP_3)
	v_add3_u32 v181, v181, v184, v185
	v_mul_i32_i24_e32 v184, v154, v247
	v_mul_i32_i24_e32 v185, v155, v249
	v_add3_u32 v181, v181, v182, v183
	v_mul_i32_i24_e32 v182, v4, v248
	v_mul_i32_i24_e32 v183, v70, v250
	s_delay_alu instid0(VALU_DEP_3) | instskip(SKIP_2) | instid1(VALU_DEP_3)
	v_add3_u32 v181, v181, v184, v185
	v_mul_i32_i24_e32 v184, v74, v251
	v_mul_i32_i24_e32 v185, v126, v252
	v_add3_u32 v181, v181, v182, v183
	v_mul_i32_i24_e32 v182, v23, v253
	v_mul_i32_i24_e32 v183, v72, v254
	s_delay_alu instid0(VALU_DEP_3) | instskip(SKIP_2) | instid1(VALU_DEP_3)
	;; [unrolled: 7-line block ×5, first 2 shown]
	v_add3_u32 v181, v181, v184, v185
	v_mul_i32_i24_e32 v184, v109, v128
	v_mul_i32_i24_e32 v185, v110, v214
	v_add3_u32 v181, v181, v182, v183
	v_mul_i32_i24_e32 v183, v111, v127
	v_fma_mix_f32 v182, v34, v0, 0 op_sel:[0,1,0] op_sel_hi:[0,1,0]
	s_delay_alu instid0(VALU_DEP_3) | instskip(SKIP_3) | instid1(VALU_DEP_4)
	v_add3_u32 v181, v181, v184, v185
	v_mul_i32_i24_e32 v184, v113, v137
	v_mul_i32_i24_e32 v185, v114, v138
	v_mad_i32_i24 v183, v112, v69, v183
	v_mul_lo_u32 v181, v181, v37
	s_delay_alu instid0(VALU_DEP_2) | instskip(SKIP_4) | instid1(VALU_DEP_2)
	v_add3_u32 v183, v183, v184, v185
	v_mul_i32_i24_e32 v184, v115, v18
	scratch_load_b32 v18, off, off offset:808 ; 4-byte Folded Reload
	v_mul_i32_i24_e32 v185, v116, v136
	v_cvt_f32_i32_e32 v181, v181
	v_add3_u32 v183, v183, v184, v185
	v_mul_i32_i24_e32 v184, v119, v142
	v_mul_i32_i24_e32 v185, v120, v143
	s_delay_alu instid0(VALU_DEP_4) | instskip(NEXT) | instid1(VALU_DEP_4)
	v_fma_mix_f32 v181, v0, v181, 0 op_sel_hi:[1,0,0]
	v_add3_u32 v183, v183, v186, v187
	v_mul_i32_i24_e32 v186, v121, v144
	v_mul_i32_i24_e32 v187, v122, v38
	s_delay_alu instid0(VALU_DEP_3) | instskip(SKIP_1) | instid1(VALU_DEP_2)
	v_add3_u32 v183, v183, v184, v185
	v_mul_i32_i24_e32 v184, v123, v29
	v_add3_u32 v183, v183, v186, v187
	s_waitcnt vmcnt(0)
	v_mul_i32_i24_e32 v185, v124, v18
	scratch_load_b32 v18, off, off offset:812 ; 4-byte Folded Reload
	v_add3_u32 v183, v183, v184, v185
	s_waitcnt vmcnt(0)
	v_mul_i32_i24_e32 v186, v125, v18
	scratch_load_b32 v18, off, off offset:816 ; 4-byte Folded Reload
	s_waitcnt vmcnt(0)
	v_mul_i32_i24_e32 v187, v168, v18
	scratch_load_b32 v18, off, off offset:820 ; 4-byte Folded Reload
	v_add3_u32 v183, v183, v186, v187
	s_waitcnt vmcnt(0)
	v_mul_i32_i24_e32 v184, v169, v18
	scratch_load_b32 v18, off, off offset:824 ; 4-byte Folded Reload
	;; [unrolled: 7-line block ×4, first 2 shown]
	s_waitcnt vmcnt(0)
	v_mul_i32_i24_e32 v185, v173, v18
	scratch_load_b32 v18, off, off offset:840 ; 4-byte Folded Reload
	v_add3_u32 v183, v183, v184, v185
	v_mul_i32_i24_e32 v184, v175, v246
	s_waitcnt vmcnt(0)
	v_mul_i32_i24_e32 v186, v174, v18
	scratch_load_b32 v18, off, off offset:844 ; 4-byte Folded Reload
	s_waitcnt vmcnt(0)
	v_mul_i32_i24_e32 v187, v165, v18
	scratch_load_b32 v18, off, off offset:848 ; 4-byte Folded Reload
	v_add3_u32 v183, v183, v186, v187
	s_waitcnt vmcnt(0)
	v_mul_i32_i24_e32 v185, v176, v18
	scratch_load_b32 v18, off, off offset:852 ; 4-byte Folded Reload
	v_add3_u32 v183, v183, v184, v185
	s_waitcnt vmcnt(0)
	v_mul_i32_i24_e32 v186, v177, v18
	scratch_load_b32 v18, off, off offset:856 ; 4-byte Folded Reload
	s_waitcnt vmcnt(0)
	v_mul_i32_i24_e32 v187, v166, v18
	scratch_load_b32 v18, off, off offset:860 ; 4-byte Folded Reload
	v_add3_u32 v183, v183, v186, v187
	v_mul_i32_i24_e32 v186, v180, v85
	s_waitcnt vmcnt(0)
	v_mul_i32_i24_e32 v184, v178, v18
	scratch_load_b32 v18, off, off offset:864 ; 4-byte Folded Reload
	s_waitcnt vmcnt(0)
	v_mul_i32_i24_e32 v185, v179, v18
	scratch_load_b32 v18, off, off offset:868 ; 4-byte Folded Reload
	v_add3_u32 v183, v183, v184, v185
	s_waitcnt vmcnt(0)
	v_mul_i32_i24_e32 v187, v167, v18
	scratch_load_b32 v18, off, off offset:872 ; 4-byte Folded Reload
	v_add3_u32 v183, v183, v186, v187
	s_waitcnt vmcnt(0)
	s_delay_alu instid0(VALU_DEP_1) | instskip(SKIP_2) | instid1(VALU_DEP_1)
	v_mul_lo_u32 v183, v183, v18
	scratch_load_b32 v18, off, off offset:876 ; 4-byte Folded Reload
	v_cvt_f32_i32_e32 v183, v183
	v_fma_mix_f32 v181, v1, v183, v181 op_sel_hi:[1,0,0]
	s_waitcnt vmcnt(0)
	v_fma_mix_f32 v182, v18, v1, v182 op_sel:[0,1,0] op_sel_hi:[0,1,0]
	v_mov_b32_e32 v18, v5
	scratch_load_b32 v5, off, off offset:1128 ; 4-byte Folded Reload
	v_mul_f32_e32 v182, v182, v18
	s_delay_alu instid0(VALU_DEP_1) | instskip(SKIP_1) | instid1(VALU_DEP_1)
	v_fma_f32 v181, v181, v19, -v182
	s_waitcnt vmcnt(0)
	v_add_f32_e32 v5, v5, v181
	scratch_store_b32 off, v5, off offset:1128 ; 4-byte Folded Spill
	scratch_load_b32 v5, off, off offset:16 ; 4-byte Folded Reload
	s_waitcnt vmcnt(0)
	v_mul_i32_i24_e32 v181, v161, v5
	scratch_load_b32 v5, off, off offset:20 ; 4-byte Folded Reload
	s_waitcnt vmcnt(0)
	v_mul_i32_i24_e32 v182, v162, v5
	scratch_load_b32 v5, off, off offset:24 ; 4-byte Folded Reload
	v_mul_i32_i24_e32 v162, v162, v209
	s_waitcnt vmcnt(0)
	v_mul_i32_i24_e32 v183, v163, v5
	scratch_load_b32 v5, off, off offset:140 ; 4-byte Folded Reload
	v_mul_i32_i24_e32 v163, v163, v208
	s_waitcnt vmcnt(0)
	v_mad_i32_i24 v181, v156, v5, v181
	scratch_load_b32 v5, off, off offset:508 ; 4-byte Folded Reload
	v_add3_u32 v181, v181, v182, v183
	s_waitcnt vmcnt(0)
	v_mul_i32_i24_e32 v182, v157, v5
	scratch_load_b32 v5, off, off offset:136 ; 4-byte Folded Reload
	v_mul_i32_i24_e32 v157, v157, v67
	s_waitcnt vmcnt(0)
	v_mul_i32_i24_e32 v183, v158, v5
	scratch_load_b32 v5, off, off offset:456 ; 4-byte Folded Reload
	v_mul_i32_i24_e32 v158, v158, v82
	scratch_load_b32 v82, off, off offset:908 ; 4-byte Folded Reload
	v_add3_u32 v181, v181, v182, v183
	v_mul_i32_i24_e32 v182, v152, v14
	scratch_load_b32 v14, off, off offset:1028 ; 4-byte Folded Reload
	v_mul_i32_i24_e32 v152, v152, v53
	scratch_load_b32 v53, off, off offset:116 ; 4-byte Folded Reload
	s_waitcnt vmcnt(3)
	v_mul_i32_i24_e32 v184, v159, v5
	scratch_load_b32 v5, off, off offset:460 ; 4-byte Folded Reload
	v_mul_i32_i24_e32 v159, v159, v68
	scratch_load_b32 v68, off, off offset:52 ; 4-byte Folded Reload
	s_waitcnt vmcnt(1)
	v_mul_i32_i24_e32 v185, v160, v5
	scratch_load_b32 v5, off, off offset:464 ; 4-byte Folded Reload
	v_mul_i32_i24_e32 v160, v160, v66
	scratch_load_b32 v66, off, off offset:564 ; 4-byte Folded Reload
	v_add3_u32 v181, v181, v184, v185
	s_waitcnt vmcnt(1)
	v_mul_i32_i24_e32 v183, v153, v5
	scratch_load_b32 v5, off, off offset:468 ; 4-byte Folded Reload
	v_mul_i32_i24_e32 v153, v153, v60
	scratch_load_b32 v60, off, off offset:20 ; 4-byte Folded Reload
	v_add3_u32 v181, v181, v182, v183
	v_mul_i32_i24_e32 v182, v4, v15
	scratch_load_b32 v15, off, off offset:244 ; 4-byte Folded Reload
	v_mul_i32_i24_e32 v4, v4, v55
	scratch_load_b32 v55, off, off offset:88 ; 4-byte Folded Reload
	s_waitcnt vmcnt(3)
	v_mul_i32_i24_e32 v184, v154, v5
	scratch_load_b32 v5, off, off offset:472 ; 4-byte Folded Reload
	v_mul_i32_i24_e32 v154, v154, v64
	scratch_load_b32 v64, off, off offset:16 ; 4-byte Folded Reload
	s_waitcnt vmcnt(1)
	v_mul_i32_i24_e32 v185, v155, v5
	scratch_load_b32 v5, off, off offset:476 ; 4-byte Folded Reload
	v_mul_i32_i24_e32 v155, v155, v47
	scratch_load_b32 v47, off, off offset:324 ; 4-byte Folded Reload
	v_add3_u32 v181, v181, v184, v185
	s_waitcnt vmcnt(1)
	v_mul_i32_i24_e32 v183, v70, v5
	scratch_load_b32 v5, off, off offset:480 ; 4-byte Folded Reload
	v_mul_i32_i24_e32 v70, v70, v54
	scratch_load_b32 v54, off, off offset:80 ; 4-byte Folded Reload
	v_add3_u32 v181, v181, v182, v183
	s_waitcnt vmcnt(1)
	v_mul_i32_i24_e32 v184, v74, v5
	scratch_load_b32 v5, off, off offset:484 ; 4-byte Folded Reload
	v_mul_i32_i24_e32 v74, v74, v56
	scratch_load_b32 v56, off, off offset:900 ; 4-byte Folded Reload
	s_waitcnt vmcnt(1)
	v_mul_i32_i24_e32 v185, v126, v5
	scratch_load_b32 v5, off, off offset:488 ; 4-byte Folded Reload
	v_mul_i32_i24_e32 v126, v126, v43
	scratch_load_b32 v43, off, off offset:336 ; 4-byte Folded Reload
	v_add3_u32 v181, v181, v184, v185
	v_mul_i32_i24_e32 v185, v75, v14
	s_waitcnt vmcnt(1)
	v_mul_i32_i24_e32 v182, v23, v5
	scratch_load_b32 v5, off, off offset:892 ; 4-byte Folded Reload
	v_mul_i32_i24_e32 v23, v23, v58
	scratch_load_b32 v58, off, off offset:408 ; 4-byte Folded Reload
	s_waitcnt vmcnt(1)
	v_mul_i32_i24_e32 v183, v72, v5
	scratch_load_b32 v5, off, off offset:492 ; 4-byte Folded Reload
	v_add3_u32 v181, v181, v182, v183
	s_waitcnt vmcnt(0)
	v_mul_i32_i24_e32 v184, v73, v5
	scratch_load_b32 v5, off, off offset:896 ; 4-byte Folded Reload
	v_add3_u32 v181, v181, v184, v185
	s_waitcnt vmcnt(0)
	v_mul_i32_i24_e32 v182, v76, v5
	scratch_load_b32 v5, off, off offset:496 ; 4-byte Folded Reload
	s_waitcnt vmcnt(0)
	v_mul_i32_i24_e32 v183, v77, v5
	scratch_load_b32 v5, off, off offset:500 ; 4-byte Folded Reload
	v_add3_u32 v181, v181, v182, v183
	s_waitcnt vmcnt(0)
	v_mul_i32_i24_e32 v184, v78, v5
	scratch_load_b32 v5, off, off offset:504 ; 4-byte Folded Reload
	;; [unrolled: 7-line block ×3, first 2 shown]
	s_waitcnt vmcnt(0)
	v_mul_i32_i24_e32 v183, v81, v5
	scratch_load_b32 v5, off, off offset:8  ; 4-byte Folded Reload
	v_add3_u32 v181, v181, v182, v183
	s_waitcnt vmcnt(0)
	v_mul_i32_i24_e32 v184, v105, v5
	scratch_load_b32 v5, off, off offset:56 ; 4-byte Folded Reload
	s_waitcnt vmcnt(0)
	v_mul_i32_i24_e32 v185, v106, v5
	scratch_load_b32 v5, off, off offset:52 ; 4-byte Folded Reload
	v_add3_u32 v181, v181, v184, v185
	s_waitcnt vmcnt(0)
	v_mul_i32_i24_e32 v182, v107, v5
	scratch_load_b32 v5, off, off offset:60 ; 4-byte Folded Reload
	s_waitcnt vmcnt(0)
	v_mul_i32_i24_e32 v183, v108, v5
	scratch_load_b32 v5, off, off offset:64 ; 4-byte Folded Reload
	;; [unrolled: 7-line block ×3, first 2 shown]
	v_add3_u32 v181, v181, v184, v185
	s_waitcnt vmcnt(0)
	s_delay_alu instid0(VALU_DEP_1) | instskip(SKIP_2) | instid1(VALU_DEP_1)
	v_mul_lo_u32 v181, v181, v5
	scratch_load_b32 v5, off, off offset:76 ; 4-byte Folded Reload
	v_cvt_f32_i32_e32 v181, v181
	v_fma_mix_f32 v181, v0, v181, 0 op_sel_hi:[1,0,0]
	s_waitcnt vmcnt(0)
	v_fma_mix_f32 v182, v5, v0, 0 op_sel:[0,1,0] op_sel_hi:[0,1,0]
	scratch_load_b32 v5, off, off offset:84 ; 4-byte Folded Reload
	v_fma_mix_f32 v182, v15, v1, v182 op_sel:[0,1,0] op_sel_hi:[0,1,0]
	s_waitcnt vmcnt(0)
	v_mul_i32_i24_e32 v183, v111, v5
	scratch_load_b32 v5, off, off offset:88 ; 4-byte Folded Reload
	s_waitcnt vmcnt(0)
	v_mul_i32_i24_e32 v184, v113, v5
	scratch_load_b32 v5, off, off offset:900 ; 4-byte Folded Reload
	;; [unrolled: 3-line block ×3, first 2 shown]
	s_waitcnt vmcnt(0)
	v_mad_i32_i24 v183, v112, v5, v183
	scratch_load_b32 v5, off, off offset:40 ; 4-byte Folded Reload
	v_add3_u32 v183, v183, v184, v185
	v_mul_i32_i24_e32 v185, v116, v6
	scratch_load_b32 v6, off, off offset:960 ; 4-byte Folded Reload
	s_waitcnt vmcnt(1)
	v_mul_i32_i24_e32 v184, v115, v5
	scratch_load_b32 v5, off, off offset:344 ; 4-byte Folded Reload
	v_add3_u32 v183, v183, v184, v185
	s_waitcnt vmcnt(0)
	v_mul_i32_i24_e32 v186, v117, v5
	scratch_load_b32 v5, off, off offset:908 ; 4-byte Folded Reload
	s_waitcnt vmcnt(0)
	v_mul_i32_i24_e32 v187, v118, v5
	scratch_load_b32 v5, off, off offset:348 ; 4-byte Folded Reload
	v_add3_u32 v183, v183, v186, v187
	s_waitcnt vmcnt(0)
	v_mul_i32_i24_e32 v184, v119, v5
	scratch_load_b32 v5, off, off offset:352 ; 4-byte Folded Reload
	s_waitcnt vmcnt(0)
	v_mul_i32_i24_e32 v185, v120, v5
	scratch_load_b32 v5, off, off offset:356 ; 4-byte Folded Reload
	v_add3_u32 v183, v183, v184, v185
	s_waitcnt vmcnt(0)
	v_mul_i32_i24_e32 v186, v121, v5
	scratch_load_b32 v5, off, off offset:360 ; 4-byte Folded Reload
	s_waitcnt vmcnt(0)
	v_mul_i32_i24_e32 v187, v122, v5
	scratch_load_b32 v5, off, off offset:764 ; 4-byte Folded Reload
	v_add3_u32 v183, v183, v186, v187
	s_waitcnt vmcnt(0)
	v_mul_i32_i24_e32 v184, v123, v5
	scratch_load_b32 v5, off, off offset:768 ; 4-byte Folded Reload
	s_waitcnt vmcnt(0)
	v_mul_i32_i24_e32 v185, v124, v5
	scratch_load_b32 v5, off, off offset:92 ; 4-byte Folded Reload
	v_add3_u32 v183, v183, v184, v185
	s_waitcnt vmcnt(0)
	v_mul_i32_i24_e32 v186, v125, v5
	scratch_load_b32 v5, off, off offset:96 ; 4-byte Folded Reload
	s_waitcnt vmcnt(0)
	v_mul_i32_i24_e32 v187, v168, v5
	scratch_load_b32 v5, off, off offset:100 ; 4-byte Folded Reload
	v_add3_u32 v183, v183, v186, v187
	s_waitcnt vmcnt(0)
	v_mul_i32_i24_e32 v184, v169, v5
	scratch_load_b32 v5, off, off offset:364 ; 4-byte Folded Reload
	s_waitcnt vmcnt(0)
	v_mul_i32_i24_e32 v185, v170, v5
	scratch_load_b32 v5, off, off offset:104 ; 4-byte Folded Reload
	v_add3_u32 v183, v183, v184, v185
	s_waitcnt vmcnt(0)
	v_mul_i32_i24_e32 v186, v171, v5
	scratch_load_b32 v5, off, off offset:108 ; 4-byte Folded Reload
	s_waitcnt vmcnt(0)
	v_mul_i32_i24_e32 v187, v164, v5
	scratch_load_b32 v5, off, off offset:112 ; 4-byte Folded Reload
	v_add3_u32 v183, v183, v186, v187
	s_waitcnt vmcnt(0)
	v_mul_i32_i24_e32 v184, v172, v5
	scratch_load_b32 v5, off, off offset:368 ; 4-byte Folded Reload
	s_waitcnt vmcnt(0)
	v_mul_i32_i24_e32 v185, v173, v5
	scratch_load_b32 v5, off, off offset:116 ; 4-byte Folded Reload
	v_add3_u32 v183, v183, v184, v185
	s_waitcnt vmcnt(0)
	v_mul_i32_i24_e32 v186, v174, v5
	scratch_load_b32 v5, off, off offset:772 ; 4-byte Folded Reload
	s_waitcnt vmcnt(0)
	v_mul_i32_i24_e32 v187, v165, v5
	scratch_load_b32 v5, off, off offset:372 ; 4-byte Folded Reload
	v_add3_u32 v183, v183, v186, v187
	s_waitcnt vmcnt(0)
	v_mul_i32_i24_e32 v184, v175, v5
	scratch_load_b32 v5, off, off offset:376 ; 4-byte Folded Reload
	s_waitcnt vmcnt(0)
	v_mul_i32_i24_e32 v185, v176, v5
	scratch_load_b32 v5, off, off offset:380 ; 4-byte Folded Reload
	v_add3_u32 v183, v183, v184, v185
	s_waitcnt vmcnt(0)
	v_mul_i32_i24_e32 v186, v177, v5
	scratch_load_b32 v5, off, off offset:776 ; 4-byte Folded Reload
	s_waitcnt vmcnt(0)
	v_mul_i32_i24_e32 v187, v166, v5
	scratch_load_b32 v5, off, off offset:780 ; 4-byte Folded Reload
	v_add3_u32 v183, v183, v186, v187
	s_waitcnt vmcnt(0)
	v_mul_i32_i24_e32 v184, v178, v5
	scratch_load_b32 v5, off, off offset:384 ; 4-byte Folded Reload
	s_waitcnt vmcnt(0)
	v_mul_i32_i24_e32 v185, v179, v5
	scratch_load_b32 v5, off, off offset:388 ; 4-byte Folded Reload
	v_add3_u32 v183, v183, v184, v185
	s_waitcnt vmcnt(0)
	v_mul_i32_i24_e32 v186, v180, v5
	scratch_load_b32 v5, off, off offset:120 ; 4-byte Folded Reload
	s_waitcnt vmcnt(0)
	v_mul_i32_i24_e32 v187, v167, v5
	scratch_load_b32 v5, off, off offset:392 ; 4-byte Folded Reload
	v_add3_u32 v183, v183, v186, v187
	s_waitcnt vmcnt(0)
	s_delay_alu instid0(VALU_DEP_1) | instskip(SKIP_4) | instid1(VALU_DEP_1)
	v_mul_lo_u32 v183, v183, v5
	v_mov_b32_e32 v5, v16
	scratch_load_b32 v16, off, off offset:1124 ; 4-byte Folded Reload
	v_mul_f32_e32 v182, v182, v5
	v_cvt_f32_i32_e32 v183, v183
	v_fma_mix_f32 v181, v1, v183, v181 op_sel_hi:[1,0,0]
	s_delay_alu instid0(VALU_DEP_1) | instskip(SKIP_1) | instid1(VALU_DEP_1)
	v_fma_f32 v181, v181, v6, -v182
	s_waitcnt vmcnt(0)
	v_add_f32_e32 v16, v16, v181
	scratch_store_b32 off, v16, off offset:1124 ; 4-byte Folded Spill
	scratch_load_b32 v16, off, off offset:452 ; 4-byte Folded Reload
	s_waitcnt vmcnt(0)
	v_mul_i32_i24_e32 v161, v161, v16
	v_mov_b32_e32 v16, v5
	scratch_load_b32 v5, off, off offset:1140 ; 4-byte Folded Reload
	v_mad_i32_i24 v156, v156, v131, v161
	scratch_load_b32 v131, off, off offset:376 ; 4-byte Folded Reload
	v_add3_u32 v156, v156, v162, v163
	s_delay_alu instid0(VALU_DEP_1) | instskip(NEXT) | instid1(VALU_DEP_1)
	v_add3_u32 v156, v156, v157, v158
	v_add3_u32 v156, v156, v159, v160
	s_delay_alu instid0(VALU_DEP_1) | instskip(NEXT) | instid1(VALU_DEP_1)
	v_add3_u32 v152, v156, v152, v153
	v_add3_u32 v152, v152, v154, v155
	s_delay_alu instid0(VALU_DEP_1)
	v_add3_u32 v4, v152, v4, v70
	v_mul_i32_i24_e32 v70, v72, v59
	v_mul_i32_i24_e32 v72, v73, v62
	;; [unrolled: 1-line block ×3, first 2 shown]
	scratch_load_b32 v59, off, off offset:312 ; 4-byte Folded Reload
	v_add3_u32 v4, v4, v74, v126
	ds_load_b128 v[152:155], v216 offset:5120
	s_clause 0x1
	scratch_load_b32 v62, off, off offset:388
	scratch_load_b32 v41, off, off offset:404
	v_add3_u32 v4, v4, v23, v70
	v_mul_i32_i24_e32 v23, v76, v42
	v_mul_i32_i24_e32 v70, v77, v44
	s_clause 0x1
	scratch_load_b32 v44, off, off offset:320
	scratch_load_b32 v42, off, off offset:1148
	v_add3_u32 v4, v4, v72, v73
	v_mul_i32_i24_e32 v72, v78, v46
	v_mul_i32_i24_e32 v73, v79, v39
	;; [unrolled: 6-line block ×3, first 2 shown]
	s_clause 0x1
	scratch_load_b32 v81, off, off offset:956
	scratch_load_b32 v50, off, off offset:68
	v_add3_u32 v4, v4, v72, v73
	v_mul_i32_i24_e32 v73, v106, v40
	s_clause 0x1
	scratch_load_b32 v40, off, off offset:316
	scratch_load_b32 v106, off, off offset:556
	v_mul_i32_i24_e32 v72, v105, v51
	v_add3_u32 v4, v4, v23, v70
	s_clause 0x3
	scratch_load_b32 v105, off, off offset:952
	scratch_load_b32 v51, off, off offset:76
	;; [unrolled: 1-line block ×4, first 2 shown]
	v_add3_u32 v4, v4, v72, v73
	v_mul_i32_i24_e32 v72, v109, v43
	s_waitcnt lgkmcnt(0)
	v_bfe_i32 v208, v152, 0, 8
	v_bfe_i32 v209, v152, 16, 8
	v_bfe_i32 v187, v153, 0, 8
	v_bfe_i32 v183, v154, 0, 8
	v_bfe_i32 v184, v154, 8, 8
	v_bfe_i32 v185, v154, 16, 8
	v_ashrrev_i32_e32 v186, 24, v154
	v_bfe_i32 v181, v155, 16, 8
	v_ashrrev_i32_e32 v182, 24, v155
	v_mov_b32_e32 v46, v18
	s_waitcnt vmcnt(14)
	v_mul_i32_i24_e32 v23, v107, v59
	scratch_load_b32 v107, off, off offset:552 ; 4-byte Folded Reload
	s_waitcnt vmcnt(12)
	v_mul_i32_i24_e32 v73, v110, v44
	s_waitcnt vmcnt(6)
	v_mul_i32_i24_e32 v70, v108, v40
	s_waitcnt vmcnt(5)
	v_mul_i32_i24_e32 v74, v118, v106
	v_mov_b32_e32 v118, v199
	s_delay_alu instid0(VALU_DEP_3)
	v_add3_u32 v4, v4, v23, v70
	v_mul_i32_i24_e32 v70, v113, v79
	scratch_load_b32 v113, off, off offset:548 ; 4-byte Folded Reload
	s_waitcnt vmcnt(5)
	v_mul_i32_i24_e32 v23, v111, v105
	v_add3_u32 v4, v4, v72, v73
	s_delay_alu instid0(VALU_DEP_2) | instskip(NEXT) | instid1(VALU_DEP_2)
	v_mad_i32_i24 v23, v112, v81, v23
	v_mul_lo_u32 v4, v4, v47
	s_delay_alu instid0(VALU_DEP_1) | instskip(NEXT) | instid1(VALU_DEP_1)
	v_cvt_f32_i32_e32 v4, v4
	v_fma_mix_f32 v4, v0, v4, 0 op_sel_hi:[1,0,0]
	v_fma_mix_f32 v0, v39, v0, 0 op_sel:[0,1,0] op_sel_hi:[0,1,0]
	s_delay_alu instid0(VALU_DEP_1)
	v_fma_mix_f32 v0, v150, v1, v0 op_sel:[0,1,0] op_sel_hi:[0,1,0]
	scratch_load_b32 v150, off, off offset:500 ; 4-byte Folded Reload
	v_mul_f32_e32 v0, v0, v130
	s_waitcnt vmcnt(2)
	v_mul_i32_i24_e32 v73, v117, v107
	s_waitcnt vmcnt(1)
	v_mul_i32_i24_e32 v72, v114, v113
	scratch_load_b32 v114, off, off offset:944 ; 4-byte Folded Reload
	v_add3_u32 v23, v23, v70, v72
	v_mul_i32_i24_e32 v70, v115, v80
	v_mov_b32_e32 v115, v210
	v_mov_b32_e32 v117, v198
	s_waitcnt vmcnt(0)
	v_mul_i32_i24_e32 v72, v116, v114
	v_mov_b32_e32 v116, v205
	s_delay_alu instid0(VALU_DEP_2) | instskip(SKIP_3) | instid1(VALU_DEP_4)
	v_add3_u32 v23, v23, v70, v72
	v_mul_i32_i24_e32 v70, v119, v8
	v_mul_i32_i24_e32 v72, v120, v9
	v_mov_b32_e32 v120, v201
	v_add3_u32 v23, v23, v73, v74
	v_mul_i32_i24_e32 v73, v121, v10
	v_mul_i32_i24_e32 v74, v122, v211
	v_mov_b32_e32 v122, v203
	s_delay_alu instid0(VALU_DEP_4) | instskip(SKIP_3) | instid1(VALU_DEP_4)
	v_add3_u32 v23, v23, v70, v72
	v_mul_i32_i24_e32 v70, v123, v205
	v_mul_i32_i24_e32 v72, v124, v206
	v_dual_mov_b32 v123, v204 :: v_dual_mov_b32 v124, v206
	v_add3_u32 v23, v23, v73, v74
	v_mul_i32_i24_e32 v73, v125, v207
	v_mul_i32_i24_e32 v74, v168, v210
	v_mov_b32_e32 v125, v207
	v_bfe_i32 v207, v152, 8, 8
	v_add3_u32 v23, v23, v70, v72
	v_mul_i32_i24_e32 v70, v169, v201
	v_mul_i32_i24_e32 v72, v170, v202
	v_ashrrev_i32_e32 v210, 24, v152
	v_mov_b32_e32 v121, v202
	v_add3_u32 v23, v23, v73, v74
	v_mul_i32_i24_e32 v73, v171, v203
	v_mul_i32_i24_e32 v74, v164, v204
	v_bfe_i32 v171, v155, 0, 8
	v_mov_b32_e32 v119, v200
	v_add3_u32 v23, v23, v70, v72
	v_mul_i32_i24_e32 v70, v172, v197
	v_mul_i32_i24_e32 v72, v173, v198
	s_delay_alu instid0(VALU_DEP_3) | instskip(SKIP_2) | instid1(VALU_DEP_3)
	v_add3_u32 v23, v23, v73, v74
	v_mul_i32_i24_e32 v73, v174, v199
	v_mul_i32_i24_e32 v74, v165, v200
	v_add3_u32 v23, v23, v70, v72
	v_mul_i32_i24_e32 v70, v175, v193
	v_mul_i32_i24_e32 v72, v176, v194
	s_delay_alu instid0(VALU_DEP_3) | instskip(SKIP_2) | instid1(VALU_DEP_3)
	v_add3_u32 v23, v23, v73, v74
	v_mul_i32_i24_e32 v73, v177, v195
	v_mul_i32_i24_e32 v74, v166, v196
	v_add3_u32 v23, v23, v70, v72
	v_mul_i32_i24_e32 v70, v178, v189
	v_mul_i32_i24_e32 v72, v179, v190
	v_bfe_i32 v189, v153, 16, 8
	v_ashrrev_i32_e32 v190, 24, v153
	v_add3_u32 v23, v23, v73, v74
	v_mul_i32_i24_e32 v73, v180, v191
	v_mul_i32_i24_e32 v74, v167, v192
	v_bfe_i32 v180, v155, 8, 8
	v_mul_i32_i24_e32 v75, v189, v31
	v_add3_u32 v23, v23, v70, v72
	v_mul_i32_i24_e32 v72, v209, v99
	v_mul_i32_i24_e32 v76, v190, v32
	s_clause 0x1
	scratch_load_b32 v99, off, off offset:492
	scratch_load_b32 v32, off, off offset:904
	v_add3_u32 v23, v23, v73, v74
	v_mul_i32_i24_e32 v73, v210, v100
	s_clause 0x1
	scratch_load_b32 v100, off, off offset:896
	scratch_load_b32 v31, off, off offset:416
	v_mul_lo_u32 v23, v23, v188
	v_bfe_i32 v188, v153, 8, 8
	ds_load_b128 v[152:155], v216 offset:5136
	v_cvt_f32_i32_e32 v23, v23
	s_delay_alu instid0(VALU_DEP_1)
	v_fma_mix_f32 v4, v1, v23, v4 op_sel_hi:[1,0,0]
	scratch_load_b32 v1, off, off offset:1120 ; 4-byte Folded Reload
	v_mul_i32_i24_e32 v23, v208, v97
	scratch_load_b32 v97, off, off offset:892 ; 4-byte Folded Reload
	v_mad_i32_i24 v23, v207, v36, v23
	scratch_load_b32 v36, off, off offset:8 ; 4-byte Folded Reload
	s_waitcnt lgkmcnt(0)
	v_bfe_i32 v203, v152, 0, 8
	v_bfe_i32 v204, v152, 8, 8
	v_bfe_i32 v205, v152, 16, 8
	v_add3_u32 v23, v23, v72, v73
	v_mul_i32_i24_e32 v72, v187, v149
	v_mul_i32_i24_e32 v73, v188, v30
	v_ashrrev_i32_e32 v206, 24, v152
	v_bfe_i32 v199, v153, 0, 8
	v_bfe_i32 v200, v153, 8, 8
	;; [unrolled: 1-line block ×3, first 2 shown]
	v_add3_u32 v23, v23, v72, v73
	v_mul_i32_i24_e32 v72, v183, v25
	v_mul_i32_i24_e32 v73, v184, v26
	v_ashrrev_i32_e32 v202, 24, v153
	v_bfe_i32 v195, v154, 0, 8
	v_add3_u32 v23, v23, v75, v76
	v_mul_i32_i24_e32 v75, v185, v27
	v_mul_i32_i24_e32 v76, v186, v48
	v_bfe_i32 v196, v154, 8, 8
	v_bfe_i32 v197, v154, 16, 8
	v_add3_u32 v23, v23, v72, v73
	v_mul_i32_i24_e32 v72, v171, v28
	v_mul_i32_i24_e32 v73, v180, v84
	v_ashrrev_i32_e32 v198, 24, v154
	v_bfe_i32 v191, v155, 0, 8
	v_add3_u32 v23, v23, v75, v76
	v_mul_i32_i24_e32 v75, v181, v90
	v_mul_i32_i24_e32 v76, v182, v33
	v_bfe_i32 v192, v155, 8, 8
	v_bfe_i32 v193, v155, 16, 8
	v_add3_u32 v23, v23, v72, v73
	v_mul_i32_i24_e32 v72, v203, v35
	v_mul_i32_i24_e32 v73, v204, v83
	v_ashrrev_i32_e32 v194, 24, v155
	ds_load_b128 v[152:155], v216 offset:5152
	v_add3_u32 v23, v23, v75, v76
	v_mul_i32_i24_e32 v75, v205, v86
	v_mul_i32_i24_e32 v76, v206, v71
	s_clause 0x1
	scratch_load_b32 v149, off, off offset:496
	scratch_load_b32 v48, off, off offset:760
	v_add3_u32 v23, v23, v72, v73
	v_mul_i32_i24_e32 v72, v199, v91
	v_mul_i32_i24_e32 v73, v200, v87
	s_clause 0x1
	scratch_load_b32 v91, off, off offset:140
	scratch_load_b32 v84, off, off offset:56
	;; [unrolled: 6-line block ×3, first 2 shown]
	v_add3_u32 v23, v23, v72, v73
	v_mul_i32_i24_e32 v72, v195, v93
	v_mul_i32_i24_e32 v73, v196, v94
	scratch_load_b32 v94, off, off offset:852 ; 4-byte Folded Reload
	s_waitcnt lgkmcnt(0)
	v_bfe_i32 v177, v152, 0, 8
	v_add3_u32 v23, v23, v75, v76
	v_mul_i32_i24_e32 v75, v197, v95
	v_mul_i32_i24_e32 v76, v198, v96
	v_bfe_i32 v176, v152, 8, 8
	v_bfe_i32 v178, v152, 16, 8
	v_add3_u32 v23, v23, v72, v73
	v_mul_i32_i24_e32 v72, v191, v89
	v_mul_i32_i24_e32 v73, v192, v98
	v_ashrrev_i32_e32 v179, 24, v152
	v_bfe_i32 v172, v153, 0, 8
	v_add3_u32 v23, v23, v75, v76
	v_mul_i32_i24_e32 v75, v193, v104
	v_mul_i32_i24_e32 v76, v194, v145
	v_bfe_i32 v173, v153, 8, 8
	v_bfe_i32 v174, v153, 16, 8
	v_add3_u32 v23, v23, v72, v73
	v_mul_i32_i24_e32 v73, v177, v103
	v_ashrrev_i32_e32 v175, 24, v153
	v_fma_mix_f32 v72, v102, v2, 0 op_sel:[0,1,0] op_sel_hi:[0,1,0]
	v_bfe_i32 v167, v154, 0, 8
	v_add3_u32 v23, v23, v75, v76
	v_mul_i32_i24_e32 v75, v178, v129
	v_mul_i32_i24_e32 v76, v179, v148
	v_mad_i32_i24 v73, v176, v57, v73
	v_bfe_i32 v168, v154, 8, 8
	v_bfe_i32 v169, v154, 16, 8
	v_ashrrev_i32_e32 v170, 24, v154
	v_bfe_i32 v163, v155, 0, 8
	v_add3_u32 v73, v73, v75, v76
	v_mul_i32_i24_e32 v75, v172, v244
	v_mul_i32_i24_e32 v76, v173, v146
	v_bfe_i32 v164, v155, 8, 8
	v_bfe_i32 v165, v155, 16, 8
	v_ashrrev_i32_e32 v166, 24, v155
	ds_load_b128 v[152:155], v216 offset:5168
	v_mul_i32_i24_e32 v77, v174, v212
	v_add3_u32 v73, v73, v75, v76
	v_fma_mix_f32 v72, v242, v3, v72 op_sel:[0,1,0] op_sel_hi:[0,1,0]
	v_mov_b32_e32 v242, v246
	v_mul_i32_i24_e32 v78, v175, v213
	v_mul_i32_i24_e32 v75, v167, v217
	;; [unrolled: 1-line block ×3, first 2 shown]
	v_dual_mul_f32 v72, v72, v52 :: v_dual_mov_b32 v109, v9
	s_delay_alu instid0(VALU_DEP_4) | instskip(SKIP_3) | instid1(VALU_DEP_4)
	v_add3_u32 v73, v73, v77, v78
	v_mul_i32_i24_e32 v77, v169, v218
	v_mul_i32_i24_e32 v78, v170, v219
	v_dual_mov_b32 v244, v101 :: v_dual_mov_b32 v9, v211
	v_add3_u32 v73, v73, v75, v76
	v_mul_i32_i24_e32 v75, v163, v220
	v_mul_i32_i24_e32 v76, v164, v222
	v_mov_b32_e32 v220, v137
	v_fma_f32 v0, v4, v17, -v0
	v_add3_u32 v73, v73, v77, v78
	s_waitcnt lgkmcnt(0)
	v_bfe_i32 v159, v152, 0, 8
	v_bfe_i32 v160, v152, 8, 8
	v_mul_i32_i24_e32 v77, v165, v223
	v_mul_i32_i24_e32 v78, v166, v224
	v_add3_u32 v73, v73, v75, v76
	v_bfe_i32 v161, v152, 16, 8
	v_ashrrev_i32_e32 v162, 24, v152
	v_mul_i32_i24_e32 v75, v159, v225
	v_mul_i32_i24_e32 v76, v160, v226
	v_add3_u32 v73, v73, v77, v78
	v_bfe_i32 v211, v153, 0, 8
	v_bfe_i32 v156, v153, 8, 8
	v_mul_i32_i24_e32 v78, v162, v228
	v_mov_b32_e32 v224, v141
	v_mul_i32_i24_e32 v77, v161, v227
	v_add3_u32 v73, v73, v75, v76
	v_bfe_i32 v157, v153, 16, 8
	v_ashrrev_i32_e32 v158, 24, v153
	v_mul_i32_i24_e32 v75, v211, v229
	v_mul_i32_i24_e32 v76, v156, v230
	v_add3_u32 v73, v73, v77, v78
	v_bfe_i32 v126, v154, 0, 8
	v_bfe_i32 v4, v154, 8, 8
	v_mul_i32_i24_e32 v77, v157, v231
	v_mul_i32_i24_e32 v78, v158, v232
	v_add3_u32 v73, v73, v75, v76
	v_bfe_i32 v152, v154, 16, 8
	v_ashrrev_i32_e32 v153, 24, v154
	v_mul_i32_i24_e32 v75, v126, v233
	v_mul_i32_i24_e32 v76, v4, v234
	v_add3_u32 v73, v73, v77, v78
	v_mul_i32_i24_e32 v77, v152, v235
	v_mul_i32_i24_e32 v78, v153, v236
	v_bfe_i32 v70, v155, 16, 8
	v_ashrrev_i32_e32 v74, 24, v155
	v_add3_u32 v73, v73, v75, v76
	v_mul_lo_u32 v23, v23, v147
	v_mov_b32_e32 v230, v29
	s_clause 0x1
	scratch_load_b32 v231, off, off offset:808
	scratch_load_b32 v232, off, off offset:812
	v_add3_u32 v73, v73, v77, v78
	v_mul_i32_i24_e32 v77, v70, v239
	v_mul_i32_i24_e32 v78, v74, v240
	scratch_load_b32 v233, off, off offset:816 ; 4-byte Folded Reload
	v_cvt_f32_i32_e32 v23, v23
	s_clause 0x3
	scratch_load_b32 v234, off, off offset:820
	scratch_load_b32 v235, off, off offset:824
	;; [unrolled: 1-line block ×4, first 2 shown]
	v_fma_mix_f32 v23, v2, v23, 0 op_sel_hi:[1,0,0]
	s_clause 0x1
	scratch_load_b32 v240, off, off offset:840
	scratch_load_b32 v103, off, off offset:860
	v_mov_b32_e32 v226, v143
	v_mov_b32_e32 v212, v135
	;; [unrolled: 1-line block ×6, first 2 shown]
	v_dual_mov_b32 v213, v249 :: v_dual_mov_b32 v148, v139
	v_dual_mov_b32 v222, v138 :: v_dual_mov_b32 v223, v140
	scratch_load_b32 v141, off, off offset:888 ; 4-byte Folded Reload
	v_mov_b32_e32 v228, v144
	s_clause 0xd
	scratch_load_b32 v246, off, off offset:488
	scratch_load_b32 v93, off, off offset:84
	;; [unrolled: 1-line block ×14, first 2 shown]
	v_mov_b32_e32 v218, v69
	s_clause 0x2
	scratch_load_b32 v151, off, off offset:776
	scratch_load_b32 v71, off, off offset:384
	;; [unrolled: 1-line block ×3, first 2 shown]
	v_mov_b32_e32 v96, v37
	scratch_load_b32 v35, off, off offset:428 ; 4-byte Folded Reload
	v_mov_b32_e32 v217, v34
	s_clause 0x7
	scratch_load_b32 v33, off, off offset:580
	scratch_load_b32 v27, off, off offset:576
	scratch_load_b32 v28, off, off offset:400
	scratch_load_b32 v52, off, off offset:792
	scratch_load_b32 v30, off, off offset:412
	scratch_load_b32 v17, off, off offset:444
	scratch_load_b32 v25, off, off offset:800
	scratch_load_b32 v26, off, off offset:448
	v_mov_b32_e32 v229, v38
	s_waitcnt vmcnt(45)
	v_add_f32_e32 v1, v1, v0
	v_bfe_i32 v0, v155, 0, 8
	scratch_store_b32 off, v1, off offset:1120 ; 4-byte Folded Spill
	v_bfe_i32 v1, v155, 8, 8
	v_mul_i32_i24_e32 v75, v0, v237
	scratch_load_b32 v237, off, off offset:832 ; 4-byte Folded Reload
	v_mul_i32_i24_e32 v76, v1, v238
	scratch_load_b32 v238, off, off offset:836 ; 4-byte Folded Reload
	v_add3_u32 v73, v73, v75, v76
	v_mul_i32_i24_e32 v75, v189, v133
	v_mul_i32_i24_e32 v76, v190, v134
	s_clause 0x1
	scratch_load_b32 v134, off, off offset:772
	scratch_load_b32 v133, off, off offset:372
	v_add3_u32 v73, v73, v77, v78
	v_mul_i32_i24_e32 v77, v174, v140
	v_mul_i32_i24_e32 v78, v175, v224
	scratch_load_b32 v140, off, off offset:468 ; 4-byte Folded Reload
	v_mul_lo_u32 v73, v73, v241
	scratch_load_b32 v241, off, off offset:844 ; 4-byte Folded Reload
	v_cvt_f32_i32_e32 v73, v73
	s_delay_alu instid0(VALU_DEP_1) | instskip(SKIP_1) | instid1(VALU_DEP_2)
	v_fma_mix_f32 v23, v3, v73, v23 op_sel_hi:[1,0,0]
	v_mul_i32_i24_e32 v73, v210, v12
	v_fma_f32 v23, v23, v243, -v72
	v_mul_i32_i24_e32 v72, v209, v11
	scratch_load_b32 v243, off, off offset:848 ; 4-byte Folded Reload
	v_add_f32_e32 v42, v42, v23
	v_mul_i32_i24_e32 v23, v208, v7
	scratch_load_b32 v7, off, off offset:128 ; 4-byte Folded Reload
	scratch_store_b32 off, v42, off offset:1148 ; 4-byte Folded Spill
	v_mad_i32_i24 v23, v207, v13, v23
	s_clause 0x1
	scratch_load_b32 v42, off, off offset:1144
	scratch_load_b32 v13, off, off offset:228
	v_add3_u32 v23, v23, v72, v73
	v_mul_i32_i24_e32 v72, v187, v20
	v_mul_i32_i24_e32 v73, v188, v63
	scratch_load_b32 v20, off, off offset:424 ; 4-byte Folded Reload
	v_add3_u32 v23, v23, v72, v73
	v_mul_i32_i24_e32 v72, v183, v215
	v_mul_i32_i24_e32 v73, v184, v245
	s_clause 0x1
	scratch_load_b32 v245, off, off offset:856
	scratch_load_b32 v215, off, off offset:780
	v_add3_u32 v23, v23, v75, v76
	v_mul_i32_i24_e32 v75, v185, v247
	v_mul_i32_i24_e32 v76, v186, v249
	v_mov_b32_e32 v247, v255
	s_delay_alu instid0(VALU_DEP_4)
	v_add3_u32 v23, v23, v72, v73
	v_mul_i32_i24_e32 v72, v171, v248
	scratch_load_b32 v248, off, off offset:864 ; 4-byte Folded Reload
	v_mul_i32_i24_e32 v73, v180, v250
	scratch_load_b32 v250, off, off offset:868 ; 4-byte Folded Reload
	v_add3_u32 v23, v23, v75, v76
	v_mul_i32_i24_e32 v75, v181, v251
	scratch_load_b32 v251, off, off offset:872 ; 4-byte Folded Reload
	v_mul_i32_i24_e32 v76, v182, v252
	scratch_load_b32 v252, off, off offset:876 ; 4-byte Folded Reload
	v_add3_u32 v23, v23, v72, v73
	v_mul_i32_i24_e32 v72, v203, v253
	v_mul_i32_i24_e32 v73, v204, v254
	s_clause 0x1
	scratch_load_b32 v253, off, off offset:508
	scratch_load_b32 v254, off, off offset:120
	v_add3_u32 v23, v23, v75, v76
	v_mul_i32_i24_e32 v75, v205, v255
	v_mul_i32_i24_e32 v76, v206, v24
	scratch_load_b32 v255, off, off offset:392 ; 4-byte Folded Reload
	v_mov_b32_e32 v24, v108
	v_add3_u32 v23, v23, v72, v73
	v_mul_i32_i24_e32 v72, v199, v65
	v_mul_i32_i24_e32 v73, v200, v22
	s_clause 0x1
	scratch_load_b32 v65, off, off offset:452
	scratch_load_b32 v22, off, off offset:440
	v_add3_u32 v23, v23, v75, v76
	v_mul_i32_i24_e32 v75, v201, v101
	v_mul_i32_i24_e32 v76, v202, v21
	v_mov_b32_e32 v101, v14
	scratch_load_b32 v14, off, off offset:568 ; 4-byte Folded Reload
	v_add3_u32 v23, v23, v72, v73
	v_mul_i32_i24_e32 v72, v195, v221
	v_mul_i32_i24_e32 v73, v196, v61
	s_clause 0x1
	scratch_load_b32 v221, off, off offset:504
	scratch_load_b32 v61, off, off offset:396
	v_add3_u32 v23, v23, v75, v76
	v_mul_i32_i24_e32 v75, v197, v45
	v_mul_i32_i24_e32 v76, v198, v139
	scratch_load_b32 v139, off, off offset:464 ; 4-byte Folded Reload
	v_mov_b32_e32 v63, v214
	v_add3_u32 v23, v23, v72, v73
	v_mul_i32_i24_e32 v72, v191, v135
	v_mul_i32_i24_e32 v73, v192, v132
	s_clause 0x1
	scratch_load_b32 v135, off, off offset:24
	scratch_load_b32 v45, off, off offset:368
	v_add3_u32 v23, v23, v75, v76
	v_mul_i32_i24_e32 v75, v193, v128
	v_mul_i32_i24_e32 v76, v194, v214
	scratch_load_b32 v214, off, off offset:484 ; 4-byte Folded Reload
	v_mov_b32_e32 v249, v85
	v_add3_u32 v23, v23, v72, v73
	v_mul_i32_i24_e32 v73, v177, v127
	scratch_load_b32 v127, off, off offset:136 ; 4-byte Folded Reload
	v_fma_mix_f32 v72, v34, v2, 0 op_sel:[0,1,0] op_sel_hi:[0,1,0]
	scratch_load_b32 v85, off, off offset:352 ; 4-byte Folded Reload
	v_add3_u32 v23, v23, v75, v76
	v_mul_i32_i24_e32 v75, v178, v137
	v_mul_i32_i24_e32 v76, v179, v138
	v_mad_i32_i24 v73, v176, v69, v73
	s_clause 0x1
	scratch_load_b32 v137, off, off offset:460
	scratch_load_b32 v138, off, off offset:884
	v_mul_lo_u32 v23, v23, v37
	scratch_load_b32 v69, off, off offset:380 ; 4-byte Folded Reload
	v_add3_u32 v73, v73, v75, v76
	v_mul_i32_i24_e32 v76, v173, v136
	s_clause 0x2
	scratch_load_b32 v136, off, off offset:456
	scratch_load_b32 v37, off, off offset:180
	;; [unrolled: 1-line block ×3, first 2 shown]
	v_mov_b32_e32 v67, v19
	v_cvt_f32_i32_e32 v23, v23
	s_clause 0x1
	scratch_load_b32 v21, off, off offset:436
	scratch_load_b32 v132, off, off offset:1032
	v_mov_b32_e32 v128, v105
	v_fma_mix_f32 v23, v2, v23, 0 op_sel_hi:[1,0,0]
	s_waitcnt vmcnt(31)
	v_mul_i32_i24_e32 v75, v172, v7
	scratch_load_b32 v7, off, off offset:40 ; 4-byte Folded Reload
	v_add3_u32 v73, v73, v75, v76
	v_mul_i32_i24_e32 v76, v168, v143
	scratch_load_b32 v143, off, off offset:476 ; 4-byte Folded Reload
	v_mov_b32_e32 v225, v142
	scratch_load_b32 v142, off, off offset:472 ; 4-byte Folded Reload
	v_add3_u32 v73, v73, v77, v78
	v_mul_i32_i24_e32 v77, v169, v144
	v_mul_i32_i24_e32 v78, v170, v38
	;; [unrolled: 1-line block ×3, first 2 shown]
	scratch_load_b32 v144, off, off offset:480 ; 4-byte Folded Reload
	v_mov_b32_e32 v38, v106
	v_add3_u32 v73, v73, v75, v76
	v_mul_i32_i24_e32 v75, v163, v29
	v_mul_i32_i24_e32 v76, v164, v231
	scratch_load_b32 v29, off, off offset:788 ; 4-byte Folded Reload
	v_add3_u32 v73, v73, v77, v78
	v_mul_i32_i24_e32 v77, v165, v232
	v_mul_i32_i24_e32 v78, v166, v233
	s_delay_alu instid0(VALU_DEP_3) | instskip(SKIP_2) | instid1(VALU_DEP_3)
	v_add3_u32 v73, v73, v75, v76
	v_mul_i32_i24_e32 v75, v159, v234
	v_mul_i32_i24_e32 v76, v160, v235
	v_add3_u32 v73, v73, v77, v78
	v_mul_i32_i24_e32 v77, v161, v236
	v_mul_i32_i24_e32 v78, v162, v237
	s_waitcnt vmcnt(27)
	v_fma_mix_f32 v72, v252, v3, v72 op_sel:[0,1,0] op_sel_hi:[0,1,0]
	v_add3_u32 v73, v73, v75, v76
	v_mul_i32_i24_e32 v75, v211, v238
	v_mul_i32_i24_e32 v76, v156, v239
	s_delay_alu instid0(VALU_DEP_4) | instskip(SKIP_4) | instid1(VALU_DEP_3)
	v_mul_f32_e32 v72, v72, v18
	scratch_load_b32 v18, off, off offset:796 ; 4-byte Folded Reload
	v_add3_u32 v73, v73, v77, v78
	v_mul_i32_i24_e32 v77, v157, v240
	v_mul_i32_i24_e32 v78, v158, v241
	v_add3_u32 v73, v73, v75, v76
	v_mul_i32_i24_e32 v75, v126, v242
	v_mul_i32_i24_e32 v76, v4, v243
	s_delay_alu instid0(VALU_DEP_3) | instskip(SKIP_2) | instid1(VALU_DEP_3)
	v_add3_u32 v73, v73, v77, v78
	v_mul_i32_i24_e32 v77, v152, v94
	v_mul_i32_i24_e32 v78, v153, v245
	v_add3_u32 v73, v73, v75, v76
	v_mul_i32_i24_e32 v75, v0, v103
	v_mul_i32_i24_e32 v76, v1, v248
	s_delay_alu instid0(VALU_DEP_3) | instskip(SKIP_2) | instid1(VALU_DEP_3)
	v_add3_u32 v73, v73, v77, v78
	v_mul_i32_i24_e32 v77, v70, v249
	v_mul_i32_i24_e32 v78, v74, v250
	v_add3_u32 v73, v73, v75, v76
	s_delay_alu instid0(VALU_DEP_1) | instskip(SKIP_2) | instid1(VALU_DEP_3)
	v_add3_u32 v73, v73, v77, v78
	v_mul_i32_i24_e32 v77, v174, v57
	v_mul_i32_i24_e32 v78, v175, v82
	v_mul_lo_u32 v73, v73, v251
	s_waitcnt vmcnt(13)
	v_mul_i32_i24_e32 v76, v190, v137
	s_delay_alu instid0(VALU_DEP_2) | instskip(NEXT) | instid1(VALU_DEP_1)
	v_cvt_f32_i32_e32 v73, v73
	v_fma_mix_f32 v23, v3, v73, v23 op_sel_hi:[1,0,0]
	v_mul_i32_i24_e32 v73, v210, v135
	s_waitcnt vmcnt(10)
	v_mul_i32_i24_e32 v75, v189, v136
	s_delay_alu instid0(VALU_DEP_3)
	v_fma_f32 v23, v23, v19, -v72
	v_mul_i32_i24_e32 v72, v209, v60
	scratch_load_b32 v19, off, off offset:420 ; 4-byte Folded Reload
	v_add_f32_e32 v42, v42, v23
	v_mul_i32_i24_e32 v23, v208, v64
	scratch_store_b32 off, v42, off offset:1144 ; 4-byte Folded Spill
	scratch_load_b32 v42, off, off offset:48 ; 4-byte Folded Reload
	v_mad_i32_i24 v23, v207, v91, v23
	s_delay_alu instid0(VALU_DEP_1) | instskip(SKIP_2) | instid1(VALU_DEP_1)
	v_add3_u32 v23, v23, v72, v73
	v_mul_i32_i24_e32 v72, v187, v253
	v_mul_i32_i24_e32 v73, v188, v127
	v_add3_u32 v23, v23, v72, v73
	v_mul_i32_i24_e32 v72, v183, v138
	v_mul_i32_i24_e32 v73, v184, v139
	s_delay_alu instid0(VALU_DEP_3) | instskip(SKIP_1) | instid1(VALU_DEP_2)
	v_add3_u32 v23, v23, v75, v76
	v_mul_i32_i24_e32 v75, v185, v140
	v_add3_u32 v23, v23, v72, v73
	v_mul_i32_i24_e32 v72, v171, v141
	s_waitcnt vmcnt(6)
	v_mul_i32_i24_e32 v73, v180, v143
	s_waitcnt vmcnt(5)
	v_mul_i32_i24_e32 v76, v186, v142
	s_delay_alu instid0(VALU_DEP_1) | instskip(SKIP_3) | instid1(VALU_DEP_3)
	v_add3_u32 v23, v23, v75, v76
	s_waitcnt vmcnt(4)
	v_mul_i32_i24_e32 v75, v181, v144
	v_mul_i32_i24_e32 v76, v182, v214
	v_add3_u32 v23, v23, v72, v73
	v_mul_i32_i24_e32 v72, v203, v246
	v_mul_i32_i24_e32 v73, v204, v97
	s_delay_alu instid0(VALU_DEP_3) | instskip(SKIP_2) | instid1(VALU_DEP_3)
	v_add3_u32 v23, v23, v75, v76
	v_mul_i32_i24_e32 v75, v205, v99
	v_mul_i32_i24_e32 v76, v206, v101
	v_add3_u32 v23, v23, v72, v73
	v_mul_i32_i24_e32 v72, v199, v100
	v_mul_i32_i24_e32 v73, v200, v149
	s_delay_alu instid0(VALU_DEP_3) | instskip(SKIP_2) | instid1(VALU_DEP_3)
	v_add3_u32 v23, v23, v75, v76
	v_mul_i32_i24_e32 v75, v201, v150
	v_mul_i32_i24_e32 v76, v202, v221
	v_add3_u32 v23, v23, v72, v73
	v_mul_i32_i24_e32 v73, v196, v48
	s_delay_alu instid0(VALU_DEP_2) | instskip(SKIP_4) | instid1(VALU_DEP_1)
	v_add3_u32 v23, v23, v75, v76
	v_mul_i32_i24_e32 v75, v197, v36
	v_mul_i32_i24_e32 v76, v198, v84
	s_waitcnt vmcnt(0)
	v_mul_i32_i24_e32 v72, v195, v42
	v_add3_u32 v23, v23, v72, v73
	v_mul_i32_i24_e32 v72, v191, v68
	v_mul_i32_i24_e32 v73, v192, v90
	s_delay_alu instid0(VALU_DEP_3) | instskip(SKIP_2) | instid1(VALU_DEP_3)
	v_add3_u32 v23, v23, v75, v76
	v_mul_i32_i24_e32 v75, v193, v49
	v_mul_i32_i24_e32 v76, v194, v50
	v_add3_u32 v23, v23, v72, v73
	v_mul_i32_i24_e32 v73, v177, v93
	v_fma_mix_f32 v72, v51, v2, 0 op_sel:[0,1,0] op_sel_hi:[0,1,0]
	s_delay_alu instid0(VALU_DEP_3)
	v_add3_u32 v23, v23, v75, v76
	v_mul_i32_i24_e32 v75, v178, v55
	v_mul_i32_i24_e32 v76, v179, v56
	v_mad_i32_i24 v73, v176, v54, v73
	v_fma_mix_f32 v72, v15, v3, v72 op_sel:[0,1,0] op_sel_hi:[0,1,0]
	v_mul_lo_u32 v23, v23, v92
	scratch_load_b32 v15, off, off offset:572 ; 4-byte Folded Reload
	v_add3_u32 v73, v73, v75, v76
	v_mul_i32_i24_e32 v75, v172, v7
	v_mul_i32_i24_e32 v76, v173, v32
	v_mul_f32_e32 v72, v72, v16
	scratch_load_b32 v7, off, off offset:4  ; 4-byte Folded Reload
	v_cvt_f32_i32_e32 v23, v23
	v_add3_u32 v73, v73, v75, v76
	v_mul_i32_i24_e32 v75, v167, v83
	v_mul_i32_i24_e32 v76, v168, v85
	s_delay_alu instid0(VALU_DEP_4) | instskip(NEXT) | instid1(VALU_DEP_4)
	v_fma_mix_f32 v23, v2, v23, 0 op_sel_hi:[1,0,0]
	v_add3_u32 v73, v73, v77, v78
	v_mul_i32_i24_e32 v77, v169, v86
	v_mul_i32_i24_e32 v78, v170, v87
	s_delay_alu instid0(VALU_DEP_3) | instskip(SKIP_2) | instid1(VALU_DEP_3)
	v_add3_u32 v73, v73, v75, v76
	v_mul_i32_i24_e32 v75, v163, v88
	v_mul_i32_i24_e32 v76, v164, v89
	v_add3_u32 v73, v73, v77, v78
	v_mul_i32_i24_e32 v77, v165, v98
	v_mul_i32_i24_e32 v78, v166, v102
	s_delay_alu instid0(VALU_DEP_3) | instskip(SKIP_2) | instid1(VALU_DEP_3)
	v_add3_u32 v73, v73, v75, v76
	v_mul_i32_i24_e32 v75, v159, v104
	v_mul_i32_i24_e32 v76, v160, v129
	;; [unrolled: 7-line block ×5, first 2 shown]
	v_add3_u32 v73, v73, v77, v78
	v_mul_i32_i24_e32 v77, v70, v62
	v_mul_i32_i24_e32 v78, v74, v254
	s_delay_alu instid0(VALU_DEP_3)
	v_add3_u32 v73, v73, v75, v76
	v_mul_i32_i24_e32 v75, v189, v34
	v_mul_i32_i24_e32 v76, v190, v33
	s_clause 0x1
	scratch_load_b32 v189, off, off offset:188
	scratch_load_b32 v190, off, off offset:192
	v_add3_u32 v73, v73, v77, v78
	s_delay_alu instid0(VALU_DEP_1) | instskip(NEXT) | instid1(VALU_DEP_1)
	v_mul_lo_u32 v73, v73, v255
	v_cvt_f32_i32_e32 v73, v73
	s_delay_alu instid0(VALU_DEP_1) | instskip(SKIP_1) | instid1(VALU_DEP_2)
	v_fma_mix_f32 v23, v3, v73, v23 op_sel_hi:[1,0,0]
	v_mul_i32_i24_e32 v73, v210, v37
	v_fma_f32 v23, v23, v6, -v72
	s_delay_alu instid0(VALU_DEP_1)
	v_add_f32_e32 v5, v5, v23
	v_mul_i32_i24_e32 v23, v208, v65
	scratch_store_b32 off, v5, off offset:1140 ; 4-byte Folded Spill
	scratch_load_b32 v5, off, off offset:560 ; 4-byte Folded Reload
	s_waitcnt vmcnt(3)
	v_mad_i32_i24 v23, v207, v7, v23
	v_mov_b32_e32 v207, v125
	v_mov_b32_e32 v7, v113
	s_waitcnt vmcnt(2)
	v_mul_i32_i24_e32 v0, v0, v189
	s_waitcnt vmcnt(1)
	v_mul_i32_i24_e32 v1, v1, v190
	s_waitcnt vmcnt(0)
	v_mul_i32_i24_e32 v72, v209, v5
	v_dual_mov_b32 v209, v8 :: v_dual_mov_b32 v8, v10
	s_delay_alu instid0(VALU_DEP_2)
	v_add3_u32 v23, v23, v72, v73
	v_mul_i32_i24_e32 v72, v187, v66
	v_mul_i32_i24_e32 v73, v188, v35
	scratch_load_b32 v188, off, off offset:544 ; 4-byte Folded Reload
	v_add3_u32 v23, v23, v72, v73
	v_mul_i32_i24_e32 v72, v183, v13
	v_mul_i32_i24_e32 v73, v184, v14
	s_delay_alu instid0(VALU_DEP_3) | instskip(SKIP_2) | instid1(VALU_DEP_3)
	v_add3_u32 v23, v23, v75, v76
	v_mul_i32_i24_e32 v75, v185, v15
	v_mul_i32_i24_e32 v76, v186, v27
	v_add3_u32 v23, v23, v72, v73
	v_mul_i32_i24_e32 v72, v171, v61
	v_mul_i32_i24_e32 v73, v180, v28
	s_delay_alu instid0(VALU_DEP_3) | instskip(SKIP_2) | instid1(VALU_DEP_3)
	v_add3_u32 v23, v23, v75, v76
	v_mul_i32_i24_e32 v75, v181, v29
	v_mul_i32_i24_e32 v76, v182, v41
	v_add3_u32 v23, v23, v72, v73
	v_mul_i32_i24_e32 v72, v203, v52
	v_mul_i32_i24_e32 v73, v204, v58
	v_dual_mov_b32 v203, v122 :: v_dual_mov_b32 v204, v123
	s_delay_alu instid0(VALU_DEP_4)
	v_add3_u32 v23, v23, v75, v76
	v_mul_i32_i24_e32 v75, v205, v30
	v_mul_i32_i24_e32 v76, v206, v19
	v_mov_b32_e32 v205, v116
	v_mov_b32_e32 v206, v124
	v_add3_u32 v23, v23, v72, v73
	v_mul_i32_i24_e32 v72, v199, v31
	v_mul_i32_i24_e32 v73, v200, v20
	v_mov_b32_e32 v199, v118
	s_delay_alu instid0(VALU_DEP_4) | instskip(SKIP_3) | instid1(VALU_DEP_4)
	v_add3_u32 v23, v23, v75, v76
	v_mul_i32_i24_e32 v75, v201, v21
	v_mul_i32_i24_e32 v76, v202, v22
	v_dual_mov_b32 v201, v120 :: v_dual_mov_b32 v202, v121
	v_add3_u32 v23, v23, v72, v73
	v_mul_i32_i24_e32 v72, v195, v17
	v_mul_i32_i24_e32 v73, v196, v18
	s_clause 0x1
	scratch_load_b32 v195, off, off offset:212
	scratch_load_b32 v196, off, off offset:216
	v_add3_u32 v23, v23, v75, v76
	v_mul_i32_i24_e32 v75, v197, v25
	scratch_load_b32 v197, off, off offset:756 ; 4-byte Folded Reload
	v_mul_i32_i24_e32 v76, v198, v26
	v_mov_b32_e32 v200, v119
	v_add3_u32 v23, v23, v72, v73
	v_mul_i32_i24_e32 v72, v191, v59
	v_mul_i32_i24_e32 v73, v192, v40
	s_clause 0x1
	scratch_load_b32 v191, off, off offset:200
	scratch_load_b32 v192, off, off offset:196
	v_add3_u32 v23, v23, v75, v76
	v_mul_i32_i24_e32 v75, v193, v43
	v_mul_i32_i24_e32 v76, v194, v44
	s_clause 0x1
	scratch_load_b32 v193, off, off offset:204
	scratch_load_b32 v194, off, off offset:208
	v_add3_u32 v23, v23, v72, v73
	v_mul_i32_i24_e32 v72, v178, v79
	v_mul_i32_i24_e32 v73, v179, v113
	v_mov_b32_e32 v40, v114
	v_mov_b32_e32 v210, v109
	v_add3_u32 v23, v23, v75, v76
	v_mul_i32_i24_e32 v75, v174, v107
	v_mul_i32_i24_e32 v76, v175, v106
	v_mov_b32_e32 v44, v81
	v_mov_b32_e32 v208, v115
	v_mul_lo_u32 v23, v23, v47
	v_dual_mov_b32 v198, v117 :: v_dual_mov_b32 v43, v80
	v_mov_b32_e32 v47, v107
	s_delay_alu instid0(VALU_DEP_3) | instskip(NEXT) | instid1(VALU_DEP_1)
	v_cvt_f32_i32_e32 v23, v23
	v_fma_mix_f32 v171, v2, v23, 0 op_sel_hi:[1,0,0]
	v_mul_i32_i24_e32 v23, v177, v105
	v_fma_mix_f32 v2, v39, v2, 0 op_sel:[0,1,0] op_sel_hi:[0,1,0]
	s_delay_alu instid0(VALU_DEP_2) | instskip(NEXT) | instid1(VALU_DEP_1)
	v_mad_i32_i24 v23, v176, v81, v23
	v_add3_u32 v23, v23, v72, v73
	v_mul_i32_i24_e32 v72, v172, v80
	v_mul_i32_i24_e32 v73, v173, v114
	s_delay_alu instid0(VALU_DEP_1) | instskip(SKIP_2) | instid1(VALU_DEP_3)
	v_add3_u32 v23, v23, v72, v73
	v_mul_i32_i24_e32 v72, v167, v209
	v_mul_i32_i24_e32 v73, v168, v210
	v_add3_u32 v23, v23, v75, v76
	v_mul_i32_i24_e32 v75, v169, v8
	v_mul_i32_i24_e32 v76, v170, v9
	s_delay_alu instid0(VALU_DEP_3) | instskip(SKIP_2) | instid1(VALU_DEP_3)
	v_add3_u32 v23, v23, v72, v73
	v_mul_i32_i24_e32 v72, v163, v205
	v_mul_i32_i24_e32 v73, v164, v206
	v_add3_u32 v23, v23, v75, v76
	v_mul_i32_i24_e32 v75, v165, v207
	v_mul_i32_i24_e32 v76, v166, v208
	s_delay_alu instid0(VALU_DEP_3) | instskip(SKIP_2) | instid1(VALU_DEP_3)
	v_add3_u32 v23, v23, v72, v73
	v_mul_i32_i24_e32 v72, v159, v201
	v_mul_i32_i24_e32 v73, v160, v202
	v_add3_u32 v23, v23, v75, v76
	v_mul_i32_i24_e32 v75, v161, v203
	v_mul_i32_i24_e32 v76, v162, v204
	s_delay_alu instid0(VALU_DEP_3) | instskip(SKIP_1) | instid1(VALU_DEP_2)
	v_add3_u32 v23, v23, v72, v73
	v_mul_i32_i24_e32 v73, v156, v198
	v_add3_u32 v23, v23, v75, v76
	v_mul_i32_i24_e32 v75, v157, v199
	v_mul_i32_i24_e32 v76, v158, v200
	s_waitcnt vmcnt(4)
	v_mul_i32_i24_e32 v72, v211, v197
	s_delay_alu instid0(VALU_DEP_1) | instskip(SKIP_1) | instid1(VALU_DEP_2)
	v_add3_u32 v23, v23, v72, v73
	v_mul_i32_i24_e32 v73, v152, v195
	v_add3_u32 v23, v23, v75, v76
	s_waitcnt vmcnt(1)
	v_mul_i32_i24_e32 v72, v126, v193
	s_waitcnt vmcnt(0)
	v_mul_i32_i24_e32 v4, v4, v194
	v_mul_i32_i24_e32 v75, v153, v196
	s_delay_alu instid0(VALU_DEP_2) | instskip(SKIP_2) | instid1(VALU_DEP_3)
	v_add3_u32 v4, v23, v72, v4
	v_mul_i32_i24_e32 v23, v70, v191
	v_mul_i32_i24_e32 v70, v74, v192
	v_add3_u32 v4, v4, v73, v75
	s_delay_alu instid0(VALU_DEP_1) | instskip(SKIP_1) | instid1(VALU_DEP_2)
	v_add3_u32 v0, v4, v0, v1
	v_fma_mix_f32 v1, v132, v3, v2 op_sel:[0,1,0] op_sel_hi:[0,1,0]
	v_add3_u32 v0, v0, v23, v70
	s_delay_alu instid0(VALU_DEP_2) | instskip(NEXT) | instid1(VALU_DEP_2)
	v_mul_f32_e32 v1, v1, v130
	v_mul_lo_u32 v0, v0, v188
	s_delay_alu instid0(VALU_DEP_1) | instskip(NEXT) | instid1(VALU_DEP_1)
	v_cvt_f32_i32_e32 v0, v0
	v_fma_mix_f32 v0, v3, v0, v171 op_sel_hi:[1,0,0]
	s_delay_alu instid0(VALU_DEP_1)
	v_fma_f32 v0, v0, v24, -v1
	scratch_load_b32 v1, off, off offset:1136 ; 4-byte Folded Reload
	s_waitcnt vmcnt(0)
	v_add_f32_e32 v1, v1, v0
	scratch_store_b32 off, v1, off offset:1136 ; 4-byte Folded Spill
	ds_load_b128 v[0:3], v216 offset:6144
	s_waitcnt lgkmcnt(0)
	v_bfe_i32 v4, v0, 0, 8
	v_bfe_i32 v23, v0, 8, 8
	v_bfe_i32 v70, v0, 16, 8
	v_ashrrev_i32_e32 v72, 24, v0
	v_bfe_i32 v73, v1, 0, 8
	v_bfe_i32 v74, v1, 8, 8
	v_bfe_i32 v75, v1, 16, 8
	v_ashrrev_i32_e32 v76, 24, v1
	;; [unrolled: 4-line block ×4, first 2 shown]
	ds_load_b128 v[0:3], v216 offset:6160
	s_waitcnt lgkmcnt(0)
	v_bfe_i32 v108, v0, 0, 8
	v_bfe_i32 v109, v0, 8, 8
	;; [unrolled: 1-line block ×3, first 2 shown]
	v_ashrrev_i32_e32 v111, 24, v0
	scratch_load_b32 v0, off, off offset:184 ; 4-byte Folded Reload
	v_bfe_i32 v112, v1, 0, 8
	v_bfe_i32 v113, v1, 8, 8
	v_bfe_i32 v114, v1, 16, 8
	v_ashrrev_i32_e32 v115, 24, v1
	v_bfe_i32 v116, v2, 0, 8
	v_bfe_i32 v117, v2, 8, 8
	v_bfe_i32 v118, v2, 16, 8
	v_ashrrev_i32_e32 v119, 24, v2
	;; [unrolled: 4-line block ×3, first 2 shown]
	s_waitcnt vmcnt(0)
	ds_load_2addr_b64 v[0:3], v0 offset0:96 offset1:112
	ds_load_b128 v[152:155], v216 offset:6176
	s_clause 0x5
	scratch_load_b32 v39, off, off offset:588
	scratch_load_b32 v211, off, off offset:784
	;; [unrolled: 1-line block ×6, first 2 shown]
	s_waitcnt lgkmcnt(0)
	v_bfe_i32 v124, v152, 0, 8
	v_bfe_i32 v126, v152, 16, 8
	v_ashrrev_i32_e32 v156, 24, v152
	v_bfe_i32 v125, v152, 8, 8
	v_bfe_i32 v158, v153, 8, 8
	;; [unrolled: 1-line block ×3, first 2 shown]
	v_ashrrev_i32_e32 v160, 24, v153
	v_bfe_i32 v157, v153, 0, 8
	v_bfe_i32 v161, v154, 0, 8
	;; [unrolled: 1-line block ×4, first 2 shown]
	v_ashrrev_i32_e32 v164, 24, v154
	v_bfe_i32 v165, v155, 0, 8
	v_bfe_i32 v166, v155, 8, 8
	;; [unrolled: 1-line block ×3, first 2 shown]
	v_ashrrev_i32_e32 v168, 24, v155
	ds_load_b128 v[152:155], v216 offset:6192
	s_waitcnt lgkmcnt(0)
	v_bfe_i32 v169, v152, 0, 8
	v_bfe_i32 v170, v152, 8, 8
	v_bfe_i32 v171, v152, 16, 8
	v_ashrrev_i32_e32 v152, 24, v152
	v_bfe_i32 v172, v153, 0, 8
	v_bfe_i32 v173, v153, 8, 8
	v_bfe_i32 v174, v153, 16, 8
	v_ashrrev_i32_e32 v153, 24, v153
	;; [unrolled: 4-line block ×4, first 2 shown]
	s_waitcnt vmcnt(5)
	v_mul_i32_i24_e32 v181, v4, v39
	scratch_load_b32 v39, off, off offset:260 ; 4-byte Folded Reload
	s_waitcnt vmcnt(5)
	v_mul_i32_i24_e32 v183, v72, v211
	s_waitcnt vmcnt(0)
	v_mul_i32_i24_e32 v182, v70, v39
	scratch_load_b32 v39, off, off offset:232 ; 4-byte Folded Reload
	s_waitcnt vmcnt(0)
	v_mad_i32_i24 v181, v23, v39, v181
	scratch_load_b32 v39, off, off offset:592 ; 4-byte Folded Reload
	v_add3_u32 v181, v181, v182, v183
	s_waitcnt vmcnt(0)
	v_mul_i32_i24_e32 v182, v73, v39
	scratch_load_b32 v39, off, off offset:248 ; 4-byte Folded Reload
	s_waitcnt vmcnt(0)
	v_mul_i32_i24_e32 v183, v74, v39
	scratch_load_b32 v39, off, off offset:252 ; 4-byte Folded Reload
	v_add3_u32 v181, v181, v182, v183
	s_waitcnt vmcnt(0)
	v_mul_i32_i24_e32 v184, v75, v39
	scratch_load_b32 v39, off, off offset:256 ; 4-byte Folded Reload
	s_waitcnt vmcnt(0)
	v_mul_i32_i24_e32 v185, v76, v39
	scratch_load_b32 v39, off, off offset:596 ; 4-byte Folded Reload
	v_add3_u32 v181, v181, v184, v185
	v_mul_i32_i24_e32 v185, v80, v10
	scratch_load_b32 v10, off, off offset:224 ; 4-byte Folded Reload
	s_waitcnt vmcnt(1)
	v_mul_i32_i24_e32 v182, v77, v39
	scratch_load_b32 v39, off, off offset:264 ; 4-byte Folded Reload
	s_waitcnt vmcnt(0)
	v_mul_i32_i24_e32 v183, v78, v39
	scratch_load_b32 v39, off, off offset:268 ; 4-byte Folded Reload
	v_add3_u32 v181, v181, v182, v183
	v_mul_i32_i24_e32 v182, v81, v10
	s_waitcnt vmcnt(0)
	v_mul_i32_i24_e32 v184, v79, v39
	scratch_load_b32 v39, off, off offset:604 ; 4-byte Folded Reload
	v_add3_u32 v181, v181, v184, v185
	s_waitcnt vmcnt(0)
	v_mul_i32_i24_e32 v183, v105, v39
	scratch_load_b32 v39, off, off offset:272 ; 4-byte Folded Reload
	v_add3_u32 v181, v181, v182, v183
	s_waitcnt vmcnt(0)
	v_mul_i32_i24_e32 v184, v106, v39
	scratch_load_b32 v39, off, off offset:276 ; 4-byte Folded Reload
	s_waitcnt vmcnt(0)
	v_mul_i32_i24_e32 v185, v107, v39
	scratch_load_b32 v39, off, off offset:280 ; 4-byte Folded Reload
	v_add3_u32 v181, v181, v184, v185
	s_waitcnt vmcnt(0)
	v_mul_i32_i24_e32 v182, v108, v39
	scratch_load_b32 v39, off, off offset:608 ; 4-byte Folded Reload
	s_waitcnt vmcnt(0)
	v_mul_i32_i24_e32 v183, v109, v39
	scratch_load_b32 v39, off, off offset:612 ; 4-byte Folded Reload
	v_add3_u32 v181, v181, v182, v183
	s_waitcnt vmcnt(0)
	v_mul_i32_i24_e32 v184, v110, v39
	scratch_load_b32 v39, off, off offset:288 ; 4-byte Folded Reload
	s_waitcnt vmcnt(0)
	v_mul_i32_i24_e32 v185, v111, v39
	scratch_load_b32 v39, off, off offset:284 ; 4-byte Folded Reload
	v_add3_u32 v181, v181, v184, v185
	s_waitcnt vmcnt(0)
	v_mul_i32_i24_e32 v182, v112, v39
	scratch_load_b32 v39, off, off offset:616 ; 4-byte Folded Reload
	s_waitcnt vmcnt(0)
	v_mul_i32_i24_e32 v183, v113, v39
	scratch_load_b32 v39, off, off offset:620 ; 4-byte Folded Reload
	v_add3_u32 v181, v181, v182, v183
	s_waitcnt vmcnt(0)
	v_mul_i32_i24_e32 v184, v114, v39
	scratch_load_b32 v39, off, off offset:292 ; 4-byte Folded Reload
	s_waitcnt vmcnt(0)
	v_mul_i32_i24_e32 v185, v115, v39
	scratch_load_b32 v39, off, off offset:296 ; 4-byte Folded Reload
	v_add3_u32 v181, v181, v184, v185
	s_waitcnt vmcnt(0)
	v_mul_i32_i24_e32 v182, v116, v39
	scratch_load_b32 v39, off, off offset:300 ; 4-byte Folded Reload
	s_waitcnt vmcnt(0)
	v_mul_i32_i24_e32 v183, v117, v39
	scratch_load_b32 v39, off, off offset:304 ; 4-byte Folded Reload
	v_add3_u32 v181, v181, v182, v183
	s_waitcnt vmcnt(0)
	v_mul_i32_i24_e32 v184, v118, v39
	scratch_load_b32 v39, off, off offset:308 ; 4-byte Folded Reload
	s_waitcnt vmcnt(0)
	v_mul_i32_i24_e32 v185, v119, v39
	scratch_load_b32 v39, off, off offset:624 ; 4-byte Folded Reload
	v_add3_u32 v181, v181, v184, v185
	s_waitcnt vmcnt(0)
	v_mul_i32_i24_e32 v182, v120, v39
	scratch_load_b32 v39, off, off offset:628 ; 4-byte Folded Reload
	s_waitcnt vmcnt(0)
	v_mul_i32_i24_e32 v183, v121, v39
	scratch_load_b32 v39, off, off offset:632 ; 4-byte Folded Reload
	v_add3_u32 v181, v181, v182, v183
	s_waitcnt vmcnt(0)
	v_mul_i32_i24_e32 v184, v122, v39
	scratch_load_b32 v39, off, off offset:636 ; 4-byte Folded Reload
	s_waitcnt vmcnt(0)
	v_mul_i32_i24_e32 v185, v123, v39
	scratch_load_b32 v39, off, off offset:640 ; 4-byte Folded Reload
	v_add3_u32 v181, v181, v184, v185
	s_waitcnt vmcnt(0)
	s_delay_alu instid0(VALU_DEP_1) | instskip(SKIP_2) | instid1(VALU_DEP_1)
	v_mul_lo_u32 v181, v181, v39
	scratch_load_b32 v39, off, off offset:644 ; 4-byte Folded Reload
	v_cvt_f32_i32_e32 v181, v181
	v_fma_mix_f32 v181, v0, v181, 0 op_sel_hi:[1,0,0]
	s_waitcnt vmcnt(0)
	v_fma_mix_f32 v182, v39, v0, 0 op_sel:[0,1,0] op_sel_hi:[0,1,0]
	scratch_load_b32 v39, off, off offset:648 ; 4-byte Folded Reload
	s_waitcnt vmcnt(0)
	v_mul_i32_i24_e32 v183, v124, v39
	scratch_load_b32 v39, off, off offset:964 ; 4-byte Folded Reload
	v_mad_i32_i24 v183, v125, v11, v183
	scratch_load_b32 v11, off, off offset:340 ; 4-byte Folded Reload
	s_waitcnt vmcnt(1)
	v_mul_i32_i24_e32 v184, v126, v39
	scratch_load_b32 v39, off, off offset:968 ; 4-byte Folded Reload
	s_waitcnt vmcnt(0)
	v_mul_i32_i24_e32 v185, v156, v39
	scratch_load_b32 v39, off, off offset:972 ; 4-byte Folded Reload
	v_add3_u32 v183, v183, v184, v185
	v_mul_i32_i24_e32 v184, v157, v11
	scratch_load_b32 v11, off, off offset:1052 ; 4-byte Folded Reload
	s_waitcnt vmcnt(1)
	v_mul_i32_i24_e32 v185, v158, v39
	scratch_load_b32 v39, off, off offset:332 ; 4-byte Folded Reload
	v_add3_u32 v183, v183, v184, v185
	s_waitcnt vmcnt(0)
	v_mul_i32_i24_e32 v186, v159, v39
	scratch_load_b32 v39, off, off offset:652 ; 4-byte Folded Reload
	s_waitcnt vmcnt(0)
	v_mul_i32_i24_e32 v187, v160, v39
	scratch_load_b32 v39, off, off offset:656 ; 4-byte Folded Reload
	v_add3_u32 v183, v183, v186, v187
	s_waitcnt vmcnt(0)
	v_mul_i32_i24_e32 v184, v161, v39
	scratch_load_b32 v39, off, off offset:976 ; 4-byte Folded Reload
	s_waitcnt vmcnt(0)
	v_mul_i32_i24_e32 v185, v162, v39
	scratch_load_b32 v39, off, off offset:660 ; 4-byte Folded Reload
	v_add3_u32 v183, v183, v184, v185
	s_waitcnt vmcnt(0)
	v_mul_i32_i24_e32 v186, v163, v39
	scratch_load_b32 v39, off, off offset:664 ; 4-byte Folded Reload
	s_waitcnt vmcnt(0)
	v_mul_i32_i24_e32 v187, v164, v39
	scratch_load_b32 v39, off, off offset:668 ; 4-byte Folded Reload
	v_add3_u32 v183, v183, v186, v187
	s_waitcnt vmcnt(0)
	v_mul_i32_i24_e32 v184, v165, v39
	scratch_load_b32 v39, off, off offset:672 ; 4-byte Folded Reload
	s_waitcnt vmcnt(0)
	v_mul_i32_i24_e32 v185, v166, v39
	scratch_load_b32 v39, off, off offset:676 ; 4-byte Folded Reload
	v_add3_u32 v183, v183, v184, v185
	s_waitcnt vmcnt(0)
	v_mul_i32_i24_e32 v186, v167, v39
	scratch_load_b32 v39, off, off offset:680 ; 4-byte Folded Reload
	s_waitcnt vmcnt(0)
	v_mul_i32_i24_e32 v187, v168, v39
	scratch_load_b32 v39, off, off offset:684 ; 4-byte Folded Reload
	v_add3_u32 v183, v183, v186, v187
	s_waitcnt vmcnt(0)
	v_mul_i32_i24_e32 v184, v169, v39
	scratch_load_b32 v39, off, off offset:688 ; 4-byte Folded Reload
	s_waitcnt vmcnt(0)
	v_mul_i32_i24_e32 v185, v170, v39
	scratch_load_b32 v39, off, off offset:692 ; 4-byte Folded Reload
	v_add3_u32 v183, v183, v184, v185
	s_waitcnt vmcnt(0)
	v_mul_i32_i24_e32 v186, v171, v39
	scratch_load_b32 v39, off, off offset:696 ; 4-byte Folded Reload
	s_waitcnt vmcnt(0)
	v_mul_i32_i24_e32 v187, v152, v39
	scratch_load_b32 v39, off, off offset:700 ; 4-byte Folded Reload
	v_add3_u32 v183, v183, v186, v187
	s_waitcnt vmcnt(0)
	v_mul_i32_i24_e32 v184, v172, v39
	scratch_load_b32 v39, off, off offset:704 ; 4-byte Folded Reload
	s_waitcnt vmcnt(0)
	v_mul_i32_i24_e32 v185, v173, v39
	scratch_load_b32 v39, off, off offset:708 ; 4-byte Folded Reload
	v_add3_u32 v183, v183, v184, v185
	s_waitcnt vmcnt(0)
	v_mul_i32_i24_e32 v186, v174, v39
	scratch_load_b32 v39, off, off offset:712 ; 4-byte Folded Reload
	s_waitcnt vmcnt(0)
	v_mul_i32_i24_e32 v187, v153, v39
	scratch_load_b32 v39, off, off offset:716 ; 4-byte Folded Reload
	v_add3_u32 v183, v183, v186, v187
	s_waitcnt vmcnt(0)
	v_mul_i32_i24_e32 v184, v175, v39
	scratch_load_b32 v39, off, off offset:720 ; 4-byte Folded Reload
	s_waitcnt vmcnt(0)
	v_mul_i32_i24_e32 v185, v176, v39
	scratch_load_b32 v39, off, off offset:724 ; 4-byte Folded Reload
	v_add3_u32 v183, v183, v184, v185
	s_waitcnt vmcnt(0)
	v_mul_i32_i24_e32 v186, v177, v39
	scratch_load_b32 v39, off, off offset:728 ; 4-byte Folded Reload
	s_waitcnt vmcnt(0)
	v_mul_i32_i24_e32 v187, v154, v39
	scratch_load_b32 v39, off, off offset:732 ; 4-byte Folded Reload
	v_add3_u32 v183, v183, v186, v187
	s_waitcnt vmcnt(0)
	v_mul_i32_i24_e32 v184, v178, v39
	scratch_load_b32 v39, off, off offset:736 ; 4-byte Folded Reload
	s_waitcnt vmcnt(0)
	v_mul_i32_i24_e32 v185, v179, v39
	scratch_load_b32 v39, off, off offset:740 ; 4-byte Folded Reload
	v_add3_u32 v183, v183, v184, v185
	s_waitcnt vmcnt(0)
	v_mul_i32_i24_e32 v186, v180, v39
	scratch_load_b32 v39, off, off offset:744 ; 4-byte Folded Reload
	s_waitcnt vmcnt(0)
	v_mul_i32_i24_e32 v187, v155, v39
	scratch_load_b32 v39, off, off offset:748 ; 4-byte Folded Reload
	v_add3_u32 v183, v183, v186, v187
	v_mul_i32_i24_e32 v187, v160, v224
	s_waitcnt vmcnt(0)
	s_delay_alu instid0(VALU_DEP_2) | instskip(SKIP_2) | instid1(VALU_DEP_1)
	v_mul_lo_u32 v183, v183, v39
	scratch_load_b32 v39, off, off offset:752 ; 4-byte Folded Reload
	v_cvt_f32_i32_e32 v183, v183
	v_fma_mix_f32 v181, v1, v183, v181 op_sel_hi:[1,0,0]
	s_waitcnt vmcnt(0)
	v_fma_mix_f32 v182, v39, v1, v182 op_sel:[0,1,0] op_sel_hi:[0,1,0]
	scratch_load_b32 v39, off, off offset:1152 ; 4-byte Folded Reload
	v_mul_f32_e32 v182, v182, v11
	s_delay_alu instid0(VALU_DEP_1) | instskip(SKIP_1) | instid1(VALU_DEP_1)
	v_fma_f32 v181, v181, v12, -v182
	s_waitcnt vmcnt(0)
	v_add_f32_e32 v39, v39, v181
	scratch_store_b32 off, v39, off offset:1152 ; 4-byte Folded Spill
	scratch_load_b32 v39, off, off offset:584 ; 4-byte Folded Reload
	s_waitcnt vmcnt(0)
	v_mul_i32_i24_e32 v181, v4, v39
	scratch_load_b32 v39, off, off offset:32 ; 4-byte Folded Reload
	s_waitcnt vmcnt(0)
	v_mul_i32_i24_e32 v182, v70, v39
	;; [unrolled: 3-line block ×3, first 2 shown]
	scratch_load_b32 v39, off, off offset:240 ; 4-byte Folded Reload
	s_waitcnt vmcnt(0)
	v_mad_i32_i24 v181, v23, v39, v181
	scratch_load_b32 v39, off, off offset:36 ; 4-byte Folded Reload
	v_add3_u32 v181, v181, v182, v183
	s_waitcnt vmcnt(0)
	v_mul_i32_i24_e32 v182, v73, v39
	scratch_load_b32 v39, off, off offset:28 ; 4-byte Folded Reload
	s_waitcnt vmcnt(0)
	v_mul_i32_i24_e32 v183, v74, v39
	scratch_load_b32 v39, off, off offset:144 ; 4-byte Folded Reload
	v_add3_u32 v181, v181, v182, v183
	s_waitcnt vmcnt(0)
	v_mul_i32_i24_e32 v184, v75, v39
	scratch_load_b32 v39, off, off offset:148 ; 4-byte Folded Reload
	s_waitcnt vmcnt(0)
	v_mul_i32_i24_e32 v185, v76, v39
	scratch_load_b32 v39, off, off offset:152 ; 4-byte Folded Reload
	v_add3_u32 v181, v181, v184, v185
	v_mul_i32_i24_e32 v185, v80, v213
	scratch_load_b32 v213, off, off offset:528 ; 4-byte Folded Reload
	s_waitcnt vmcnt(1)
	v_mul_i32_i24_e32 v182, v77, v39
	scratch_load_b32 v39, off, off offset:512 ; 4-byte Folded Reload
	s_waitcnt vmcnt(0)
	v_mul_i32_i24_e32 v183, v78, v39
	scratch_load_b32 v39, off, off offset:516 ; 4-byte Folded Reload
	v_add3_u32 v181, v181, v182, v183
	s_waitcnt vmcnt(0)
	v_mul_i32_i24_e32 v184, v79, v39
	scratch_load_b32 v39, off, off offset:156 ; 4-byte Folded Reload
	v_add3_u32 v181, v181, v184, v185
	s_waitcnt vmcnt(0)
	v_mul_i32_i24_e32 v182, v81, v39
	scratch_load_b32 v39, off, off offset:160 ; 4-byte Folded Reload
	s_waitcnt vmcnt(0)
	v_mul_i32_i24_e32 v183, v105, v39
	scratch_load_b32 v39, off, off offset:164 ; 4-byte Folded Reload
	v_add3_u32 v181, v181, v182, v183
	v_mul_i32_i24_e32 v182, v108, v227
	s_waitcnt vmcnt(0)
	v_mul_i32_i24_e32 v184, v106, v39
	scratch_load_b32 v39, off, off offset:520 ; 4-byte Folded Reload
	s_waitcnt vmcnt(0)
	v_mul_i32_i24_e32 v185, v107, v39
	scratch_load_b32 v39, off, off offset:12 ; 4-byte Folded Reload
	v_add3_u32 v181, v181, v184, v185
	v_mul_i32_i24_e32 v184, v110, v247
	scratch_load_b32 v247, off, off offset:532 ; 4-byte Folded Reload
	s_waitcnt vmcnt(1)
	v_mul_i32_i24_e32 v183, v109, v39
	scratch_load_b32 v39, off, off offset:168 ; 4-byte Folded Reload
	v_add3_u32 v181, v181, v182, v183
	v_mul_i32_i24_e32 v183, v113, v213
	s_waitcnt vmcnt(0)
	v_mul_i32_i24_e32 v185, v111, v39
	scratch_load_b32 v39, off, off offset:132 ; 4-byte Folded Reload
	v_add3_u32 v181, v181, v184, v185
	v_mul_i32_i24_e32 v184, v114, v244
	scratch_load_b32 v244, off, off offset:916 ; 4-byte Folded Reload
	s_waitcnt vmcnt(1)
	v_mul_i32_i24_e32 v182, v112, v39
	scratch_load_b32 v39, off, off offset:172 ; 4-byte Folded Reload
	v_add3_u32 v181, v181, v182, v183
	s_waitcnt vmcnt(1)
	v_mul_i32_i24_e32 v185, v115, v244
	v_mul_i32_i24_e32 v183, v117, v59
	s_delay_alu instid0(VALU_DEP_2)
	v_add3_u32 v181, v181, v184, v185
	v_mul_i32_i24_e32 v184, v118, v247
	v_mul_i32_i24_e32 v185, v119, v148
	s_waitcnt vmcnt(0)
	v_mul_i32_i24_e32 v182, v116, v39
	scratch_load_b32 v39, off, off offset:536 ; 4-byte Folded Reload
	v_add3_u32 v181, v181, v182, v183
	v_mul_i32_i24_e32 v182, v120, v212
	scratch_load_b32 v212, off, off offset:1184 ; 4-byte Folded Reload
	v_add3_u32 v181, v181, v184, v185
	v_mul_i32_i24_e32 v185, v123, v63
	v_mov_b32_e32 v63, v67
	v_mov_b32_e32 v67, v82
	s_waitcnt vmcnt(1)
	v_mul_i32_i24_e32 v183, v121, v39
	scratch_load_b32 v39, off, off offset:176 ; 4-byte Folded Reload
	v_add3_u32 v181, v181, v182, v183
	v_mul_i32_i24_e32 v183, v124, v95
	scratch_load_b32 v95, off, off offset:1188 ; 4-byte Folded Reload
	v_fma_mix_f32 v182, v217, v0, 0 op_sel:[0,1,0] op_sel_hi:[0,1,0]
	v_mad_i32_i24 v183, v125, v218, v183
	s_delay_alu instid0(VALU_DEP_2) | instskip(NEXT) | instid1(VALU_DEP_1)
	v_fma_mix_f32 v182, v252, v1, v182 op_sel:[0,1,0] op_sel_hi:[0,1,0]
	v_mul_f32_e32 v182, v182, v46
	s_waitcnt vmcnt(1)
	v_mul_i32_i24_e32 v184, v122, v39
	scratch_load_b32 v39, off, off offset:128 ; 4-byte Folded Reload
	v_add3_u32 v181, v181, v184, v185
	v_mul_i32_i24_e32 v184, v126, v220
	v_mul_i32_i24_e32 v185, v156, v222
	s_delay_alu instid0(VALU_DEP_3) | instskip(SKIP_1) | instid1(VALU_DEP_3)
	v_mul_lo_u32 v181, v181, v96
	v_mov_b32_e32 v96, v46
	v_add3_u32 v183, v183, v184, v185
	v_mul_i32_i24_e32 v185, v158, v219
	v_mul_i32_i24_e32 v186, v159, v223
	v_mov_b32_e32 v46, v5
	v_cvt_f32_i32_e32 v181, v181
	s_delay_alu instid0(VALU_DEP_1) | instskip(SKIP_2) | instid1(VALU_DEP_1)
	v_fma_mix_f32 v181, v0, v181, 0 op_sel_hi:[1,0,0]
	s_waitcnt vmcnt(0)
	v_mul_i32_i24_e32 v184, v157, v39
	v_add3_u32 v183, v183, v184, v185
	v_mul_i32_i24_e32 v184, v161, v225
	v_mul_i32_i24_e32 v185, v162, v226
	s_delay_alu instid0(VALU_DEP_3) | instskip(SKIP_2) | instid1(VALU_DEP_3)
	v_add3_u32 v183, v183, v186, v187
	v_mul_i32_i24_e32 v186, v163, v228
	v_mul_i32_i24_e32 v187, v164, v229
	v_add3_u32 v183, v183, v184, v185
	v_mul_i32_i24_e32 v184, v165, v230
	v_mul_i32_i24_e32 v185, v166, v231
	s_delay_alu instid0(VALU_DEP_3) | instskip(SKIP_2) | instid1(VALU_DEP_3)
	v_add3_u32 v183, v183, v186, v187
	v_mul_i32_i24_e32 v186, v167, v232
	;; [unrolled: 7-line block ×6, first 2 shown]
	v_mul_i32_i24_e32 v187, v155, v250
	v_add3_u32 v183, v183, v184, v185
	v_mul_i32_i24_e32 v184, v75, v136
	v_mul_i32_i24_e32 v185, v76, v137
	s_delay_alu instid0(VALU_DEP_3) | instskip(SKIP_3) | instid1(VALU_DEP_4)
	v_add3_u32 v183, v183, v186, v187
	v_mul_i32_i24_e32 v186, v159, v57
	v_mul_i32_i24_e32 v187, v160, v82
	v_mov_b32_e32 v82, v85
	v_mul_lo_u32 v183, v183, v251
	s_delay_alu instid0(VALU_DEP_1) | instskip(NEXT) | instid1(VALU_DEP_1)
	v_cvt_f32_i32_e32 v183, v183
	v_fma_mix_f32 v181, v1, v183, v181 op_sel_hi:[1,0,0]
	v_mul_i32_i24_e32 v183, v72, v135
	v_mov_b32_e32 v135, v138
	v_mul_i32_i24_e32 v72, v72, v37
	s_delay_alu instid0(VALU_DEP_4)
	v_fma_f32 v181, v181, v63, -v182
	v_mul_i32_i24_e32 v182, v70, v60
	v_mul_i32_i24_e32 v70, v70, v5
	scratch_load_b32 v5, off, off offset:4  ; 4-byte Folded Reload
	v_mov_b32_e32 v60, v83
	v_add_f32_e32 v95, v95, v181
	v_mul_i32_i24_e32 v181, v4, v64
	v_mul_i32_i24_e32 v4, v4, v65
	v_mov_b32_e32 v64, v34
	s_delay_alu instid0(VALU_DEP_3) | instskip(SKIP_1) | instid1(VALU_DEP_2)
	v_mad_i32_i24 v181, v23, v91, v181
	v_dual_mov_b32 v91, v136 :: v_dual_mov_b32 v136, v139
	v_add3_u32 v181, v181, v182, v183
	v_mul_i32_i24_e32 v182, v73, v253
	v_mul_i32_i24_e32 v183, v74, v127
	v_mov_b32_e32 v127, v137
	s_delay_alu instid0(VALU_DEP_2) | instskip(SKIP_3) | instid1(VALU_DEP_4)
	v_add3_u32 v181, v181, v182, v183
	v_mul_i32_i24_e32 v182, v77, v138
	v_mul_i32_i24_e32 v183, v78, v139
	v_dual_mov_b32 v138, v141 :: v_dual_mov_b32 v139, v142
	v_add3_u32 v181, v181, v184, v185
	v_mul_i32_i24_e32 v184, v79, v140
	v_mul_i32_i24_e32 v185, v80, v142
	v_mov_b32_e32 v142, v214
	s_delay_alu instid0(VALU_DEP_4) | instskip(SKIP_3) | instid1(VALU_DEP_4)
	v_add3_u32 v181, v181, v182, v183
	v_mul_i32_i24_e32 v182, v81, v141
	v_mov_b32_e32 v141, v144
	v_mul_i32_i24_e32 v183, v105, v143
	v_add3_u32 v181, v181, v184, v185
	v_mul_i32_i24_e32 v184, v106, v144
	v_mul_i32_i24_e32 v185, v107, v214
	v_mov_b32_e32 v144, v97
	s_delay_alu instid0(VALU_DEP_4) | instskip(SKIP_3) | instid1(VALU_DEP_4)
	v_add3_u32 v181, v181, v182, v183
	v_mul_i32_i24_e32 v182, v108, v246
	v_mul_i32_i24_e32 v183, v109, v97
	v_mov_b32_e32 v97, v99
	v_add3_u32 v181, v181, v184, v185
	v_mul_i32_i24_e32 v184, v110, v99
	v_mov_b32_e32 v99, v100
	s_delay_alu instid0(VALU_DEP_3)
	v_add3_u32 v181, v181, v182, v183
	v_mul_i32_i24_e32 v182, v112, v100
	v_mov_b32_e32 v100, v149
	v_mul_i32_i24_e32 v185, v111, v101
	v_mul_i32_i24_e32 v183, v113, v149
	v_dual_mov_b32 v214, v101 :: v_dual_mov_b32 v101, v150
	v_mov_b32_e32 v149, v221
	s_delay_alu instid0(VALU_DEP_4) | instskip(SKIP_3) | instid1(VALU_DEP_4)
	v_add3_u32 v181, v181, v184, v185
	v_mul_i32_i24_e32 v184, v114, v150
	v_mul_i32_i24_e32 v185, v115, v221
	v_dual_mov_b32 v150, v42 :: v_dual_mov_b32 v221, v84
	v_add3_u32 v181, v181, v182, v183
	v_mul_i32_i24_e32 v182, v116, v42
	v_mul_i32_i24_e32 v183, v117, v48
	v_mov_b32_e32 v42, v48
	v_mov_b32_e32 v48, v68
	v_add3_u32 v181, v181, v184, v185
	v_mul_i32_i24_e32 v184, v118, v36
	v_mul_i32_i24_e32 v185, v119, v84
	scratch_load_b32 v36, off, off offset:40 ; 4-byte Folded Reload
	v_mov_b32_e32 v84, v49
	v_add3_u32 v181, v181, v182, v183
	v_mul_i32_i24_e32 v182, v120, v68
	v_mul_i32_i24_e32 v183, v121, v90
	v_mov_b32_e32 v68, v90
	v_mov_b32_e32 v90, v50
	v_add3_u32 v181, v181, v184, v185
	v_mul_i32_i24_e32 v184, v122, v49
	v_mul_i32_i24_e32 v185, v123, v50
	v_mov_b32_e32 v50, v51
	s_delay_alu instid0(VALU_DEP_4) | instskip(SKIP_3) | instid1(VALU_DEP_4)
	v_add3_u32 v181, v181, v182, v183
	v_fma_mix_f32 v182, v51, v0, 0 op_sel:[0,1,0] op_sel_hi:[0,1,0]
	v_mul_i32_i24_e32 v183, v124, v93
	v_mov_b32_e32 v51, v54
	v_add3_u32 v181, v181, v184, v185
	v_mul_i32_i24_e32 v184, v126, v55
	v_mul_i32_i24_e32 v185, v156, v56
	v_mad_i32_i24 v183, v125, v54, v183
	v_mov_b32_e32 v54, v32
	v_mul_lo_u32 v181, v181, v92
	s_delay_alu instid0(VALU_DEP_3) | instskip(SKIP_3) | instid1(VALU_DEP_1)
	v_add3_u32 v183, v183, v184, v185
	v_mul_i32_i24_e32 v185, v158, v32
	scratch_load_b32 v32, off, off offset:244 ; 4-byte Folded Reload
	v_cvt_f32_i32_e32 v181, v181
	v_fma_mix_f32 v181, v0, v181, 0 op_sel_hi:[1,0,0]
	s_waitcnt vmcnt(2)
	v_mad_i32_i24 v4, v23, v5, v4
	scratch_load_b32 v5, off, off offset:312 ; 4-byte Folded Reload
	v_mul_i32_i24_e32 v23, v73, v66
	v_mul_i32_i24_e32 v73, v76, v33
	scratch_load_b32 v76, off, off offset:1172 ; 4-byte Folded Reload
	v_add3_u32 v4, v4, v70, v72
	v_mul_i32_i24_e32 v70, v74, v35
	v_mul_i32_i24_e32 v72, v75, v34
	;; [unrolled: 1-line block ×3, first 2 shown]
	s_delay_alu instid0(VALU_DEP_3) | instskip(SKIP_3) | instid1(VALU_DEP_4)
	v_add3_u32 v4, v4, v23, v70
	v_mul_i32_i24_e32 v23, v77, v13
	v_mul_i32_i24_e32 v70, v78, v14
	v_dual_mov_b32 v77, v27 :: v_dual_mov_b32 v78, v28
	v_add3_u32 v4, v4, v72, v73
	v_mul_i32_i24_e32 v72, v79, v15
	v_mul_i32_i24_e32 v73, v80, v27
	v_dual_mov_b32 v79, v29 :: v_dual_mov_b32 v80, v30
	s_delay_alu instid0(VALU_DEP_4)
	v_add3_u32 v4, v4, v23, v70
	v_mul_i32_i24_e32 v23, v81, v61
	v_mul_i32_i24_e32 v70, v105, v28
	v_mov_b32_e32 v81, v31
	v_mov_b32_e32 v105, v17
	v_add3_u32 v4, v4, v72, v73
	v_mul_i32_i24_e32 v72, v106, v29
	v_mul_i32_i24_e32 v73, v107, v41
	v_mov_b32_e32 v29, v197
	v_mov_b32_e32 v107, v25
	v_add3_u32 v4, v4, v23, v70
	v_mul_i32_i24_e32 v23, v108, v52
	v_mul_i32_i24_e32 v70, v109, v58
	v_dual_mov_b32 v108, v26 :: v_dual_mov_b32 v109, v9
	s_delay_alu instid0(VALU_DEP_4) | instskip(SKIP_3) | instid1(VALU_DEP_4)
	v_add3_u32 v4, v4, v72, v73
	v_mul_i32_i24_e32 v72, v110, v30
	v_mul_i32_i24_e32 v73, v111, v19
	v_dual_mov_b32 v111, v198 :: v_dual_mov_b32 v110, v8
	v_add3_u32 v4, v4, v23, v70
	v_mul_i32_i24_e32 v23, v112, v31
	v_mul_i32_i24_e32 v70, v113, v20
	v_dual_mov_b32 v112, v199 :: v_dual_mov_b32 v113, v200
	s_delay_alu instid0(VALU_DEP_4) | instskip(SKIP_3) | instid1(VALU_DEP_4)
	v_add3_u32 v4, v4, v72, v73
	v_mul_i32_i24_e32 v72, v114, v21
	v_mul_i32_i24_e32 v73, v115, v22
	v_dual_mov_b32 v114, v201 :: v_dual_mov_b32 v115, v202
	;; [unrolled: 9-line block ×3, first 2 shown]
	v_add3_u32 v4, v4, v23, v70
	v_mov_b32_e32 v106, v18
	s_delay_alu instid0(VALU_DEP_2) | instskip(SKIP_2) | instid1(VALU_DEP_1)
	v_add3_u32 v4, v4, v72, v73
	s_waitcnt vmcnt(3)
	v_mul_i32_i24_e32 v184, v157, v36
	v_add3_u32 v183, v183, v184, v185
	v_mul_i32_i24_e32 v184, v161, v83
	v_mul_i32_i24_e32 v185, v162, v85
	v_mov_b32_e32 v85, v87
	v_mov_b32_e32 v83, v86
	v_add3_u32 v183, v183, v186, v187
	v_mul_i32_i24_e32 v186, v163, v86
	v_mul_i32_i24_e32 v187, v164, v87
	v_dual_mov_b32 v87, v89 :: v_dual_mov_b32 v86, v88
	s_delay_alu instid0(VALU_DEP_4)
	v_add3_u32 v183, v183, v184, v185
	v_mul_i32_i24_e32 v184, v165, v88
	v_mul_i32_i24_e32 v185, v166, v89
	v_mov_b32_e32 v89, v102
	v_mov_b32_e32 v88, v98
	v_add3_u32 v183, v183, v186, v187
	v_mul_i32_i24_e32 v186, v167, v98
	v_mul_i32_i24_e32 v187, v168, v102
	v_mov_b32_e32 v102, v129
	v_mov_b32_e32 v98, v104
	v_add3_u32 v183, v183, v184, v185
	v_mul_i32_i24_e32 v184, v169, v104
	v_mul_i32_i24_e32 v185, v170, v129
	s_waitcnt vmcnt(2)
	v_fma_mix_f32 v182, v32, v1, v182 op_sel:[0,1,0] op_sel_hi:[0,1,0]
	v_mov_b32_e32 v137, v140
	v_add3_u32 v183, v183, v186, v187
	v_mul_i32_i24_e32 v186, v171, v145
	v_mul_i32_i24_e32 v187, v152, v147
	v_mul_f32_e32 v182, v182, v16
	v_mov_b32_e32 v104, v145
	v_add3_u32 v183, v183, v184, v185
	v_mul_i32_i24_e32 v184, v172, v146
	v_mul_i32_i24_e32 v185, v173, v45
	v_dual_mov_b32 v145, v146 :: v_dual_mov_b32 v140, v143
	s_delay_alu instid0(VALU_DEP_4) | instskip(SKIP_3) | instid1(VALU_DEP_4)
	v_add3_u32 v183, v183, v186, v187
	v_mul_i32_i24_e32 v186, v174, v53
	v_mul_i32_i24_e32 v187, v153, v134
	v_dual_mov_b32 v143, v246 :: v_dual_mov_b32 v146, v45
	v_add3_u32 v183, v183, v184, v185
	v_mul_i32_i24_e32 v184, v175, v133
	v_mul_i32_i24_e32 v185, v176, v131
	v_mov_b32_e32 v45, v53
	v_mov_b32_e32 v53, v33
	v_add3_u32 v183, v183, v186, v187
	v_mul_i32_i24_e32 v186, v177, v69
	v_mul_i32_i24_e32 v187, v154, v151
	v_dual_mov_b32 v69, v35 :: v_dual_mov_b32 v246, v62
	s_delay_alu instid0(VALU_DEP_4) | instskip(SKIP_2) | instid1(VALU_DEP_3)
	v_add3_u32 v183, v183, v184, v185
	v_mul_i32_i24_e32 v184, v178, v215
	v_mul_i32_i24_e32 v185, v179, v71
	v_add3_u32 v183, v183, v186, v187
	v_mul_i32_i24_e32 v187, v155, v254
	v_mul_i32_i24_e32 v186, v180, v62
	v_mov_b32_e32 v62, v7
	s_delay_alu instid0(VALU_DEP_4) | instskip(NEXT) | instid1(VALU_DEP_1)
	v_add3_u32 v183, v183, v184, v185
	v_add3_u32 v183, v183, v186, v187
	s_delay_alu instid0(VALU_DEP_1) | instskip(NEXT) | instid1(VALU_DEP_1)
	v_mul_lo_u32 v183, v183, v255
	v_cvt_f32_i32_e32 v183, v183
	s_delay_alu instid0(VALU_DEP_1) | instskip(NEXT) | instid1(VALU_DEP_1)
	v_fma_mix_f32 v181, v1, v183, v181 op_sel_hi:[1,0,0]
	v_fma_f32 v181, v181, v6, -v182
	s_delay_alu instid0(VALU_DEP_1)
	v_add_f32_e32 v212, v212, v181
	s_waitcnt vmcnt(1)
	v_mul_i32_i24_e32 v23, v120, v5
	scratch_load_b32 v5, off, off offset:316 ; 4-byte Folded Reload
	v_mov_b32_e32 v120, v207
	s_waitcnt vmcnt(0)
	v_mul_i32_i24_e32 v70, v121, v5
	scratch_load_b32 v5, off, off offset:336 ; 4-byte Folded Reload
	v_mov_b32_e32 v121, v208
	v_add3_u32 v4, v4, v23, v70
	v_mul_i32_i24_e32 v23, v124, v128
	v_mov_b32_e32 v124, v130
	s_delay_alu instid0(VALU_DEP_2)
	v_mad_i32_i24 v23, v125, v44, v23
	v_mov_b32_e32 v125, v24
	s_waitcnt vmcnt(0)
	v_mul_i32_i24_e32 v72, v122, v5
	scratch_load_b32 v5, off, off offset:320 ; 4-byte Folded Reload
	v_mov_b32_e32 v122, v209
	s_waitcnt vmcnt(0)
	v_mul_i32_i24_e32 v73, v123, v5
	scratch_load_b32 v5, off, off offset:324 ; 4-byte Folded Reload
	v_mov_b32_e32 v123, v210
	v_add3_u32 v4, v4, v72, v73
	v_mul_i32_i24_e32 v72, v156, v7
	v_mul_i32_i24_e32 v73, v159, v47
	s_waitcnt vmcnt(0)
	s_delay_alu instid0(VALU_DEP_3) | instskip(SKIP_2) | instid1(VALU_DEP_1)
	v_mul_lo_u32 v4, v4, v5
	scratch_load_b32 v5, off, off offset:328 ; 4-byte Folded Reload
	v_cvt_f32_i32_e32 v4, v4
	v_fma_mix_f32 v4, v0, v4, 0 op_sel_hi:[1,0,0]
	s_waitcnt vmcnt(0)
	v_fma_mix_f32 v0, v5, v0, 0 op_sel:[0,1,0] op_sel_hi:[0,1,0]
	scratch_load_b32 v5, off, off offset:44 ; 4-byte Folded Reload
	v_fma_mix_f32 v0, v132, v1, v0 op_sel:[0,1,0] op_sel_hi:[0,1,0]
	s_delay_alu instid0(VALU_DEP_1)
	v_dual_mov_b32 v129, v147 :: v_dual_mul_f32 v0, v0, v130
	s_waitcnt vmcnt(0)
	v_mul_i32_i24_e32 v70, v126, v5
	scratch_load_b32 v5, off, off offset:260 ; 4-byte Folded Reload
	v_add3_u32 v23, v23, v70, v72
	v_mul_i32_i24_e32 v70, v157, v43
	v_mul_i32_i24_e32 v72, v158, v40
	s_delay_alu instid0(VALU_DEP_1) | instskip(SKIP_2) | instid1(VALU_DEP_3)
	v_add3_u32 v23, v23, v70, v72
	v_mul_i32_i24_e32 v70, v161, v209
	v_mul_i32_i24_e32 v72, v162, v210
	v_add3_u32 v23, v23, v73, v74
	v_mul_i32_i24_e32 v73, v163, v8
	v_mul_i32_i24_e32 v74, v164, v9
	s_delay_alu instid0(VALU_DEP_3) | instskip(SKIP_2) | instid1(VALU_DEP_3)
	v_add3_u32 v23, v23, v70, v72
	v_mul_i32_i24_e32 v70, v165, v205
	v_mul_i32_i24_e32 v72, v166, v206
	v_add3_u32 v23, v23, v73, v74
	v_mul_i32_i24_e32 v73, v167, v207
	v_mul_i32_i24_e32 v74, v168, v208
	s_delay_alu instid0(VALU_DEP_3) | instskip(SKIP_2) | instid1(VALU_DEP_3)
	;; [unrolled: 7-line block ×5, first 2 shown]
	v_add3_u32 v23, v23, v70, v72
	v_mul_i32_i24_e32 v70, v178, v189
	v_mul_i32_i24_e32 v72, v179, v190
	v_add3_u32 v23, v23, v73, v74
	v_mul_i32_i24_e32 v73, v180, v191
	v_mul_i32_i24_e32 v74, v155, v192
	ds_load_b128 v[152:155], v216 offset:7168
	v_add3_u32 v23, v23, v70, v72
	s_delay_alu instid0(VALU_DEP_1) | instskip(NEXT) | instid1(VALU_DEP_1)
	v_add3_u32 v23, v23, v73, v74
	v_mul_lo_u32 v23, v23, v188
	s_delay_alu instid0(VALU_DEP_1)
	v_cvt_f32_i32_e32 v23, v23
	s_waitcnt lgkmcnt(0)
	v_bfe_i32 v209, v152, 16, 8
	v_bfe_i32 v208, v152, 0, 8
	;; [unrolled: 1-line block ×3, first 2 shown]
	v_ashrrev_i32_e32 v210, 24, v152
	v_fma_mix_f32 v4, v1, v23, v4 op_sel_hi:[1,0,0]
	v_bfe_i32 v187, v153, 0, 8
	v_bfe_i32 v188, v153, 8, 8
	;; [unrolled: 1-line block ×3, first 2 shown]
	v_mul_i32_i24_e32 v72, v210, v211
	v_fma_f32 v0, v4, v24, -v0
	scratch_load_b32 v4, off, off offset:588 ; 4-byte Folded Reload
	v_ashrrev_i32_e32 v190, 24, v153
	v_bfe_i32 v183, v154, 0, 8
	v_bfe_i32 v184, v154, 8, 8
	;; [unrolled: 1-line block ×3, first 2 shown]
	v_ashrrev_i32_e32 v186, 24, v154
	v_bfe_i32 v180, v155, 8, 8
	v_bfe_i32 v181, v155, 16, 8
	v_ashrrev_i32_e32 v182, 24, v155
	v_bfe_i32 v179, v155, 0, 8
	ds_load_b128 v[152:155], v216 offset:7184
	v_dual_mov_b32 v147, v134 :: v_dual_add_f32 v76, v76, v0
	v_mov_b32_e32 v134, v133
	s_waitcnt lgkmcnt(0)
	v_bfe_i32 v203, v152, 0, 8
	v_bfe_i32 v204, v152, 8, 8
	v_bfe_i32 v205, v152, 16, 8
	v_ashrrev_i32_e32 v206, 24, v152
	v_bfe_i32 v199, v153, 0, 8
	v_bfe_i32 v200, v153, 8, 8
	v_bfe_i32 v201, v153, 16, 8
	v_ashrrev_i32_e32 v202, 24, v153
	;; [unrolled: 4-line block ×4, first 2 shown]
	ds_load_b128 v[152:155], v216 offset:7200
	v_mul_i32_i24_e32 v7, v197, v247
	s_waitcnt lgkmcnt(0)
	v_bfe_i32 v176, v152, 0, 8
	v_bfe_i32 v175, v152, 8, 8
	v_bfe_i32 v177, v152, 16, 8
	v_ashrrev_i32_e32 v178, 24, v152
	v_bfe_i32 v171, v153, 0, 8
	v_bfe_i32 v172, v153, 8, 8
	v_bfe_i32 v173, v153, 16, 8
	v_ashrrev_i32_e32 v174, 24, v153
	;; [unrolled: 4-line block ×4, first 2 shown]
	ds_load_b128 v[152:155], v216 offset:7216
	v_add_nc_u32_e32 v216, 64, v216
	s_waitcnt lgkmcnt(0)
	v_bfe_i32 v159, v152, 0, 8
	v_bfe_i32 v160, v152, 8, 8
	v_bfe_i32 v161, v152, 16, 8
	v_ashrrev_i32_e32 v162, 24, v152
	v_bfe_i32 v130, v153, 0, 8
	v_bfe_i32 v156, v153, 8, 8
	v_bfe_i32 v157, v153, 16, 8
	v_ashrrev_i32_e32 v158, 24, v153
	;; [unrolled: 4-line block ×4, first 2 shown]
	s_waitcnt vmcnt(1)
	v_mul_i32_i24_e32 v23, v209, v5
	scratch_load_b32 v5, off, off offset:232 ; 4-byte Folded Reload
	s_waitcnt vmcnt(1)
	v_mul_i32_i24_e32 v4, v208, v4
	s_waitcnt vmcnt(0)
	s_delay_alu instid0(VALU_DEP_1)
	v_mad_i32_i24 v4, v207, v5, v4
	scratch_load_b32 v5, off, off offset:592 ; 4-byte Folded Reload
	v_add3_u32 v4, v4, v23, v72
	s_waitcnt vmcnt(0)
	v_mul_i32_i24_e32 v23, v187, v5
	scratch_load_b32 v5, off, off offset:248 ; 4-byte Folded Reload
	s_waitcnt vmcnt(0)
	v_mul_i32_i24_e32 v72, v188, v5
	scratch_load_b32 v5, off, off offset:252 ; 4-byte Folded Reload
	v_add3_u32 v4, v4, v23, v72
	s_waitcnt vmcnt(0)
	v_mul_i32_i24_e32 v73, v189, v5
	scratch_load_b32 v5, off, off offset:256 ; 4-byte Folded Reload
	s_waitcnt vmcnt(0)
	v_mul_i32_i24_e32 v75, v190, v5
	scratch_load_b32 v5, off, off offset:596 ; 4-byte Folded Reload
	v_add3_u32 v4, v4, v73, v75
	s_waitcnt vmcnt(0)
	v_mul_i32_i24_e32 v23, v183, v5
	scratch_load_b32 v5, off, off offset:264 ; 4-byte Folded Reload
	s_waitcnt vmcnt(0)
	v_mul_i32_i24_e32 v72, v184, v5
	scratch_load_b32 v5, off, off offset:268 ; 4-byte Folded Reload
	v_add3_u32 v4, v4, v23, v72
	v_mul_i32_i24_e32 v23, v179, v10
	s_waitcnt vmcnt(0)
	v_mul_i32_i24_e32 v73, v185, v5
	scratch_load_b32 v5, off, off offset:600 ; 4-byte Folded Reload
	s_waitcnt vmcnt(0)
	v_mul_i32_i24_e32 v75, v186, v5
	scratch_load_b32 v5, off, off offset:604 ; 4-byte Folded Reload
	v_add3_u32 v4, v4, v73, v75
	s_waitcnt vmcnt(0)
	v_mul_i32_i24_e32 v72, v180, v5
	scratch_load_b32 v5, off, off offset:272 ; 4-byte Folded Reload
	v_add3_u32 v4, v4, v23, v72
	s_waitcnt vmcnt(0)
	v_mul_i32_i24_e32 v73, v181, v5
	scratch_load_b32 v5, off, off offset:276 ; 4-byte Folded Reload
	s_waitcnt vmcnt(0)
	v_mul_i32_i24_e32 v75, v182, v5
	scratch_load_b32 v5, off, off offset:280 ; 4-byte Folded Reload
	v_add3_u32 v4, v4, v73, v75
	s_waitcnt vmcnt(0)
	v_mul_i32_i24_e32 v23, v203, v5
	scratch_load_b32 v5, off, off offset:608 ; 4-byte Folded Reload
	;; [unrolled: 7-line block ×8, first 2 shown]
	s_waitcnt vmcnt(0)
	v_mul_i32_i24_e32 v72, v192, v5
	scratch_load_b32 v5, off, off offset:632 ; 4-byte Folded Reload
	v_add3_u32 v4, v4, v23, v72
	scratch_load_b32 v72, off, off offset:1180 ; 4-byte Folded Reload
	s_waitcnt vmcnt(1)
	v_mul_i32_i24_e32 v73, v193, v5
	scratch_load_b32 v5, off, off offset:636 ; 4-byte Folded Reload
	s_waitcnt vmcnt(0)
	v_mul_i32_i24_e32 v75, v194, v5
	s_delay_alu instid0(VALU_DEP_1)
	v_add3_u32 v4, v4, v73, v75
	s_clause 0x2
	scratch_load_b32 v75, off, off offset:1264
	scratch_load_b32 v73, off, off offset:1260
	;; [unrolled: 1-line block ×3, first 2 shown]
	s_waitcnt vmcnt(0)
	v_mul_lo_u32 v4, v4, v5
	scratch_load_b32 v5, off, off offset:644 ; 4-byte Folded Reload
	v_cvt_f32_i32_e32 v4, v4
	s_delay_alu instid0(VALU_DEP_1)
	v_fma_mix_f32 v4, v2, v4, 0 op_sel_hi:[1,0,0]
	s_waitcnt vmcnt(0)
	v_fma_mix_f32 v23, v5, v2, 0 op_sel:[0,1,0] op_sel_hi:[0,1,0]
	scratch_load_b32 v5, off, off offset:648 ; 4-byte Folded Reload
	s_waitcnt vmcnt(0)
	v_mul_i32_i24_e32 v24, v176, v5
	scratch_load_b32 v5, off, off offset:964 ; 4-byte Folded Reload
	s_waitcnt vmcnt(0)
	v_mul_i32_i24_e32 v25, v177, v5
	;; [unrolled: 3-line block ×3, first 2 shown]
	scratch_load_b32 v5, off, off offset:220 ; 4-byte Folded Reload
	s_waitcnt vmcnt(0)
	v_mad_i32_i24 v24, v175, v5, v24
	scratch_load_b32 v5, off, off offset:340 ; 4-byte Folded Reload
	v_add3_u32 v24, v24, v25, v27
	s_waitcnt vmcnt(0)
	v_mul_i32_i24_e32 v25, v171, v5
	s_clause 0x1
	scratch_load_b32 v30, off, off offset:1156
	scratch_load_b32 v5, off, off offset:972
	s_waitcnt vmcnt(0)
	v_mul_i32_i24_e32 v26, v172, v5
	s_clause 0x1
	scratch_load_b32 v31, off, off offset:1160
	scratch_load_b32 v5, off, off offset:332
	v_add3_u32 v24, v24, v25, v26
	s_waitcnt vmcnt(0)
	v_mul_i32_i24_e32 v27, v173, v5
	s_clause 0x3
	scratch_load_b32 v32, off, off offset:1164
	scratch_load_b32 v5, off, off offset:652
	;; [unrolled: 1-line block ×4, first 2 shown]
	s_waitcnt vmcnt(2)
	v_mul_i32_i24_e32 v28, v174, v5
	scratch_load_b32 v5, off, off offset:656 ; 4-byte Folded Reload
	v_add3_u32 v24, v24, v27, v28
	s_waitcnt vmcnt(0)
	v_mul_i32_i24_e32 v25, v167, v5
	scratch_load_b32 v5, off, off offset:976 ; 4-byte Folded Reload
	s_waitcnt vmcnt(0)
	v_mul_i32_i24_e32 v26, v168, v5
	scratch_load_b32 v5, off, off offset:660 ; 4-byte Folded Reload
	v_add3_u32 v24, v24, v25, v26
	s_waitcnt vmcnt(0)
	v_mul_i32_i24_e32 v27, v169, v5
	scratch_load_b32 v5, off, off offset:664 ; 4-byte Folded Reload
	;; [unrolled: 7-line block ×10, first 2 shown]
	s_waitcnt vmcnt(0)
	v_mul_i32_i24_e32 v28, v154, v5
	scratch_load_b32 v5, off, off offset:732 ; 4-byte Folded Reload
	v_add3_u32 v24, v24, v27, v28
	s_waitcnt vmcnt(0)
	v_mul_i32_i24_e32 v25, v0, v5
	s_clause 0x3
	scratch_load_b32 v36, off, off offset:1268
	scratch_load_b32 v5, off, off offset:736
	scratch_load_b32 v18, off, off
	scratch_load_b32 v17, off, off offset:184
	v_mov_b32_e32 v39, v6
	v_mul_i32_i24_e32 v6, v152, v249
	s_waitcnt vmcnt(2)
	v_mul_i32_i24_e32 v26, v1, v5
	s_waitcnt vmcnt(1)
	v_add_nc_u32_e32 v18, 32, v18
	scratch_load_b32 v5, off, off offset:740 ; 4-byte Folded Reload
	s_waitcnt vmcnt(1)
	v_add_nc_u32_e32 v17, 8, v17
	v_add3_u32 v24, v24, v25, v26
	s_waitcnt vmcnt(0)
	v_mul_i32_i24_e32 v27, v152, v5
	scratch_load_b32 v5, off, off offset:744 ; 4-byte Folded Reload
	s_waitcnt vmcnt(0)
	v_mul_i32_i24_e32 v28, v70, v5
	scratch_load_b32 v5, off, off offset:748 ; 4-byte Folded Reload
	v_add3_u32 v24, v24, v27, v28
	s_waitcnt vmcnt(0)
	s_delay_alu instid0(VALU_DEP_1) | instskip(SKIP_2) | instid1(VALU_DEP_1)
	v_mul_lo_u32 v24, v24, v5
	scratch_load_b32 v5, off, off offset:752 ; 4-byte Folded Reload
	v_cvt_f32_i32_e32 v24, v24
	v_fma_mix_f32 v4, v3, v24, v4 op_sel_hi:[1,0,0]
	s_waitcnt vmcnt(0)
	v_fma_mix_f32 v23, v5, v3, v23 op_sel:[0,1,0] op_sel_hi:[0,1,0]
	scratch_load_b32 v5, off, off offset:32 ; 4-byte Folded Reload
	v_mul_f32_e32 v23, v23, v11
	v_mul_i32_i24_e32 v11, v173, v223
	s_delay_alu instid0(VALU_DEP_2) | instskip(SKIP_1) | instid1(VALU_DEP_2)
	v_fma_f32 v4, v4, v12, -v23
	v_mul_i32_i24_e32 v12, v174, v224
	v_add_f32_e32 v33, v33, v4
	scratch_load_b32 v4, off, off offset:584 ; 4-byte Folded Reload
	s_waitcnt vmcnt(1)
	v_mul_i32_i24_e32 v23, v209, v5
	scratch_load_b32 v5, off, off offset:236 ; 4-byte Folded Reload
	s_waitcnt vmcnt(1)
	v_mul_i32_i24_e32 v4, v208, v4
	s_waitcnt vmcnt(0)
	v_mul_i32_i24_e32 v24, v210, v5
	scratch_load_b32 v5, off, off offset:240 ; 4-byte Folded Reload
	s_waitcnt vmcnt(0)
	v_mad_i32_i24 v4, v207, v5, v4
	scratch_load_b32 v5, off, off offset:36 ; 4-byte Folded Reload
	v_add3_u32 v4, v4, v23, v24
	s_waitcnt vmcnt(0)
	v_mul_i32_i24_e32 v23, v187, v5
	scratch_load_b32 v5, off, off offset:28 ; 4-byte Folded Reload
	s_waitcnt vmcnt(0)
	v_mul_i32_i24_e32 v24, v188, v5
	scratch_load_b32 v5, off, off offset:144 ; 4-byte Folded Reload
	v_add3_u32 v4, v4, v23, v24
	s_waitcnt vmcnt(0)
	v_mul_i32_i24_e32 v25, v189, v5
	scratch_load_b32 v5, off, off offset:148 ; 4-byte Folded Reload
	s_waitcnt vmcnt(0)
	v_mul_i32_i24_e32 v26, v190, v5
	;; [unrolled: 7-line block ×5, first 2 shown]
	scratch_load_b32 v5, off, off offset:164 ; 4-byte Folded Reload
	v_add3_u32 v4, v4, v23, v24
	v_mul_i32_i24_e32 v23, v203, v227
	s_waitcnt vmcnt(0)
	v_mul_i32_i24_e32 v25, v181, v5
	scratch_load_b32 v5, off, off offset:520 ; 4-byte Folded Reload
	s_waitcnt vmcnt(0)
	v_mul_i32_i24_e32 v26, v182, v5
	scratch_load_b32 v5, off, off offset:12 ; 4-byte Folded Reload
	v_add3_u32 v4, v4, v25, v26
	s_waitcnt vmcnt(0)
	v_mul_i32_i24_e32 v24, v204, v5
	scratch_load_b32 v5, off, off offset:124 ; 4-byte Folded Reload
	v_add3_u32 v4, v4, v23, v24
	v_mul_i32_i24_e32 v24, v200, v213
	s_waitcnt vmcnt(0)
	v_mul_i32_i24_e32 v25, v205, v5
	scratch_load_b32 v5, off, off offset:168 ; 4-byte Folded Reload
	s_waitcnt vmcnt(0)
	v_mul_i32_i24_e32 v26, v206, v5
	scratch_load_b32 v5, off, off offset:132 ; 4-byte Folded Reload
	v_add3_u32 v4, v4, v25, v26
	v_mul_i32_i24_e32 v26, v202, v244
	s_waitcnt vmcnt(0)
	v_mul_i32_i24_e32 v23, v199, v5
	scratch_load_b32 v5, off, off offset:880 ; 4-byte Folded Reload
	v_add3_u32 v4, v4, v23, v24
	v_mul_i32_i24_e32 v24, v196, v59
	s_waitcnt vmcnt(0)
	v_mul_i32_i24_e32 v25, v201, v5
	scratch_load_b32 v5, off, off offset:172 ; 4-byte Folded Reload
	v_add3_u32 v4, v4, v25, v26
	s_waitcnt vmcnt(0)
	v_mul_i32_i24_e32 v23, v195, v5
	scratch_load_b32 v5, off, off offset:928 ; 4-byte Folded Reload
	v_add3_u32 v4, v4, v23, v24
	;; [unrolled: 4-line block ×3, first 2 shown]
	s_waitcnt vmcnt(0)
	v_mul_i32_i24_e32 v7, v191, v5
	scratch_load_b32 v5, off, off offset:536 ; 4-byte Folded Reload
	s_waitcnt vmcnt(0)
	v_mul_i32_i24_e32 v8, v192, v5
	scratch_load_b32 v5, off, off offset:176 ; 4-byte Folded Reload
	v_add3_u32 v4, v4, v7, v8
	v_fma_mix_f32 v7, v217, v2, 0 op_sel:[0,1,0] op_sel_hi:[0,1,0]
	s_waitcnt vmcnt(0)
	v_mul_i32_i24_e32 v9, v193, v5
	scratch_load_b32 v5, off, off offset:932 ; 4-byte Folded Reload
	s_waitcnt vmcnt(0)
	v_mul_i32_i24_e32 v10, v194, v5
	scratch_load_b32 v5, off, off offset:540 ; 4-byte Folded Reload
	v_add3_u32 v4, v4, v9, v10
	v_mul_i32_i24_e32 v9, v177, v220
	v_mul_i32_i24_e32 v10, v178, v222
	s_waitcnt vmcnt(0)
	s_delay_alu instid0(VALU_DEP_3) | instskip(SKIP_2) | instid1(VALU_DEP_1)
	v_mul_lo_u32 v4, v4, v5
	scratch_load_b32 v5, off, off offset:804 ; 4-byte Folded Reload
	v_cvt_f32_i32_e32 v4, v4
	v_fma_mix_f32 v4, v2, v4, 0 op_sel_hi:[1,0,0]
	s_waitcnt vmcnt(0)
	v_mul_i32_i24_e32 v8, v176, v5
	scratch_load_b32 v5, off, off offset:128 ; 4-byte Folded Reload
	v_mad_i32_i24 v8, v175, v218, v8
	s_delay_alu instid0(VALU_DEP_1) | instskip(SKIP_4) | instid1(VALU_DEP_2)
	v_add3_u32 v8, v8, v9, v10
	v_mul_i32_i24_e32 v10, v172, v219
	s_waitcnt vmcnt(0)
	v_mul_i32_i24_e32 v9, v171, v5
	v_mul_i32_i24_e32 v5, v70, v250
	v_add3_u32 v8, v8, v9, v10
	v_mul_i32_i24_e32 v9, v167, v225
	v_mul_i32_i24_e32 v10, v168, v226
	s_delay_alu instid0(VALU_DEP_3) | instskip(SKIP_2) | instid1(VALU_DEP_3)
	v_add3_u32 v8, v8, v11, v12
	v_mul_i32_i24_e32 v11, v169, v228
	v_mul_i32_i24_e32 v12, v170, v229
	v_add3_u32 v8, v8, v9, v10
	v_mul_i32_i24_e32 v9, v163, v230
	v_mul_i32_i24_e32 v10, v164, v231
	s_delay_alu instid0(VALU_DEP_3) | instskip(SKIP_2) | instid1(VALU_DEP_3)
	v_add3_u32 v8, v8, v11, v12
	;; [unrolled: 7-line block ×5, first 2 shown]
	v_mul_i32_i24_e32 v11, v153, v94
	v_mul_i32_i24_e32 v12, v154, v245
	v_add3_u32 v8, v8, v9, v10
	v_mul_i32_i24_e32 v9, v0, v103
	v_mul_i32_i24_e32 v10, v1, v248
	s_delay_alu instid0(VALU_DEP_3) | instskip(NEXT) | instid1(VALU_DEP_1)
	v_add3_u32 v8, v8, v11, v12
	v_add3_u32 v8, v8, v9, v10
	v_mul_i32_i24_e32 v9, v173, v57
	v_mul_i32_i24_e32 v10, v174, v67
	s_delay_alu instid0(VALU_DEP_3) | instskip(SKIP_3) | instid1(VALU_DEP_1)
	v_add3_u32 v5, v8, v6, v5
	scratch_load_b32 v6, off, off offset:24 ; 4-byte Folded Reload
	v_mul_i32_i24_e32 v8, v190, v127
	v_mul_lo_u32 v5, v5, v251
	v_cvt_f32_i32_e32 v5, v5
	s_delay_alu instid0(VALU_DEP_1) | instskip(SKIP_3) | instid1(VALU_DEP_1)
	v_fma_mix_f32 v4, v3, v5, v4 op_sel_hi:[1,0,0]
	v_fma_mix_f32 v5, v252, v3, v7 op_sel:[0,1,0] op_sel_hi:[0,1,0]
	scratch_load_b32 v7, off, off offset:140 ; 4-byte Folded Reload
	v_mul_f32_e32 v5, v5, v96
	v_fma_f32 v4, v4, v63, -v5
	v_mov_b32_e32 v133, v215
	scratch_load_b32 v5, off, off offset:20 ; 4-byte Folded Reload
	v_mov_b32_e32 v215, v71
	scratch_load_b32 v71, off, off offset:1176 ; 4-byte Folded Reload
	v_add_f32_e32 v32, v32, v4
	scratch_load_b32 v4, off, off offset:16 ; 4-byte Folded Reload
	s_waitcnt vmcnt(4)
	v_mul_i32_i24_e32 v6, v210, v6
	s_waitcnt vmcnt(2)
	v_mul_i32_i24_e32 v5, v209, v5
	;; [unrolled: 2-line block ×3, first 2 shown]
	s_delay_alu instid0(VALU_DEP_1) | instskip(SKIP_1) | instid1(VALU_DEP_2)
	v_mad_i32_i24 v4, v207, v7, v4
	v_mul_i32_i24_e32 v7, v189, v91
	v_add3_u32 v4, v4, v5, v6
	scratch_load_b32 v6, off, off offset:136 ; 4-byte Folded Reload
	v_mul_i32_i24_e32 v5, v187, v253
	s_waitcnt vmcnt(0)
	v_mul_i32_i24_e32 v6, v188, v6
	s_delay_alu instid0(VALU_DEP_1) | instskip(SKIP_2) | instid1(VALU_DEP_3)
	v_add3_u32 v4, v4, v5, v6
	v_mul_i32_i24_e32 v5, v183, v135
	v_mul_i32_i24_e32 v6, v184, v136
	v_add3_u32 v4, v4, v7, v8
	v_mul_i32_i24_e32 v7, v185, v137
	v_mul_i32_i24_e32 v8, v186, v139
	s_delay_alu instid0(VALU_DEP_3) | instskip(SKIP_2) | instid1(VALU_DEP_3)
	v_add3_u32 v4, v4, v5, v6
	v_mul_i32_i24_e32 v5, v179, v138
	v_mul_i32_i24_e32 v6, v180, v140
	v_add3_u32 v4, v4, v7, v8
	v_mul_i32_i24_e32 v7, v181, v141
	v_mul_i32_i24_e32 v8, v182, v142
	s_delay_alu instid0(VALU_DEP_3) | instskip(SKIP_2) | instid1(VALU_DEP_3)
	;; [unrolled: 7-line block ×4, first 2 shown]
	v_add3_u32 v4, v4, v5, v6
	v_mul_i32_i24_e32 v5, v195, v150
	v_mul_i32_i24_e32 v6, v196, v42
	v_add3_u32 v4, v4, v7, v8
	scratch_load_b32 v7, off, off offset:8  ; 4-byte Folded Reload
	v_mul_i32_i24_e32 v8, v198, v221
	v_add3_u32 v4, v4, v5, v6
	v_mul_i32_i24_e32 v5, v191, v48
	v_mul_i32_i24_e32 v6, v192, v68
	s_waitcnt vmcnt(0)
	v_mul_i32_i24_e32 v7, v197, v7
	s_delay_alu instid0(VALU_DEP_1) | instskip(SKIP_2) | instid1(VALU_DEP_3)
	v_add3_u32 v4, v4, v7, v8
	v_mul_i32_i24_e32 v7, v193, v84
	v_mul_i32_i24_e32 v8, v194, v90
	v_add3_u32 v4, v4, v5, v6
	v_mul_i32_i24_e32 v6, v176, v93
	v_fma_mix_f32 v5, v50, v2, 0 op_sel:[0,1,0] op_sel_hi:[0,1,0]
	s_delay_alu instid0(VALU_DEP_3) | instskip(SKIP_3) | instid1(VALU_DEP_4)
	v_add3_u32 v4, v4, v7, v8
	v_mul_i32_i24_e32 v7, v177, v55
	v_mul_i32_i24_e32 v8, v178, v56
	v_mad_i32_i24 v6, v175, v51, v6
	v_mul_lo_u32 v4, v4, v92
	s_delay_alu instid0(VALU_DEP_2) | instskip(SKIP_3) | instid1(VALU_DEP_1)
	v_add3_u32 v6, v6, v7, v8
	scratch_load_b32 v7, off, off offset:40 ; 4-byte Folded Reload
	v_mul_i32_i24_e32 v8, v172, v54
	v_cvt_f32_i32_e32 v4, v4
	v_fma_mix_f32 v4, v2, v4, 0 op_sel_hi:[1,0,0]
	s_waitcnt vmcnt(0)
	v_mul_i32_i24_e32 v7, v171, v7
	s_delay_alu instid0(VALU_DEP_1) | instskip(SKIP_2) | instid1(VALU_DEP_3)
	v_add3_u32 v6, v6, v7, v8
	v_mul_i32_i24_e32 v7, v167, v60
	v_mul_i32_i24_e32 v8, v168, v82
	v_add3_u32 v6, v6, v9, v10
	v_mul_i32_i24_e32 v9, v169, v83
	v_mul_i32_i24_e32 v10, v170, v85
	s_delay_alu instid0(VALU_DEP_3) | instskip(SKIP_2) | instid1(VALU_DEP_3)
	v_add3_u32 v6, v6, v7, v8
	v_mul_i32_i24_e32 v7, v163, v86
	v_mul_i32_i24_e32 v8, v164, v87
	v_add3_u32 v6, v6, v9, v10
	v_mul_i32_i24_e32 v9, v165, v88
	v_mul_i32_i24_e32 v10, v166, v89
	s_delay_alu instid0(VALU_DEP_3) | instskip(SKIP_2) | instid1(VALU_DEP_3)
	;; [unrolled: 7-line block ×4, first 2 shown]
	v_add3_u32 v6, v6, v7, v8
	v_mul_i32_i24_e32 v7, v74, v134
	v_mul_i32_i24_e32 v8, v126, v131
	v_add3_u32 v6, v6, v9, v10
	scratch_load_b32 v9, off, off offset:380 ; 4-byte Folded Reload
	v_mul_i32_i24_e32 v10, v154, v151
	v_add3_u32 v6, v6, v7, v8
	v_mul_i32_i24_e32 v7, v0, v133
	v_mul_i32_i24_e32 v8, v1, v215
	s_waitcnt vmcnt(0)
	v_mul_i32_i24_e32 v9, v153, v9
	s_delay_alu instid0(VALU_DEP_1) | instskip(SKIP_2) | instid1(VALU_DEP_3)
	v_add3_u32 v6, v6, v9, v10
	v_mul_i32_i24_e32 v9, v152, v246
	v_mul_i32_i24_e32 v10, v70, v254
	v_add3_u32 v6, v6, v7, v8
	scratch_load_b32 v7, off, off offset:4  ; 4-byte Folded Reload
	v_mul_i32_i24_e32 v8, v190, v53
	v_add3_u32 v6, v6, v9, v10
	v_mul_i32_i24_e32 v9, v174, v38
	s_delay_alu instid0(VALU_DEP_2) | instskip(NEXT) | instid1(VALU_DEP_1)
	v_mul_lo_u32 v6, v6, v255
	v_cvt_f32_i32_e32 v6, v6
	s_delay_alu instid0(VALU_DEP_1)
	v_fma_mix_f32 v4, v3, v6, v4 op_sel_hi:[1,0,0]
	scratch_load_b32 v6, off, off offset:244 ; 4-byte Folded Reload
	s_waitcnt vmcnt(0)
	v_fma_mix_f32 v5, v6, v3, v5 op_sel:[0,1,0] op_sel_hi:[0,1,0]
	scratch_load_b32 v6, off, off offset:180 ; 4-byte Folded Reload
	v_mul_f32_e32 v5, v5, v16
	s_delay_alu instid0(VALU_DEP_1) | instskip(SKIP_1) | instid1(VALU_DEP_2)
	v_fma_f32 v4, v4, v39, -v5
	v_mul_i32_i24_e32 v5, v209, v46
	v_add_f32_e32 v31, v31, v4
	v_mul_i32_i24_e32 v4, v208, v65
	s_delay_alu instid0(VALU_DEP_1) | instskip(SKIP_3) | instid1(VALU_DEP_1)
	v_mad_i32_i24 v4, v207, v7, v4
	v_mul_i32_i24_e32 v7, v189, v64
	s_waitcnt vmcnt(0)
	v_mul_i32_i24_e32 v6, v210, v6
	v_add3_u32 v4, v4, v5, v6
	v_mul_i32_i24_e32 v5, v187, v66
	v_mul_i32_i24_e32 v6, v188, v69
	s_delay_alu instid0(VALU_DEP_1) | instskip(SKIP_2) | instid1(VALU_DEP_3)
	v_add3_u32 v4, v4, v5, v6
	v_mul_i32_i24_e32 v5, v183, v13
	v_mul_i32_i24_e32 v6, v184, v14
	v_add3_u32 v4, v4, v7, v8
	v_mul_i32_i24_e32 v7, v185, v15
	v_mul_i32_i24_e32 v8, v186, v77
	s_delay_alu instid0(VALU_DEP_3) | instskip(SKIP_2) | instid1(VALU_DEP_3)
	v_add3_u32 v4, v4, v5, v6
	v_mul_i32_i24_e32 v5, v179, v61
	v_mul_i32_i24_e32 v6, v180, v78
	v_add3_u32 v4, v4, v7, v8
	v_mul_i32_i24_e32 v7, v181, v79
	v_mul_i32_i24_e32 v8, v182, v41
	s_delay_alu instid0(VALU_DEP_3) | instskip(SKIP_2) | instid1(VALU_DEP_3)
	;; [unrolled: 7-line block ×4, first 2 shown]
	v_add3_u32 v4, v4, v5, v6
	v_mul_i32_i24_e32 v5, v195, v105
	v_mul_i32_i24_e32 v6, v196, v106
	v_add3_u32 v4, v4, v7, v8
	v_mul_i32_i24_e32 v7, v197, v107
	v_mul_i32_i24_e32 v8, v198, v108
	s_delay_alu instid0(VALU_DEP_3)
	v_add3_u32 v4, v4, v5, v6
	s_clause 0x1
	scratch_load_b32 v5, off, off offset:312
	scratch_load_b32 v6, off, off offset:316
	v_add3_u32 v4, v4, v7, v8
	s_clause 0x1
	scratch_load_b32 v7, off, off offset:336
	scratch_load_b32 v8, off, off offset:320
	s_waitcnt vmcnt(3)
	v_mul_i32_i24_e32 v5, v191, v5
	s_waitcnt vmcnt(2)
	v_mul_i32_i24_e32 v6, v192, v6
	;; [unrolled: 2-line block ×3, first 2 shown]
	s_delay_alu instid0(VALU_DEP_2)
	v_add3_u32 v4, v4, v5, v6
	s_clause 0x1
	scratch_load_b32 v5, off, off offset:324
	scratch_load_b32 v6, off, off offset:44
	s_waitcnt vmcnt(2)
	v_mul_i32_i24_e32 v8, v194, v8
	s_delay_alu instid0(VALU_DEP_1) | instskip(SKIP_3) | instid1(VALU_DEP_3)
	v_add3_u32 v4, v4, v7, v8
	v_mul_i32_i24_e32 v7, v178, v62
	v_mul_i32_i24_e32 v8, v173, v47
	s_waitcnt vmcnt(1)
	v_mul_lo_u32 v4, v4, v5
	scratch_load_b32 v5, off, off offset:328 ; 4-byte Folded Reload
	s_waitcnt vmcnt(1)
	v_mul_i32_i24_e32 v6, v177, v6
	v_cvt_f32_i32_e32 v4, v4
	s_delay_alu instid0(VALU_DEP_1) | instskip(SKIP_3) | instid1(VALU_DEP_1)
	v_fma_mix_f32 v4, v2, v4, 0 op_sel_hi:[1,0,0]
	s_waitcnt vmcnt(0)
	v_fma_mix_f32 v2, v5, v2, 0 op_sel:[0,1,0] op_sel_hi:[0,1,0]
	v_mul_i32_i24_e32 v5, v176, v128
	v_mad_i32_i24 v5, v175, v44, v5
	s_delay_alu instid0(VALU_DEP_1) | instskip(SKIP_2) | instid1(VALU_DEP_1)
	v_add3_u32 v5, v5, v6, v7
	v_mul_i32_i24_e32 v6, v171, v43
	v_mul_i32_i24_e32 v7, v172, v40
	v_add3_u32 v5, v5, v6, v7
	v_mul_i32_i24_e32 v6, v167, v122
	v_mul_i32_i24_e32 v7, v168, v123
	s_delay_alu instid0(VALU_DEP_3) | instskip(SKIP_2) | instid1(VALU_DEP_3)
	v_add3_u32 v5, v5, v8, v9
	v_mul_i32_i24_e32 v8, v169, v110
	v_mul_i32_i24_e32 v9, v170, v109
	v_add3_u32 v5, v5, v6, v7
	v_mul_i32_i24_e32 v6, v166, v121
	s_delay_alu instid0(VALU_DEP_2) | instskip(SKIP_3) | instid1(VALU_DEP_2)
	v_add3_u32 v7, v5, v8, v9
	v_mul_i32_i24_e32 v8, v163, v118
	v_mul_i32_i24_e32 v9, v164, v119
	;; [unrolled: 1-line block ×3, first 2 shown]
	v_add3_u32 v7, v7, v8, v9
	v_mul_i32_i24_e32 v8, v161, v116
	v_mul_i32_i24_e32 v9, v162, v117
	s_delay_alu instid0(VALU_DEP_3) | instskip(SKIP_2) | instid1(VALU_DEP_1)
	v_add3_u32 v5, v7, v5, v6
	v_mul_i32_i24_e32 v6, v159, v114
	v_mul_i32_i24_e32 v7, v160, v115
	v_add3_u32 v5, v5, v6, v7
	v_mul_i32_i24_e32 v6, v130, v29
	v_mul_i32_i24_e32 v7, v156, v111
	s_delay_alu instid0(VALU_DEP_3) | instskip(SKIP_2) | instid1(VALU_DEP_3)
	v_add3_u32 v5, v5, v8, v9
	v_mul_i32_i24_e32 v8, v157, v112
	v_mul_i32_i24_e32 v9, v158, v113
	v_add3_u32 v5, v5, v6, v7
	s_clause 0x1
	scratch_load_b32 v6, off, off offset:204
	scratch_load_b32 v7, off, off offset:208
	v_add3_u32 v5, v5, v8, v9
	s_clause 0x1
	scratch_load_b32 v8, off, off offset:212
	scratch_load_b32 v9, off, off offset:216
	s_waitcnt vmcnt(3)
	v_mul_i32_i24_e32 v6, v74, v6
	s_waitcnt vmcnt(2)
	v_mul_i32_i24_e32 v7, v126, v7
	;; [unrolled: 2-line block ×3, first 2 shown]
	s_delay_alu instid0(VALU_DEP_2)
	v_add3_u32 v5, v5, v6, v7
	s_clause 0x1
	scratch_load_b32 v6, off, off offset:188
	scratch_load_b32 v7, off, off offset:196
	s_waitcnt vmcnt(2)
	v_mul_i32_i24_e32 v9, v154, v9
	s_delay_alu instid0(VALU_DEP_1)
	v_add3_u32 v5, v5, v8, v9
	s_waitcnt vmcnt(1)
	v_mul_i32_i24_e32 v0, v0, v6
	scratch_load_b32 v6, off, off offset:192 ; 4-byte Folded Reload
	s_waitcnt vmcnt(1)
	v_mul_i32_i24_e32 v7, v70, v7
	s_waitcnt vmcnt(0)
	v_mul_i32_i24_e32 v1, v1, v6
	scratch_load_b32 v6, off, off offset:200 ; 4-byte Folded Reload
	v_add3_u32 v0, v5, v0, v1
	scratch_load_b32 v1, off, off offset:544 ; 4-byte Folded Reload
	s_waitcnt vmcnt(1)
	v_mul_i32_i24_e32 v6, v152, v6
	s_delay_alu instid0(VALU_DEP_1) | instskip(SKIP_1) | instid1(VALU_DEP_1)
	v_add3_u32 v0, v0, v6, v7
	s_waitcnt vmcnt(0)
	v_mul_lo_u32 v0, v0, v1
	v_fma_mix_f32 v1, v132, v3, v2 op_sel:[0,1,0] op_sel_hi:[0,1,0]
	s_delay_alu instid0(VALU_DEP_1) | instskip(NEXT) | instid1(VALU_DEP_3)
	v_mul_f32_e32 v1, v1, v124
	v_cvt_f32_i32_e32 v0, v0
	s_delay_alu instid0(VALU_DEP_1) | instskip(NEXT) | instid1(VALU_DEP_1)
	v_fma_mix_f32 v0, v3, v0, v4 op_sel_hi:[1,0,0]
	v_fma_f32 v0, v0, v125, -v1
	s_delay_alu instid0(VALU_DEP_1)
	v_add_f32_e32 v30, v30, v0
	s_cbranch_scc1 .LBB172_7
; %bb.8:                                ;   in Loop: Header=BB172_6 Depth=2
	s_mov_b32 s15, 1
	s_and_b32 vcc_lo, exec_lo, s14
	s_mov_b32 s14, 0
	s_waitcnt_vscnt null, 0x0
	s_barrier
	buffer_gl0_inv
	s_cbranch_vccz .LBB172_6
; %bb.9:                                ;   in Loop: Header=BB172_5 Depth=1
	s_add_i32 s5, s5, 1
	s_delay_alu instid0(SALU_CYCLE_1)
	s_cmp_eq_u32 s5, s4
	s_cbranch_scc0 .LBB172_5
; %bb.10:
	s_clause 0x2
	scratch_load_b32 v1, off, off offset:1636
	scratch_load_b32 v0, off, off offset:1280
	;; [unrolled: 1-line block ×3, first 2 shown]
.LBB172_11:
	s_mov_b32 s0, exec_lo
	s_waitcnt vmcnt(0)
	v_cmpx_gt_u32_e64 s6, v2
	s_cbranch_execz .LBB172_62
; %bb.12:
	v_add_nc_u32_e32 v0, s12, v0
	v_mul_lo_u32 v5, v2, s10
	s_delay_alu instid0(VALU_DEP_2)
	v_cmp_gt_u32_e32 vcc_lo, s10, v0
	s_and_saveexec_b32 s1, vcc_lo
	s_cbranch_execz .LBB172_14
; %bb.13:
	v_bfe_u32 v3, v71, 16, 1
	s_delay_alu instid0(VALU_DEP_3) | instskip(SKIP_1) | instid1(VALU_DEP_3)
	v_add_nc_u32_e32 v2, v0, v5
	v_cmp_o_f32_e64 s0, v71, v71
	v_add3_u32 v4, v71, v3, 0x7fff
	v_mov_b32_e32 v3, 0
	s_delay_alu instid0(VALU_DEP_2) | instskip(NEXT) | instid1(VALU_DEP_2)
	v_lshrrev_b32_e32 v4, 16, v4
	v_lshlrev_b64 v[2:3], 1, v[2:3]
	s_delay_alu instid0(VALU_DEP_2) | instskip(SKIP_1) | instid1(VALU_DEP_2)
	v_cndmask_b32_e64 v4, 0x7fc0, v4, s0
	s_waitcnt lgkmcnt(0)
	v_add_co_u32 v2, s0, s8, v2
	s_delay_alu instid0(VALU_DEP_1)
	v_add_co_ci_u32_e64 v3, s0, s9, v3, s0
	global_store_b16 v[2:3], v4, off
.LBB172_14:
	s_or_b32 exec_lo, exec_lo, s1
	v_add_nc_u32_e32 v2, 32, v0
	s_delay_alu instid0(VALU_DEP_1) | instskip(NEXT) | instid1(VALU_DEP_1)
	v_cmp_gt_u32_e64 s0, s10, v2
	s_and_saveexec_b32 s2, s0
	s_cbranch_execz .LBB172_16
; %bb.15:
	v_bfe_u32 v4, v72, 16, 1
	v_add_nc_u32_e32 v3, v2, v5
	v_cmp_o_f32_e64 s1, v72, v72
	s_delay_alu instid0(VALU_DEP_3) | instskip(SKIP_1) | instid1(VALU_DEP_2)
	v_add3_u32 v6, v72, v4, 0x7fff
	v_mov_b32_e32 v4, 0
	v_lshrrev_b32_e32 v6, 16, v6
	s_delay_alu instid0(VALU_DEP_2) | instskip(NEXT) | instid1(VALU_DEP_2)
	v_lshlrev_b64 v[3:4], 1, v[3:4]
	v_cndmask_b32_e64 v6, 0x7fc0, v6, s1
	s_waitcnt lgkmcnt(0)
	s_delay_alu instid0(VALU_DEP_2) | instskip(NEXT) | instid1(VALU_DEP_1)
	v_add_co_u32 v3, s1, s8, v3
	v_add_co_ci_u32_e64 v4, s1, s9, v4, s1
	global_store_b16 v[3:4], v6, off
.LBB172_16:
	s_or_b32 exec_lo, exec_lo, s2
	v_add_nc_u32_e32 v3, 64, v0
	s_delay_alu instid0(VALU_DEP_1) | instskip(NEXT) | instid1(VALU_DEP_1)
	v_cmp_gt_u32_e64 s1, s10, v3
	s_and_saveexec_b32 s3, s1
	s_cbranch_execz .LBB172_18
; %bb.17:
	scratch_load_b32 v8, off, off offset:1064 ; 4-byte Folded Reload
	v_dual_mov_b32 v7, 0 :: v_dual_add_nc_u32 v6, v3, v5
	s_delay_alu instid0(VALU_DEP_1) | instskip(SKIP_3) | instid1(VALU_DEP_2)
	v_lshlrev_b64 v[6:7], 1, v[6:7]
	s_waitcnt vmcnt(0)
	v_bfe_u32 v4, v8, 16, 1
	v_cmp_o_f32_e64 s2, v8, v8
	v_add3_u32 v4, v8, v4, 0x7fff
	s_delay_alu instid0(VALU_DEP_1) | instskip(NEXT) | instid1(VALU_DEP_1)
	v_lshrrev_b32_e32 v4, 16, v4
	v_cndmask_b32_e64 v4, 0x7fc0, v4, s2
	s_waitcnt lgkmcnt(0)
	v_add_co_u32 v6, s2, s8, v6
	s_delay_alu instid0(VALU_DEP_1)
	v_add_co_ci_u32_e64 v7, s2, s9, v7, s2
	global_store_b16 v[6:7], v4, off
.LBB172_18:
	s_or_b32 exec_lo, exec_lo, s3
	v_add_nc_u32_e32 v4, 0x60, v0
	s_delay_alu instid0(VALU_DEP_1) | instskip(NEXT) | instid1(VALU_DEP_1)
	v_cmp_gt_u32_e64 s2, s10, v4
	s_and_saveexec_b32 s4, s2
	s_cbranch_execz .LBB172_20
; %bb.19:
	scratch_load_b32 v8, off, off offset:1068 ; 4-byte Folded Reload
	v_add_nc_u32_e32 v5, v4, v5
	s_waitcnt vmcnt(0)
	v_bfe_u32 v6, v8, 16, 1
	v_cmp_o_f32_e64 s3, v8, v8
	s_delay_alu instid0(VALU_DEP_2) | instskip(SKIP_1) | instid1(VALU_DEP_2)
	v_add3_u32 v7, v8, v6, 0x7fff
	v_mov_b32_e32 v6, 0
	v_lshrrev_b32_e32 v7, 16, v7
	s_delay_alu instid0(VALU_DEP_2) | instskip(NEXT) | instid1(VALU_DEP_2)
	v_lshlrev_b64 v[5:6], 1, v[5:6]
	v_cndmask_b32_e64 v7, 0x7fc0, v7, s3
	s_waitcnt lgkmcnt(0)
	s_delay_alu instid0(VALU_DEP_2) | instskip(NEXT) | instid1(VALU_DEP_1)
	v_add_co_u32 v5, s3, s8, v5
	v_add_co_ci_u32_e64 v6, s3, s9, v6, s3
	global_store_b16 v[5:6], v7, off
.LBB172_20:
	s_or_b32 exec_lo, exec_lo, s4
	v_add3_u32 v5, v1, s11, 8
	s_delay_alu instid0(VALU_DEP_1) | instskip(NEXT) | instid1(VALU_DEP_1)
	v_cmp_gt_u32_e64 s3, s6, v5
	s_and_b32 exec_lo, exec_lo, s3
	s_cbranch_execz .LBB172_62
; %bb.21:
	v_mul_lo_u32 v5, v5, s10
	s_and_saveexec_b32 s4, vcc_lo
	s_cbranch_execnz .LBB172_63
; %bb.22:
	s_or_b32 exec_lo, exec_lo, s4
	s_and_saveexec_b32 s4, s0
	s_cbranch_execnz .LBB172_64
.LBB172_23:
	s_or_b32 exec_lo, exec_lo, s4
	s_and_saveexec_b32 s4, s1
	s_cbranch_execnz .LBB172_65
.LBB172_24:
	s_or_b32 exec_lo, exec_lo, s4
	s_and_saveexec_b32 s4, s2
	s_cbranch_execz .LBB172_26
.LBB172_25:
	scratch_load_b32 v8, off, off offset:1072 ; 4-byte Folded Reload
	v_add_nc_u32_e32 v5, v5, v4
	s_waitcnt vmcnt(0)
	v_bfe_u32 v6, v8, 16, 1
	v_cmp_o_f32_e64 s3, v8, v8
	s_delay_alu instid0(VALU_DEP_2) | instskip(SKIP_1) | instid1(VALU_DEP_2)
	v_add3_u32 v7, v8, v6, 0x7fff
	v_mov_b32_e32 v6, 0
	v_lshrrev_b32_e32 v7, 16, v7
	s_delay_alu instid0(VALU_DEP_2) | instskip(NEXT) | instid1(VALU_DEP_2)
	v_lshlrev_b64 v[5:6], 1, v[5:6]
	v_cndmask_b32_e64 v7, 0x7fc0, v7, s3
	s_waitcnt lgkmcnt(0)
	s_delay_alu instid0(VALU_DEP_2) | instskip(NEXT) | instid1(VALU_DEP_1)
	v_add_co_u32 v5, s3, s8, v5
	v_add_co_ci_u32_e64 v6, s3, s9, v6, s3
	global_store_b16 v[5:6], v7, off
.LBB172_26:
	s_or_b32 exec_lo, exec_lo, s4
	v_add3_u32 v5, v1, s11, 16
	s_delay_alu instid0(VALU_DEP_1) | instskip(NEXT) | instid1(VALU_DEP_1)
	v_cmp_gt_u32_e64 s3, s6, v5
	s_and_b32 exec_lo, exec_lo, s3
	s_cbranch_execz .LBB172_62
; %bb.27:
	v_mul_lo_u32 v5, v5, s10
	s_and_saveexec_b32 s4, vcc_lo
	s_cbranch_execnz .LBB172_66
; %bb.28:
	s_or_b32 exec_lo, exec_lo, s4
	s_and_saveexec_b32 s4, s0
	s_cbranch_execnz .LBB172_67
.LBB172_29:
	s_or_b32 exec_lo, exec_lo, s4
	s_and_saveexec_b32 s4, s1
	s_cbranch_execnz .LBB172_68
.LBB172_30:
	s_or_b32 exec_lo, exec_lo, s4
	s_and_saveexec_b32 s4, s2
	s_cbranch_execz .LBB172_32
.LBB172_31:
	scratch_load_b32 v8, off, off offset:1088 ; 4-byte Folded Reload
	v_add_nc_u32_e32 v5, v5, v4
	s_waitcnt vmcnt(0)
	v_bfe_u32 v6, v8, 16, 1
	v_cmp_o_f32_e64 s3, v8, v8
	s_delay_alu instid0(VALU_DEP_2) | instskip(SKIP_1) | instid1(VALU_DEP_2)
	v_add3_u32 v7, v8, v6, 0x7fff
	v_mov_b32_e32 v6, 0
	v_lshrrev_b32_e32 v7, 16, v7
	s_delay_alu instid0(VALU_DEP_2) | instskip(NEXT) | instid1(VALU_DEP_2)
	v_lshlrev_b64 v[5:6], 1, v[5:6]
	v_cndmask_b32_e64 v7, 0x7fc0, v7, s3
	s_waitcnt lgkmcnt(0)
	s_delay_alu instid0(VALU_DEP_2) | instskip(NEXT) | instid1(VALU_DEP_1)
	v_add_co_u32 v5, s3, s8, v5
	v_add_co_ci_u32_e64 v6, s3, s9, v6, s3
	global_store_b16 v[5:6], v7, off
.LBB172_32:
	s_or_b32 exec_lo, exec_lo, s4
	v_add3_u32 v5, v1, s11, 24
	s_delay_alu instid0(VALU_DEP_1) | instskip(NEXT) | instid1(VALU_DEP_1)
	v_cmp_gt_u32_e64 s3, s6, v5
	s_and_b32 exec_lo, exec_lo, s3
	s_cbranch_execz .LBB172_62
; %bb.33:
	v_mul_lo_u32 v5, v5, s10
	s_and_saveexec_b32 s4, vcc_lo
	s_cbranch_execnz .LBB172_69
; %bb.34:
	s_or_b32 exec_lo, exec_lo, s4
	s_and_saveexec_b32 s4, s0
	s_cbranch_execnz .LBB172_70
.LBB172_35:
	s_or_b32 exec_lo, exec_lo, s4
	s_and_saveexec_b32 s4, s1
	s_cbranch_execnz .LBB172_71
.LBB172_36:
	s_or_b32 exec_lo, exec_lo, s4
	s_and_saveexec_b32 s4, s2
	s_cbranch_execz .LBB172_38
.LBB172_37:
	scratch_load_b32 v8, off, off offset:1104 ; 4-byte Folded Reload
	v_add_nc_u32_e32 v5, v5, v4
	s_waitcnt vmcnt(0)
	v_bfe_u32 v6, v8, 16, 1
	v_cmp_o_f32_e64 s3, v8, v8
	s_delay_alu instid0(VALU_DEP_2) | instskip(SKIP_1) | instid1(VALU_DEP_2)
	v_add3_u32 v7, v8, v6, 0x7fff
	v_mov_b32_e32 v6, 0
	v_lshrrev_b32_e32 v7, 16, v7
	s_delay_alu instid0(VALU_DEP_2) | instskip(NEXT) | instid1(VALU_DEP_2)
	v_lshlrev_b64 v[5:6], 1, v[5:6]
	v_cndmask_b32_e64 v7, 0x7fc0, v7, s3
	s_waitcnt lgkmcnt(0)
	s_delay_alu instid0(VALU_DEP_2) | instskip(NEXT) | instid1(VALU_DEP_1)
	v_add_co_u32 v5, s3, s8, v5
	v_add_co_ci_u32_e64 v6, s3, s9, v6, s3
	global_store_b16 v[5:6], v7, off
.LBB172_38:
	s_or_b32 exec_lo, exec_lo, s4
	v_add3_u32 v5, v1, s11, 32
	s_delay_alu instid0(VALU_DEP_1) | instskip(NEXT) | instid1(VALU_DEP_1)
	v_cmp_gt_u32_e64 s3, s6, v5
	s_and_b32 exec_lo, exec_lo, s3
	s_cbranch_execz .LBB172_62
; %bb.39:
	v_mul_lo_u32 v5, v5, s10
	s_and_saveexec_b32 s4, vcc_lo
	s_cbranch_execnz .LBB172_72
; %bb.40:
	s_or_b32 exec_lo, exec_lo, s4
	s_and_saveexec_b32 s4, s0
	s_cbranch_execnz .LBB172_73
.LBB172_41:
	s_or_b32 exec_lo, exec_lo, s4
	s_and_saveexec_b32 s4, s1
	s_cbranch_execnz .LBB172_74
.LBB172_42:
	s_or_b32 exec_lo, exec_lo, s4
	s_and_saveexec_b32 s4, s2
	s_cbranch_execz .LBB172_44
.LBB172_43:
	scratch_load_b32 v8, off, off offset:1120 ; 4-byte Folded Reload
	v_add_nc_u32_e32 v5, v5, v4
	s_waitcnt vmcnt(0)
	v_bfe_u32 v6, v8, 16, 1
	v_cmp_o_f32_e64 s3, v8, v8
	s_delay_alu instid0(VALU_DEP_2) | instskip(SKIP_1) | instid1(VALU_DEP_2)
	v_add3_u32 v7, v8, v6, 0x7fff
	v_mov_b32_e32 v6, 0
	v_lshrrev_b32_e32 v7, 16, v7
	s_delay_alu instid0(VALU_DEP_2) | instskip(NEXT) | instid1(VALU_DEP_2)
	v_lshlrev_b64 v[5:6], 1, v[5:6]
	v_cndmask_b32_e64 v7, 0x7fc0, v7, s3
	s_waitcnt lgkmcnt(0)
	s_delay_alu instid0(VALU_DEP_2) | instskip(NEXT) | instid1(VALU_DEP_1)
	v_add_co_u32 v5, s3, s8, v5
	v_add_co_ci_u32_e64 v6, s3, s9, v6, s3
	global_store_b16 v[5:6], v7, off
.LBB172_44:
	s_or_b32 exec_lo, exec_lo, s4
	v_add3_u32 v5, v1, s11, 40
	s_delay_alu instid0(VALU_DEP_1) | instskip(NEXT) | instid1(VALU_DEP_1)
	v_cmp_gt_u32_e64 s3, s6, v5
	s_and_b32 exec_lo, exec_lo, s3
	s_cbranch_execz .LBB172_62
; %bb.45:
	v_mul_lo_u32 v5, v5, s10
	s_and_saveexec_b32 s4, vcc_lo
	s_cbranch_execnz .LBB172_75
; %bb.46:
	s_or_b32 exec_lo, exec_lo, s4
	s_and_saveexec_b32 s4, s0
	s_cbranch_execnz .LBB172_76
.LBB172_47:
	s_or_b32 exec_lo, exec_lo, s4
	s_and_saveexec_b32 s4, s1
	s_cbranch_execnz .LBB172_77
.LBB172_48:
	s_or_b32 exec_lo, exec_lo, s4
	s_and_saveexec_b32 s4, s2
	s_cbranch_execz .LBB172_50
.LBB172_49:
	scratch_load_b32 v151, off, off offset:1136 ; 4-byte Folded Reload
	v_add_nc_u32_e32 v5, v5, v4
	s_waitcnt vmcnt(0)
	v_bfe_u32 v6, v151, 16, 1
	v_cmp_o_f32_e64 s3, v151, v151
	s_delay_alu instid0(VALU_DEP_2) | instskip(SKIP_1) | instid1(VALU_DEP_2)
	v_add3_u32 v7, v151, v6, 0x7fff
	v_mov_b32_e32 v6, 0
	v_lshrrev_b32_e32 v7, 16, v7
	s_delay_alu instid0(VALU_DEP_2) | instskip(NEXT) | instid1(VALU_DEP_2)
	v_lshlrev_b64 v[5:6], 1, v[5:6]
	v_cndmask_b32_e64 v7, 0x7fc0, v7, s3
	s_waitcnt lgkmcnt(0)
	s_delay_alu instid0(VALU_DEP_2) | instskip(NEXT) | instid1(VALU_DEP_1)
	v_add_co_u32 v5, s3, s8, v5
	v_add_co_ci_u32_e64 v6, s3, s9, v6, s3
	global_store_b16 v[5:6], v7, off
.LBB172_50:
	s_or_b32 exec_lo, exec_lo, s4
	v_add3_u32 v5, v1, s11, 48
	s_delay_alu instid0(VALU_DEP_1) | instskip(NEXT) | instid1(VALU_DEP_1)
	v_cmp_gt_u32_e64 s3, s6, v5
	s_and_b32 exec_lo, exec_lo, s3
	s_cbranch_execz .LBB172_62
; %bb.51:
	v_mul_lo_u32 v5, v5, s10
	s_and_saveexec_b32 s4, vcc_lo
	s_cbranch_execnz .LBB172_78
; %bb.52:
	s_or_b32 exec_lo, exec_lo, s4
	s_and_saveexec_b32 s4, s0
	s_cbranch_execnz .LBB172_79
.LBB172_53:
	s_or_b32 exec_lo, exec_lo, s4
	s_and_saveexec_b32 s4, s1
	s_cbranch_execnz .LBB172_80
.LBB172_54:
	s_or_b32 exec_lo, exec_lo, s4
	s_and_saveexec_b32 s4, s2
	s_cbranch_execz .LBB172_56
.LBB172_55:
	v_bfe_u32 v6, v76, 16, 1
	v_add_nc_u32_e32 v5, v5, v4
	v_cmp_o_f32_e64 s3, v76, v76
	s_delay_alu instid0(VALU_DEP_3) | instskip(SKIP_1) | instid1(VALU_DEP_2)
	v_add3_u32 v7, v76, v6, 0x7fff
	v_mov_b32_e32 v6, 0
	v_lshrrev_b32_e32 v7, 16, v7
	s_delay_alu instid0(VALU_DEP_2) | instskip(NEXT) | instid1(VALU_DEP_2)
	v_lshlrev_b64 v[5:6], 1, v[5:6]
	v_cndmask_b32_e64 v7, 0x7fc0, v7, s3
	s_waitcnt lgkmcnt(0)
	s_delay_alu instid0(VALU_DEP_2) | instskip(NEXT) | instid1(VALU_DEP_1)
	v_add_co_u32 v5, s3, s8, v5
	v_add_co_ci_u32_e64 v6, s3, s9, v6, s3
	global_store_b16 v[5:6], v7, off
.LBB172_56:
	s_or_b32 exec_lo, exec_lo, s4
	v_add3_u32 v1, v1, s11, 56
	s_delay_alu instid0(VALU_DEP_1) | instskip(NEXT) | instid1(VALU_DEP_1)
	v_cmp_gt_u32_e64 s3, s6, v1
	s_and_b32 exec_lo, exec_lo, s3
	s_cbranch_execz .LBB172_62
; %bb.57:
	v_mul_lo_u32 v1, v1, s10
	s_and_saveexec_b32 s3, vcc_lo
	s_cbranch_execnz .LBB172_81
; %bb.58:
	s_or_b32 exec_lo, exec_lo, s3
	s_and_saveexec_b32 s3, s0
	s_cbranch_execnz .LBB172_82
.LBB172_59:
	s_or_b32 exec_lo, exec_lo, s3
	s_and_saveexec_b32 s0, s1
	s_cbranch_execnz .LBB172_83
.LBB172_60:
	s_or_b32 exec_lo, exec_lo, s0
	s_delay_alu instid0(SALU_CYCLE_1)
	s_and_b32 exec_lo, exec_lo, s2
	s_cbranch_execz .LBB172_62
.LBB172_61:
	v_bfe_u32 v2, v30, 16, 1
	v_dual_mov_b32 v1, 0 :: v_dual_add_nc_u32 v0, v1, v4
	v_cmp_o_f32_e32 vcc_lo, v30, v30
	s_delay_alu instid0(VALU_DEP_3) | instskip(NEXT) | instid1(VALU_DEP_3)
	v_add3_u32 v2, v30, v2, 0x7fff
	v_lshlrev_b64 v[0:1], 1, v[0:1]
	s_delay_alu instid0(VALU_DEP_2) | instskip(NEXT) | instid1(VALU_DEP_1)
	v_lshrrev_b32_e32 v2, 16, v2
	v_cndmask_b32_e32 v2, 0x7fc0, v2, vcc_lo
	s_waitcnt lgkmcnt(0)
	s_delay_alu instid0(VALU_DEP_3) | instskip(NEXT) | instid1(VALU_DEP_4)
	v_add_co_u32 v0, vcc_lo, s8, v0
	v_add_co_ci_u32_e32 v1, vcc_lo, s9, v1, vcc_lo
	global_store_b16 v[0:1], v2, off
.LBB172_62:
	s_endpgm
.LBB172_63:
	scratch_load_b32 v9, off, off offset:1084 ; 4-byte Folded Reload
	v_add_nc_u32_e32 v6, v5, v0
	s_waitcnt vmcnt(0)
	v_bfe_u32 v7, v9, 16, 1
	v_cmp_o_f32_e64 s3, v9, v9
	s_delay_alu instid0(VALU_DEP_2) | instskip(SKIP_1) | instid1(VALU_DEP_2)
	v_add3_u32 v8, v9, v7, 0x7fff
	v_mov_b32_e32 v7, 0
	v_lshrrev_b32_e32 v8, 16, v8
	s_delay_alu instid0(VALU_DEP_2) | instskip(NEXT) | instid1(VALU_DEP_2)
	v_lshlrev_b64 v[6:7], 1, v[6:7]
	v_cndmask_b32_e64 v8, 0x7fc0, v8, s3
	s_waitcnt lgkmcnt(0)
	s_delay_alu instid0(VALU_DEP_2) | instskip(NEXT) | instid1(VALU_DEP_1)
	v_add_co_u32 v6, s3, s8, v6
	v_add_co_ci_u32_e64 v7, s3, s9, v7, s3
	global_store_b16 v[6:7], v8, off
	s_or_b32 exec_lo, exec_lo, s4
	s_and_saveexec_b32 s4, s0
	s_cbranch_execz .LBB172_23
.LBB172_64:
	scratch_load_b32 v9, off, off offset:1080 ; 4-byte Folded Reload
	v_add_nc_u32_e32 v6, v5, v2
	s_waitcnt vmcnt(0)
	v_bfe_u32 v7, v9, 16, 1
	v_cmp_o_f32_e64 s3, v9, v9
	s_delay_alu instid0(VALU_DEP_2) | instskip(SKIP_1) | instid1(VALU_DEP_2)
	v_add3_u32 v8, v9, v7, 0x7fff
	v_mov_b32_e32 v7, 0
	v_lshrrev_b32_e32 v8, 16, v8
	s_delay_alu instid0(VALU_DEP_2) | instskip(NEXT) | instid1(VALU_DEP_2)
	v_lshlrev_b64 v[6:7], 1, v[6:7]
	v_cndmask_b32_e64 v8, 0x7fc0, v8, s3
	s_waitcnt lgkmcnt(0)
	s_delay_alu instid0(VALU_DEP_2) | instskip(NEXT) | instid1(VALU_DEP_1)
	v_add_co_u32 v6, s3, s8, v6
	v_add_co_ci_u32_e64 v7, s3, s9, v7, s3
	global_store_b16 v[6:7], v8, off
	s_or_b32 exec_lo, exec_lo, s4
	s_and_saveexec_b32 s4, s1
	s_cbranch_execz .LBB172_24
.LBB172_65:
	scratch_load_b32 v9, off, off offset:1076 ; 4-byte Folded Reload
	v_add_nc_u32_e32 v6, v5, v3
	s_waitcnt vmcnt(0)
	v_bfe_u32 v7, v9, 16, 1
	v_cmp_o_f32_e64 s3, v9, v9
	s_delay_alu instid0(VALU_DEP_2) | instskip(SKIP_1) | instid1(VALU_DEP_2)
	v_add3_u32 v8, v9, v7, 0x7fff
	v_mov_b32_e32 v7, 0
	v_lshrrev_b32_e32 v8, 16, v8
	s_delay_alu instid0(VALU_DEP_2) | instskip(NEXT) | instid1(VALU_DEP_2)
	v_lshlrev_b64 v[6:7], 1, v[6:7]
	v_cndmask_b32_e64 v8, 0x7fc0, v8, s3
	s_waitcnt lgkmcnt(0)
	s_delay_alu instid0(VALU_DEP_2) | instskip(NEXT) | instid1(VALU_DEP_1)
	v_add_co_u32 v6, s3, s8, v6
	v_add_co_ci_u32_e64 v7, s3, s9, v7, s3
	global_store_b16 v[6:7], v8, off
	s_or_b32 exec_lo, exec_lo, s4
	s_and_saveexec_b32 s4, s2
	s_cbranch_execnz .LBB172_25
	s_branch .LBB172_26
.LBB172_66:
	scratch_load_b32 v9, off, off offset:1100 ; 4-byte Folded Reload
	v_add_nc_u32_e32 v6, v5, v0
	s_waitcnt vmcnt(0)
	v_bfe_u32 v7, v9, 16, 1
	v_cmp_o_f32_e64 s3, v9, v9
	s_delay_alu instid0(VALU_DEP_2) | instskip(SKIP_1) | instid1(VALU_DEP_2)
	v_add3_u32 v8, v9, v7, 0x7fff
	v_mov_b32_e32 v7, 0
	v_lshrrev_b32_e32 v8, 16, v8
	s_delay_alu instid0(VALU_DEP_2) | instskip(NEXT) | instid1(VALU_DEP_2)
	v_lshlrev_b64 v[6:7], 1, v[6:7]
	v_cndmask_b32_e64 v8, 0x7fc0, v8, s3
	s_waitcnt lgkmcnt(0)
	s_delay_alu instid0(VALU_DEP_2) | instskip(NEXT) | instid1(VALU_DEP_1)
	v_add_co_u32 v6, s3, s8, v6
	v_add_co_ci_u32_e64 v7, s3, s9, v7, s3
	global_store_b16 v[6:7], v8, off
	s_or_b32 exec_lo, exec_lo, s4
	s_and_saveexec_b32 s4, s0
	s_cbranch_execz .LBB172_29
.LBB172_67:
	scratch_load_b32 v9, off, off offset:1096 ; 4-byte Folded Reload
	v_add_nc_u32_e32 v6, v5, v2
	s_waitcnt vmcnt(0)
	v_bfe_u32 v7, v9, 16, 1
	v_cmp_o_f32_e64 s3, v9, v9
	s_delay_alu instid0(VALU_DEP_2) | instskip(SKIP_1) | instid1(VALU_DEP_2)
	v_add3_u32 v8, v9, v7, 0x7fff
	v_mov_b32_e32 v7, 0
	v_lshrrev_b32_e32 v8, 16, v8
	s_delay_alu instid0(VALU_DEP_2) | instskip(NEXT) | instid1(VALU_DEP_2)
	v_lshlrev_b64 v[6:7], 1, v[6:7]
	v_cndmask_b32_e64 v8, 0x7fc0, v8, s3
	s_waitcnt lgkmcnt(0)
	s_delay_alu instid0(VALU_DEP_2) | instskip(NEXT) | instid1(VALU_DEP_1)
	v_add_co_u32 v6, s3, s8, v6
	v_add_co_ci_u32_e64 v7, s3, s9, v7, s3
	global_store_b16 v[6:7], v8, off
	s_or_b32 exec_lo, exec_lo, s4
	s_and_saveexec_b32 s4, s1
	s_cbranch_execz .LBB172_30
.LBB172_68:
	scratch_load_b32 v9, off, off offset:1092 ; 4-byte Folded Reload
	v_add_nc_u32_e32 v6, v5, v3
	s_waitcnt vmcnt(0)
	v_bfe_u32 v7, v9, 16, 1
	v_cmp_o_f32_e64 s3, v9, v9
	s_delay_alu instid0(VALU_DEP_2) | instskip(SKIP_1) | instid1(VALU_DEP_2)
	v_add3_u32 v8, v9, v7, 0x7fff
	v_mov_b32_e32 v7, 0
	v_lshrrev_b32_e32 v8, 16, v8
	s_delay_alu instid0(VALU_DEP_2) | instskip(NEXT) | instid1(VALU_DEP_2)
	v_lshlrev_b64 v[6:7], 1, v[6:7]
	v_cndmask_b32_e64 v8, 0x7fc0, v8, s3
	s_waitcnt lgkmcnt(0)
	s_delay_alu instid0(VALU_DEP_2) | instskip(NEXT) | instid1(VALU_DEP_1)
	v_add_co_u32 v6, s3, s8, v6
	v_add_co_ci_u32_e64 v7, s3, s9, v7, s3
	global_store_b16 v[6:7], v8, off
	s_or_b32 exec_lo, exec_lo, s4
	s_and_saveexec_b32 s4, s2
	s_cbranch_execnz .LBB172_31
	s_branch .LBB172_32
.LBB172_69:
	scratch_load_b32 v9, off, off offset:1116 ; 4-byte Folded Reload
	v_add_nc_u32_e32 v6, v5, v0
	s_waitcnt vmcnt(0)
	v_bfe_u32 v7, v9, 16, 1
	v_cmp_o_f32_e64 s3, v9, v9
	s_delay_alu instid0(VALU_DEP_2) | instskip(SKIP_1) | instid1(VALU_DEP_2)
	v_add3_u32 v8, v9, v7, 0x7fff
	v_mov_b32_e32 v7, 0
	v_lshrrev_b32_e32 v8, 16, v8
	s_delay_alu instid0(VALU_DEP_2) | instskip(NEXT) | instid1(VALU_DEP_2)
	v_lshlrev_b64 v[6:7], 1, v[6:7]
	v_cndmask_b32_e64 v8, 0x7fc0, v8, s3
	s_waitcnt lgkmcnt(0)
	s_delay_alu instid0(VALU_DEP_2) | instskip(NEXT) | instid1(VALU_DEP_1)
	v_add_co_u32 v6, s3, s8, v6
	v_add_co_ci_u32_e64 v7, s3, s9, v7, s3
	global_store_b16 v[6:7], v8, off
	s_or_b32 exec_lo, exec_lo, s4
	s_and_saveexec_b32 s4, s0
	s_cbranch_execz .LBB172_35
.LBB172_70:
	scratch_load_b32 v9, off, off offset:1112 ; 4-byte Folded Reload
	v_add_nc_u32_e32 v6, v5, v2
	s_waitcnt vmcnt(0)
	v_bfe_u32 v7, v9, 16, 1
	v_cmp_o_f32_e64 s3, v9, v9
	s_delay_alu instid0(VALU_DEP_2) | instskip(SKIP_1) | instid1(VALU_DEP_2)
	v_add3_u32 v8, v9, v7, 0x7fff
	v_mov_b32_e32 v7, 0
	v_lshrrev_b32_e32 v8, 16, v8
	s_delay_alu instid0(VALU_DEP_2) | instskip(NEXT) | instid1(VALU_DEP_2)
	v_lshlrev_b64 v[6:7], 1, v[6:7]
	v_cndmask_b32_e64 v8, 0x7fc0, v8, s3
	s_waitcnt lgkmcnt(0)
	s_delay_alu instid0(VALU_DEP_2) | instskip(NEXT) | instid1(VALU_DEP_1)
	v_add_co_u32 v6, s3, s8, v6
	v_add_co_ci_u32_e64 v7, s3, s9, v7, s3
	global_store_b16 v[6:7], v8, off
	s_or_b32 exec_lo, exec_lo, s4
	s_and_saveexec_b32 s4, s1
	s_cbranch_execz .LBB172_36
.LBB172_71:
	scratch_load_b32 v9, off, off offset:1108 ; 4-byte Folded Reload
	v_add_nc_u32_e32 v6, v5, v3
	s_waitcnt vmcnt(0)
	v_bfe_u32 v7, v9, 16, 1
	v_cmp_o_f32_e64 s3, v9, v9
	s_delay_alu instid0(VALU_DEP_2) | instskip(SKIP_1) | instid1(VALU_DEP_2)
	v_add3_u32 v8, v9, v7, 0x7fff
	v_mov_b32_e32 v7, 0
	v_lshrrev_b32_e32 v8, 16, v8
	s_delay_alu instid0(VALU_DEP_2) | instskip(NEXT) | instid1(VALU_DEP_2)
	v_lshlrev_b64 v[6:7], 1, v[6:7]
	v_cndmask_b32_e64 v8, 0x7fc0, v8, s3
	s_waitcnt lgkmcnt(0)
	s_delay_alu instid0(VALU_DEP_2) | instskip(NEXT) | instid1(VALU_DEP_1)
	v_add_co_u32 v6, s3, s8, v6
	v_add_co_ci_u32_e64 v7, s3, s9, v7, s3
	global_store_b16 v[6:7], v8, off
	s_or_b32 exec_lo, exec_lo, s4
	s_and_saveexec_b32 s4, s2
	s_cbranch_execnz .LBB172_37
	s_branch .LBB172_38
.LBB172_72:
	scratch_load_b32 v9, off, off offset:1132 ; 4-byte Folded Reload
	v_add_nc_u32_e32 v6, v5, v0
	s_waitcnt vmcnt(0)
	v_bfe_u32 v7, v9, 16, 1
	v_cmp_o_f32_e64 s3, v9, v9
	s_delay_alu instid0(VALU_DEP_2) | instskip(SKIP_1) | instid1(VALU_DEP_2)
	v_add3_u32 v8, v9, v7, 0x7fff
	v_mov_b32_e32 v7, 0
	v_lshrrev_b32_e32 v8, 16, v8
	s_delay_alu instid0(VALU_DEP_2) | instskip(NEXT) | instid1(VALU_DEP_2)
	v_lshlrev_b64 v[6:7], 1, v[6:7]
	v_cndmask_b32_e64 v8, 0x7fc0, v8, s3
	s_waitcnt lgkmcnt(0)
	s_delay_alu instid0(VALU_DEP_2) | instskip(NEXT) | instid1(VALU_DEP_1)
	v_add_co_u32 v6, s3, s8, v6
	v_add_co_ci_u32_e64 v7, s3, s9, v7, s3
	global_store_b16 v[6:7], v8, off
	s_or_b32 exec_lo, exec_lo, s4
	s_and_saveexec_b32 s4, s0
	s_cbranch_execz .LBB172_41
.LBB172_73:
	scratch_load_b32 v9, off, off offset:1128 ; 4-byte Folded Reload
	v_add_nc_u32_e32 v6, v5, v2
	s_waitcnt vmcnt(0)
	v_bfe_u32 v7, v9, 16, 1
	v_cmp_o_f32_e64 s3, v9, v9
	s_delay_alu instid0(VALU_DEP_2) | instskip(SKIP_1) | instid1(VALU_DEP_2)
	v_add3_u32 v8, v9, v7, 0x7fff
	v_mov_b32_e32 v7, 0
	v_lshrrev_b32_e32 v8, 16, v8
	s_delay_alu instid0(VALU_DEP_2) | instskip(NEXT) | instid1(VALU_DEP_2)
	v_lshlrev_b64 v[6:7], 1, v[6:7]
	v_cndmask_b32_e64 v8, 0x7fc0, v8, s3
	s_waitcnt lgkmcnt(0)
	s_delay_alu instid0(VALU_DEP_2) | instskip(NEXT) | instid1(VALU_DEP_1)
	v_add_co_u32 v6, s3, s8, v6
	v_add_co_ci_u32_e64 v7, s3, s9, v7, s3
	global_store_b16 v[6:7], v8, off
	s_or_b32 exec_lo, exec_lo, s4
	s_and_saveexec_b32 s4, s1
	s_cbranch_execz .LBB172_42
.LBB172_74:
	scratch_load_b32 v9, off, off offset:1124 ; 4-byte Folded Reload
	v_add_nc_u32_e32 v6, v5, v3
	s_waitcnt vmcnt(0)
	v_bfe_u32 v7, v9, 16, 1
	v_cmp_o_f32_e64 s3, v9, v9
	s_delay_alu instid0(VALU_DEP_2) | instskip(SKIP_1) | instid1(VALU_DEP_2)
	v_add3_u32 v8, v9, v7, 0x7fff
	v_mov_b32_e32 v7, 0
	v_lshrrev_b32_e32 v8, 16, v8
	s_delay_alu instid0(VALU_DEP_2) | instskip(NEXT) | instid1(VALU_DEP_2)
	v_lshlrev_b64 v[6:7], 1, v[6:7]
	v_cndmask_b32_e64 v8, 0x7fc0, v8, s3
	s_waitcnt lgkmcnt(0)
	s_delay_alu instid0(VALU_DEP_2) | instskip(NEXT) | instid1(VALU_DEP_1)
	v_add_co_u32 v6, s3, s8, v6
	v_add_co_ci_u32_e64 v7, s3, s9, v7, s3
	global_store_b16 v[6:7], v8, off
	s_or_b32 exec_lo, exec_lo, s4
	s_and_saveexec_b32 s4, s2
	s_cbranch_execnz .LBB172_43
	s_branch .LBB172_44
.LBB172_75:
	scratch_load_b32 v97, off, off offset:1148 ; 4-byte Folded Reload
	v_add_nc_u32_e32 v6, v5, v0
	s_waitcnt vmcnt(0)
	v_bfe_u32 v7, v97, 16, 1
	v_cmp_o_f32_e64 s3, v97, v97
	s_delay_alu instid0(VALU_DEP_2) | instskip(SKIP_1) | instid1(VALU_DEP_2)
	v_add3_u32 v8, v97, v7, 0x7fff
	v_mov_b32_e32 v7, 0
	v_lshrrev_b32_e32 v8, 16, v8
	s_delay_alu instid0(VALU_DEP_2) | instskip(NEXT) | instid1(VALU_DEP_2)
	v_lshlrev_b64 v[6:7], 1, v[6:7]
	v_cndmask_b32_e64 v8, 0x7fc0, v8, s3
	s_waitcnt lgkmcnt(0)
	s_delay_alu instid0(VALU_DEP_2) | instskip(NEXT) | instid1(VALU_DEP_1)
	v_add_co_u32 v6, s3, s8, v6
	v_add_co_ci_u32_e64 v7, s3, s9, v7, s3
	global_store_b16 v[6:7], v8, off
	s_or_b32 exec_lo, exec_lo, s4
	s_and_saveexec_b32 s4, s0
	s_cbranch_execz .LBB172_47
.LBB172_76:
	scratch_load_b32 v146, off, off offset:1144 ; 4-byte Folded Reload
	v_add_nc_u32_e32 v6, v5, v2
	s_waitcnt vmcnt(0)
	v_bfe_u32 v7, v146, 16, 1
	v_cmp_o_f32_e64 s3, v146, v146
	s_delay_alu instid0(VALU_DEP_2) | instskip(SKIP_1) | instid1(VALU_DEP_2)
	v_add3_u32 v8, v146, v7, 0x7fff
	v_mov_b32_e32 v7, 0
	v_lshrrev_b32_e32 v8, 16, v8
	s_delay_alu instid0(VALU_DEP_2) | instskip(NEXT) | instid1(VALU_DEP_2)
	v_lshlrev_b64 v[6:7], 1, v[6:7]
	v_cndmask_b32_e64 v8, 0x7fc0, v8, s3
	s_waitcnt lgkmcnt(0)
	s_delay_alu instid0(VALU_DEP_2) | instskip(NEXT) | instid1(VALU_DEP_1)
	v_add_co_u32 v6, s3, s8, v6
	v_add_co_ci_u32_e64 v7, s3, s9, v7, s3
	global_store_b16 v[6:7], v8, off
	s_or_b32 exec_lo, exec_lo, s4
	s_and_saveexec_b32 s4, s1
	s_cbranch_execz .LBB172_48
.LBB172_77:
	scratch_load_b32 v103, off, off offset:1140 ; 4-byte Folded Reload
	v_add_nc_u32_e32 v6, v5, v3
	s_waitcnt vmcnt(0)
	v_bfe_u32 v7, v103, 16, 1
	v_cmp_o_f32_e64 s3, v103, v103
	s_delay_alu instid0(VALU_DEP_2) | instskip(SKIP_1) | instid1(VALU_DEP_2)
	v_add3_u32 v8, v103, v7, 0x7fff
	v_mov_b32_e32 v7, 0
	v_lshrrev_b32_e32 v8, 16, v8
	s_delay_alu instid0(VALU_DEP_2) | instskip(NEXT) | instid1(VALU_DEP_2)
	v_lshlrev_b64 v[6:7], 1, v[6:7]
	v_cndmask_b32_e64 v8, 0x7fc0, v8, s3
	s_waitcnt lgkmcnt(0)
	s_delay_alu instid0(VALU_DEP_2) | instskip(NEXT) | instid1(VALU_DEP_1)
	v_add_co_u32 v6, s3, s8, v6
	v_add_co_ci_u32_e64 v7, s3, s9, v7, s3
	global_store_b16 v[6:7], v8, off
	s_or_b32 exec_lo, exec_lo, s4
	s_and_saveexec_b32 s4, s2
	s_cbranch_execnz .LBB172_49
	s_branch .LBB172_50
.LBB172_78:
	scratch_load_b32 v9, off, off offset:1152 ; 4-byte Folded Reload
	v_add_nc_u32_e32 v6, v5, v0
	s_waitcnt vmcnt(0)
	v_bfe_u32 v7, v9, 16, 1
	v_cmp_o_f32_e64 s3, v9, v9
	s_delay_alu instid0(VALU_DEP_2) | instskip(SKIP_1) | instid1(VALU_DEP_2)
	v_add3_u32 v8, v9, v7, 0x7fff
	v_mov_b32_e32 v7, 0
	v_lshrrev_b32_e32 v8, 16, v8
	s_delay_alu instid0(VALU_DEP_2) | instskip(NEXT) | instid1(VALU_DEP_2)
	v_lshlrev_b64 v[6:7], 1, v[6:7]
	v_cndmask_b32_e64 v8, 0x7fc0, v8, s3
	s_waitcnt lgkmcnt(0)
	s_delay_alu instid0(VALU_DEP_2) | instskip(NEXT) | instid1(VALU_DEP_1)
	v_add_co_u32 v6, s3, s8, v6
	v_add_co_ci_u32_e64 v7, s3, s9, v7, s3
	global_store_b16 v[6:7], v8, off
	s_or_b32 exec_lo, exec_lo, s4
	s_and_saveexec_b32 s4, s0
	s_cbranch_execz .LBB172_53
.LBB172_79:
	v_bfe_u32 v7, v95, 16, 1
	s_delay_alu instid0(VALU_DEP_2) | instskip(SKIP_1) | instid1(VALU_DEP_3)
	v_add_nc_u32_e32 v6, v5, v2
	v_cmp_o_f32_e64 s3, v95, v95
	v_add3_u32 v8, v95, v7, 0x7fff
	v_mov_b32_e32 v7, 0
	s_delay_alu instid0(VALU_DEP_2) | instskip(NEXT) | instid1(VALU_DEP_2)
	v_lshrrev_b32_e32 v8, 16, v8
	v_lshlrev_b64 v[6:7], 1, v[6:7]
	s_delay_alu instid0(VALU_DEP_2) | instskip(SKIP_1) | instid1(VALU_DEP_2)
	v_cndmask_b32_e64 v8, 0x7fc0, v8, s3
	s_waitcnt lgkmcnt(0)
	v_add_co_u32 v6, s3, s8, v6
	s_delay_alu instid0(VALU_DEP_1)
	v_add_co_ci_u32_e64 v7, s3, s9, v7, s3
	global_store_b16 v[6:7], v8, off
	s_or_b32 exec_lo, exec_lo, s4
	s_and_saveexec_b32 s4, s1
	s_cbranch_execz .LBB172_54
.LBB172_80:
	v_bfe_u32 v7, v212, 16, 1
	v_add_nc_u32_e32 v6, v5, v3
	v_cmp_o_f32_e64 s3, v212, v212
	s_delay_alu instid0(VALU_DEP_3) | instskip(SKIP_1) | instid1(VALU_DEP_2)
	v_add3_u32 v8, v212, v7, 0x7fff
	v_mov_b32_e32 v7, 0
	v_lshrrev_b32_e32 v8, 16, v8
	s_delay_alu instid0(VALU_DEP_2) | instskip(NEXT) | instid1(VALU_DEP_2)
	v_lshlrev_b64 v[6:7], 1, v[6:7]
	v_cndmask_b32_e64 v8, 0x7fc0, v8, s3
	s_waitcnt lgkmcnt(0)
	s_delay_alu instid0(VALU_DEP_2) | instskip(NEXT) | instid1(VALU_DEP_1)
	v_add_co_u32 v6, s3, s8, v6
	v_add_co_ci_u32_e64 v7, s3, s9, v7, s3
	global_store_b16 v[6:7], v8, off
	s_or_b32 exec_lo, exec_lo, s4
	s_and_saveexec_b32 s4, s2
	s_cbranch_execnz .LBB172_55
	s_branch .LBB172_56
.LBB172_81:
	v_bfe_u32 v6, v33, 16, 1
	s_delay_alu instid0(VALU_DEP_2) | instskip(SKIP_1) | instid1(VALU_DEP_3)
	v_add_nc_u32_e32 v5, v1, v0
	v_cmp_o_f32_e32 vcc_lo, v33, v33
	v_add3_u32 v0, v33, v6, 0x7fff
	v_mov_b32_e32 v6, 0
	s_delay_alu instid0(VALU_DEP_2) | instskip(NEXT) | instid1(VALU_DEP_2)
	v_lshrrev_b32_e32 v0, 16, v0
	v_lshlrev_b64 v[5:6], 1, v[5:6]
	s_delay_alu instid0(VALU_DEP_2) | instskip(SKIP_1) | instid1(VALU_DEP_2)
	v_cndmask_b32_e32 v0, 0x7fc0, v0, vcc_lo
	s_waitcnt lgkmcnt(0)
	v_add_co_u32 v5, vcc_lo, s8, v5
	s_delay_alu instid0(VALU_DEP_3)
	v_add_co_ci_u32_e32 v6, vcc_lo, s9, v6, vcc_lo
	global_store_b16 v[5:6], v0, off
	s_or_b32 exec_lo, exec_lo, s3
	s_and_saveexec_b32 s3, s0
	s_cbranch_execz .LBB172_59
.LBB172_82:
	v_bfe_u32 v0, v32, 16, 1
	s_delay_alu instid0(VALU_DEP_2) | instskip(SKIP_1) | instid1(VALU_DEP_3)
	v_dual_mov_b32 v6, 0 :: v_dual_add_nc_u32 v5, v1, v2
	v_cmp_o_f32_e32 vcc_lo, v32, v32
	v_add3_u32 v0, v32, v0, 0x7fff
	s_delay_alu instid0(VALU_DEP_3) | instskip(NEXT) | instid1(VALU_DEP_2)
	v_lshlrev_b64 v[5:6], 1, v[5:6]
	v_lshrrev_b32_e32 v0, 16, v0
	s_delay_alu instid0(VALU_DEP_1) | instskip(SKIP_1) | instid1(VALU_DEP_3)
	v_cndmask_b32_e32 v0, 0x7fc0, v0, vcc_lo
	s_waitcnt lgkmcnt(0)
	v_add_co_u32 v5, vcc_lo, s8, v5
	s_delay_alu instid0(VALU_DEP_4)
	v_add_co_ci_u32_e32 v6, vcc_lo, s9, v6, vcc_lo
	global_store_b16 v[5:6], v0, off
	s_or_b32 exec_lo, exec_lo, s3
	s_and_saveexec_b32 s0, s1
	s_cbranch_execz .LBB172_60
.LBB172_83:
	v_bfe_u32 v0, v31, 16, 1
	v_dual_mov_b32 v3, 0 :: v_dual_add_nc_u32 v2, v1, v3
	v_cmp_o_f32_e32 vcc_lo, v31, v31
	s_delay_alu instid0(VALU_DEP_3) | instskip(NEXT) | instid1(VALU_DEP_3)
	v_add3_u32 v0, v31, v0, 0x7fff
	v_lshlrev_b64 v[2:3], 1, v[2:3]
	s_delay_alu instid0(VALU_DEP_2) | instskip(NEXT) | instid1(VALU_DEP_1)
	v_lshrrev_b32_e32 v0, 16, v0
	v_cndmask_b32_e32 v0, 0x7fc0, v0, vcc_lo
	s_waitcnt lgkmcnt(0)
	s_delay_alu instid0(VALU_DEP_3) | instskip(NEXT) | instid1(VALU_DEP_4)
	v_add_co_u32 v2, vcc_lo, s8, v2
	v_add_co_ci_u32_e32 v3, vcc_lo, s9, v3, vcc_lo
	global_store_b16 v[2:3], v0, off
	s_or_b32 exec_lo, exec_lo, s0
	s_delay_alu instid0(SALU_CYCLE_1)
	s_and_b32 exec_lo, exec_lo, s2
	s_cbranch_execnz .LBB172_61
	s_branch .LBB172_62
	.section	.rodata,"a",@progbits
	.p2align	6, 0x0
	.amdhsa_kernel _ZL12mul_mat_q4_KIN3c108BFloat16ELb1EEvPKvS3_PT_iiiii
		.amdhsa_group_segment_fixed_size 28752
		.amdhsa_private_segment_fixed_size 1648
		.amdhsa_kernarg_size 44
		.amdhsa_user_sgpr_count 14
		.amdhsa_user_sgpr_dispatch_ptr 0
		.amdhsa_user_sgpr_queue_ptr 0
		.amdhsa_user_sgpr_kernarg_segment_ptr 1
		.amdhsa_user_sgpr_dispatch_id 0
		.amdhsa_user_sgpr_private_segment_size 0
		.amdhsa_wavefront_size32 1
		.amdhsa_uses_dynamic_stack 0
		.amdhsa_enable_private_segment 1
		.amdhsa_system_sgpr_workgroup_id_x 1
		.amdhsa_system_sgpr_workgroup_id_y 1
		.amdhsa_system_sgpr_workgroup_id_z 0
		.amdhsa_system_sgpr_workgroup_info 0
		.amdhsa_system_vgpr_workitem_id 1
		.amdhsa_next_free_vgpr 256
		.amdhsa_next_free_sgpr 18
		.amdhsa_reserve_vcc 1
		.amdhsa_float_round_mode_32 0
		.amdhsa_float_round_mode_16_64 0
		.amdhsa_float_denorm_mode_32 3
		.amdhsa_float_denorm_mode_16_64 3
		.amdhsa_dx10_clamp 1
		.amdhsa_ieee_mode 1
		.amdhsa_fp16_overflow 0
		.amdhsa_workgroup_processor_mode 1
		.amdhsa_memory_ordered 1
		.amdhsa_forward_progress 0
		.amdhsa_shared_vgpr_count 0
		.amdhsa_exception_fp_ieee_invalid_op 0
		.amdhsa_exception_fp_denorm_src 0
		.amdhsa_exception_fp_ieee_div_zero 0
		.amdhsa_exception_fp_ieee_overflow 0
		.amdhsa_exception_fp_ieee_underflow 0
		.amdhsa_exception_fp_ieee_inexact 0
		.amdhsa_exception_int_div_zero 0
	.end_amdhsa_kernel
	.section	.text._ZL12mul_mat_q4_KIN3c108BFloat16ELb1EEvPKvS3_PT_iiiii,"axG",@progbits,_ZL12mul_mat_q4_KIN3c108BFloat16ELb1EEvPKvS3_PT_iiiii,comdat
.Lfunc_end172:
	.size	_ZL12mul_mat_q4_KIN3c108BFloat16ELb1EEvPKvS3_PT_iiiii, .Lfunc_end172-_ZL12mul_mat_q4_KIN3c108BFloat16ELb1EEvPKvS3_PT_iiiii
                                        ; -- End function
	.section	.AMDGPU.csdata,"",@progbits
; Kernel info:
; codeLenInByte = 50404
; NumSgprs: 20
; NumVgprs: 256
; ScratchSize: 1648
; MemoryBound: 0
; FloatMode: 240
; IeeeMode: 1
; LDSByteSize: 28752 bytes/workgroup (compile time only)
; SGPRBlocks: 2
; VGPRBlocks: 31
; NumSGPRsForWavesPerEU: 20
; NumVGPRsForWavesPerEU: 256
; Occupancy: 5
; WaveLimiterHint : 0
; COMPUTE_PGM_RSRC2:SCRATCH_EN: 1
; COMPUTE_PGM_RSRC2:USER_SGPR: 14
; COMPUTE_PGM_RSRC2:TRAP_HANDLER: 0
; COMPUTE_PGM_RSRC2:TGID_X_EN: 1
; COMPUTE_PGM_RSRC2:TGID_Y_EN: 1
; COMPUTE_PGM_RSRC2:TGID_Z_EN: 0
; COMPUTE_PGM_RSRC2:TIDIG_COMP_CNT: 1
	.section	.text._ZL12mul_mat_q5_KIN3c108BFloat16ELb0EEvPKvS3_PT_iiiii,"axG",@progbits,_ZL12mul_mat_q5_KIN3c108BFloat16ELb0EEvPKvS3_PT_iiiii,comdat
	.globl	_ZL12mul_mat_q5_KIN3c108BFloat16ELb0EEvPKvS3_PT_iiiii ; -- Begin function _ZL12mul_mat_q5_KIN3c108BFloat16ELb0EEvPKvS3_PT_iiiii
	.p2align	8
	.type	_ZL12mul_mat_q5_KIN3c108BFloat16ELb0EEvPKvS3_PT_iiiii,@function
_ZL12mul_mat_q5_KIN3c108BFloat16ELb0EEvPKvS3_PT_iiiii: ; @_ZL12mul_mat_q5_KIN3c108BFloat16ELb0EEvPKvS3_PT_iiiii
; %bb.0:
	s_clause 0x1
	s_load_b32 s11, s[0:1], 0x18
	s_load_b128 s[4:7], s[0:1], 0x20
	v_bfe_u32 v22, v0, 10, 10
	v_and_b32_e32 v23, 0x3ff, v0
	s_waitcnt lgkmcnt(0)
	s_lshl_b32 s7, s15, 6
	s_cmpk_gt_i32 s11, 0xff
	s_cbranch_scc1 .LBB173_2
; %bb.1:
	v_bfe_u32 v1, v0, 10, 10
	v_and_b32_e32 v0, 0x3ff, v0
	s_mov_b32 s2, 0
	s_mov_b32 s3, 0
	s_delay_alu instid0(VALU_DEP_2)
	v_add_nc_u32_e32 v28, s7, v1
	s_branch .LBB173_3
.LBB173_2:
	s_mov_b32 s2, -1
                                        ; implicit-def: $sgpr3
                                        ; implicit-def: $vgpr1
                                        ; implicit-def: $vgpr0
                                        ; implicit-def: $vgpr28
.LBB173_3:
	s_load_b64 s[8:9], s[0:1], 0x10
	v_dual_mov_b32 v3, s3 :: v_dual_mov_b32 v26, s3
	v_dual_mov_b32 v7, s3 :: v_dual_mov_b32 v34, s3
	;; [unrolled: 1-line block ×15, first 2 shown]
	v_mov_b32_e32 v32, s3
	v_mov_b32_e32 v24, s3
	s_and_not1_b32 vcc_lo, exec_lo, s2
	s_lshl_b32 s10, s14, 7
	s_cbranch_vccnz .LBB173_11
; %bb.4:
	s_load_b128 s[0:3], s[0:1], 0x0
	s_ashr_i32 s12, s11, 31
	s_ashr_i32 s13, s5, 31
	s_lshr_b32 s12, s12, 24
	v_add_nc_u32_e32 v28, s7, v22
	s_add_i32 s11, s11, s12
	s_lshr_b32 s12, s13, 27
	s_ashr_i32 s11, s11, 8
	s_add_i32 s5, s5, s12
	s_mul_i32 s12, s11, s10
	s_ashr_i32 s13, s5, 5
	s_mul_i32 s5, s12, 0xb0
	s_mul_hi_i32 s12, s12, 0xb0
	v_and_b32_e32 v4, 3, v23
	v_add_nc_u32_e32 v5, 8, v28
	v_cvt_f64_u32_e32 v[0:1], v28
	v_dual_mov_b32 v24, 0 :: v_dual_add_nc_u32 v7, 16, v28
	v_lshlrev_b32_e32 v9, 1, v23
	v_add_nc_u32_e32 v25, 0xfe, v4
	s_waitcnt lgkmcnt(0)
	s_add_u32 s5, s0, s5
	s_addc_u32 s12, s1, s12
	s_add_i32 s1, s4, -1
	v_cmp_gt_u32_e32 vcc_lo, 2, v4
	v_cvt_f64_i32_e32 v[2:3], s1
	v_and_b32_e32 v10, 7, v23
	v_cvt_f64_u32_e32 v[5:6], v5
	v_dual_mov_b32 v36, 0 :: v_dual_add_nc_u32 v11, 24, v28
	v_cvt_f64_u32_e32 v[7:8], v7
	v_add_nc_u32_e32 v12, 32, v28
	v_add_nc_u32_e32 v15, 48, v28
	v_mul_u32_u24_e32 v17, 0x41, v22
	v_add_nc_u32_e32 v13, 40, v28
	v_add_nc_u32_e32 v26, 56, v28
	v_cndmask_b32_e32 v25, v25, v4, vcc_lo
	v_and_or_b32 v18, v9, 48, v10
	v_cvt_f64_u32_e32 v[9:10], v11
	v_cvt_f64_u32_e32 v[11:12], v12
	;; [unrolled: 1-line block ×4, first 2 shown]
	v_add_lshl_u32 v53, v18, v17, 2
	v_cvt_f64_u32_e32 v[17:18], v26
	v_and_b32_e32 v25, 0xff, v25
	v_cmp_ne_u32_e32 vcc_lo, 0, v4
	v_lshlrev_b32_e32 v37, 5, v22
	v_dual_mov_b32 v32, 0 :: v_dual_lshlrev_b32 v31, 2, v23
	v_lshrrev_b32_e32 v19, 2, v23
	v_dual_mov_b32 v39, 0 :: v_dual_lshlrev_b32 v20, 3, v22
	v_lshlrev_b32_e32 v80, 1, v25
	s_lshl_b32 s0, s11, 3
	s_delay_alu instid0(VALU_DEP_3)
	v_dual_mov_b32 v48, 0 :: v_dual_and_b32 v45, 6, v19
	v_mad_i32_i24 v33, s11, v22, s0
	v_mov_b32_e32 v29, 0
	v_lshrrev_b32_e32 v30, 5, v23
	v_and_b32_e32 v42, 28, v31
	v_and_b32_e32 v41, 0x7c, v31
	v_add_nc_u32_e32 v38, s0, v33
	v_mul_i32_i24_e32 v50, s11, v22
	v_min_f64 v[0:1], v[0:1], v[2:3]
	v_or_b32_e32 v51, 1, v45
	v_min_f64 v[5:6], v[5:6], v[2:3]
	v_add_nc_u32_e32 v40, s0, v38
	v_add_nc_u32_e32 v55, 0x820, v53
	v_min_f64 v[7:8], v[7:8], v[2:3]
	v_add_nc_u32_e32 v56, 0x1040, v53
	v_add_nc_u32_e32 v57, 0x1860, v53
	;; [unrolled: 1-line block ×3, first 2 shown]
	v_dual_mov_b32 v34, 0 :: v_dual_add_nc_u32 v61, 0x28a0, v53
	v_add_nc_u32_e32 v63, 0x30c0, v53
	v_add_nc_u32_e32 v64, 0x38e0, v53
	v_min_f64 v[9:10], v[9:10], v[2:3]
	v_min_f64 v[11:12], v[11:12], v[2:3]
	;; [unrolled: 1-line block ×4, first 2 shown]
	v_add_nc_u32_e32 v65, 0x4100, v53
	v_min_f64 v[2:3], v[17:18], v[2:3]
	v_add_co_ci_u32_e32 v18, vcc_lo, 0, v25, vcc_lo
	v_and_b32_e32 v17, 4, v31
	v_mov_b32_e32 v25, 0
	v_cmp_lt_u32_e32 vcc_lo, 1, v4
	s_delay_alu instid0(VALU_DEP_4)
	v_dual_mov_b32 v18, 0 :: v_dual_lshlrev_b32 v123, 2, v18
	v_add_nc_u32_e32 v21, v37, v23
	v_add_nc_u32_e32 v87, 0x200, v37
	v_cndmask_b32_e32 v79, 0, v17, vcc_lo
	v_add_nc_u32_e32 v85, 0x100, v37
	v_add_nc_u32_e32 v91, 0x300, v37
	v_and_b32_e32 v27, 0x7f, v21
	v_lshrrev_b32_e32 v21, 3, v21
	v_add_nc_u32_e32 v94, 0x400, v37
	v_add_nc_u32_e32 v96, 0x500, v37
	;; [unrolled: 1-line block ×3, first 2 shown]
	v_lshlrev_b32_e32 v26, 2, v27
	v_and_b32_e32 v21, 12, v21
	v_mul_i32_i24_e32 v77, s11, v27
	v_lshlrev_b32_e32 v27, 2, v4
	v_cvt_i32_f64_e32 v5, v[5:6]
	v_add_nc_u32_e32 v105, 0x700, v37
	v_add3_u32 v78, v26, v21, 0xae40
	v_add_nc_u32_e32 v21, v19, v20
	v_add_nc_u16 v19, v19, v20
	v_cvt_i32_f64_e32 v20, v[0:1]
	v_cvt_i32_f64_e32 v6, v[7:8]
	s_delay_alu instid0(VALU_DEP_4) | instskip(NEXT) | instid1(VALU_DEP_4)
	v_dual_mov_b32 v58, 0 :: v_dual_and_b32 v17, 0x7f, v21
	v_lshrrev_b16 v1, 1, v19
	v_cndmask_b32_e64 v26, 0, 1, vcc_lo
	v_cvt_i32_f64_e32 v9, v[9:10]
	v_add_nc_u32_e32 v67, 0x4920, v53
	v_lshl_or_b32 v7, v17, 4, v27
	v_and_b32_e32 v1, 60, v1
	v_xor_b32_e32 v0, 64, v17
	v_mul_i32_i24_e32 v81, s11, v17
	v_dual_mov_b32 v17, 0 :: v_dual_add_nc_u32 v68, 0x5140, v53
	s_delay_alu instid0(VALU_DEP_4)
	v_add3_u32 v82, v7, v1, 0xa200
	v_cvt_i32_f64_e32 v7, v[11:12]
	v_cvt_i32_f64_e32 v12, v[15:16]
	v_lshrrev_b32_e32 v8, 1, v0
	v_lshl_or_b32 v10, v0, 4, v27
	v_and_b32_e32 v11, 63, v21
	v_mov_b32_e32 v21, 0
	v_add_nc_u32_e32 v43, s0, v40
	v_and_b32_e32 v8, 60, v8
	v_mul_i32_i24_e32 v83, s11, v0
	v_add_nc_u32_e32 v69, 0x5960, v53
	v_add_nc_u32_e32 v71, 0x6180, v53
	;; [unrolled: 1-line block ×3, first 2 shown]
	v_add3_u32 v84, v10, v8, 0xa200
	v_cvt_i32_f64_e32 v8, v[13:14]
	v_or_b32_e32 v13, s7, v11
	v_cvt_i32_f64_e32 v14, v[2:3]
	v_and_b32_e32 v10, 31, v23
	v_lshl_or_b32 v11, v11, 4, v27
	v_mul_lo_u32 v90, s13, v5
	v_min_i32_e32 v13, s1, v13
	v_add_nc_u32_e32 v72, 0x69a0, v53
	v_add_nc_u32_e32 v73, 0x71c0, v53
	;; [unrolled: 1-line block ×3, first 2 shown]
	v_mul_lo_u32 v88, s13, v20
	v_mad_u64_u32 v[2:3], null, v13, s13, v[4:5]
	v_mov_b32_e32 v13, 0
	v_add_nc_u32_e32 v47, s0, v46
	v_or_b32_e32 v3, v37, v10
	v_dual_mov_b32 v44, 0 :: v_dual_mov_b32 v35, 0
	v_or_b32_e32 v4, v85, v10
	v_add_nc_u32_e32 v5, 0x60, v23
	s_delay_alu instid0(VALU_DEP_4)
	v_lshl_add_u32 v89, v3, 2, 0x8200
	v_or_b32_e32 v3, v87, v10
	v_mov_b32_e32 v27, 0
	v_lshl_add_u32 v92, v4, 2, 0x8200
	v_or_b32_e32 v4, v94, v10
	v_mul_lo_u32 v93, s13, v6
	v_mul_lo_u32 v104, s13, v12
	v_dual_mov_b32 v12, 0 :: v_dual_add_nc_u32 v49, s0, v47
	v_lshl_add_u32 v95, v3, 2, 0x8200
	v_or_b32_e32 v3, v91, v10
	v_lshl_add_u32 v101, v4, 2, 0x8200
	v_or_b32_e32 v4, v98, v10
	v_dual_mov_b32 v11, 0 :: v_dual_add_nc_u32 v52, s0, v49
	s_delay_alu instid0(VALU_DEP_4) | instskip(SKIP_1) | instid1(VALU_DEP_4)
	v_lshl_add_u32 v99, v3, 2, 0x8200
	v_or_b32_e32 v3, v96, v10
	v_lshl_add_u32 v106, v4, 2, 0x8200
	s_delay_alu instid0(VALU_DEP_4)
	v_add_nc_u32_e32 v54, s0, v52
	v_add_nc_u32_e32 v4, 64, v23
	v_or_b32_e32 v6, v105, v10
	v_lshl_add_u32 v103, v3, 2, 0x8200
	v_add_nc_u32_e32 v3, 32, v23
	v_add_nc_u32_e32 v59, s0, v54
	v_lshrrev_b32_e32 v109, 3, v4
	v_lshrrev_b32_e32 v110, 3, v5
	v_mul_lo_u32 v97, s13, v9
	v_lshrrev_b32_e32 v108, 3, v3
	v_add_nc_u32_e32 v62, s0, v59
	v_lshlrev_b32_e32 v117, 4, v3
	v_mov_b32_e32 v3, 0
	v_mul_lo_u32 v100, s13, v7
	v_mul_lo_u32 v102, s13, v8
	v_add_nc_u32_e32 v66, s0, v62
	v_lshl_add_u32 v111, v6, 2, 0x8200
	v_lshlrev_b32_e32 v6, 2, v30
	v_and_b32_e32 v7, 60, v108
	v_and_b32_e32 v8, 60, v109
	v_add_nc_u32_e32 v70, s0, v66
	v_and_b32_e32 v9, 60, v110
	v_lshrrev_b32_e32 v10, 3, v23
	v_mul_lo_u32 v107, s13, v14
	v_add_nc_u32_e32 v76, 0x79e0, v53
	v_add_nc_u32_e32 v74, s0, v70
	v_add3_u32 v112, v6, v31, 0xae40
	v_add3_u32 v113, v31, v7, 0xae40
	;; [unrolled: 1-line block ×4, first 2 shown]
	v_add_nc_u32_e32 v75, s0, v74
	v_add_co_u32 v0, s0, s2, v42
	s_delay_alu instid0(VALU_DEP_1)
	v_add_co_ci_u32_e64 v1, null, s3, 0, s0
	s_movk_i32 s0, 0x104
	v_mul_u32_u24_e32 v116, 0x104, v23
	v_mad_u32_u24 v118, v23, s0, 0x2080
	v_lshlrev_b32_e32 v119, 4, v4
	v_mad_u32_u24 v120, v23, s0, 0x4100
	v_lshlrev_b32_e32 v121, 4, v5
	;; [unrolled: 2-line block ×3, first 2 shown]
	v_dual_mov_b32 v14, 0 :: v_dual_lshlrev_b32 v125, 2, v10
	v_mov_b32_e32 v10, 0
	v_dual_mov_b32 v6, 0 :: v_dual_mov_b32 v9, 0
	v_dual_mov_b32 v5, 0 :: v_dual_mov_b32 v20, 0
	v_mov_b32_e32 v16, 0
	v_mov_b32_e32 v8, 0
	;; [unrolled: 1-line block ×3, first 2 shown]
	v_dual_mov_b32 v26, 0 :: v_dual_mov_b32 v19, 0
	v_mov_b32_e32 v15, 0
	v_mov_b32_e32 v7, 0
	s_mov_b32 s13, 0
.LBB173_5:                              ; =>This Loop Header: Depth=1
                                        ;     Child Loop BB173_6 Depth 2
                                        ;       Child Loop BB173_7 Depth 3
	s_delay_alu instid0(SALU_CYCLE_1)
	s_mul_i32 s0, s13, 0xb0
	s_mul_hi_u32 s1, s13, 0xb0
	s_add_u32 s0, s5, s0
	s_addc_u32 s1, s12, s1
	s_mov_b32 s14, 0
	v_mad_u64_u32 v[126:127], null, 0xb0, v30, s[0:1]
	s_delay_alu instid0(VALU_DEP_1) | instskip(SKIP_3) | instid1(VALU_DEP_4)
	v_mad_u64_u32 v[128:129], null, 0xb0, v50, v[126:127]
	v_mad_u64_u32 v[130:131], null, 0xb0, v33, v[126:127]
	;; [unrolled: 1-line block ×4, first 2 shown]
	v_add_co_u32 v132, vcc_lo, v128, v41
	v_add_co_ci_u32_e32 v133, vcc_lo, 0, v129, vcc_lo
	v_add_co_u32 v128, vcc_lo, v128, v42
	v_add_co_ci_u32_e32 v129, vcc_lo, 0, v129, vcc_lo
	;; [unrolled: 2-line block ×6, first 2 shown]
	v_mad_u64_u32 v[144:145], null, 0xb0, v43, v[126:127]
	v_add_co_u32 v142, vcc_lo, v138, v41
	v_add_co_ci_u32_e32 v143, vcc_lo, 0, v139, vcc_lo
	v_add_co_u32 v138, vcc_lo, v138, v42
	v_add_co_ci_u32_e32 v139, vcc_lo, 0, v139, vcc_lo
	s_clause 0x7
	global_load_b32 v146, v[132:133], off offset:48
	global_load_b32 v147, v[128:129], off offset:16
	;; [unrolled: 1-line block ×8, first 2 shown]
	v_mad_u64_u32 v[128:129], null, 0xb0, v46, v[126:127]
	v_add_co_u32 v130, vcc_lo, v144, v41
	v_add_co_ci_u32_e32 v131, vcc_lo, 0, v145, vcc_lo
	v_add_co_u32 v132, vcc_lo, v144, v42
	v_mad_u64_u32 v[136:137], null, 0xb0, v47, v[126:127]
	v_add_co_ci_u32_e32 v133, vcc_lo, 0, v145, vcc_lo
	v_add_co_u32 v134, vcc_lo, v128, v41
	v_add_co_ci_u32_e32 v135, vcc_lo, 0, v129, vcc_lo
	v_add_co_u32 v128, vcc_lo, v128, v42
	v_mad_u64_u32 v[138:139], null, 0xb0, v49, v[126:127]
	v_add_co_ci_u32_e32 v129, vcc_lo, 0, v129, vcc_lo
	v_add_co_u32 v140, vcc_lo, v136, v41
	v_add_co_ci_u32_e32 v141, vcc_lo, 0, v137, vcc_lo
	v_add_co_u32 v136, vcc_lo, v136, v42
	v_add_co_ci_u32_e32 v137, vcc_lo, 0, v137, vcc_lo
	v_mad_u64_u32 v[144:145], null, 0xb0, v52, v[126:127]
	v_add_co_u32 v142, vcc_lo, v138, v41
	v_add_co_ci_u32_e32 v143, vcc_lo, 0, v139, vcc_lo
	v_add_co_u32 v138, vcc_lo, v138, v42
	v_add_co_ci_u32_e32 v139, vcc_lo, 0, v139, vcc_lo
	s_clause 0x7
	global_load_b32 v154, v[130:131], off offset:48
	global_load_b32 v155, v[132:133], off offset:16
	;; [unrolled: 1-line block ×8, first 2 shown]
	v_mad_u64_u32 v[128:129], null, 0xb0, v54, v[126:127]
	v_add_co_u32 v130, vcc_lo, v144, v41
	v_add_co_ci_u32_e32 v131, vcc_lo, 0, v145, vcc_lo
	v_add_co_u32 v132, vcc_lo, v144, v42
	v_mad_u64_u32 v[136:137], null, 0xb0, v59, v[126:127]
	v_add_co_ci_u32_e32 v133, vcc_lo, 0, v145, vcc_lo
	v_add_co_u32 v134, vcc_lo, v128, v41
	v_add_co_ci_u32_e32 v135, vcc_lo, 0, v129, vcc_lo
	v_add_co_u32 v128, vcc_lo, v128, v42
	v_mad_u64_u32 v[138:139], null, 0xb0, v62, v[126:127]
	v_add_co_ci_u32_e32 v129, vcc_lo, 0, v129, vcc_lo
	v_add_co_u32 v140, vcc_lo, v136, v41
	v_add_co_ci_u32_e32 v141, vcc_lo, 0, v137, vcc_lo
	v_add_co_u32 v136, vcc_lo, v136, v42
	v_add_co_ci_u32_e32 v137, vcc_lo, 0, v137, vcc_lo
	v_mad_u64_u32 v[144:145], null, 0xb0, v66, v[126:127]
	v_add_co_u32 v142, vcc_lo, v138, v41
	v_add_co_ci_u32_e32 v143, vcc_lo, 0, v139, vcc_lo
	v_add_co_u32 v138, vcc_lo, v138, v42
	v_add_co_ci_u32_e32 v139, vcc_lo, 0, v139, vcc_lo
	s_clause 0x7
	global_load_b32 v162, v[130:131], off offset:48
	global_load_b32 v163, v[132:133], off offset:16
	;; [unrolled: 1-line block ×8, first 2 shown]
	v_mad_u64_u32 v[128:129], null, 0xb0, v70, v[126:127]
	v_add_co_u32 v130, vcc_lo, v144, v41
	v_add_co_ci_u32_e32 v131, vcc_lo, 0, v145, vcc_lo
	v_add_co_u32 v132, vcc_lo, v144, v42
	v_add_co_ci_u32_e32 v133, vcc_lo, 0, v145, vcc_lo
	;; [unrolled: 2-line block ×4, first 2 shown]
	s_clause 0x3
	global_load_b32 v139, v[130:131], off offset:48
	global_load_b32 v141, v[132:133], off offset:16
	;; [unrolled: 1-line block ×4, first 2 shown]
	v_mad_u64_u32 v[128:129], null, 0xb0, v74, v[126:127]
	v_mad_u64_u32 v[132:133], null, 0xb0, v75, v[126:127]
	s_delay_alu instid0(VALU_DEP_2) | instskip(NEXT) | instid1(VALU_DEP_3)
	v_add_co_u32 v130, vcc_lo, v128, v41
	v_add_co_ci_u32_e32 v131, vcc_lo, 0, v129, vcc_lo
	v_add_co_u32 v126, vcc_lo, v128, v42
	v_add_co_ci_u32_e32 v127, vcc_lo, 0, v129, vcc_lo
	v_mad_u64_u32 v[128:129], null, 0xb0, v81, s[0:1]
	v_add_co_u32 v134, vcc_lo, v132, v41
	v_add_co_ci_u32_e32 v135, vcc_lo, 0, v133, vcc_lo
	v_add_co_u32 v132, vcc_lo, v132, v42
	v_add_co_ci_u32_e32 v133, vcc_lo, 0, v133, vcc_lo
	;; [unrolled: 2-line block ×3, first 2 shown]
	v_mad_u64_u32 v[128:129], null, 0xb0, v83, s[0:1]
	s_clause 0x3
	global_load_b32 v130, v[130:131], off offset:48
	global_load_b32 v131, v[126:127], off offset:16
	;; [unrolled: 1-line block ×4, first 2 shown]
	v_add_co_u32 v126, vcc_lo, v144, v123
	v_add_co_ci_u32_e32 v127, vcc_lo, 0, v145, vcc_lo
	v_add_co_u32 v133, vcc_lo, v128, 4
	v_add_co_ci_u32_e32 v135, vcc_lo, 0, v129, vcc_lo
	global_load_b32 v166, v[126:127], off
	v_add_co_u32 v126, vcc_lo, v133, v123
	v_add_co_ci_u32_e32 v127, vcc_lo, 0, v135, vcc_lo
	v_add_co_u32 v128, vcc_lo, v144, v124
	v_add_co_ci_u32_e32 v129, vcc_lo, 0, v145, vcc_lo
	global_load_b32 v144, v[126:127], off
	v_add_co_u32 v126, vcc_lo, v133, v124
	global_load_b32 v133, v[128:129], off
	v_mad_u64_u32 v[128:129], null, 0xb0, v77, s[0:1]
	v_add_co_ci_u32_e32 v127, vcc_lo, 0, v135, vcc_lo
	s_clause 0x1
	global_load_b32 v126, v[126:127], off
	global_load_b32 v127, v[128:129], off
	s_lshl_b32 s0, s13, 3
	s_mov_b32 s1, -1
	s_waitcnt vmcnt(36)
	v_lshrrev_b32_e32 v129, 4, v146
	s_waitcnt vmcnt(35)
	v_ashrrev_i32_e32 v135, v45, v147
	v_ashrrev_i32_e32 v145, v51, v147
	v_and_b32_e32 v128, 0xf0f0f0f, v146
	s_waitcnt vmcnt(34)
	v_and_b32_e32 v146, 0xf0f0f0f, v148
	v_lshrrev_b32_e32 v147, 4, v148
	s_waitcnt vmcnt(33)
	v_ashrrev_i32_e32 v148, v45, v149
	v_ashrrev_i32_e32 v149, v51, v149
	s_waitcnt vmcnt(32)
	v_and_b32_e32 v167, 0xf0f0f0f, v150
	v_lshrrev_b32_e32 v150, 4, v150
	s_waitcnt vmcnt(31)
	v_ashrrev_i32_e32 v168, v45, v151
	v_ashrrev_i32_e32 v151, v51, v151
	;; [unrolled: 6-line block ×3, first 2 shown]
	v_and_b32_e32 v129, 0xf0f0f0f, v129
	v_lshlrev_b32_e32 v135, 4, v135
	v_lshlrev_b32_e32 v145, 4, v145
	v_and_b32_e32 v147, 0xf0f0f0f, v147
	v_lshlrev_b32_e32 v148, 4, v148
	v_lshlrev_b32_e32 v149, 4, v149
	v_and_b32_e32 v150, 0xf0f0f0f, v150
	v_lshlrev_b32_e32 v168, 4, v168
	v_lshlrev_b32_e32 v151, 4, v151
	v_and_b32_e32 v152, 0xf0f0f0f, v152
	v_lshlrev_b32_e32 v170, 4, v170
	v_lshlrev_b32_e32 v153, 4, v153
	v_and_or_b32 v128, 0x10101010, v135, v128
	v_and_or_b32 v129, 0x10101010, v145, v129
	;; [unrolled: 1-line block ×8, first 2 shown]
	s_waitcnt vmcnt(28)
	v_and_b32_e32 v171, 0xf0f0f0f, v154
	v_lshrrev_b32_e32 v154, 4, v154
	s_waitcnt vmcnt(27)
	v_ashrrev_i32_e32 v172, v45, v155
	v_ashrrev_i32_e32 v155, v51, v155
	s_waitcnt vmcnt(26)
	v_and_b32_e32 v173, 0xf0f0f0f, v156
	v_lshrrev_b32_e32 v156, 4, v156
	s_waitcnt vmcnt(25)
	v_ashrrev_i32_e32 v174, v45, v157
	v_ashrrev_i32_e32 v157, v51, v157
	;; [unrolled: 6-line block ×4, first 2 shown]
	v_and_b32_e32 v154, 0xf0f0f0f, v154
	v_lshlrev_b32_e32 v172, 4, v172
	v_lshlrev_b32_e32 v155, 4, v155
	v_and_b32_e32 v156, 0xf0f0f0f, v156
	v_lshlrev_b32_e32 v174, 4, v174
	v_lshlrev_b32_e32 v157, 4, v157
	;; [unrolled: 3-line block ×4, first 2 shown]
	v_and_or_b32 v150, 0x10101010, v172, v171
	v_and_or_b32 v151, 0x10101010, v155, v154
	;; [unrolled: 1-line block ×8, first 2 shown]
	s_waitcnt vmcnt(20)
	v_and_b32_e32 v179, 0xf0f0f0f, v162
	v_lshrrev_b32_e32 v162, 4, v162
	s_waitcnt vmcnt(19)
	v_ashrrev_i32_e32 v180, v45, v163
	v_ashrrev_i32_e32 v163, v51, v163
	s_waitcnt vmcnt(18)
	v_and_b32_e32 v181, 0xf0f0f0f, v164
	v_lshrrev_b32_e32 v164, 4, v164
	s_waitcnt vmcnt(17)
	v_ashrrev_i32_e32 v182, v45, v165
	v_ashrrev_i32_e32 v165, v51, v165
	s_waitcnt vmcnt(16)
	v_and_b32_e32 v183, 0xf0f0f0f, v140
	v_lshrrev_b32_e32 v140, 4, v140
	s_waitcnt vmcnt(15)
	v_ashrrev_i32_e32 v184, v45, v136
	v_ashrrev_i32_e32 v136, v51, v136
	s_waitcnt vmcnt(14)
	v_and_b32_e32 v185, 0xf0f0f0f, v137
	v_lshrrev_b32_e32 v137, 4, v137
	s_waitcnt vmcnt(13)
	v_ashrrev_i32_e32 v186, v45, v138
	v_ashrrev_i32_e32 v138, v51, v138
	v_and_b32_e32 v162, 0xf0f0f0f, v162
	v_lshlrev_b32_e32 v180, 4, v180
	v_lshlrev_b32_e32 v163, 4, v163
	v_and_b32_e32 v164, 0xf0f0f0f, v164
	v_lshlrev_b32_e32 v182, 4, v182
	v_lshlrev_b32_e32 v165, 4, v165
	v_and_b32_e32 v140, 0xf0f0f0f, v140
	s_waitcnt vmcnt(12)
	v_and_b32_e32 v187, 0xf0f0f0f, v139
	v_lshrrev_b32_e32 v139, 4, v139
	s_waitcnt vmcnt(11)
	v_ashrrev_i32_e32 v188, v45, v141
	v_ashrrev_i32_e32 v141, v51, v141
	s_waitcnt vmcnt(10)
	v_lshrrev_b32_e32 v189, 4, v142
	s_waitcnt vmcnt(9)
	v_ashrrev_i32_e32 v190, v45, v143
	v_ashrrev_i32_e32 v143, v51, v143
	v_lshlrev_b32_e32 v184, 4, v184
	v_lshlrev_b32_e32 v136, 4, v136
	v_and_b32_e32 v137, 0xf0f0f0f, v137
	v_lshlrev_b32_e32 v186, 4, v186
	v_lshlrev_b32_e32 v138, 4, v138
	v_and_b32_e32 v139, 0xf0f0f0f, v139
	v_lshlrev_b32_e32 v188, 4, v188
	v_lshlrev_b32_e32 v141, 4, v141
	v_and_or_b32 v158, 0x10101010, v180, v179
	v_and_or_b32 v159, 0x10101010, v163, v162
	;; [unrolled: 1-line block ×6, first 2 shown]
	ds_store_2addr_b32 v53, v128, v129 offset1:8
	ds_store_2addr_b32 v55, v135, v145 offset1:8
	;; [unrolled: 1-line block ×10, first 2 shown]
	v_and_b32_e32 v128, 0xf0f0f0f, v142
	v_and_b32_e32 v129, 0xf0f0f0f, v189
	v_lshlrev_b32_e32 v135, 4, v190
	v_lshlrev_b32_e32 v142, 4, v143
	v_and_or_b32 v140, 0x10101010, v186, v185
	v_and_or_b32 v137, 0x10101010, v138, v137
	;; [unrolled: 1-line block ×4, first 2 shown]
	ds_store_2addr_b32 v68, v162, v136 offset1:8
	ds_store_2addr_b32 v69, v140, v137 offset1:8
	v_and_or_b32 v128, 0x10101010, v135, v128
	v_and_or_b32 v129, 0x10101010, v142, v129
	s_waitcnt vmcnt(8)
	v_lshrrev_b32_e32 v135, 4, v130
	s_waitcnt vmcnt(7)
	v_ashrrev_i32_e32 v136, v45, v131
	v_ashrrev_i32_e32 v131, v51, v131
	ds_store_2addr_b32 v71, v138, v139 offset1:8
	ds_store_2addr_b32 v72, v128, v129 offset1:8
	v_and_b32_e32 v129, 0xf0f0f0f, v135
	v_and_b32_e32 v128, 0xf0f0f0f, v130
	v_lshlrev_b32_e32 v131, 4, v131
	v_lshlrev_b32_e32 v130, 4, v136
	s_waitcnt vmcnt(6)
	v_lshrrev_b32_e32 v135, 4, v134
	s_waitcnt vmcnt(5)
	v_ashrrev_i32_e32 v136, v45, v132
	v_ashrrev_i32_e32 v132, v51, v132
	v_and_or_b32 v129, 0x10101010, v131, v129
	v_and_or_b32 v128, 0x10101010, v130, v128
	v_and_b32_e32 v130, 0xf0f0f0f, v134
	v_and_b32_e32 v134, 0xf0f0f0f, v135
	v_lshlrev_b32_e32 v135, 4, v136
	v_lshlrev_b32_e32 v132, 4, v132
	s_waitcnt vmcnt(4)
	v_ashrrev_i32_e32 v136, v79, v166
	s_waitcnt vmcnt(3)
	v_ashrrev_i32_e32 v131, v79, v144
	v_and_or_b32 v130, 0x10101010, v135, v130
	v_and_or_b32 v132, 0x10101010, v132, v134
	v_and_b32_e32 v134, 0xf0f0f0f, v136
	s_waitcnt vmcnt(2)
	v_ashrrev_i32_e32 v133, v80, v133
	v_and_b32_e32 v131, 0xf0f0f0f, v131
	ds_store_2addr_b32 v73, v128, v129 offset1:8
	ds_store_2addr_b32 v76, v130, v132 offset1:8
	v_and_or_b32 v128, 0x30303030, v133, v134
	s_waitcnt vmcnt(1)
	v_ashrrev_i32_e32 v126, v80, v126
	s_waitcnt vmcnt(0)
	ds_store_b32 v78, v127
	ds_store_b32 v82, v128
	v_and_or_b32 v129, 0x30303030, v126, v131
	v_add_nc_u32_e32 v126, s0, v2
	ds_store_b32 v84, v129
.LBB173_6:                              ;   Parent Loop BB173_5 Depth=1
                                        ; =>  This Loop Header: Depth=2
                                        ;       Child Loop BB173_7 Depth 3
	v_lshl_add_u32 v127, s14, 5, v23
	v_lshl_add_u32 v145, s14, 2, v126
	s_lshl_b32 s14, s14, 4
	s_xor_b32 s1, s1, -1
	s_add_i32 s15, s14, 16
	v_lshrrev_b32_e32 v127, 3, v127
	s_delay_alu instid0(VALU_DEP_1) | instskip(NEXT) | instid1(VALU_DEP_1)
	v_add_nc_u32_e32 v139, s0, v127
	v_add_nc_u32_e32 v129, v139, v88
	;; [unrolled: 1-line block ×7, first 2 shown]
	v_mad_i64_i32 v[127:128], null, v129, 36, v[0:1]
	v_add_nc_u32_e32 v141, v139, v104
	v_mad_i64_i32 v[129:130], null, v131, 36, v[0:1]
	v_mad_i64_i32 v[131:132], null, v133, 36, v[0:1]
	v_add_nc_u32_e32 v143, v139, v107
	v_mad_i64_i32 v[133:134], null, v135, 36, v[0:1]
	v_mad_i64_i32 v[135:136], null, v137, 36, v[0:1]
	;; [unrolled: 1-line block ×5, first 2 shown]
	v_mad_u64_u32 v[143:144], null, v145, 36, s[2:3]
	s_clause 0x8
	global_load_b32 v127, v[127:128], off offset:4
	global_load_b32 v128, v[129:130], off offset:4
	;; [unrolled: 1-line block ×8, first 2 shown]
	global_load_b32 v135, v[143:144], off
	s_waitcnt vmcnt(8)
	ds_store_b32 v89, v127
	s_waitcnt vmcnt(7)
	ds_store_b32 v92, v128
	s_waitcnt vmcnt(6)
	ds_store_b32 v95, v129
	s_waitcnt vmcnt(5)
	ds_store_b32 v99, v130
	s_waitcnt vmcnt(4)
	ds_store_b32 v101, v131
	s_waitcnt vmcnt(3)
	ds_store_b32 v103, v132
	s_waitcnt vmcnt(2)
	ds_store_b32 v106, v133
	s_waitcnt vmcnt(1)
	ds_store_b32 v111, v134
	s_waitcnt vmcnt(0)
	ds_store_b32 v86, v135
	s_waitcnt lgkmcnt(0)
	s_barrier
	buffer_gl0_inv
	ds_load_b32 v128, v112
	ds_load_b32 v129, v113 offset:128
	ds_load_b32 v130, v114 offset:256
	;; [unrolled: 1-line block ×3, first 2 shown]
	s_waitcnt lgkmcnt(3)
	v_lshrrev_b32_e32 v132, 16, v128
	s_waitcnt lgkmcnt(2)
	v_lshrrev_b32_e32 v133, 16, v129
	;; [unrolled: 2-line block ×4, first 2 shown]
	v_cvt_f32_f16_e64 v127, v128
	v_cvt_f32_f16_e64 v128, v129
	;; [unrolled: 1-line block ×8, first 2 shown]
.LBB173_7:                              ;   Parent Loop BB173_5 Depth=1
                                        ;     Parent Loop BB173_6 Depth=2
                                        ; =>    This Inner Loop Header: Depth=3
	s_lshl_b32 s17, s14, 1
	s_lshl_b32 s16, s14, 3
	s_and_b32 s17, s17, 16
	v_add_nc_u32_e32 v143, s16, v116
	v_or_b32_e32 v142, s17, v37
	v_add_nc_u32_e32 v145, s16, v118
	v_add_nc_u32_e32 v146, s16, v120
	;; [unrolled: 1-line block ×3, first 2 shown]
	s_lshr_b32 s16, s14, 2
	v_lshlrev_b32_e32 v144, 2, v142
	s_and_b32 s16, s16, 0x3ffffffe
	v_lshrrev_b32_e32 v142, 1, v142
	s_add_i32 s16, s16, 0xa200
	ds_load_2addr_b32 v[183:184], v143 offset1:1
	ds_load_b128 v[135:138], v144 offset:33280
	ds_load_2addr_b32 v[185:186], v145 offset1:1
	ds_load_2addr_b32 v[193:194], v145 offset0:2 offset1:3
	ds_load_2addr_b32 v[187:188], v146 offset1:1
	ds_load_2addr_b32 v[189:190], v147 offset1:1
	ds_load_2addr_b32 v[197:198], v147 offset0:2 offset1:3
	ds_load_2addr_b32 v[191:192], v143 offset0:2 offset1:3
	;; [unrolled: 1-line block ×3, first 2 shown]
	s_add_i32 s14, s14, 8
	s_delay_alu instid0(SALU_CYCLE_1)
	s_cmp_lt_u32 s14, s15
	s_waitcnt lgkmcnt(7)
	v_dot4_i32_iu8 v139, v183, v135, 0 neg_lo:[1,1,0]
	s_waitcnt lgkmcnt(6)
	v_dot4_i32_iu8 v140, v185, v135, 0 neg_lo:[1,1,0]
	;; [unrolled: 2-line block ×4, first 2 shown]
	v_dot4_i32_iu8 v139, v184, v136, v139 neg_lo:[1,1,0]
	v_dot4_i32_iu8 v140, v186, v136, v140 neg_lo:[1,1,0]
	;; [unrolled: 1-line block ×3, first 2 shown]
	s_delay_alu instid0(VALU_DEP_4)
	v_dot4_i32_iu8 v135, v190, v136, v135 neg_lo:[1,1,0]
	s_waitcnt lgkmcnt(1)
	v_dot4_i32_iu8 v136, v191, v137, v139 neg_lo:[1,1,0]
	v_dot4_i32_iu8 v139, v193, v137, v140 neg_lo:[1,1,0]
	s_waitcnt lgkmcnt(0)
	v_dot4_i32_iu8 v140, v195, v137, v141 neg_lo:[1,1,0]
	v_or_b32_e32 v141, s17, v85
	v_dot4_i32_iu8 v135, v197, v137, v135 neg_lo:[1,1,0]
	v_dot4_i32_iu8 v230, v192, v138, v136 neg_lo:[1,1,0]
	;; [unrolled: 1-line block ×4, first 2 shown]
	v_lshlrev_b32_e32 v148, 2, v141
	v_dot4_i32_iu8 v236, v198, v138, v135 neg_lo:[1,1,0]
	v_lshrrev_b32_e32 v141, 1, v141
	ds_load_b128 v[135:138], v148 offset:33280
	s_waitcnt lgkmcnt(0)
	v_dot4_i32_iu8 v139, v135, v183, 0 neg_lo:[1,1,0]
	v_dot4_i32_iu8 v140, v135, v185, 0 neg_lo:[1,1,0]
	v_dot4_i32_iu8 v149, v135, v187, 0 neg_lo:[1,1,0]
	v_dot4_i32_iu8 v135, v135, v189, 0 neg_lo:[1,1,0]
	s_delay_alu instid0(VALU_DEP_4) | instskip(NEXT) | instid1(VALU_DEP_4)
	v_dot4_i32_iu8 v139, v136, v184, v139 neg_lo:[1,1,0]
	v_dot4_i32_iu8 v140, v136, v186, v140 neg_lo:[1,1,0]
	s_delay_alu instid0(VALU_DEP_4) | instskip(NEXT) | instid1(VALU_DEP_4)
	v_dot4_i32_iu8 v149, v136, v188, v149 neg_lo:[1,1,0]
	v_dot4_i32_iu8 v135, v136, v190, v135 neg_lo:[1,1,0]
	;; [unrolled: 3-line block ×5, first 2 shown]
	s_delay_alu instid0(VALU_DEP_4) | instskip(SKIP_2) | instid1(VALU_DEP_2)
	v_dot4_i32_iu8 v246, v138, v196, v140 neg_lo:[1,1,0]
	v_or_b32_e32 v140, s17, v87
	v_dot4_i32_iu8 v247, v138, v198, v135 neg_lo:[1,1,0]
	v_lshlrev_b32_e32 v149, 2, v140
	v_lshrrev_b32_e32 v140, 1, v140
	ds_load_b128 v[135:138], v149 offset:33280
	s_waitcnt lgkmcnt(0)
	v_dot4_i32_iu8 v139, v135, v183, 0 neg_lo:[1,1,0]
	v_dot4_i32_iu8 v150, v135, v185, 0 neg_lo:[1,1,0]
	;; [unrolled: 1-line block ×4, first 2 shown]
	s_delay_alu instid0(VALU_DEP_4) | instskip(NEXT) | instid1(VALU_DEP_4)
	v_dot4_i32_iu8 v139, v136, v184, v139 neg_lo:[1,1,0]
	v_dot4_i32_iu8 v150, v136, v186, v150 neg_lo:[1,1,0]
	s_delay_alu instid0(VALU_DEP_4) | instskip(NEXT) | instid1(VALU_DEP_4)
	v_dot4_i32_iu8 v151, v136, v188, v151 neg_lo:[1,1,0]
	v_dot4_i32_iu8 v135, v136, v190, v135 neg_lo:[1,1,0]
	;; [unrolled: 3-line block ×5, first 2 shown]
	v_or_b32_e32 v139, s17, v91
	v_dot4_i32_iu8 v160, v138, v196, v150 neg_lo:[1,1,0]
	v_dot4_i32_iu8 v161, v138, v198, v135 neg_lo:[1,1,0]
	s_delay_alu instid0(VALU_DEP_3)
	v_lshlrev_b32_e32 v150, 2, v139
	v_lshrrev_b32_e32 v139, 1, v139
	ds_load_b128 v[135:138], v150 offset:33280
	s_waitcnt lgkmcnt(0)
	v_dot4_i32_iu8 v151, v135, v183, 0 neg_lo:[1,1,0]
	v_dot4_i32_iu8 v152, v135, v185, 0 neg_lo:[1,1,0]
	;; [unrolled: 1-line block ×4, first 2 shown]
	s_delay_alu instid0(VALU_DEP_4) | instskip(NEXT) | instid1(VALU_DEP_4)
	v_dot4_i32_iu8 v151, v136, v184, v151 neg_lo:[1,1,0]
	v_dot4_i32_iu8 v152, v136, v186, v152 neg_lo:[1,1,0]
	s_delay_alu instid0(VALU_DEP_4) | instskip(NEXT) | instid1(VALU_DEP_4)
	v_dot4_i32_iu8 v153, v136, v188, v153 neg_lo:[1,1,0]
	v_dot4_i32_iu8 v135, v136, v190, v135 neg_lo:[1,1,0]
	s_delay_alu instid0(VALU_DEP_4) | instskip(NEXT) | instid1(VALU_DEP_4)
	v_dot4_i32_iu8 v136, v137, v191, v151 neg_lo:[1,1,0]
	v_dot4_i32_iu8 v151, v137, v193, v152 neg_lo:[1,1,0]
	s_delay_alu instid0(VALU_DEP_4) | instskip(NEXT) | instid1(VALU_DEP_4)
	v_dot4_i32_iu8 v152, v137, v195, v153 neg_lo:[1,1,0]
	v_dot4_i32_iu8 v135, v137, v197, v135 neg_lo:[1,1,0]
	s_delay_alu instid0(VALU_DEP_4) | instskip(NEXT) | instid1(VALU_DEP_4)
	v_dot4_i32_iu8 v162, v138, v192, v136 neg_lo:[1,1,0]
	v_dot4_i32_iu8 v163, v138, v194, v151 neg_lo:[1,1,0]
	s_delay_alu instid0(VALU_DEP_4) | instskip(NEXT) | instid1(VALU_DEP_4)
	v_dot4_i32_iu8 v164, v138, v196, v152 neg_lo:[1,1,0]
	v_dot4_i32_iu8 v165, v138, v198, v135 neg_lo:[1,1,0]
	v_or_b32_e32 v138, s17, v94
	s_delay_alu instid0(VALU_DEP_1)
	v_lshlrev_b32_e32 v151, 2, v138
	v_lshrrev_b32_e32 v138, 1, v138
	ds_load_b128 v[152:155], v151 offset:33280
	s_waitcnt lgkmcnt(0)
	v_dot4_i32_iu8 v137, v152, v187, 0 neg_lo:[1,1,0]
	v_dot4_i32_iu8 v135, v152, v183, 0 neg_lo:[1,1,0]
	v_dot4_i32_iu8 v136, v152, v185, 0 neg_lo:[1,1,0]
	v_dot4_i32_iu8 v152, v152, v189, 0 neg_lo:[1,1,0]
	s_delay_alu instid0(VALU_DEP_4) | instskip(NEXT) | instid1(VALU_DEP_4)
	v_dot4_i32_iu8 v137, v153, v188, v137 neg_lo:[1,1,0]
	v_dot4_i32_iu8 v135, v153, v184, v135 neg_lo:[1,1,0]
	s_delay_alu instid0(VALU_DEP_4) | instskip(NEXT) | instid1(VALU_DEP_4)
	v_dot4_i32_iu8 v136, v153, v186, v136 neg_lo:[1,1,0]
	v_dot4_i32_iu8 v152, v153, v190, v152 neg_lo:[1,1,0]
	s_delay_alu instid0(VALU_DEP_4) | instskip(NEXT) | instid1(VALU_DEP_4)
	v_dot4_i32_iu8 v137, v154, v195, v137 neg_lo:[1,1,0]
	v_dot4_i32_iu8 v135, v154, v191, v135 neg_lo:[1,1,0]
	s_delay_alu instid0(VALU_DEP_4) | instskip(NEXT) | instid1(VALU_DEP_4)
	v_dot4_i32_iu8 v136, v154, v193, v136 neg_lo:[1,1,0]
	v_dot4_i32_iu8 v152, v154, v197, v152 neg_lo:[1,1,0]
	s_delay_alu instid0(VALU_DEP_4) | instskip(SKIP_2) | instid1(VALU_DEP_4)
	v_dot4_i32_iu8 v168, v155, v196, v137 neg_lo:[1,1,0]
	v_or_b32_e32 v137, s17, v96
	v_dot4_i32_iu8 v166, v155, v192, v135 neg_lo:[1,1,0]
	v_dot4_i32_iu8 v169, v155, v198, v152 neg_lo:[1,1,0]
	v_dot4_i32_iu8 v167, v155, v194, v136 neg_lo:[1,1,0]
	s_delay_alu instid0(VALU_DEP_4)
	v_lshlrev_b32_e32 v152, 2, v137
	v_lshrrev_b32_e32 v137, 1, v137
	ds_load_b128 v[153:156], v152 offset:33280
	s_waitcnt lgkmcnt(0)
	v_dot4_i32_iu8 v136, v153, v185, 0 neg_lo:[1,1,0]
	v_dot4_i32_iu8 v135, v153, v183, 0 neg_lo:[1,1,0]
	v_dot4_i32_iu8 v157, v153, v187, 0 neg_lo:[1,1,0]
	v_dot4_i32_iu8 v153, v153, v189, 0 neg_lo:[1,1,0]
	s_delay_alu instid0(VALU_DEP_4) | instskip(NEXT) | instid1(VALU_DEP_4)
	v_dot4_i32_iu8 v136, v154, v186, v136 neg_lo:[1,1,0]
	v_dot4_i32_iu8 v135, v154, v184, v135 neg_lo:[1,1,0]
	s_delay_alu instid0(VALU_DEP_4) | instskip(NEXT) | instid1(VALU_DEP_4)
	v_dot4_i32_iu8 v157, v154, v188, v157 neg_lo:[1,1,0]
	v_dot4_i32_iu8 v153, v154, v190, v153 neg_lo:[1,1,0]
	s_delay_alu instid0(VALU_DEP_4) | instskip(NEXT) | instid1(VALU_DEP_4)
	v_dot4_i32_iu8 v136, v155, v193, v136 neg_lo:[1,1,0]
	v_dot4_i32_iu8 v135, v155, v191, v135 neg_lo:[1,1,0]
	s_delay_alu instid0(VALU_DEP_4) | instskip(NEXT) | instid1(VALU_DEP_4)
	v_dot4_i32_iu8 v154, v155, v195, v157 neg_lo:[1,1,0]
	v_dot4_i32_iu8 v153, v155, v197, v153 neg_lo:[1,1,0]
	s_delay_alu instid0(VALU_DEP_4) | instskip(SKIP_2) | instid1(VALU_DEP_4)
	v_dot4_i32_iu8 v171, v156, v194, v136 neg_lo:[1,1,0]
	v_or_b32_e32 v136, s17, v98
	v_dot4_i32_iu8 v170, v156, v192, v135 neg_lo:[1,1,0]
	v_dot4_i32_iu8 v173, v156, v198, v153 neg_lo:[1,1,0]
	v_dot4_i32_iu8 v172, v156, v196, v154 neg_lo:[1,1,0]
	s_delay_alu instid0(VALU_DEP_4)
	v_lshlrev_b32_e32 v153, 2, v136
	v_lshrrev_b32_e32 v136, 1, v136
	ds_load_b128 v[154:157], v153 offset:33280
	s_waitcnt lgkmcnt(0)
	v_dot4_i32_iu8 v135, v154, v183, 0 neg_lo:[1,1,0]
	v_dot4_i32_iu8 v174, v154, v185, 0 neg_lo:[1,1,0]
	v_dot4_i32_iu8 v175, v154, v187, 0 neg_lo:[1,1,0]
	v_dot4_i32_iu8 v154, v154, v189, 0 neg_lo:[1,1,0]
	s_delay_alu instid0(VALU_DEP_4) | instskip(NEXT) | instid1(VALU_DEP_4)
	v_dot4_i32_iu8 v135, v155, v184, v135 neg_lo:[1,1,0]
	v_dot4_i32_iu8 v174, v155, v186, v174 neg_lo:[1,1,0]
	s_delay_alu instid0(VALU_DEP_4) | instskip(NEXT) | instid1(VALU_DEP_4)
	v_dot4_i32_iu8 v175, v155, v188, v175 neg_lo:[1,1,0]
	v_dot4_i32_iu8 v154, v155, v190, v154 neg_lo:[1,1,0]
	s_delay_alu instid0(VALU_DEP_4) | instskip(NEXT) | instid1(VALU_DEP_4)
	v_dot4_i32_iu8 v135, v156, v191, v135 neg_lo:[1,1,0]
	v_dot4_i32_iu8 v155, v156, v193, v174 neg_lo:[1,1,0]
	s_delay_alu instid0(VALU_DEP_4) | instskip(NEXT) | instid1(VALU_DEP_4)
	v_dot4_i32_iu8 v176, v156, v195, v175 neg_lo:[1,1,0]
	v_dot4_i32_iu8 v154, v156, v197, v154 neg_lo:[1,1,0]
	s_delay_alu instid0(VALU_DEP_4) | instskip(SKIP_2) | instid1(VALU_DEP_4)
	v_dot4_i32_iu8 v174, v157, v192, v135 neg_lo:[1,1,0]
	v_or_b32_e32 v135, s17, v105
	v_dot4_i32_iu8 v175, v157, v194, v155 neg_lo:[1,1,0]
	v_dot4_i32_iu8 v177, v157, v198, v154 neg_lo:[1,1,0]
	v_dot4_i32_iu8 v176, v157, v196, v176 neg_lo:[1,1,0]
	s_delay_alu instid0(VALU_DEP_4)
	v_lshlrev_b32_e32 v154, 2, v135
	v_lshrrev_b32_e32 v135, 1, v135
	ds_load_b128 v[179:182], v154 offset:33280
	s_waitcnt lgkmcnt(0)
	v_dot4_i32_iu8 v155, v179, v183, 0 neg_lo:[1,1,0]
	v_dot4_i32_iu8 v156, v179, v185, 0 neg_lo:[1,1,0]
	;; [unrolled: 1-line block ×4, first 2 shown]
	s_delay_alu instid0(VALU_DEP_4) | instskip(NEXT) | instid1(VALU_DEP_4)
	v_dot4_i32_iu8 v155, v180, v184, v155 neg_lo:[1,1,0]
	v_dot4_i32_iu8 v156, v180, v186, v156 neg_lo:[1,1,0]
	s_delay_alu instid0(VALU_DEP_4) | instskip(NEXT) | instid1(VALU_DEP_4)
	v_dot4_i32_iu8 v157, v180, v188, v157 neg_lo:[1,1,0]
	v_dot4_i32_iu8 v183, v180, v190, v178 neg_lo:[1,1,0]
	s_delay_alu instid0(VALU_DEP_4) | instskip(NEXT) | instid1(VALU_DEP_1)
	v_dot4_i32_iu8 v155, v181, v191, v155 neg_lo:[1,1,0]
	v_dot4_i32_iu8 v178, v182, v192, v155 neg_lo:[1,1,0]
	;; [unrolled: 1-line block ×3, first 2 shown]
	s_delay_alu instid0(VALU_DEP_1) | instskip(SKIP_1) | instid1(VALU_DEP_1)
	v_dot4_i32_iu8 v179, v182, v194, v155 neg_lo:[1,1,0]
	v_dot4_i32_iu8 v155, v181, v195, v157 neg_lo:[1,1,0]
	;; [unrolled: 1-line block ×4, first 2 shown]
	s_delay_alu instid0(VALU_DEP_1)
	v_dot4_i32_iu8 v181, v182, v198, v155 neg_lo:[1,1,0]
	ds_load_2addr_b32 v[155:156], v143 offset0:8 offset1:9
	ds_load_b128 v[182:185], v144 offset:33312
	ds_load_2addr_b32 v[215:216], v145 offset0:8 offset1:9
	ds_load_2addr_b32 v[223:224], v145 offset0:10 offset1:11
	;; [unrolled: 1-line block ×7, first 2 shown]
	s_waitcnt lgkmcnt(7)
	v_dot4_i32_iu8 v157, v155, v182, 0 neg_lo:[1,1,0]
	s_waitcnt lgkmcnt(6)
	v_dot4_i32_iu8 v186, v215, v182, 0 neg_lo:[1,1,0]
	;; [unrolled: 2-line block ×4, first 2 shown]
	v_dot4_i32_iu8 v157, v156, v183, v157 neg_lo:[1,1,0]
	v_dot4_i32_iu8 v186, v216, v183, v186 neg_lo:[1,1,0]
	;; [unrolled: 1-line block ×3, first 2 shown]
	s_delay_alu instid0(VALU_DEP_4)
	v_dot4_i32_iu8 v182, v220, v183, v182 neg_lo:[1,1,0]
	s_waitcnt lgkmcnt(1)
	v_dot4_i32_iu8 v157, v221, v184, v157 neg_lo:[1,1,0]
	v_dot4_i32_iu8 v183, v223, v184, v186 neg_lo:[1,1,0]
	s_waitcnt lgkmcnt(0)
	v_dot4_i32_iu8 v186, v225, v184, v187 neg_lo:[1,1,0]
	v_dot4_i32_iu8 v182, v227, v184, v182 neg_lo:[1,1,0]
	;; [unrolled: 1-line block ×4, first 2 shown]
	s_delay_alu instid0(VALU_DEP_4) | instskip(NEXT) | instid1(VALU_DEP_4)
	v_dot4_i32_iu8 v187, v226, v185, v186 neg_lo:[1,1,0]
	v_dot4_i32_iu8 v182, v228, v185, v182 neg_lo:[1,1,0]
	ds_load_b128 v[183:186], v148 offset:33312
	s_waitcnt lgkmcnt(0)
	v_dot4_i32_iu8 v157, v183, v155, 0 neg_lo:[1,1,0]
	v_dot4_i32_iu8 v190, v183, v215, 0 neg_lo:[1,1,0]
	v_dot4_i32_iu8 v191, v183, v217, 0 neg_lo:[1,1,0]
	v_dot4_i32_iu8 v183, v183, v219, 0 neg_lo:[1,1,0]
	s_delay_alu instid0(VALU_DEP_4) | instskip(NEXT) | instid1(VALU_DEP_4)
	v_dot4_i32_iu8 v157, v184, v156, v157 neg_lo:[1,1,0]
	v_dot4_i32_iu8 v190, v184, v216, v190 neg_lo:[1,1,0]
	s_delay_alu instid0(VALU_DEP_4) | instskip(NEXT) | instid1(VALU_DEP_4)
	v_dot4_i32_iu8 v191, v184, v218, v191 neg_lo:[1,1,0]
	v_dot4_i32_iu8 v183, v184, v220, v183 neg_lo:[1,1,0]
	s_delay_alu instid0(VALU_DEP_4) | instskip(NEXT) | instid1(VALU_DEP_4)
	v_dot4_i32_iu8 v157, v185, v221, v157 neg_lo:[1,1,0]
	v_dot4_i32_iu8 v184, v185, v223, v190 neg_lo:[1,1,0]
	s_delay_alu instid0(VALU_DEP_4) | instskip(NEXT) | instid1(VALU_DEP_4)
	v_dot4_i32_iu8 v190, v185, v225, v191 neg_lo:[1,1,0]
	v_dot4_i32_iu8 v191, v185, v227, v183 neg_lo:[1,1,0]
	s_delay_alu instid0(VALU_DEP_4) | instskip(NEXT) | instid1(VALU_DEP_4)
	v_dot4_i32_iu8 v183, v186, v222, v157 neg_lo:[1,1,0]
	v_dot4_i32_iu8 v184, v186, v224, v184 neg_lo:[1,1,0]
	s_delay_alu instid0(VALU_DEP_4) | instskip(NEXT) | instid1(VALU_DEP_4)
	v_dot4_i32_iu8 v185, v186, v226, v190 neg_lo:[1,1,0]
	v_dot4_i32_iu8 v186, v186, v228, v191 neg_lo:[1,1,0]
	ds_load_b128 v[190:193], v149 offset:33312
	s_waitcnt lgkmcnt(0)
	v_dot4_i32_iu8 v157, v190, v155, 0 neg_lo:[1,1,0]
	v_dot4_i32_iu8 v194, v190, v215, 0 neg_lo:[1,1,0]
	v_dot4_i32_iu8 v195, v190, v217, 0 neg_lo:[1,1,0]
	v_dot4_i32_iu8 v190, v190, v219, 0 neg_lo:[1,1,0]
	s_delay_alu instid0(VALU_DEP_4) | instskip(NEXT) | instid1(VALU_DEP_4)
	v_dot4_i32_iu8 v157, v191, v156, v157 neg_lo:[1,1,0]
	v_dot4_i32_iu8 v194, v191, v216, v194 neg_lo:[1,1,0]
	s_delay_alu instid0(VALU_DEP_4) | instskip(NEXT) | instid1(VALU_DEP_4)
	v_dot4_i32_iu8 v195, v191, v218, v195 neg_lo:[1,1,0]
	v_dot4_i32_iu8 v190, v191, v220, v190 neg_lo:[1,1,0]
	s_delay_alu instid0(VALU_DEP_4) | instskip(NEXT) | instid1(VALU_DEP_4)
	v_dot4_i32_iu8 v157, v192, v221, v157 neg_lo:[1,1,0]
	v_dot4_i32_iu8 v191, v192, v223, v194 neg_lo:[1,1,0]
	s_delay_alu instid0(VALU_DEP_4) | instskip(NEXT) | instid1(VALU_DEP_4)
	v_dot4_i32_iu8 v194, v192, v225, v195 neg_lo:[1,1,0]
	v_dot4_i32_iu8 v195, v192, v227, v190 neg_lo:[1,1,0]
	s_delay_alu instid0(VALU_DEP_4) | instskip(NEXT) | instid1(VALU_DEP_4)
	v_dot4_i32_iu8 v190, v193, v222, v157 neg_lo:[1,1,0]
	v_dot4_i32_iu8 v191, v193, v224, v191 neg_lo:[1,1,0]
	;; [unrolled: 24-line block ×6, first 2 shown]
	s_delay_alu instid0(VALU_DEP_4) | instskip(NEXT) | instid1(VALU_DEP_4)
	v_dot4_i32_iu8 v208, v209, v226, v210 neg_lo:[1,1,0]
	v_dot4_i32_iu8 v209, v209, v228, v211 neg_lo:[1,1,0]
	ds_load_b128 v[211:214], v154 offset:33312
	s_waitcnt lgkmcnt(0)
	v_dot4_i32_iu8 v155, v211, v155, 0 neg_lo:[1,1,0]
	v_dot4_i32_iu8 v157, v211, v217, 0 neg_lo:[1,1,0]
	;; [unrolled: 1-line block ×3, first 2 shown]
	s_delay_alu instid0(VALU_DEP_3) | instskip(SKIP_1) | instid1(VALU_DEP_4)
	v_dot4_i32_iu8 v155, v212, v156, v155 neg_lo:[1,1,0]
	v_dot4_i32_iu8 v156, v211, v215, 0 neg_lo:[1,1,0]
	;; [unrolled: 1-line block ×3, first 2 shown]
	s_delay_alu instid0(VALU_DEP_4) | instskip(NEXT) | instid1(VALU_DEP_4)
	v_dot4_i32_iu8 v215, v212, v220, v210 neg_lo:[1,1,0]
	v_dot4_i32_iu8 v155, v213, v221, v155 neg_lo:[1,1,0]
	s_delay_alu instid0(VALU_DEP_4) | instskip(NEXT) | instid1(VALU_DEP_2)
	v_dot4_i32_iu8 v156, v212, v216, v156 neg_lo:[1,1,0]
	v_dot4_i32_iu8 v210, v214, v222, v155 neg_lo:[1,1,0]
	s_delay_alu instid0(VALU_DEP_2) | instskip(NEXT) | instid1(VALU_DEP_1)
	v_dot4_i32_iu8 v155, v213, v223, v156 neg_lo:[1,1,0]
	v_dot4_i32_iu8 v211, v214, v224, v155 neg_lo:[1,1,0]
	;; [unrolled: 1-line block ×3, first 2 shown]
	s_delay_alu instid0(VALU_DEP_1) | instskip(SKIP_1) | instid1(VALU_DEP_1)
	v_dot4_i32_iu8 v212, v214, v226, v155 neg_lo:[1,1,0]
	v_dot4_i32_iu8 v155, v213, v227, v215 neg_lo:[1,1,0]
	;; [unrolled: 1-line block ×3, first 2 shown]
	ds_load_2addr_b32 v[228:229], v143 offset0:4 offset1:5
	ds_load_b128 v[214:217], v144 offset:33296
	ds_load_2addr_b32 v[240:241], v146 offset0:6 offset1:7
	ds_load_2addr_b32 v[238:239], v145 offset0:6 offset1:7
	;; [unrolled: 1-line block ×3, first 2 shown]
	s_waitcnt lgkmcnt(3)
	v_dot4_i32_iu8 v155, v228, v214, v230 neg_lo:[1,1,0]
	ds_load_2addr_b32 v[230:231], v145 offset0:4 offset1:5
	v_dot4_i32_iu8 v155, v229, v215, v155 neg_lo:[1,1,0]
	s_waitcnt lgkmcnt(0)
	v_dot4_i32_iu8 v156, v230, v214, v232 neg_lo:[1,1,0]
	ds_load_2addr_b32 v[232:233], v146 offset0:4 offset1:5
	v_dot4_i32_iu8 v156, v231, v215, v156 neg_lo:[1,1,0]
	s_delay_alu instid0(VALU_DEP_1)
	v_dot4_i32_iu8 v156, v238, v216, v156 neg_lo:[1,1,0]
	s_waitcnt lgkmcnt(0)
	v_dot4_i32_iu8 v157, v232, v214, v234 neg_lo:[1,1,0]
	ds_load_2addr_b32 v[234:235], v147 offset0:4 offset1:5
	v_dot4_i32_iu8 v157, v233, v215, v157 neg_lo:[1,1,0]
	s_waitcnt lgkmcnt(0)
	v_dot4_i32_iu8 v214, v234, v214, v236 neg_lo:[1,1,0]
	ds_load_2addr_b32 v[236:237], v143 offset0:6 offset1:7
	v_dot4_i32_iu8 v214, v235, v215, v214 neg_lo:[1,1,0]
	v_dot4_i32_iu8 v215, v240, v216, v157 neg_lo:[1,1,0]
	;; [unrolled: 1-line block ×3, first 2 shown]
	s_delay_alu instid0(VALU_DEP_2) | instskip(SKIP_3) | instid1(VALU_DEP_2)
	v_dot4_i32_iu8 v156, v241, v217, v215 neg_lo:[1,1,0]
	s_waitcnt lgkmcnt(0)
	v_dot4_i32_iu8 v155, v236, v216, v155 neg_lo:[1,1,0]
	v_dot4_i32_iu8 v216, v242, v216, v214 neg_lo:[1,1,0]
	;; [unrolled: 1-line block ×3, first 2 shown]
	s_delay_alu instid0(VALU_DEP_2)
	v_dot4_i32_iu8 v155, v243, v217, v216 neg_lo:[1,1,0]
	ds_load_b128 v[215:218], v148 offset:33296
	s_waitcnt lgkmcnt(0)
	v_dot4_i32_iu8 v219, v215, v228, v244 neg_lo:[1,1,0]
	v_dot4_i32_iu8 v220, v215, v230, v245 neg_lo:[1,1,0]
	v_dot4_i32_iu8 v221, v215, v232, v246 neg_lo:[1,1,0]
	v_dot4_i32_iu8 v215, v215, v234, v247 neg_lo:[1,1,0]
	s_delay_alu instid0(VALU_DEP_4) | instskip(NEXT) | instid1(VALU_DEP_4)
	v_dot4_i32_iu8 v219, v216, v229, v219 neg_lo:[1,1,0]
	v_dot4_i32_iu8 v220, v216, v231, v220 neg_lo:[1,1,0]
	s_delay_alu instid0(VALU_DEP_4) | instskip(NEXT) | instid1(VALU_DEP_4)
	v_dot4_i32_iu8 v221, v216, v233, v221 neg_lo:[1,1,0]
	v_dot4_i32_iu8 v215, v216, v235, v215 neg_lo:[1,1,0]
	s_delay_alu instid0(VALU_DEP_4) | instskip(NEXT) | instid1(VALU_DEP_4)
	v_dot4_i32_iu8 v216, v217, v236, v219 neg_lo:[1,1,0]
	v_dot4_i32_iu8 v219, v217, v238, v220 neg_lo:[1,1,0]
	s_delay_alu instid0(VALU_DEP_4) | instskip(NEXT) | instid1(VALU_DEP_4)
	v_dot4_i32_iu8 v220, v217, v240, v221 neg_lo:[1,1,0]
	v_dot4_i32_iu8 v215, v217, v242, v215 neg_lo:[1,1,0]
	s_delay_alu instid0(VALU_DEP_4) | instskip(NEXT) | instid1(VALU_DEP_4)
	v_dot4_i32_iu8 v244, v218, v237, v216 neg_lo:[1,1,0]
	v_dot4_i32_iu8 v245, v218, v239, v219 neg_lo:[1,1,0]
	s_delay_alu instid0(VALU_DEP_4) | instskip(NEXT) | instid1(VALU_DEP_4)
	v_dot4_i32_iu8 v227, v218, v241, v220 neg_lo:[1,1,0]
	v_dot4_i32_iu8 v225, v218, v243, v215 neg_lo:[1,1,0]
	ds_load_b128 v[215:218], v149 offset:33296
	s_waitcnt lgkmcnt(0)
	v_dot4_i32_iu8 v158, v215, v228, v158 neg_lo:[1,1,0]
	v_dot4_i32_iu8 v159, v215, v230, v159 neg_lo:[1,1,0]
	v_dot4_i32_iu8 v160, v215, v232, v160 neg_lo:[1,1,0]
	v_dot4_i32_iu8 v161, v215, v234, v161 neg_lo:[1,1,0]
	s_delay_alu instid0(VALU_DEP_4) | instskip(NEXT) | instid1(VALU_DEP_4)
	v_dot4_i32_iu8 v158, v216, v229, v158 neg_lo:[1,1,0]
	v_dot4_i32_iu8 v159, v216, v231, v159 neg_lo:[1,1,0]
	s_delay_alu instid0(VALU_DEP_4) | instskip(NEXT) | instid1(VALU_DEP_4)
	v_dot4_i32_iu8 v160, v216, v233, v160 neg_lo:[1,1,0]
	v_dot4_i32_iu8 v161, v216, v235, v161 neg_lo:[1,1,0]
	s_delay_alu instid0(VALU_DEP_4) | instskip(NEXT) | instid1(VALU_DEP_4)
	v_dot4_i32_iu8 v158, v217, v236, v158 neg_lo:[1,1,0]
	v_dot4_i32_iu8 v159, v217, v238, v159 neg_lo:[1,1,0]
	s_delay_alu instid0(VALU_DEP_4) | instskip(NEXT) | instid1(VALU_DEP_4)
	v_dot4_i32_iu8 v160, v217, v240, v160 neg_lo:[1,1,0]
	v_dot4_i32_iu8 v161, v217, v242, v161 neg_lo:[1,1,0]
	s_delay_alu instid0(VALU_DEP_4) | instskip(NEXT) | instid1(VALU_DEP_4)
	v_dot4_i32_iu8 v226, v218, v237, v158 neg_lo:[1,1,0]
	v_dot4_i32_iu8 v224, v218, v239, v159 neg_lo:[1,1,0]
	s_delay_alu instid0(VALU_DEP_4) | instskip(NEXT) | instid1(VALU_DEP_4)
	v_dot4_i32_iu8 v223, v218, v241, v160 neg_lo:[1,1,0]
	;; [unrolled: 24-line block ×5, first 2 shown]
	v_dot4_i32_iu8 v165, v161, v243, v158 neg_lo:[1,1,0]
	ds_load_b128 v[158:161], v153 offset:33296
	s_waitcnt lgkmcnt(0)
	v_dot4_i32_iu8 v162, v158, v228, v174 neg_lo:[1,1,0]
	ds_load_b128 v[171:174], v154 offset:33296
	v_dot4_i32_iu8 v163, v158, v230, v175 neg_lo:[1,1,0]
	v_dot4_i32_iu8 v164, v158, v232, v176 neg_lo:[1,1,0]
	;; [unrolled: 1-line block ×4, first 2 shown]
	s_delay_alu instid0(VALU_DEP_4) | instskip(NEXT) | instid1(VALU_DEP_4)
	v_dot4_i32_iu8 v163, v159, v231, v163 neg_lo:[1,1,0]
	v_dot4_i32_iu8 v164, v159, v233, v164 neg_lo:[1,1,0]
	s_delay_alu instid0(VALU_DEP_4) | instskip(NEXT) | instid1(VALU_DEP_4)
	v_dot4_i32_iu8 v158, v159, v235, v158 neg_lo:[1,1,0]
	v_dot4_i32_iu8 v159, v160, v236, v162 neg_lo:[1,1,0]
	s_delay_alu instid0(VALU_DEP_4) | instskip(NEXT) | instid1(VALU_DEP_4)
	v_dot4_i32_iu8 v162, v160, v238, v163 neg_lo:[1,1,0]
	v_dot4_i32_iu8 v163, v160, v240, v164 neg_lo:[1,1,0]
	s_delay_alu instid0(VALU_DEP_4) | instskip(NEXT) | instid1(VALU_DEP_4)
	v_dot4_i32_iu8 v158, v160, v242, v158 neg_lo:[1,1,0]
	v_dot4_i32_iu8 v166, v161, v237, v159 neg_lo:[1,1,0]
	s_delay_alu instid0(VALU_DEP_4) | instskip(NEXT) | instid1(VALU_DEP_4)
	v_dot4_i32_iu8 v164, v161, v239, v162 neg_lo:[1,1,0]
	v_dot4_i32_iu8 v163, v161, v241, v163 neg_lo:[1,1,0]
	s_delay_alu instid0(VALU_DEP_4)
	v_dot4_i32_iu8 v162, v161, v243, v158 neg_lo:[1,1,0]
	s_waitcnt lgkmcnt(0)
	v_dot4_i32_iu8 v158, v171, v228, v178 neg_lo:[1,1,0]
	v_dot4_i32_iu8 v159, v171, v230, v179 neg_lo:[1,1,0]
	;; [unrolled: 1-line block ×4, first 2 shown]
	s_delay_alu instid0(VALU_DEP_4) | instskip(NEXT) | instid1(VALU_DEP_4)
	v_dot4_i32_iu8 v158, v172, v229, v158 neg_lo:[1,1,0]
	v_dot4_i32_iu8 v159, v172, v231, v159 neg_lo:[1,1,0]
	s_delay_alu instid0(VALU_DEP_4) | instskip(NEXT) | instid1(VALU_DEP_4)
	v_dot4_i32_iu8 v160, v172, v233, v160 neg_lo:[1,1,0]
	v_dot4_i32_iu8 v161, v172, v235, v161 neg_lo:[1,1,0]
	;; [unrolled: 3-line block ×6, first 2 shown]
	ds_load_2addr_b32 v[175:176], v143 offset0:12 offset1:13
	ds_load_b128 v[171:174], v144 offset:33328
	ds_load_2addr_b32 v[177:178], v145 offset0:12 offset1:13
	ds_load_2addr_b32 v[179:180], v146 offset0:12 offset1:13
	;; [unrolled: 1-line block ×3, first 2 shown]
	s_waitcnt lgkmcnt(3)
	v_dot4_i32_iu8 v144, v175, v171, v189 neg_lo:[1,1,0]
	s_waitcnt lgkmcnt(2)
	v_dot4_i32_iu8 v181, v177, v171, v188 neg_lo:[1,1,0]
	;; [unrolled: 2-line block ×3, first 2 shown]
	ds_load_2addr_b32 v[187:188], v147 offset0:12 offset1:13
	v_dot4_i32_iu8 v144, v176, v172, v144 neg_lo:[1,1,0]
	v_dot4_i32_iu8 v228, v178, v172, v181 neg_lo:[1,1,0]
	;; [unrolled: 1-line block ×3, first 2 shown]
	s_waitcnt lgkmcnt(0)
	v_dot4_i32_iu8 v171, v187, v171, v182 neg_lo:[1,1,0]
	ds_load_2addr_b32 v[181:182], v145 offset0:14 offset1:15
	v_dot4_i32_iu8 v232, v188, v172, v171 neg_lo:[1,1,0]
	ds_load_2addr_b32 v[171:172], v143 offset0:14 offset1:15
	s_waitcnt lgkmcnt(0)
	v_dot4_i32_iu8 v143, v171, v173, v144 neg_lo:[1,1,0]
	v_dot4_i32_iu8 v144, v181, v173, v228 neg_lo:[1,1,0]
	ds_load_2addr_b32 v[228:229], v146 offset0:14 offset1:15
	v_dot4_i32_iu8 v146, v230, v173, v232 neg_lo:[1,1,0]
	v_dot4_i32_iu8 v147, v172, v174, v143 neg_lo:[1,1,0]
	s_waitcnt lgkmcnt(0)
	v_dot4_i32_iu8 v145, v228, v173, v189 neg_lo:[1,1,0]
	v_dot4_i32_iu8 v173, v182, v174, v144 neg_lo:[1,1,0]
	s_delay_alu instid0(VALU_DEP_2)
	v_dot4_i32_iu8 v189, v229, v174, v145 neg_lo:[1,1,0]
	v_dot4_i32_iu8 v174, v231, v174, v146 neg_lo:[1,1,0]
	ds_load_b128 v[143:146], v148 offset:33328
	s_waitcnt lgkmcnt(0)
	v_dot4_i32_iu8 v148, v143, v175, v183 neg_lo:[1,1,0]
	v_dot4_i32_iu8 v183, v143, v177, v184 neg_lo:[1,1,0]
	v_dot4_i32_iu8 v184, v143, v179, v185 neg_lo:[1,1,0]
	v_dot4_i32_iu8 v143, v143, v187, v186 neg_lo:[1,1,0]
	s_delay_alu instid0(VALU_DEP_4) | instskip(NEXT) | instid1(VALU_DEP_4)
	v_dot4_i32_iu8 v148, v144, v176, v148 neg_lo:[1,1,0]
	v_dot4_i32_iu8 v183, v144, v178, v183 neg_lo:[1,1,0]
	s_delay_alu instid0(VALU_DEP_4) | instskip(NEXT) | instid1(VALU_DEP_4)
	v_dot4_i32_iu8 v184, v144, v180, v184 neg_lo:[1,1,0]
	v_dot4_i32_iu8 v143, v144, v188, v143 neg_lo:[1,1,0]
	s_delay_alu instid0(VALU_DEP_4) | instskip(NEXT) | instid1(VALU_DEP_4)
	v_dot4_i32_iu8 v144, v145, v171, v148 neg_lo:[1,1,0]
	v_dot4_i32_iu8 v148, v145, v181, v183 neg_lo:[1,1,0]
	s_delay_alu instid0(VALU_DEP_4) | instskip(NEXT) | instid1(VALU_DEP_4)
	v_dot4_i32_iu8 v183, v145, v228, v184 neg_lo:[1,1,0]
	v_dot4_i32_iu8 v143, v145, v230, v143 neg_lo:[1,1,0]
	s_delay_alu instid0(VALU_DEP_4) | instskip(NEXT) | instid1(VALU_DEP_4)
	v_dot4_i32_iu8 v184, v146, v172, v144 neg_lo:[1,1,0]
	v_dot4_i32_iu8 v148, v146, v182, v148 neg_lo:[1,1,0]
	s_delay_alu instid0(VALU_DEP_4) | instskip(NEXT) | instid1(VALU_DEP_4)
	v_dot4_i32_iu8 v183, v146, v229, v183 neg_lo:[1,1,0]
	v_dot4_i32_iu8 v185, v146, v231, v143 neg_lo:[1,1,0]
	ds_load_b128 v[143:146], v149 offset:33328
	s_waitcnt lgkmcnt(0)
	v_dot4_i32_iu8 v149, v143, v175, v190 neg_lo:[1,1,0]
	v_dot4_i32_iu8 v186, v143, v177, v191 neg_lo:[1,1,0]
	v_dot4_i32_iu8 v190, v143, v179, v192 neg_lo:[1,1,0]
	v_dot4_i32_iu8 v143, v143, v187, v193 neg_lo:[1,1,0]
	s_delay_alu instid0(VALU_DEP_4) | instskip(NEXT) | instid1(VALU_DEP_4)
	v_dot4_i32_iu8 v149, v144, v176, v149 neg_lo:[1,1,0]
	v_dot4_i32_iu8 v186, v144, v178, v186 neg_lo:[1,1,0]
	s_delay_alu instid0(VALU_DEP_4) | instskip(NEXT) | instid1(VALU_DEP_4)
	v_dot4_i32_iu8 v190, v144, v180, v190 neg_lo:[1,1,0]
	v_dot4_i32_iu8 v143, v144, v188, v143 neg_lo:[1,1,0]
	s_delay_alu instid0(VALU_DEP_4) | instskip(NEXT) | instid1(VALU_DEP_4)
	v_dot4_i32_iu8 v144, v145, v171, v149 neg_lo:[1,1,0]
	v_dot4_i32_iu8 v149, v145, v181, v186 neg_lo:[1,1,0]
	s_delay_alu instid0(VALU_DEP_4) | instskip(NEXT) | instid1(VALU_DEP_4)
	v_dot4_i32_iu8 v186, v145, v228, v190 neg_lo:[1,1,0]
	v_dot4_i32_iu8 v143, v145, v230, v143 neg_lo:[1,1,0]
	s_delay_alu instid0(VALU_DEP_4) | instskip(NEXT) | instid1(VALU_DEP_4)
	v_dot4_i32_iu8 v190, v146, v172, v144 neg_lo:[1,1,0]
	v_dot4_i32_iu8 v149, v146, v182, v149 neg_lo:[1,1,0]
	s_delay_alu instid0(VALU_DEP_4) | instskip(NEXT) | instid1(VALU_DEP_4)
	;; [unrolled: 24-line block ×6, first 2 shown]
	v_dot4_i32_iu8 v201, v146, v229, v201 neg_lo:[1,1,0]
	v_dot4_i32_iu8 v203, v146, v231, v143 neg_lo:[1,1,0]
	ds_load_b128 v[143:146], v154 offset:33328
	s_waitcnt lgkmcnt(0)
	v_dot4_i32_iu8 v154, v143, v175, v210 neg_lo:[1,1,0]
	v_dot4_i32_iu8 v175, v143, v177, v211 neg_lo:[1,1,0]
	s_delay_alu instid0(VALU_DEP_2) | instskip(SKIP_2) | instid1(VALU_DEP_4)
	v_dot4_i32_iu8 v154, v144, v176, v154 neg_lo:[1,1,0]
	v_dot4_i32_iu8 v176, v143, v179, v212 neg_lo:[1,1,0]
	;; [unrolled: 1-line block ×4, first 2 shown]
	s_delay_alu instid0(VALU_DEP_3) | instskip(NEXT) | instid1(VALU_DEP_3)
	v_dot4_i32_iu8 v176, v144, v180, v176 neg_lo:[1,1,0]
	v_dot4_i32_iu8 v143, v144, v188, v143 neg_lo:[1,1,0]
	;; [unrolled: 1-line block ×3, first 2 shown]
	s_delay_alu instid0(VALU_DEP_4) | instskip(NEXT) | instid1(VALU_DEP_4)
	v_dot4_i32_iu8 v154, v145, v181, v175 neg_lo:[1,1,0]
	v_dot4_i32_iu8 v171, v145, v228, v176 neg_lo:[1,1,0]
	s_delay_alu instid0(VALU_DEP_4) | instskip(NEXT) | instid1(VALU_DEP_4)
	v_dot4_i32_iu8 v143, v145, v230, v143 neg_lo:[1,1,0]
	v_dot4_i32_iu8 v144, v146, v172, v144 neg_lo:[1,1,0]
	;; [unrolled: 3-line block ×3, first 2 shown]
	s_delay_alu instid0(VALU_DEP_4) | instskip(SKIP_1) | instid1(VALU_DEP_1)
	v_dot4_i32_iu8 v145, v146, v231, v143 neg_lo:[1,1,0]
	v_lshlrev_b32_e32 v143, 2, v31
	v_add3_u32 v146, s16, v125, v143
	ds_load_u16 v143, v146
	s_waitcnt lgkmcnt(0)
	v_and_b32_e32 v175, 0xff, v143
	v_lshrrev_b16 v172, 8, v143
	s_delay_alu instid0(VALU_DEP_2) | instskip(NEXT) | instid1(VALU_DEP_2)
	v_mul_lo_u32 v143, v214, v175
	v_and_b32_e32 v172, 0xffff, v172
	s_delay_alu instid0(VALU_DEP_1) | instskip(SKIP_1) | instid1(VALU_DEP_4)
	v_mul_lo_u32 v147, v147, v172
	v_mul_lo_u32 v184, v184, v172
	v_cvt_f32_i32_e32 v176, v143
	ds_load_b64 v[142:143], v142 offset:43584
	v_mul_lo_u32 v190, v190, v172
	v_mul_lo_u32 v193, v193, v172
	;; [unrolled: 1-line block ×4, first 2 shown]
	v_cvt_f32_i32_e32 v147, v147
	v_cvt_f32_i32_e32 v184, v184
	;; [unrolled: 1-line block ×6, first 2 shown]
	s_waitcnt lgkmcnt(0)
	v_fma_mix_f32 v176, v142, v176, 0 op_sel_hi:[1,0,0]
	s_delay_alu instid0(VALU_DEP_1) | instskip(SKIP_1) | instid1(VALU_DEP_1)
	v_fma_mix_f32 v147, v143, v147, v176 op_sel_hi:[1,0,0]
	v_lshlrev_b32_e32 v176, 2, v108
	v_add3_u32 v176, s16, v176, v117
	ds_load_u16 v177, v176
	s_waitcnt lgkmcnt(0)
	v_lshrrev_b16 v178, 8, v177
	v_and_b32_e32 v177, 0xff, v177
	s_delay_alu instid0(VALU_DEP_2) | instskip(NEXT) | instid1(VALU_DEP_2)
	v_and_b32_e32 v178, 0xffff, v178
	v_mul_lo_u32 v157, v157, v177
	v_mul_lo_u32 v216, v216, v177
	;; [unrolled: 1-line block ×3, first 2 shown]
	s_delay_alu instid0(VALU_DEP_4)
	v_mul_lo_u32 v173, v173, v178
	v_mul_lo_u32 v148, v148, v178
	;; [unrolled: 1-line block ×4, first 2 shown]
	v_cvt_f32_i32_e32 v157, v157
	v_mul_lo_u32 v151, v151, v178
	v_cvt_f32_i32_e32 v216, v216
	v_mul_lo_u32 v152, v152, v178
	v_cvt_f32_i32_e32 v173, v173
	v_fma_mix_f32 v157, v142, v157, 0 op_sel_hi:[1,0,0]
	v_cvt_f32_i32_e32 v148, v148
	v_cvt_f32_i32_e32 v149, v149
	;; [unrolled: 1-line block ×4, first 2 shown]
	v_fma_mix_f32 v157, v143, v173, v157 op_sel_hi:[1,0,0]
	v_lshlrev_b32_e32 v173, 2, v109
	v_cvt_f32_i32_e32 v168, v168
	v_cvt_f32_i32_e32 v152, v152
	v_mul_lo_u32 v153, v153, v178
	v_mul_lo_u32 v154, v154, v178
	v_add3_u32 v173, s16, v173, v119
	ds_load_u16 v179, v173
	v_cvt_f32_i32_e32 v153, v153
	v_cvt_f32_i32_e32 v154, v154
	s_waitcnt lgkmcnt(0)
	v_lshrrev_b16 v180, 8, v179
	v_and_b32_e32 v179, 0xff, v179
	s_delay_alu instid0(VALU_DEP_2) | instskip(NEXT) | instid1(VALU_DEP_2)
	v_and_b32_e32 v180, 0xffff, v180
	v_mul_lo_u32 v156, v156, v179
	v_mul_lo_u32 v215, v215, v179
	;; [unrolled: 1-line block ×3, first 2 shown]
	s_delay_alu instid0(VALU_DEP_4)
	v_mul_lo_u32 v181, v189, v180
	v_mul_lo_u32 v183, v183, v180
	;; [unrolled: 1-line block ×4, first 2 shown]
	v_cvt_f32_i32_e32 v156, v156
	v_mul_lo_u32 v195, v195, v180
	v_cvt_f32_i32_e32 v215, v215
	v_cvt_f32_i32_e32 v167, v167
	;; [unrolled: 1-line block ×3, first 2 shown]
	v_fma_mix_f32 v156, v142, v156, 0 op_sel_hi:[1,0,0]
	v_cvt_f32_i32_e32 v183, v183
	v_cvt_f32_i32_e32 v186, v186
	;; [unrolled: 1-line block ×4, first 2 shown]
	v_fma_mix_f32 v156, v143, v181, v156 op_sel_hi:[1,0,0]
	v_lshlrev_b32_e32 v181, 2, v110
	v_mul_lo_u32 v171, v171, v180
	s_delay_alu instid0(VALU_DEP_2) | instskip(SKIP_4) | instid1(VALU_DEP_2)
	v_add3_u32 v181, s16, v181, v121
	ds_load_u16 v182, v181
	s_waitcnt lgkmcnt(0)
	v_lshrrev_b16 v187, 8, v182
	v_and_b32_e32 v182, 0xff, v182
	v_and_b32_e32 v187, 0xffff, v187
	s_delay_alu instid0(VALU_DEP_2) | instskip(SKIP_1) | instid1(VALU_DEP_3)
	v_mul_lo_u32 v155, v155, v182
	v_mul_lo_u32 v169, v169, v182
	;; [unrolled: 1-line block ×6, first 2 shown]
	v_cvt_f32_i32_e32 v155, v155
	v_mul_lo_u32 v197, v197, v187
	v_cvt_f32_i32_e32 v169, v169
	v_cvt_f32_i32_e32 v174, v174
	s_delay_alu instid0(VALU_DEP_4)
	v_fma_mix_f32 v155, v142, v155, 0 op_sel_hi:[1,0,0]
	v_cvt_f32_i32_e32 v185, v185
	v_cvt_f32_i32_e32 v191, v191
	v_cvt_f32_i32_e32 v194, v194
	v_cvt_f32_i32_e32 v197, v197
	v_fma_mix_f32 v155, v143, v174, v155 op_sel_hi:[1,0,0]
	ds_load_u16 v174, v176 offset:8
	ds_load_u16 v173, v173 offset:8
	;; [unrolled: 1-line block ×4, first 2 shown]
	s_waitcnt lgkmcnt(3)
	v_cvt_f32_ubyte0_e32 v181, v174
	s_waitcnt lgkmcnt(2)
	v_cvt_f32_ubyte0_e32 v188, v173
	s_waitcnt lgkmcnt(1)
	v_cvt_f32_ubyte0_e32 v189, v176
	s_waitcnt lgkmcnt(0)
	v_cvt_f32_ubyte0_e32 v204, v146
	v_cvt_f32_ubyte1_e32 v174, v174
	v_cvt_f32_ubyte1_e32 v173, v173
	;; [unrolled: 1-line block ×4, first 2 shown]
	v_fma_mix_f32 v205, v142, v181, 0 op_sel:[1,0,0] op_sel_hi:[1,0,0]
	v_fma_mix_f32 v206, v142, v188, 0 op_sel:[1,0,0] op_sel_hi:[1,0,0]
	v_fma_mix_f32 v207, v142, v189, 0 op_sel:[1,0,0] op_sel_hi:[1,0,0]
	v_fma_mix_f32 v142, v142, v204, 0 op_sel:[1,0,0] op_sel_hi:[1,0,0]
	s_delay_alu instid0(VALU_DEP_4) | instskip(NEXT) | instid1(VALU_DEP_4)
	v_fma_mix_f32 v205, v143, v174, v205 op_sel:[1,0,0] op_sel_hi:[1,0,0]
	v_fma_mix_f32 v206, v143, v173, v206 op_sel:[1,0,0] op_sel_hi:[1,0,0]
	s_delay_alu instid0(VALU_DEP_4) | instskip(NEXT) | instid1(VALU_DEP_4)
	v_fma_mix_f32 v207, v143, v176, v207 op_sel:[1,0,0] op_sel_hi:[1,0,0]
	v_fma_mix_f32 v143, v143, v146, v142 op_sel:[1,0,0] op_sel_hi:[1,0,0]
	v_mul_lo_u32 v142, v244, v175
	s_delay_alu instid0(VALU_DEP_1)
	v_cvt_f32_i32_e32 v208, v142
	ds_load_b64 v[141:142], v141 offset:43584
	s_waitcnt lgkmcnt(0)
	v_fma_mix_f32 v208, v141, v208, 0 op_sel_hi:[1,0,0]
	v_fma_mix_f32 v209, v188, v141, 0 op_sel:[0,1,0] op_sel_hi:[0,1,0]
	v_fma_mix_f32 v210, v189, v141, 0 op_sel:[0,1,0] op_sel_hi:[0,1,0]
	s_delay_alu instid0(VALU_DEP_3) | instskip(SKIP_1) | instid1(VALU_DEP_4)
	v_fma_mix_f32 v184, v142, v184, v208 op_sel_hi:[1,0,0]
	v_mul_lo_u32 v208, v245, v177
	v_fma_mix_f32 v209, v173, v142, v209 op_sel:[0,1,0] op_sel_hi:[0,1,0]
	s_delay_alu instid0(VALU_DEP_4) | instskip(NEXT) | instid1(VALU_DEP_3)
	v_fma_mix_f32 v210, v176, v142, v210 op_sel:[0,1,0] op_sel_hi:[0,1,0]
	v_cvt_f32_i32_e32 v208, v208
	s_delay_alu instid0(VALU_DEP_1) | instskip(NEXT) | instid1(VALU_DEP_1)
	v_fma_mix_f32 v208, v141, v208, 0 op_sel_hi:[1,0,0]
	v_fma_mix_f32 v148, v142, v148, v208 op_sel_hi:[1,0,0]
	v_mul_lo_u32 v208, v227, v179
	s_delay_alu instid0(VALU_DEP_1) | instskip(NEXT) | instid1(VALU_DEP_1)
	v_cvt_f32_i32_e32 v208, v208
	v_fma_mix_f32 v208, v141, v208, 0 op_sel_hi:[1,0,0]
	s_delay_alu instid0(VALU_DEP_1) | instskip(SKIP_1) | instid1(VALU_DEP_1)
	v_fma_mix_f32 v183, v142, v183, v208 op_sel_hi:[1,0,0]
	v_mul_lo_u32 v208, v225, v182
	v_cvt_f32_i32_e32 v208, v208
	s_delay_alu instid0(VALU_DEP_1) | instskip(NEXT) | instid1(VALU_DEP_1)
	v_fma_mix_f32 v208, v141, v208, 0 op_sel_hi:[1,0,0]
	v_fma_mix_f32 v185, v142, v185, v208 op_sel_hi:[1,0,0]
	v_fma_mix_f32 v208, v181, v141, 0 op_sel:[0,1,0] op_sel_hi:[0,1,0]
	v_fma_mix_f32 v141, v204, v141, 0 op_sel:[0,1,0] op_sel_hi:[0,1,0]
	s_delay_alu instid0(VALU_DEP_2) | instskip(NEXT) | instid1(VALU_DEP_2)
	v_fma_mix_f32 v208, v174, v142, v208 op_sel:[0,1,0] op_sel_hi:[0,1,0]
	v_fma_mix_f32 v142, v146, v142, v141 op_sel:[0,1,0] op_sel_hi:[0,1,0]
	v_mul_lo_u32 v141, v226, v175
	s_delay_alu instid0(VALU_DEP_2) | instskip(NEXT) | instid1(VALU_DEP_2)
	v_mul_f32_e32 v142, v142, v131
	v_cvt_f32_i32_e32 v211, v141
	ds_load_b64 v[140:141], v140 offset:43584
	v_fma_f32 v142, v184, v127, -v142
	s_delay_alu instid0(VALU_DEP_1) | instskip(SKIP_4) | instid1(VALU_DEP_3)
	v_add_f32_e32 v39, v39, v142
	s_waitcnt lgkmcnt(0)
	v_fma_mix_f32 v211, v140, v211, 0 op_sel_hi:[1,0,0]
	v_fma_mix_f32 v212, v188, v140, 0 op_sel:[0,1,0] op_sel_hi:[0,1,0]
	v_fma_mix_f32 v213, v189, v140, 0 op_sel:[0,1,0] op_sel_hi:[0,1,0]
	v_fma_mix_f32 v190, v141, v190, v211 op_sel_hi:[1,0,0]
	v_mul_lo_u32 v211, v224, v177
	s_delay_alu instid0(VALU_DEP_4) | instskip(NEXT) | instid1(VALU_DEP_4)
	v_fma_mix_f32 v212, v173, v141, v212 op_sel:[0,1,0] op_sel_hi:[0,1,0]
	v_fma_mix_f32 v213, v176, v141, v213 op_sel:[0,1,0] op_sel_hi:[0,1,0]
	s_delay_alu instid0(VALU_DEP_3) | instskip(NEXT) | instid1(VALU_DEP_1)
	v_cvt_f32_i32_e32 v211, v211
	v_fma_mix_f32 v211, v140, v211, 0 op_sel_hi:[1,0,0]
	s_delay_alu instid0(VALU_DEP_1) | instskip(SKIP_1) | instid1(VALU_DEP_1)
	v_fma_mix_f32 v149, v141, v149, v211 op_sel_hi:[1,0,0]
	v_mul_lo_u32 v211, v223, v179
	v_cvt_f32_i32_e32 v211, v211
	s_delay_alu instid0(VALU_DEP_1) | instskip(NEXT) | instid1(VALU_DEP_1)
	v_fma_mix_f32 v211, v140, v211, 0 op_sel_hi:[1,0,0]
	v_fma_mix_f32 v186, v141, v186, v211 op_sel_hi:[1,0,0]
	v_mul_lo_u32 v211, v221, v182
	s_delay_alu instid0(VALU_DEP_1) | instskip(NEXT) | instid1(VALU_DEP_1)
	v_cvt_f32_i32_e32 v211, v211
	v_fma_mix_f32 v211, v140, v211, 0 op_sel_hi:[1,0,0]
	s_delay_alu instid0(VALU_DEP_1) | instskip(SKIP_2) | instid1(VALU_DEP_2)
	v_fma_mix_f32 v191, v141, v191, v211 op_sel_hi:[1,0,0]
	v_fma_mix_f32 v211, v181, v140, 0 op_sel:[0,1,0] op_sel_hi:[0,1,0]
	v_fma_mix_f32 v140, v204, v140, 0 op_sel:[0,1,0] op_sel_hi:[0,1,0]
	;; [unrolled: 1-line block ×3, first 2 shown]
	s_delay_alu instid0(VALU_DEP_2) | instskip(SKIP_1) | instid1(VALU_DEP_2)
	v_fma_mix_f32 v141, v146, v141, v140 op_sel:[0,1,0] op_sel_hi:[0,1,0]
	v_mul_lo_u32 v140, v222, v175
	v_mul_f32_e32 v141, v141, v131
	s_delay_alu instid0(VALU_DEP_2) | instskip(SKIP_4) | instid1(VALU_DEP_1)
	v_cvt_f32_i32_e32 v214, v140
	ds_load_b64 v[139:140], v139 offset:43584
	v_fma_f32 v141, v190, v127, -v141
	s_waitcnt lgkmcnt(0)
	v_fma_mix_f32 v214, v139, v214, 0 op_sel_hi:[1,0,0]
	v_fma_mix_f32 v193, v140, v193, v214 op_sel_hi:[1,0,0]
	v_mul_lo_u32 v214, v220, v177
	s_delay_alu instid0(VALU_DEP_1) | instskip(NEXT) | instid1(VALU_DEP_1)
	v_cvt_f32_i32_e32 v214, v214
	v_fma_mix_f32 v214, v139, v214, 0 op_sel_hi:[1,0,0]
	s_delay_alu instid0(VALU_DEP_1) | instskip(SKIP_2) | instid1(VALU_DEP_1)
	v_fma_mix_f32 v150, v140, v150, v214 op_sel_hi:[1,0,0]
	v_mul_lo_u32 v214, v219, v179
	v_fma_mix_f32 v219, v189, v139, 0 op_sel:[0,1,0] op_sel_hi:[0,1,0]
	v_fma_mix_f32 v219, v176, v140, v219 op_sel:[0,1,0] op_sel_hi:[0,1,0]
	s_delay_alu instid0(VALU_DEP_3) | instskip(NEXT) | instid1(VALU_DEP_1)
	v_cvt_f32_i32_e32 v214, v214
	v_fma_mix_f32 v214, v139, v214, 0 op_sel_hi:[1,0,0]
	s_delay_alu instid0(VALU_DEP_1) | instskip(SKIP_2) | instid1(VALU_DEP_1)
	v_fma_mix_f32 v192, v140, v192, v214 op_sel_hi:[1,0,0]
	v_mul_lo_u32 v214, v217, v182
	v_fma_mix_f32 v217, v188, v139, 0 op_sel:[0,1,0] op_sel_hi:[0,1,0]
	v_fma_mix_f32 v217, v173, v140, v217 op_sel:[0,1,0] op_sel_hi:[0,1,0]
	s_delay_alu instid0(VALU_DEP_3) | instskip(NEXT) | instid1(VALU_DEP_1)
	v_cvt_f32_i32_e32 v214, v214
	v_fma_mix_f32 v214, v139, v214, 0 op_sel_hi:[1,0,0]
	s_delay_alu instid0(VALU_DEP_1) | instskip(SKIP_2) | instid1(VALU_DEP_2)
	v_fma_mix_f32 v194, v140, v194, v214 op_sel_hi:[1,0,0]
	v_fma_mix_f32 v214, v181, v139, 0 op_sel:[0,1,0] op_sel_hi:[0,1,0]
	v_fma_mix_f32 v139, v204, v139, 0 op_sel:[0,1,0] op_sel_hi:[0,1,0]
	;; [unrolled: 1-line block ×3, first 2 shown]
	s_delay_alu instid0(VALU_DEP_2) | instskip(SKIP_1) | instid1(VALU_DEP_2)
	v_fma_mix_f32 v140, v146, v140, v139 op_sel:[0,1,0] op_sel_hi:[0,1,0]
	v_mul_lo_u32 v139, v218, v175
	v_mul_f32_e32 v140, v140, v131
	s_delay_alu instid0(VALU_DEP_2) | instskip(SKIP_2) | instid1(VALU_DEP_1)
	v_cvt_f32_i32_e32 v218, v139
	ds_load_b64 v[138:139], v138 offset:43584
	v_fma_f32 v140, v193, v127, -v140
	v_add_f32_e32 v25, v25, v140
	s_waitcnt lgkmcnt(0)
	v_fma_mix_f32 v216, v138, v216, 0 op_sel_hi:[1,0,0]
	v_fma_mix_f32 v215, v138, v215, 0 op_sel_hi:[1,0,0]
	;; [unrolled: 1-line block ×4, first 2 shown]
	s_delay_alu instid0(VALU_DEP_4) | instskip(NEXT) | instid1(VALU_DEP_4)
	v_fma_mix_f32 v151, v139, v151, v216 op_sel_hi:[1,0,0]
	v_fma_mix_f32 v195, v139, v195, v215 op_sel_hi:[1,0,0]
	s_delay_alu instid0(VALU_DEP_4)
	v_fma_mix_f32 v169, v139, v197, v169 op_sel_hi:[1,0,0]
	v_fma_mix_f32 v197, v181, v138, 0 op_sel:[0,1,0] op_sel_hi:[0,1,0]
	v_fma_mix_f32 v215, v188, v138, 0 op_sel:[0,1,0] op_sel_hi:[0,1,0]
	;; [unrolled: 1-line block ×4, first 2 shown]
	v_fma_mix_f32 v196, v139, v196, v218 op_sel_hi:[1,0,0]
	v_fma_mix_f32 v197, v174, v139, v197 op_sel:[0,1,0] op_sel_hi:[0,1,0]
	v_fma_mix_f32 v215, v173, v139, v215 op_sel:[0,1,0] op_sel_hi:[0,1,0]
	;; [unrolled: 1-line block ×4, first 2 shown]
	v_mul_lo_u32 v138, v170, v175
	v_mul_lo_u32 v170, v199, v172
	s_delay_alu instid0(VALU_DEP_3)
	v_mul_f32_e32 v139, v139, v131
	v_mul_lo_u32 v165, v165, v182
	v_mul_lo_u32 v162, v162, v182
	;; [unrolled: 1-line block ×3, first 2 shown]
	v_cvt_f32_i32_e32 v199, v138
	ds_load_b64 v[137:138], v137 offset:43584
	v_cvt_f32_i32_e32 v170, v170
	v_fma_f32 v139, v196, v127, -v139
	v_cvt_f32_i32_e32 v165, v165
	v_cvt_f32_i32_e32 v162, v162
	s_waitcnt lgkmcnt(0)
	v_fma_mix_f32 v168, v137, v168, 0 op_sel_hi:[1,0,0]
	v_fma_mix_f32 v167, v137, v167, 0 op_sel_hi:[1,0,0]
	;; [unrolled: 1-line block ×4, first 2 shown]
	s_delay_alu instid0(VALU_DEP_4) | instskip(SKIP_2) | instid1(VALU_DEP_4)
	v_fma_mix_f32 v152, v138, v152, v168 op_sel_hi:[1,0,0]
	v_mul_lo_u32 v168, v198, v180
	v_fma_mix_f32 v198, v188, v137, 0 op_sel:[0,1,0] op_sel_hi:[0,1,0]
	v_fma_mix_f32 v170, v138, v170, v199 op_sel_hi:[1,0,0]
	v_fma_mix_f32 v199, v189, v137, 0 op_sel:[0,1,0] op_sel_hi:[0,1,0]
	s_delay_alu instid0(VALU_DEP_3) | instskip(SKIP_1) | instid1(VALU_DEP_3)
	v_fma_mix_f32 v198, v173, v138, v198 op_sel:[0,1,0] op_sel_hi:[0,1,0]
	v_cvt_f32_i32_e32 v168, v168
	v_fma_mix_f32 v199, v176, v138, v199 op_sel:[0,1,0] op_sel_hi:[0,1,0]
	s_delay_alu instid0(VALU_DEP_2) | instskip(SKIP_1) | instid1(VALU_DEP_1)
	v_fma_mix_f32 v167, v138, v168, v167 op_sel_hi:[1,0,0]
	v_mul_lo_u32 v168, v200, v187
	v_cvt_f32_i32_e32 v168, v168
	s_delay_alu instid0(VALU_DEP_1) | instskip(SKIP_2) | instid1(VALU_DEP_2)
	v_fma_mix_f32 v165, v138, v168, v165 op_sel_hi:[1,0,0]
	v_fma_mix_f32 v168, v181, v137, 0 op_sel:[0,1,0] op_sel_hi:[0,1,0]
	v_fma_mix_f32 v137, v204, v137, 0 op_sel:[0,1,0] op_sel_hi:[0,1,0]
	;; [unrolled: 1-line block ×3, first 2 shown]
	s_delay_alu instid0(VALU_DEP_2) | instskip(NEXT) | instid1(VALU_DEP_2)
	v_fma_mix_f32 v138, v146, v138, v137 op_sel:[0,1,0] op_sel_hi:[0,1,0]
	v_mul_f32_e32 v168, v168, v132
	v_mul_lo_u32 v137, v166, v175
	s_delay_alu instid0(VALU_DEP_3)
	v_mul_f32_e32 v138, v138, v131
	v_mul_lo_u32 v164, v164, v177
	v_mul_lo_u32 v166, v202, v172
	v_fma_f32 v152, v152, v128, -v168
	v_mul_f32_e32 v168, v198, v133
	v_mul_lo_u32 v163, v163, v179
	v_mul_lo_u32 v158, v158, v175
	v_cvt_f32_i32_e32 v200, v137
	ds_load_b64 v[136:137], v136 offset:43584
	v_cvt_f32_i32_e32 v164, v164
	v_cvt_f32_i32_e32 v166, v166
	v_mul_lo_u32 v159, v159, v177
	v_mul_lo_u32 v160, v160, v179
	v_cvt_f32_i32_e32 v163, v163
	v_cvt_f32_i32_e32 v158, v158
	v_mul_f32_e32 v172, v216, v134
	v_fma_f32 v167, v167, v129, -v168
	v_mul_f32_e32 v168, v199, v134
	v_fma_f32 v138, v170, v127, -v138
	v_dual_add_f32 v32, v32, v141 :: v_dual_add_f32 v13, v13, v152
	v_fma_f32 v169, v169, v130, -v172
	s_delay_alu instid0(VALU_DEP_4) | instskip(NEXT) | instid1(VALU_DEP_2)
	v_fma_f32 v165, v165, v130, -v168
	v_add_f32_e32 v15, v15, v169
	s_delay_alu instid0(VALU_DEP_2)
	v_add_f32_e32 v11, v11, v165
	s_waitcnt lgkmcnt(0)
	v_fma_mix_f32 v164, v136, v164, 0 op_sel_hi:[1,0,0]
	v_fma_mix_f32 v163, v136, v163, 0 op_sel_hi:[1,0,0]
	;; [unrolled: 1-line block ×4, first 2 shown]
	s_delay_alu instid0(VALU_DEP_4) | instskip(SKIP_1) | instid1(VALU_DEP_4)
	v_fma_mix_f32 v153, v137, v153, v164 op_sel_hi:[1,0,0]
	v_mul_lo_u32 v164, v201, v180
	v_fma_mix_f32 v166, v137, v166, v200 op_sel_hi:[1,0,0]
	v_fma_mix_f32 v200, v188, v136, 0 op_sel:[0,1,0] op_sel_hi:[0,1,0]
	v_fma_mix_f32 v201, v189, v136, 0 op_sel:[0,1,0] op_sel_hi:[0,1,0]
	s_delay_alu instid0(VALU_DEP_2) | instskip(SKIP_1) | instid1(VALU_DEP_3)
	v_fma_mix_f32 v200, v173, v137, v200 op_sel:[0,1,0] op_sel_hi:[0,1,0]
	v_cvt_f32_i32_e32 v164, v164
	v_fma_mix_f32 v201, v176, v137, v201 op_sel:[0,1,0] op_sel_hi:[0,1,0]
	s_delay_alu instid0(VALU_DEP_2) | instskip(SKIP_1) | instid1(VALU_DEP_1)
	v_fma_mix_f32 v163, v137, v164, v163 op_sel_hi:[1,0,0]
	v_mul_lo_u32 v164, v203, v187
	v_cvt_f32_i32_e32 v164, v164
	s_delay_alu instid0(VALU_DEP_1) | instskip(SKIP_2) | instid1(VALU_DEP_2)
	v_fma_mix_f32 v162, v137, v164, v162 op_sel_hi:[1,0,0]
	v_fma_mix_f32 v164, v181, v136, 0 op_sel:[0,1,0] op_sel_hi:[0,1,0]
	v_fma_mix_f32 v136, v204, v136, 0 op_sel:[0,1,0] op_sel_hi:[0,1,0]
	;; [unrolled: 1-line block ×3, first 2 shown]
	s_delay_alu instid0(VALU_DEP_2) | instskip(SKIP_2) | instid1(VALU_DEP_1)
	v_fma_mix_f32 v137, v146, v137, v136 op_sel:[0,1,0] op_sel_hi:[0,1,0]
	ds_load_b64 v[135:136], v135 offset:43584
	v_mul_f32_e32 v164, v164, v132
	v_fma_f32 v153, v153, v128, -v164
	v_mul_f32_e32 v164, v200, v133
	v_mul_lo_u32 v145, v145, v187
	s_delay_alu instid0(VALU_DEP_3) | instskip(NEXT) | instid1(VALU_DEP_3)
	v_dual_add_f32 v18, v18, v139 :: v_dual_add_f32 v9, v9, v153
	v_fma_f32 v163, v163, v129, -v164
	v_mul_f32_e32 v164, v201, v134
	s_delay_alu instid0(VALU_DEP_4) | instskip(NEXT) | instid1(VALU_DEP_3)
	v_cvt_f32_i32_e32 v145, v145
	v_add_f32_e32 v8, v8, v163
	s_waitcnt lgkmcnt(0)
	v_fma_mix_f32 v158, v135, v158, 0 op_sel_hi:[1,0,0]
	v_fma_mix_f32 v181, v181, v135, 0 op_sel:[0,1,0] op_sel_hi:[0,1,0]
	v_fma_f32 v162, v162, v130, -v164
	s_delay_alu instid0(VALU_DEP_3) | instskip(SKIP_1) | instid1(VALU_DEP_4)
	v_fma_mix_f32 v144, v136, v144, v158 op_sel_hi:[1,0,0]
	v_cvt_f32_i32_e32 v158, v159
	v_fma_mix_f32 v174, v174, v136, v181 op_sel:[0,1,0] op_sel_hi:[0,1,0]
	v_fma_mix_f32 v181, v188, v135, 0 op_sel:[0,1,0] op_sel_hi:[0,1,0]
	v_cvt_f32_i32_e32 v159, v171
	v_mul_f32_e32 v137, v137, v131
	v_fma_mix_f32 v158, v135, v158, 0 op_sel_hi:[1,0,0]
	v_add_f32_e32 v7, v7, v162
	v_fma_mix_f32 v173, v173, v136, v181 op_sel:[0,1,0] op_sel_hi:[0,1,0]
	v_fma_mix_f32 v181, v189, v135, 0 op_sel:[0,1,0] op_sel_hi:[0,1,0]
	s_delay_alu instid0(VALU_DEP_4) | instskip(SKIP_2) | instid1(VALU_DEP_4)
	v_fma_mix_f32 v154, v136, v154, v158 op_sel_hi:[1,0,0]
	v_cvt_f32_i32_e32 v158, v160
	v_mul_f32_e32 v160, v214, v132
	v_fma_mix_f32 v176, v176, v136, v181 op_sel:[0,1,0] op_sel_hi:[0,1,0]
	v_fma_mix_f32 v181, v204, v135, 0 op_sel:[0,1,0] op_sel_hi:[0,1,0]
	s_delay_alu instid0(VALU_DEP_4) | instskip(NEXT) | instid1(VALU_DEP_4)
	v_fma_mix_f32 v158, v135, v158, 0 op_sel_hi:[1,0,0]
	v_fma_f32 v150, v150, v128, -v160
	v_mul_f32_e32 v160, v217, v133
	s_delay_alu instid0(VALU_DEP_4) | instskip(SKIP_3) | instid1(VALU_DEP_4)
	v_fma_mix_f32 v146, v146, v136, v181 op_sel:[0,1,0] op_sel_hi:[0,1,0]
	v_mul_f32_e32 v171, v197, v132
	v_fma_mix_f32 v158, v136, v159, v158 op_sel_hi:[1,0,0]
	v_cvt_f32_i32_e32 v159, v161
	v_dual_mul_f32 v161, v219, v134 :: v_dual_mul_f32 v146, v146, v131
	s_delay_alu instid0(VALU_DEP_4) | instskip(SKIP_1) | instid1(VALU_DEP_4)
	v_fma_f32 v151, v151, v128, -v171
	v_mul_f32_e32 v171, v215, v133
	v_fma_mix_f32 v135, v135, v159, 0 op_sel_hi:[1,0,0]
	v_mul_f32_e32 v159, v213, v134
	v_fma_f32 v144, v144, v127, -v146
	v_mul_f32_e32 v146, v174, v132
	v_fma_f32 v160, v192, v129, -v160
	v_fma_mix_f32 v135, v136, v145, v135 op_sel_hi:[1,0,0]
	v_dual_mul_f32 v136, v143, v131 :: v_dual_mul_f32 v143, v205, v132
	v_mul_f32_e32 v145, v206, v133
	v_fma_f32 v146, v154, v128, -v146
	v_mul_f32_e32 v154, v173, v133
	s_delay_alu instid0(VALU_DEP_4)
	v_fma_f32 v136, v147, v127, -v136
	v_mul_f32_e32 v147, v207, v134
	v_fma_f32 v143, v157, v128, -v143
	v_mul_f32_e32 v157, v211, v132
	;; [unrolled: 2-line block ×5, first 2 shown]
	v_fma_f32 v154, v158, v129, -v154
	v_fma_f32 v156, v185, v130, -v156
	;; [unrolled: 1-line block ×3, first 2 shown]
	v_mul_f32_e32 v155, v209, v133
	v_fma_f32 v157, v186, v129, -v157
	v_fma_f32 v159, v191, v130, -v159
	;; [unrolled: 1-line block ×5, first 2 shown]
	v_mul_f32_e32 v158, v176, v134
	v_fma_f32 v137, v166, v127, -v137
	v_dual_add_f32 v24, v24, v136 :: v_dual_add_f32 v29, v29, v149
	s_delay_alu instid0(VALU_DEP_4) | instskip(NEXT) | instid1(VALU_DEP_4)
	v_add_f32_e32 v35, v35, v155
	v_fma_f32 v135, v135, v130, -v158
	v_dual_add_f32 v58, v58, v143 :: v_dual_add_f32 v27, v27, v157
	v_add_f32_e32 v48, v48, v145
	v_dual_add_f32 v44, v44, v147 :: v_dual_add_f32 v21, v21, v150
	v_dual_add_f32 v36, v36, v148 :: v_dual_add_f32 v19, v19, v161
	;; [unrolled: 1-line block ×3, first 2 shown]
	v_add_f32_e32 v26, v26, v159
	v_add_f32_e32 v20, v20, v160
	;; [unrolled: 1-line block ×3, first 2 shown]
	v_dual_add_f32 v14, v14, v138 :: v_dual_add_f32 v3, v3, v135
	v_dual_add_f32 v12, v12, v167 :: v_dual_add_f32 v5, v5, v146
	v_add_f32_e32 v10, v10, v137
	v_add_f32_e32 v6, v6, v144
	;; [unrolled: 1-line block ×3, first 2 shown]
	s_cbranch_scc1 .LBB173_7
; %bb.8:                                ;   in Loop: Header=BB173_6 Depth=2
	s_mov_b32 s14, 1
	s_and_b32 vcc_lo, exec_lo, s1
	s_mov_b32 s1, 0
	s_barrier
	buffer_gl0_inv
	s_cbranch_vccz .LBB173_6
; %bb.9:                                ;   in Loop: Header=BB173_5 Depth=1
	s_add_i32 s13, s13, 1
	s_delay_alu instid0(SALU_CYCLE_1)
	s_cmp_eq_u32 s13, s11
	s_cbranch_scc0 .LBB173_5
; %bb.10:
	v_dual_mov_b32 v1, v22 :: v_dual_mov_b32 v0, v23
.LBB173_11:
	s_mov_b32 s0, exec_lo
	v_cmpx_gt_u32_e64 s4, v28
	s_cbranch_execz .LBB173_62
; %bb.12:
	s_delay_alu instid0(VALU_DEP_2) | instskip(SKIP_1) | instid1(VALU_DEP_2)
	v_add_nc_u32_e32 v0, s10, v0
	v_mul_lo_u32 v28, v28, s6
	v_cmp_gt_u32_e32 vcc_lo, s6, v0
	s_and_saveexec_b32 s1, vcc_lo
	s_cbranch_execz .LBB173_14
; %bb.13:
	v_bfe_u32 v2, v24, 16, 1
	s_delay_alu instid0(VALU_DEP_3) | instskip(SKIP_1) | instid1(VALU_DEP_3)
	v_dual_mov_b32 v23, 0 :: v_dual_add_nc_u32 v22, v0, v28
	v_cmp_o_f32_e64 s0, v24, v24
	v_add3_u32 v2, v24, v2, 0x7fff
	s_delay_alu instid0(VALU_DEP_3) | instskip(NEXT) | instid1(VALU_DEP_2)
	v_lshlrev_b64 v[22:23], 1, v[22:23]
	v_lshrrev_b32_e32 v2, 16, v2
	s_delay_alu instid0(VALU_DEP_1) | instskip(SKIP_1) | instid1(VALU_DEP_3)
	v_cndmask_b32_e64 v2, 0x7fc0, v2, s0
	s_waitcnt lgkmcnt(0)
	v_add_co_u32 v22, s0, s8, v22
	s_delay_alu instid0(VALU_DEP_1)
	v_add_co_ci_u32_e64 v23, s0, s9, v23, s0
	global_store_b16 v[22:23], v2, off
.LBB173_14:
	s_or_b32 exec_lo, exec_lo, s1
	v_add_nc_u32_e32 v2, 32, v0
	s_delay_alu instid0(VALU_DEP_1) | instskip(NEXT) | instid1(VALU_DEP_1)
	v_cmp_gt_u32_e64 s0, s6, v2
	s_and_saveexec_b32 s2, s0
	s_cbranch_execz .LBB173_16
; %bb.15:
	v_bfe_u32 v23, v58, 16, 1
	v_add_nc_u32_e32 v22, v2, v28
	v_cmp_o_f32_e64 s1, v58, v58
	s_delay_alu instid0(VALU_DEP_3) | instskip(SKIP_1) | instid1(VALU_DEP_2)
	v_add3_u32 v24, v58, v23, 0x7fff
	v_mov_b32_e32 v23, 0
	v_lshrrev_b32_e32 v24, 16, v24
	s_delay_alu instid0(VALU_DEP_2) | instskip(NEXT) | instid1(VALU_DEP_2)
	v_lshlrev_b64 v[22:23], 1, v[22:23]
	v_cndmask_b32_e64 v24, 0x7fc0, v24, s1
	s_waitcnt lgkmcnt(0)
	s_delay_alu instid0(VALU_DEP_2) | instskip(NEXT) | instid1(VALU_DEP_1)
	v_add_co_u32 v22, s1, s8, v22
	v_add_co_ci_u32_e64 v23, s1, s9, v23, s1
	global_store_b16 v[22:23], v24, off
.LBB173_16:
	s_or_b32 exec_lo, exec_lo, s2
	v_add_nc_u32_e32 v22, 64, v0
	s_delay_alu instid0(VALU_DEP_1) | instskip(NEXT) | instid1(VALU_DEP_1)
	v_cmp_gt_u32_e64 s1, s6, v22
	s_and_saveexec_b32 s3, s1
	s_cbranch_execz .LBB173_18
; %bb.17:
	v_bfe_u32 v24, v48, 16, 1
	v_add_nc_u32_e32 v23, v22, v28
	v_cmp_o_f32_e64 s2, v48, v48
	s_delay_alu instid0(VALU_DEP_3) | instskip(SKIP_1) | instid1(VALU_DEP_2)
	v_add3_u32 v30, v48, v24, 0x7fff
	v_mov_b32_e32 v24, 0
	v_lshrrev_b32_e32 v30, 16, v30
	s_delay_alu instid0(VALU_DEP_2) | instskip(NEXT) | instid1(VALU_DEP_2)
	v_lshlrev_b64 v[23:24], 1, v[23:24]
	v_cndmask_b32_e64 v30, 0x7fc0, v30, s2
	s_waitcnt lgkmcnt(0)
	s_delay_alu instid0(VALU_DEP_2) | instskip(NEXT) | instid1(VALU_DEP_1)
	v_add_co_u32 v23, s2, s8, v23
	v_add_co_ci_u32_e64 v24, s2, s9, v24, s2
	global_store_b16 v[23:24], v30, off
.LBB173_18:
	s_or_b32 exec_lo, exec_lo, s3
	v_add_nc_u32_e32 v23, 0x60, v0
	s_delay_alu instid0(VALU_DEP_1) | instskip(NEXT) | instid1(VALU_DEP_1)
	v_cmp_gt_u32_e64 s2, s6, v23
	s_and_saveexec_b32 s5, s2
	s_cbranch_execz .LBB173_20
; %bb.19:
	v_bfe_u32 v24, v44, 16, 1
	v_dual_mov_b32 v31, 0 :: v_dual_add_nc_u32 v30, v23, v28
	v_cmp_o_f32_e64 s3, v44, v44
	s_delay_alu instid0(VALU_DEP_3) | instskip(NEXT) | instid1(VALU_DEP_3)
	v_add3_u32 v24, v44, v24, 0x7fff
	v_lshlrev_b64 v[30:31], 1, v[30:31]
	s_delay_alu instid0(VALU_DEP_2) | instskip(NEXT) | instid1(VALU_DEP_1)
	v_lshrrev_b32_e32 v24, 16, v24
	v_cndmask_b32_e64 v24, 0x7fc0, v24, s3
	s_waitcnt lgkmcnt(0)
	s_delay_alu instid0(VALU_DEP_3) | instskip(NEXT) | instid1(VALU_DEP_1)
	v_add_co_u32 v30, s3, s8, v30
	v_add_co_ci_u32_e64 v31, s3, s9, v31, s3
	global_store_b16 v[30:31], v24, off
.LBB173_20:
	s_or_b32 exec_lo, exec_lo, s5
	v_add3_u32 v24, v1, s7, 8
	s_delay_alu instid0(VALU_DEP_1) | instskip(NEXT) | instid1(VALU_DEP_1)
	v_cmp_gt_u32_e64 s3, s4, v24
	s_and_b32 exec_lo, exec_lo, s3
	s_cbranch_execz .LBB173_62
; %bb.21:
	v_mul_lo_u32 v24, v24, s6
	s_and_saveexec_b32 s5, vcc_lo
	s_cbranch_execnz .LBB173_63
; %bb.22:
	s_or_b32 exec_lo, exec_lo, s5
	s_and_saveexec_b32 s5, s0
	s_cbranch_execnz .LBB173_64
.LBB173_23:
	s_or_b32 exec_lo, exec_lo, s5
	s_and_saveexec_b32 s5, s1
	s_cbranch_execnz .LBB173_65
.LBB173_24:
	s_or_b32 exec_lo, exec_lo, s5
	s_and_saveexec_b32 s5, s2
	s_cbranch_execz .LBB173_26
.LBB173_25:
	v_bfe_u32 v28, v34, 16, 1
	v_dual_mov_b32 v31, 0 :: v_dual_add_nc_u32 v30, v24, v23
	v_cmp_o_f32_e64 s3, v34, v34
	s_delay_alu instid0(VALU_DEP_3) | instskip(NEXT) | instid1(VALU_DEP_3)
	v_add3_u32 v24, v34, v28, 0x7fff
	v_lshlrev_b64 v[30:31], 1, v[30:31]
	s_delay_alu instid0(VALU_DEP_2) | instskip(NEXT) | instid1(VALU_DEP_1)
	v_lshrrev_b32_e32 v24, 16, v24
	v_cndmask_b32_e64 v24, 0x7fc0, v24, s3
	s_waitcnt lgkmcnt(0)
	s_delay_alu instid0(VALU_DEP_3) | instskip(NEXT) | instid1(VALU_DEP_1)
	v_add_co_u32 v30, s3, s8, v30
	v_add_co_ci_u32_e64 v31, s3, s9, v31, s3
	global_store_b16 v[30:31], v24, off
.LBB173_26:
	s_or_b32 exec_lo, exec_lo, s5
	v_add3_u32 v24, v1, s7, 16
	s_delay_alu instid0(VALU_DEP_1) | instskip(NEXT) | instid1(VALU_DEP_1)
	v_cmp_gt_u32_e64 s3, s4, v24
	s_and_b32 exec_lo, exec_lo, s3
	s_cbranch_execz .LBB173_62
; %bb.27:
	v_mul_lo_u32 v24, v24, s6
	s_and_saveexec_b32 s5, vcc_lo
	s_cbranch_execnz .LBB173_66
; %bb.28:
	s_or_b32 exec_lo, exec_lo, s5
	s_and_saveexec_b32 s5, s0
	s_cbranch_execnz .LBB173_67
.LBB173_29:
	s_or_b32 exec_lo, exec_lo, s5
	s_and_saveexec_b32 s5, s1
	s_cbranch_execnz .LBB173_68
.LBB173_30:
	s_or_b32 exec_lo, exec_lo, s5
	s_and_saveexec_b32 s5, s2
	s_cbranch_execz .LBB173_32
.LBB173_31:
	v_bfe_u32 v28, v26, 16, 1
	v_add_nc_u32_e32 v27, v24, v23
	v_cmp_o_f32_e64 s3, v26, v26
	s_delay_alu instid0(VALU_DEP_3) | instskip(SKIP_1) | instid1(VALU_DEP_2)
	v_add3_u32 v24, v26, v28, 0x7fff
	v_mov_b32_e32 v28, 0
	v_lshrrev_b32_e32 v24, 16, v24
	s_delay_alu instid0(VALU_DEP_2) | instskip(NEXT) | instid1(VALU_DEP_2)
	v_lshlrev_b64 v[27:28], 1, v[27:28]
	v_cndmask_b32_e64 v24, 0x7fc0, v24, s3
	s_waitcnt lgkmcnt(0)
	s_delay_alu instid0(VALU_DEP_2) | instskip(NEXT) | instid1(VALU_DEP_1)
	v_add_co_u32 v26, s3, s8, v27
	v_add_co_ci_u32_e64 v27, s3, s9, v28, s3
	global_store_b16 v[26:27], v24, off
.LBB173_32:
	s_or_b32 exec_lo, exec_lo, s5
	v_add3_u32 v24, v1, s7, 24
	s_delay_alu instid0(VALU_DEP_1) | instskip(NEXT) | instid1(VALU_DEP_1)
	v_cmp_gt_u32_e64 s3, s4, v24
	s_and_b32 exec_lo, exec_lo, s3
	s_cbranch_execz .LBB173_62
; %bb.33:
	v_mul_lo_u32 v24, v24, s6
	s_and_saveexec_b32 s5, vcc_lo
	s_cbranch_execnz .LBB173_69
; %bb.34:
	s_or_b32 exec_lo, exec_lo, s5
	s_and_saveexec_b32 s5, s0
	s_cbranch_execnz .LBB173_70
.LBB173_35:
	s_or_b32 exec_lo, exec_lo, s5
	s_and_saveexec_b32 s5, s1
	s_cbranch_execnz .LBB173_71
.LBB173_36:
	s_or_b32 exec_lo, exec_lo, s5
	s_and_saveexec_b32 s5, s2
	s_cbranch_execz .LBB173_38
.LBB173_37:
	v_bfe_u32 v21, v19, 16, 1
	v_add_nc_u32_e32 v20, v24, v23
	v_cmp_o_f32_e64 s3, v19, v19
	s_delay_alu instid0(VALU_DEP_3) | instskip(SKIP_1) | instid1(VALU_DEP_2)
	v_add3_u32 v24, v19, v21, 0x7fff
	v_mov_b32_e32 v21, 0
	v_lshrrev_b32_e32 v24, 16, v24
	s_delay_alu instid0(VALU_DEP_2) | instskip(NEXT) | instid1(VALU_DEP_2)
	v_lshlrev_b64 v[20:21], 1, v[20:21]
	v_cndmask_b32_e64 v24, 0x7fc0, v24, s3
	s_waitcnt lgkmcnt(0)
	s_delay_alu instid0(VALU_DEP_2) | instskip(NEXT) | instid1(VALU_DEP_1)
	v_add_co_u32 v19, s3, s8, v20
	v_add_co_ci_u32_e64 v20, s3, s9, v21, s3
	global_store_b16 v[19:20], v24, off
.LBB173_38:
	s_or_b32 exec_lo, exec_lo, s5
	v_add3_u32 v19, v1, s7, 32
	s_delay_alu instid0(VALU_DEP_1) | instskip(NEXT) | instid1(VALU_DEP_1)
	v_cmp_gt_u32_e64 s3, s4, v19
	s_and_b32 exec_lo, exec_lo, s3
	s_cbranch_execz .LBB173_62
; %bb.39:
	v_mul_lo_u32 v19, v19, s6
	s_and_saveexec_b32 s5, vcc_lo
	s_cbranch_execnz .LBB173_72
; %bb.40:
	s_or_b32 exec_lo, exec_lo, s5
	s_and_saveexec_b32 s5, s0
	s_cbranch_execnz .LBB173_73
.LBB173_41:
	s_or_b32 exec_lo, exec_lo, s5
	s_and_saveexec_b32 s5, s1
	s_cbranch_execnz .LBB173_74
.LBB173_42:
	s_or_b32 exec_lo, exec_lo, s5
	s_and_saveexec_b32 s5, s2
	s_cbranch_execz .LBB173_44
.LBB173_43:
	v_bfe_u32 v17, v15, 16, 1
	v_add_nc_u32_e32 v16, v19, v23
	v_cmp_o_f32_e64 s3, v15, v15
	s_delay_alu instid0(VALU_DEP_3) | instskip(SKIP_1) | instid1(VALU_DEP_2)
	v_add3_u32 v18, v15, v17, 0x7fff
	v_mov_b32_e32 v17, 0
	v_lshrrev_b32_e32 v18, 16, v18
	s_delay_alu instid0(VALU_DEP_2) | instskip(NEXT) | instid1(VALU_DEP_2)
	v_lshlrev_b64 v[16:17], 1, v[16:17]
	v_cndmask_b32_e64 v18, 0x7fc0, v18, s3
	s_waitcnt lgkmcnt(0)
	s_delay_alu instid0(VALU_DEP_2) | instskip(NEXT) | instid1(VALU_DEP_1)
	v_add_co_u32 v15, s3, s8, v16
	v_add_co_ci_u32_e64 v16, s3, s9, v17, s3
	global_store_b16 v[15:16], v18, off
.LBB173_44:
	s_or_b32 exec_lo, exec_lo, s5
	v_add3_u32 v15, v1, s7, 40
	s_delay_alu instid0(VALU_DEP_1) | instskip(NEXT) | instid1(VALU_DEP_1)
	v_cmp_gt_u32_e64 s3, s4, v15
	s_and_b32 exec_lo, exec_lo, s3
	s_cbranch_execz .LBB173_62
; %bb.45:
	v_mul_lo_u32 v15, v15, s6
	s_and_saveexec_b32 s5, vcc_lo
	s_cbranch_execnz .LBB173_75
; %bb.46:
	s_or_b32 exec_lo, exec_lo, s5
	s_and_saveexec_b32 s5, s0
	s_cbranch_execnz .LBB173_76
.LBB173_47:
	s_or_b32 exec_lo, exec_lo, s5
	s_and_saveexec_b32 s5, s1
	s_cbranch_execnz .LBB173_77
.LBB173_48:
	s_or_b32 exec_lo, exec_lo, s5
	s_and_saveexec_b32 s5, s2
	s_cbranch_execz .LBB173_50
.LBB173_49:
	v_bfe_u32 v13, v11, 16, 1
	v_add_nc_u32_e32 v12, v15, v23
	v_cmp_o_f32_e64 s3, v11, v11
	s_delay_alu instid0(VALU_DEP_3) | instskip(SKIP_1) | instid1(VALU_DEP_2)
	v_add3_u32 v14, v11, v13, 0x7fff
	v_mov_b32_e32 v13, 0
	v_lshrrev_b32_e32 v14, 16, v14
	s_delay_alu instid0(VALU_DEP_2) | instskip(NEXT) | instid1(VALU_DEP_2)
	v_lshlrev_b64 v[12:13], 1, v[12:13]
	v_cndmask_b32_e64 v14, 0x7fc0, v14, s3
	s_waitcnt lgkmcnt(0)
	s_delay_alu instid0(VALU_DEP_2) | instskip(NEXT) | instid1(VALU_DEP_1)
	v_add_co_u32 v11, s3, s8, v12
	v_add_co_ci_u32_e64 v12, s3, s9, v13, s3
	global_store_b16 v[11:12], v14, off
.LBB173_50:
	s_or_b32 exec_lo, exec_lo, s5
	v_add3_u32 v11, v1, s7, 48
	s_delay_alu instid0(VALU_DEP_1) | instskip(NEXT) | instid1(VALU_DEP_1)
	v_cmp_gt_u32_e64 s3, s4, v11
	s_and_b32 exec_lo, exec_lo, s3
	s_cbranch_execz .LBB173_62
; %bb.51:
	v_mul_lo_u32 v11, v11, s6
	s_and_saveexec_b32 s5, vcc_lo
	s_cbranch_execnz .LBB173_78
; %bb.52:
	s_or_b32 exec_lo, exec_lo, s5
	s_and_saveexec_b32 s5, s0
	s_cbranch_execnz .LBB173_79
.LBB173_53:
	s_or_b32 exec_lo, exec_lo, s5
	s_and_saveexec_b32 s5, s1
	s_cbranch_execnz .LBB173_80
.LBB173_54:
	s_or_b32 exec_lo, exec_lo, s5
	s_and_saveexec_b32 s5, s2
	s_cbranch_execz .LBB173_56
.LBB173_55:
	v_bfe_u32 v9, v7, 16, 1
	v_add_nc_u32_e32 v8, v11, v23
	v_cmp_o_f32_e64 s3, v7, v7
	s_delay_alu instid0(VALU_DEP_3) | instskip(SKIP_1) | instid1(VALU_DEP_2)
	v_add3_u32 v10, v7, v9, 0x7fff
	v_mov_b32_e32 v9, 0
	v_lshrrev_b32_e32 v10, 16, v10
	s_delay_alu instid0(VALU_DEP_2) | instskip(NEXT) | instid1(VALU_DEP_2)
	v_lshlrev_b64 v[8:9], 1, v[8:9]
	v_cndmask_b32_e64 v10, 0x7fc0, v10, s3
	s_waitcnt lgkmcnt(0)
	s_delay_alu instid0(VALU_DEP_2) | instskip(NEXT) | instid1(VALU_DEP_1)
	v_add_co_u32 v7, s3, s8, v8
	v_add_co_ci_u32_e64 v8, s3, s9, v9, s3
	global_store_b16 v[7:8], v10, off
.LBB173_56:
	s_or_b32 exec_lo, exec_lo, s5
	v_add3_u32 v1, v1, s7, 56
	s_delay_alu instid0(VALU_DEP_1) | instskip(NEXT) | instid1(VALU_DEP_1)
	v_cmp_gt_u32_e64 s3, s4, v1
	s_and_b32 exec_lo, exec_lo, s3
	s_cbranch_execz .LBB173_62
; %bb.57:
	v_mul_lo_u32 v1, v1, s6
	s_and_saveexec_b32 s3, vcc_lo
	s_cbranch_execnz .LBB173_81
; %bb.58:
	s_or_b32 exec_lo, exec_lo, s3
	s_and_saveexec_b32 s3, s0
	s_cbranch_execnz .LBB173_82
.LBB173_59:
	s_or_b32 exec_lo, exec_lo, s3
	s_and_saveexec_b32 s0, s1
	s_cbranch_execnz .LBB173_83
.LBB173_60:
	s_or_b32 exec_lo, exec_lo, s0
	s_delay_alu instid0(SALU_CYCLE_1)
	s_and_b32 exec_lo, exec_lo, s2
	s_cbranch_execz .LBB173_62
.LBB173_61:
	v_bfe_u32 v2, v3, 16, 1
	v_dual_mov_b32 v1, 0 :: v_dual_add_nc_u32 v0, v1, v23
	v_cmp_o_f32_e32 vcc_lo, v3, v3
	s_delay_alu instid0(VALU_DEP_3) | instskip(NEXT) | instid1(VALU_DEP_3)
	v_add3_u32 v2, v3, v2, 0x7fff
	v_lshlrev_b64 v[0:1], 1, v[0:1]
	s_delay_alu instid0(VALU_DEP_2) | instskip(NEXT) | instid1(VALU_DEP_1)
	v_lshrrev_b32_e32 v2, 16, v2
	v_cndmask_b32_e32 v2, 0x7fc0, v2, vcc_lo
	s_waitcnt lgkmcnt(0)
	s_delay_alu instid0(VALU_DEP_3) | instskip(NEXT) | instid1(VALU_DEP_4)
	v_add_co_u32 v0, vcc_lo, s8, v0
	v_add_co_ci_u32_e32 v1, vcc_lo, s9, v1, vcc_lo
	global_store_b16 v[0:1], v2, off
.LBB173_62:
	s_nop 0
	s_sendmsg sendmsg(MSG_DEALLOC_VGPRS)
	s_endpgm
.LBB173_63:
	v_bfe_u32 v28, v39, 16, 1
	s_delay_alu instid0(VALU_DEP_2) | instskip(SKIP_1) | instid1(VALU_DEP_3)
	v_dual_mov_b32 v31, 0 :: v_dual_add_nc_u32 v30, v24, v0
	v_cmp_o_f32_e64 s3, v39, v39
	v_add3_u32 v28, v39, v28, 0x7fff
	s_delay_alu instid0(VALU_DEP_3) | instskip(NEXT) | instid1(VALU_DEP_2)
	v_lshlrev_b64 v[30:31], 1, v[30:31]
	v_lshrrev_b32_e32 v28, 16, v28
	s_delay_alu instid0(VALU_DEP_1) | instskip(SKIP_1) | instid1(VALU_DEP_3)
	v_cndmask_b32_e64 v28, 0x7fc0, v28, s3
	s_waitcnt lgkmcnt(0)
	v_add_co_u32 v30, s3, s8, v30
	s_delay_alu instid0(VALU_DEP_1)
	v_add_co_ci_u32_e64 v31, s3, s9, v31, s3
	global_store_b16 v[30:31], v28, off
	s_or_b32 exec_lo, exec_lo, s5
	s_and_saveexec_b32 s5, s0
	s_cbranch_execz .LBB173_23
.LBB173_64:
	v_bfe_u32 v28, v36, 16, 1
	s_delay_alu instid0(VALU_DEP_2) | instskip(SKIP_1) | instid1(VALU_DEP_3)
	v_dual_mov_b32 v31, 0 :: v_dual_add_nc_u32 v30, v24, v2
	v_cmp_o_f32_e64 s3, v36, v36
	v_add3_u32 v28, v36, v28, 0x7fff
	s_delay_alu instid0(VALU_DEP_3) | instskip(NEXT) | instid1(VALU_DEP_2)
	v_lshlrev_b64 v[30:31], 1, v[30:31]
	v_lshrrev_b32_e32 v28, 16, v28
	s_delay_alu instid0(VALU_DEP_1) | instskip(SKIP_1) | instid1(VALU_DEP_3)
	v_cndmask_b32_e64 v28, 0x7fc0, v28, s3
	s_waitcnt lgkmcnt(0)
	v_add_co_u32 v30, s3, s8, v30
	s_delay_alu instid0(VALU_DEP_1)
	v_add_co_ci_u32_e64 v31, s3, s9, v31, s3
	global_store_b16 v[30:31], v28, off
	s_or_b32 exec_lo, exec_lo, s5
	s_and_saveexec_b32 s5, s1
	s_cbranch_execz .LBB173_24
.LBB173_65:
	v_bfe_u32 v28, v35, 16, 1
	v_dual_mov_b32 v31, 0 :: v_dual_add_nc_u32 v30, v24, v22
	v_cmp_o_f32_e64 s3, v35, v35
	s_delay_alu instid0(VALU_DEP_3) | instskip(NEXT) | instid1(VALU_DEP_3)
	v_add3_u32 v28, v35, v28, 0x7fff
	v_lshlrev_b64 v[30:31], 1, v[30:31]
	s_delay_alu instid0(VALU_DEP_2) | instskip(NEXT) | instid1(VALU_DEP_1)
	v_lshrrev_b32_e32 v28, 16, v28
	v_cndmask_b32_e64 v28, 0x7fc0, v28, s3
	s_waitcnt lgkmcnt(0)
	s_delay_alu instid0(VALU_DEP_3) | instskip(NEXT) | instid1(VALU_DEP_1)
	v_add_co_u32 v30, s3, s8, v30
	v_add_co_ci_u32_e64 v31, s3, s9, v31, s3
	global_store_b16 v[30:31], v28, off
	s_or_b32 exec_lo, exec_lo, s5
	s_and_saveexec_b32 s5, s2
	s_cbranch_execnz .LBB173_25
	s_branch .LBB173_26
.LBB173_66:
	v_bfe_u32 v28, v32, 16, 1
	s_delay_alu instid0(VALU_DEP_2) | instskip(SKIP_1) | instid1(VALU_DEP_3)
	v_dual_mov_b32 v31, 0 :: v_dual_add_nc_u32 v30, v24, v0
	v_cmp_o_f32_e64 s3, v32, v32
	v_add3_u32 v28, v32, v28, 0x7fff
	s_delay_alu instid0(VALU_DEP_3) | instskip(NEXT) | instid1(VALU_DEP_2)
	v_lshlrev_b64 v[30:31], 1, v[30:31]
	v_lshrrev_b32_e32 v28, 16, v28
	s_delay_alu instid0(VALU_DEP_1) | instskip(SKIP_1) | instid1(VALU_DEP_3)
	v_cndmask_b32_e64 v28, 0x7fc0, v28, s3
	s_waitcnt lgkmcnt(0)
	v_add_co_u32 v30, s3, s8, v30
	s_delay_alu instid0(VALU_DEP_1)
	v_add_co_ci_u32_e64 v31, s3, s9, v31, s3
	global_store_b16 v[30:31], v28, off
	s_or_b32 exec_lo, exec_lo, s5
	s_and_saveexec_b32 s5, s0
	s_cbranch_execz .LBB173_29
.LBB173_67:
	v_bfe_u32 v28, v29, 16, 1
	s_delay_alu instid0(VALU_DEP_2) | instskip(SKIP_1) | instid1(VALU_DEP_3)
	v_dual_mov_b32 v31, 0 :: v_dual_add_nc_u32 v30, v24, v2
	v_cmp_o_f32_e64 s3, v29, v29
	v_add3_u32 v28, v29, v28, 0x7fff
	s_delay_alu instid0(VALU_DEP_3) | instskip(NEXT) | instid1(VALU_DEP_2)
	v_lshlrev_b64 v[30:31], 1, v[30:31]
	v_lshrrev_b32_e32 v28, 16, v28
	s_delay_alu instid0(VALU_DEP_1) | instskip(SKIP_1) | instid1(VALU_DEP_3)
	v_cndmask_b32_e64 v32, 0x7fc0, v28, s3
	s_waitcnt lgkmcnt(0)
	v_add_co_u32 v28, s3, s8, v30
	s_delay_alu instid0(VALU_DEP_1)
	v_add_co_ci_u32_e64 v29, s3, s9, v31, s3
	global_store_b16 v[28:29], v32, off
	s_or_b32 exec_lo, exec_lo, s5
	s_and_saveexec_b32 s5, s1
	s_cbranch_execz .LBB173_30
.LBB173_68:
	v_bfe_u32 v29, v27, 16, 1
	v_add_nc_u32_e32 v28, v24, v22
	v_cmp_o_f32_e64 s3, v27, v27
	s_delay_alu instid0(VALU_DEP_3) | instskip(SKIP_1) | instid1(VALU_DEP_2)
	v_add3_u32 v30, v27, v29, 0x7fff
	v_mov_b32_e32 v29, 0
	v_lshrrev_b32_e32 v30, 16, v30
	s_delay_alu instid0(VALU_DEP_2) | instskip(NEXT) | instid1(VALU_DEP_2)
	v_lshlrev_b64 v[28:29], 1, v[28:29]
	v_cndmask_b32_e64 v30, 0x7fc0, v30, s3
	s_waitcnt lgkmcnt(0)
	s_delay_alu instid0(VALU_DEP_2) | instskip(NEXT) | instid1(VALU_DEP_1)
	v_add_co_u32 v27, s3, s8, v28
	v_add_co_ci_u32_e64 v28, s3, s9, v29, s3
	global_store_b16 v[27:28], v30, off
	s_or_b32 exec_lo, exec_lo, s5
	s_and_saveexec_b32 s5, s2
	s_cbranch_execnz .LBB173_31
	s_branch .LBB173_32
.LBB173_69:
	v_bfe_u32 v27, v25, 16, 1
	s_delay_alu instid0(VALU_DEP_2) | instskip(SKIP_1) | instid1(VALU_DEP_3)
	v_add_nc_u32_e32 v26, v24, v0
	v_cmp_o_f32_e64 s3, v25, v25
	v_add3_u32 v28, v25, v27, 0x7fff
	v_mov_b32_e32 v27, 0
	s_delay_alu instid0(VALU_DEP_2) | instskip(NEXT) | instid1(VALU_DEP_2)
	v_lshrrev_b32_e32 v28, 16, v28
	v_lshlrev_b64 v[26:27], 1, v[26:27]
	s_delay_alu instid0(VALU_DEP_2) | instskip(SKIP_1) | instid1(VALU_DEP_2)
	v_cndmask_b32_e64 v28, 0x7fc0, v28, s3
	s_waitcnt lgkmcnt(0)
	v_add_co_u32 v25, s3, s8, v26
	s_delay_alu instid0(VALU_DEP_1)
	v_add_co_ci_u32_e64 v26, s3, s9, v27, s3
	global_store_b16 v[25:26], v28, off
	s_or_b32 exec_lo, exec_lo, s5
	s_and_saveexec_b32 s5, s0
	s_cbranch_execz .LBB173_35
.LBB173_70:
	v_bfe_u32 v26, v21, 16, 1
	s_delay_alu instid0(VALU_DEP_2) | instskip(SKIP_1) | instid1(VALU_DEP_3)
	v_add_nc_u32_e32 v25, v24, v2
	v_cmp_o_f32_e64 s3, v21, v21
	v_add3_u32 v27, v21, v26, 0x7fff
	v_mov_b32_e32 v26, 0
	s_delay_alu instid0(VALU_DEP_2) | instskip(NEXT) | instid1(VALU_DEP_2)
	v_lshrrev_b32_e32 v27, 16, v27
	v_lshlrev_b64 v[25:26], 1, v[25:26]
	s_delay_alu instid0(VALU_DEP_2) | instskip(SKIP_1) | instid1(VALU_DEP_2)
	v_cndmask_b32_e64 v21, 0x7fc0, v27, s3
	s_waitcnt lgkmcnt(0)
	v_add_co_u32 v25, s3, s8, v25
	s_delay_alu instid0(VALU_DEP_1)
	v_add_co_ci_u32_e64 v26, s3, s9, v26, s3
	global_store_b16 v[25:26], v21, off
	s_or_b32 exec_lo, exec_lo, s5
	s_and_saveexec_b32 s5, s1
	s_cbranch_execz .LBB173_36
.LBB173_71:
	v_bfe_u32 v21, v20, 16, 1
	v_dual_mov_b32 v26, 0 :: v_dual_add_nc_u32 v25, v24, v22
	v_cmp_o_f32_e64 s3, v20, v20
	s_delay_alu instid0(VALU_DEP_3) | instskip(NEXT) | instid1(VALU_DEP_3)
	v_add3_u32 v21, v20, v21, 0x7fff
	v_lshlrev_b64 v[25:26], 1, v[25:26]
	s_delay_alu instid0(VALU_DEP_2) | instskip(NEXT) | instid1(VALU_DEP_1)
	v_lshrrev_b32_e32 v21, 16, v21
	v_cndmask_b32_e64 v27, 0x7fc0, v21, s3
	s_waitcnt lgkmcnt(0)
	s_delay_alu instid0(VALU_DEP_3) | instskip(NEXT) | instid1(VALU_DEP_1)
	v_add_co_u32 v20, s3, s8, v25
	v_add_co_ci_u32_e64 v21, s3, s9, v26, s3
	global_store_b16 v[20:21], v27, off
	s_or_b32 exec_lo, exec_lo, s5
	s_and_saveexec_b32 s5, s2
	s_cbranch_execnz .LBB173_37
	s_branch .LBB173_38
.LBB173_72:
	v_bfe_u32 v21, v18, 16, 1
	s_delay_alu instid0(VALU_DEP_2) | instskip(SKIP_1) | instid1(VALU_DEP_3)
	v_add_nc_u32_e32 v20, v19, v0
	v_cmp_o_f32_e64 s3, v18, v18
	v_add3_u32 v24, v18, v21, 0x7fff
	v_mov_b32_e32 v21, 0
	s_delay_alu instid0(VALU_DEP_2) | instskip(NEXT) | instid1(VALU_DEP_2)
	v_lshrrev_b32_e32 v24, 16, v24
	v_lshlrev_b64 v[20:21], 1, v[20:21]
	s_delay_alu instid0(VALU_DEP_2) | instskip(SKIP_1) | instid1(VALU_DEP_2)
	v_cndmask_b32_e64 v18, 0x7fc0, v24, s3
	s_waitcnt lgkmcnt(0)
	v_add_co_u32 v20, s3, s8, v20
	s_delay_alu instid0(VALU_DEP_1)
	v_add_co_ci_u32_e64 v21, s3, s9, v21, s3
	global_store_b16 v[20:21], v18, off
	s_or_b32 exec_lo, exec_lo, s5
	s_and_saveexec_b32 s5, s0
	s_cbranch_execz .LBB173_41
.LBB173_73:
	v_bfe_u32 v18, v17, 16, 1
	s_delay_alu instid0(VALU_DEP_2) | instskip(SKIP_1) | instid1(VALU_DEP_3)
	v_dual_mov_b32 v21, 0 :: v_dual_add_nc_u32 v20, v19, v2
	v_cmp_o_f32_e64 s3, v17, v17
	v_add3_u32 v18, v17, v18, 0x7fff
	s_delay_alu instid0(VALU_DEP_3) | instskip(NEXT) | instid1(VALU_DEP_2)
	v_lshlrev_b64 v[20:21], 1, v[20:21]
	v_lshrrev_b32_e32 v18, 16, v18
	s_delay_alu instid0(VALU_DEP_1) | instskip(SKIP_1) | instid1(VALU_DEP_3)
	v_cndmask_b32_e64 v24, 0x7fc0, v18, s3
	s_waitcnt lgkmcnt(0)
	v_add_co_u32 v17, s3, s8, v20
	s_delay_alu instid0(VALU_DEP_1)
	v_add_co_ci_u32_e64 v18, s3, s9, v21, s3
	global_store_b16 v[17:18], v24, off
	s_or_b32 exec_lo, exec_lo, s5
	s_and_saveexec_b32 s5, s1
	s_cbranch_execz .LBB173_42
.LBB173_74:
	v_bfe_u32 v18, v16, 16, 1
	v_add_nc_u32_e32 v17, v19, v22
	v_cmp_o_f32_e64 s3, v16, v16
	s_delay_alu instid0(VALU_DEP_3) | instskip(SKIP_1) | instid1(VALU_DEP_2)
	v_add3_u32 v20, v16, v18, 0x7fff
	v_mov_b32_e32 v18, 0
	v_lshrrev_b32_e32 v20, 16, v20
	s_delay_alu instid0(VALU_DEP_2) | instskip(NEXT) | instid1(VALU_DEP_2)
	v_lshlrev_b64 v[17:18], 1, v[17:18]
	v_cndmask_b32_e64 v20, 0x7fc0, v20, s3
	s_waitcnt lgkmcnt(0)
	s_delay_alu instid0(VALU_DEP_2) | instskip(NEXT) | instid1(VALU_DEP_1)
	v_add_co_u32 v16, s3, s8, v17
	v_add_co_ci_u32_e64 v17, s3, s9, v18, s3
	global_store_b16 v[16:17], v20, off
	s_or_b32 exec_lo, exec_lo, s5
	s_and_saveexec_b32 s5, s2
	s_cbranch_execnz .LBB173_43
	s_branch .LBB173_44
.LBB173_75:
	v_bfe_u32 v17, v14, 16, 1
	s_delay_alu instid0(VALU_DEP_2) | instskip(SKIP_1) | instid1(VALU_DEP_3)
	v_add_nc_u32_e32 v16, v15, v0
	v_cmp_o_f32_e64 s3, v14, v14
	v_add3_u32 v18, v14, v17, 0x7fff
	v_mov_b32_e32 v17, 0
	s_delay_alu instid0(VALU_DEP_2) | instskip(NEXT) | instid1(VALU_DEP_2)
	v_lshrrev_b32_e32 v18, 16, v18
	v_lshlrev_b64 v[16:17], 1, v[16:17]
	s_delay_alu instid0(VALU_DEP_2) | instskip(SKIP_1) | instid1(VALU_DEP_2)
	v_cndmask_b32_e64 v14, 0x7fc0, v18, s3
	s_waitcnt lgkmcnt(0)
	v_add_co_u32 v16, s3, s8, v16
	s_delay_alu instid0(VALU_DEP_1)
	v_add_co_ci_u32_e64 v17, s3, s9, v17, s3
	global_store_b16 v[16:17], v14, off
	s_or_b32 exec_lo, exec_lo, s5
	s_and_saveexec_b32 s5, s0
	s_cbranch_execz .LBB173_47
.LBB173_76:
	v_bfe_u32 v14, v13, 16, 1
	s_delay_alu instid0(VALU_DEP_2) | instskip(SKIP_1) | instid1(VALU_DEP_3)
	v_dual_mov_b32 v17, 0 :: v_dual_add_nc_u32 v16, v15, v2
	v_cmp_o_f32_e64 s3, v13, v13
	v_add3_u32 v14, v13, v14, 0x7fff
	s_delay_alu instid0(VALU_DEP_3) | instskip(NEXT) | instid1(VALU_DEP_2)
	v_lshlrev_b64 v[16:17], 1, v[16:17]
	v_lshrrev_b32_e32 v14, 16, v14
	s_delay_alu instid0(VALU_DEP_1) | instskip(SKIP_1) | instid1(VALU_DEP_3)
	v_cndmask_b32_e64 v18, 0x7fc0, v14, s3
	s_waitcnt lgkmcnt(0)
	v_add_co_u32 v13, s3, s8, v16
	s_delay_alu instid0(VALU_DEP_1)
	v_add_co_ci_u32_e64 v14, s3, s9, v17, s3
	global_store_b16 v[13:14], v18, off
	s_or_b32 exec_lo, exec_lo, s5
	s_and_saveexec_b32 s5, s1
	s_cbranch_execz .LBB173_48
.LBB173_77:
	v_bfe_u32 v14, v12, 16, 1
	v_add_nc_u32_e32 v13, v15, v22
	v_cmp_o_f32_e64 s3, v12, v12
	s_delay_alu instid0(VALU_DEP_3) | instskip(SKIP_1) | instid1(VALU_DEP_2)
	v_add3_u32 v16, v12, v14, 0x7fff
	v_mov_b32_e32 v14, 0
	v_lshrrev_b32_e32 v16, 16, v16
	s_delay_alu instid0(VALU_DEP_2) | instskip(NEXT) | instid1(VALU_DEP_2)
	v_lshlrev_b64 v[13:14], 1, v[13:14]
	v_cndmask_b32_e64 v16, 0x7fc0, v16, s3
	s_waitcnt lgkmcnt(0)
	s_delay_alu instid0(VALU_DEP_2) | instskip(NEXT) | instid1(VALU_DEP_1)
	v_add_co_u32 v12, s3, s8, v13
	v_add_co_ci_u32_e64 v13, s3, s9, v14, s3
	global_store_b16 v[12:13], v16, off
	s_or_b32 exec_lo, exec_lo, s5
	s_and_saveexec_b32 s5, s2
	s_cbranch_execnz .LBB173_49
	s_branch .LBB173_50
.LBB173_78:
	v_bfe_u32 v13, v10, 16, 1
	s_delay_alu instid0(VALU_DEP_2) | instskip(SKIP_1) | instid1(VALU_DEP_3)
	v_add_nc_u32_e32 v12, v11, v0
	v_cmp_o_f32_e64 s3, v10, v10
	v_add3_u32 v14, v10, v13, 0x7fff
	v_mov_b32_e32 v13, 0
	s_delay_alu instid0(VALU_DEP_2) | instskip(NEXT) | instid1(VALU_DEP_2)
	v_lshrrev_b32_e32 v14, 16, v14
	v_lshlrev_b64 v[12:13], 1, v[12:13]
	s_delay_alu instid0(VALU_DEP_2) | instskip(SKIP_1) | instid1(VALU_DEP_2)
	v_cndmask_b32_e64 v10, 0x7fc0, v14, s3
	s_waitcnt lgkmcnt(0)
	v_add_co_u32 v12, s3, s8, v12
	s_delay_alu instid0(VALU_DEP_1)
	v_add_co_ci_u32_e64 v13, s3, s9, v13, s3
	global_store_b16 v[12:13], v10, off
	s_or_b32 exec_lo, exec_lo, s5
	s_and_saveexec_b32 s5, s0
	s_cbranch_execz .LBB173_53
.LBB173_79:
	v_bfe_u32 v10, v9, 16, 1
	s_delay_alu instid0(VALU_DEP_2) | instskip(SKIP_1) | instid1(VALU_DEP_3)
	v_dual_mov_b32 v13, 0 :: v_dual_add_nc_u32 v12, v11, v2
	v_cmp_o_f32_e64 s3, v9, v9
	v_add3_u32 v10, v9, v10, 0x7fff
	s_delay_alu instid0(VALU_DEP_3) | instskip(NEXT) | instid1(VALU_DEP_2)
	v_lshlrev_b64 v[12:13], 1, v[12:13]
	v_lshrrev_b32_e32 v10, 16, v10
	s_delay_alu instid0(VALU_DEP_1) | instskip(SKIP_1) | instid1(VALU_DEP_3)
	v_cndmask_b32_e64 v14, 0x7fc0, v10, s3
	s_waitcnt lgkmcnt(0)
	v_add_co_u32 v9, s3, s8, v12
	s_delay_alu instid0(VALU_DEP_1)
	v_add_co_ci_u32_e64 v10, s3, s9, v13, s3
	global_store_b16 v[9:10], v14, off
	s_or_b32 exec_lo, exec_lo, s5
	s_and_saveexec_b32 s5, s1
	s_cbranch_execz .LBB173_54
.LBB173_80:
	v_bfe_u32 v10, v8, 16, 1
	v_add_nc_u32_e32 v9, v11, v22
	v_cmp_o_f32_e64 s3, v8, v8
	s_delay_alu instid0(VALU_DEP_3) | instskip(SKIP_1) | instid1(VALU_DEP_2)
	v_add3_u32 v12, v8, v10, 0x7fff
	v_mov_b32_e32 v10, 0
	v_lshrrev_b32_e32 v12, 16, v12
	s_delay_alu instid0(VALU_DEP_2) | instskip(NEXT) | instid1(VALU_DEP_2)
	v_lshlrev_b64 v[9:10], 1, v[9:10]
	v_cndmask_b32_e64 v12, 0x7fc0, v12, s3
	s_waitcnt lgkmcnt(0)
	s_delay_alu instid0(VALU_DEP_2) | instskip(NEXT) | instid1(VALU_DEP_1)
	v_add_co_u32 v8, s3, s8, v9
	v_add_co_ci_u32_e64 v9, s3, s9, v10, s3
	global_store_b16 v[8:9], v12, off
	s_or_b32 exec_lo, exec_lo, s5
	s_and_saveexec_b32 s5, s2
	s_cbranch_execnz .LBB173_55
	s_branch .LBB173_56
.LBB173_81:
	v_bfe_u32 v8, v6, 16, 1
	s_delay_alu instid0(VALU_DEP_2) | instskip(SKIP_1) | instid1(VALU_DEP_3)
	v_add_nc_u32_e32 v7, v1, v0
	v_cmp_o_f32_e32 vcc_lo, v6, v6
	v_add3_u32 v0, v6, v8, 0x7fff
	v_mov_b32_e32 v8, 0
	s_delay_alu instid0(VALU_DEP_2) | instskip(NEXT) | instid1(VALU_DEP_2)
	v_lshrrev_b32_e32 v0, 16, v0
	v_lshlrev_b64 v[7:8], 1, v[7:8]
	s_delay_alu instid0(VALU_DEP_2) | instskip(SKIP_1) | instid1(VALU_DEP_2)
	v_cndmask_b32_e32 v0, 0x7fc0, v0, vcc_lo
	s_waitcnt lgkmcnt(0)
	v_add_co_u32 v6, vcc_lo, s8, v7
	s_delay_alu instid0(VALU_DEP_3)
	v_add_co_ci_u32_e32 v7, vcc_lo, s9, v8, vcc_lo
	global_store_b16 v[6:7], v0, off
	s_or_b32 exec_lo, exec_lo, s3
	s_and_saveexec_b32 s3, s0
	s_cbranch_execz .LBB173_59
.LBB173_82:
	v_bfe_u32 v0, v5, 16, 1
	s_delay_alu instid0(VALU_DEP_2) | instskip(SKIP_1) | instid1(VALU_DEP_3)
	v_dual_mov_b32 v7, 0 :: v_dual_add_nc_u32 v6, v1, v2
	v_cmp_o_f32_e32 vcc_lo, v5, v5
	v_add3_u32 v0, v5, v0, 0x7fff
	s_delay_alu instid0(VALU_DEP_3) | instskip(NEXT) | instid1(VALU_DEP_2)
	v_lshlrev_b64 v[6:7], 1, v[6:7]
	v_lshrrev_b32_e32 v0, 16, v0
	s_delay_alu instid0(VALU_DEP_1) | instskip(SKIP_1) | instid1(VALU_DEP_3)
	v_cndmask_b32_e32 v0, 0x7fc0, v0, vcc_lo
	s_waitcnt lgkmcnt(0)
	v_add_co_u32 v5, vcc_lo, s8, v6
	s_delay_alu instid0(VALU_DEP_4)
	v_add_co_ci_u32_e32 v6, vcc_lo, s9, v7, vcc_lo
	global_store_b16 v[5:6], v0, off
	s_or_b32 exec_lo, exec_lo, s3
	s_and_saveexec_b32 s0, s1
	s_cbranch_execz .LBB173_60
.LBB173_83:
	v_bfe_u32 v0, v4, 16, 1
	v_dual_mov_b32 v6, 0 :: v_dual_add_nc_u32 v5, v1, v22
	v_cmp_o_f32_e32 vcc_lo, v4, v4
	s_delay_alu instid0(VALU_DEP_3) | instskip(NEXT) | instid1(VALU_DEP_3)
	v_add3_u32 v0, v4, v0, 0x7fff
	v_lshlrev_b64 v[5:6], 1, v[5:6]
	s_delay_alu instid0(VALU_DEP_2) | instskip(NEXT) | instid1(VALU_DEP_1)
	v_lshrrev_b32_e32 v0, 16, v0
	v_cndmask_b32_e32 v0, 0x7fc0, v0, vcc_lo
	s_waitcnt lgkmcnt(0)
	s_delay_alu instid0(VALU_DEP_3) | instskip(NEXT) | instid1(VALU_DEP_4)
	v_add_co_u32 v4, vcc_lo, s8, v5
	v_add_co_ci_u32_e32 v5, vcc_lo, s9, v6, vcc_lo
	global_store_b16 v[4:5], v0, off
	s_or_b32 exec_lo, exec_lo, s0
	s_delay_alu instid0(SALU_CYCLE_1)
	s_and_b32 exec_lo, exec_lo, s2
	s_cbranch_execnz .LBB173_61
	s_branch .LBB173_62
	.section	.rodata,"a",@progbits
	.p2align	6, 0x0
	.amdhsa_kernel _ZL12mul_mat_q5_KIN3c108BFloat16ELb0EEvPKvS3_PT_iiiii
		.amdhsa_group_segment_fixed_size 45136
		.amdhsa_private_segment_fixed_size 0
		.amdhsa_kernarg_size 44
		.amdhsa_user_sgpr_count 14
		.amdhsa_user_sgpr_dispatch_ptr 0
		.amdhsa_user_sgpr_queue_ptr 0
		.amdhsa_user_sgpr_kernarg_segment_ptr 1
		.amdhsa_user_sgpr_dispatch_id 0
		.amdhsa_user_sgpr_private_segment_size 0
		.amdhsa_wavefront_size32 1
		.amdhsa_uses_dynamic_stack 0
		.amdhsa_enable_private_segment 0
		.amdhsa_system_sgpr_workgroup_id_x 1
		.amdhsa_system_sgpr_workgroup_id_y 1
		.amdhsa_system_sgpr_workgroup_id_z 0
		.amdhsa_system_sgpr_workgroup_info 0
		.amdhsa_system_vgpr_workitem_id 1
		.amdhsa_next_free_vgpr 248
		.amdhsa_next_free_sgpr 18
		.amdhsa_reserve_vcc 1
		.amdhsa_float_round_mode_32 0
		.amdhsa_float_round_mode_16_64 0
		.amdhsa_float_denorm_mode_32 3
		.amdhsa_float_denorm_mode_16_64 3
		.amdhsa_dx10_clamp 1
		.amdhsa_ieee_mode 1
		.amdhsa_fp16_overflow 0
		.amdhsa_workgroup_processor_mode 1
		.amdhsa_memory_ordered 1
		.amdhsa_forward_progress 0
		.amdhsa_shared_vgpr_count 0
		.amdhsa_exception_fp_ieee_invalid_op 0
		.amdhsa_exception_fp_denorm_src 0
		.amdhsa_exception_fp_ieee_div_zero 0
		.amdhsa_exception_fp_ieee_overflow 0
		.amdhsa_exception_fp_ieee_underflow 0
		.amdhsa_exception_fp_ieee_inexact 0
		.amdhsa_exception_int_div_zero 0
	.end_amdhsa_kernel
	.section	.text._ZL12mul_mat_q5_KIN3c108BFloat16ELb0EEvPKvS3_PT_iiiii,"axG",@progbits,_ZL12mul_mat_q5_KIN3c108BFloat16ELb0EEvPKvS3_PT_iiiii,comdat
.Lfunc_end173:
	.size	_ZL12mul_mat_q5_KIN3c108BFloat16ELb0EEvPKvS3_PT_iiiii, .Lfunc_end173-_ZL12mul_mat_q5_KIN3c108BFloat16ELb0EEvPKvS3_PT_iiiii
                                        ; -- End function
	.section	.AMDGPU.csdata,"",@progbits
; Kernel info:
; codeLenInByte = 17308
; NumSgprs: 20
; NumVgprs: 248
; ScratchSize: 0
; MemoryBound: 0
; FloatMode: 240
; IeeeMode: 1
; LDSByteSize: 45136 bytes/workgroup (compile time only)
; SGPRBlocks: 2
; VGPRBlocks: 30
; NumSGPRsForWavesPerEU: 20
; NumVGPRsForWavesPerEU: 248
; Occupancy: 4
; WaveLimiterHint : 0
; COMPUTE_PGM_RSRC2:SCRATCH_EN: 0
; COMPUTE_PGM_RSRC2:USER_SGPR: 14
; COMPUTE_PGM_RSRC2:TRAP_HANDLER: 0
; COMPUTE_PGM_RSRC2:TGID_X_EN: 1
; COMPUTE_PGM_RSRC2:TGID_Y_EN: 1
; COMPUTE_PGM_RSRC2:TGID_Z_EN: 0
; COMPUTE_PGM_RSRC2:TIDIG_COMP_CNT: 1
	.section	.text._ZL12mul_mat_q5_KIN3c108BFloat16ELb1EEvPKvS3_PT_iiiii,"axG",@progbits,_ZL12mul_mat_q5_KIN3c108BFloat16ELb1EEvPKvS3_PT_iiiii,comdat
	.globl	_ZL12mul_mat_q5_KIN3c108BFloat16ELb1EEvPKvS3_PT_iiiii ; -- Begin function _ZL12mul_mat_q5_KIN3c108BFloat16ELb1EEvPKvS3_PT_iiiii
	.p2align	8
	.type	_ZL12mul_mat_q5_KIN3c108BFloat16ELb1EEvPKvS3_PT_iiiii,@function
_ZL12mul_mat_q5_KIN3c108BFloat16ELb1EEvPKvS3_PT_iiiii: ; @_ZL12mul_mat_q5_KIN3c108BFloat16ELb1EEvPKvS3_PT_iiiii
; %bb.0:
	s_clause 0x1
	s_load_b128 s[4:7], s[0:1], 0x18
	s_load_b32 s10, s[0:1], 0x28
	v_bfe_u32 v35, v0, 10, 10
	v_and_b32_e32 v36, 0x3ff, v0
	s_lshl_b32 s11, s15, 6
	s_waitcnt lgkmcnt(0)
	s_cmpk_gt_i32 s4, 0xff
	s_cbranch_scc1 .LBB174_2
; %bb.1:
	v_bfe_u32 v1, v0, 10, 10
	v_and_b32_e32 v0, 0x3ff, v0
	s_mov_b32 s2, 0
	s_mov_b32 s3, 0
	s_delay_alu instid0(VALU_DEP_2)
	v_add_nc_u32_e32 v51, s11, v1
	s_branch .LBB174_3
.LBB174_2:
	s_mov_b32 s2, -1
                                        ; implicit-def: $sgpr3
                                        ; implicit-def: $vgpr1
                                        ; implicit-def: $vgpr0
                                        ; implicit-def: $vgpr51
.LBB174_3:
	s_load_b64 s[8:9], s[0:1], 0x10
	v_dual_mov_b32 v19, s3 :: v_dual_mov_b32 v44, s3
	v_dual_mov_b32 v23, s3 :: v_dual_mov_b32 v64, s3
	;; [unrolled: 1-line block ×16, first 2 shown]
	s_and_not1_b32 vcc_lo, exec_lo, s2
	s_lshl_b32 s12, s14, 7
	s_cbranch_vccnz .LBB174_11
; %bb.4:
	s_load_b128 s[0:3], s[0:1], 0x0
	s_ashr_i32 s13, s4, 31
	v_lshrrev_b32_e32 v34, 2, v36
	s_lshr_b32 s13, s13, 24
	s_ashr_i32 s14, s7, 31
	s_add_i32 s4, s4, s13
	s_lshr_b32 s13, s14, 27
	s_ashr_i32 s4, s4, 8
	v_and_b32_e32 v46, 6, v34
	v_lshl_add_u32 v72, v35, 3, v34
	v_and_b32_e32 v34, 3, v36
	s_add_i32 s7, s7, s13
	s_mul_i32 s13, s4, s12
	s_ashr_i32 s14, s7, 5
	s_mul_i32 s7, s13, 0xb0
	s_mul_hi_i32 s13, s13, 0xb0
	v_and_b32_e32 v1, 7, v36
	v_add_nc_u32_e32 v58, 48, v35
	v_add_nc_u32_e32 v77, 0xfe, v34
	v_cmp_gt_u32_e32 vcc_lo, 2, v34
	v_lshlrev_b32_e32 v0, 1, v36
	s_waitcnt lgkmcnt(0)
	s_add_u32 s7, s0, s7
	s_addc_u32 s13, s1, s13
	s_not_b32 s0, s12
	v_cndmask_b32_e32 v79, v77, v34, vcc_lo
	s_add_i32 s0, s0, s5
	v_lshlrev_b32_e32 v96, 5, v58
	v_min_i32_e32 v8, s0, v58
	v_mov_b32_e32 v58, 0
	v_and_or_b32 v0, v0, 48, v1
	v_add_nc_u32_e32 v37, 8, v35
	v_add_nc_u32_e32 v41, 16, v35
	;; [unrolled: 1-line block ×4, first 2 shown]
	v_min_i32_e32 v2, s0, v35
	v_lshlrev_b32_e32 v17, 2, v0
	v_add_nc_u32_e32 v53, 40, v35
	v_min_i32_e32 v3, s0, v37
	v_min_i32_e32 v4, s0, v41
	v_add_nc_u32_e32 v64, 56, v35
	v_min_i32_e32 v5, s0, v44
	v_add_nc_u32_e32 v10, 64, v35
	;; [unrolled: 2-line block ×3, first 2 shown]
	v_mad_u64_u32 v[0:1], null, 0x104, v2, v[17:18]
	v_min_i32_e32 v7, s0, v53
	v_add_nc_u32_e32 v12, 0x50, v35
	v_mul_lo_u32 v50, v2, s4
	v_mad_u64_u32 v[1:2], null, 0x104, v3, v[17:18]
	v_mul_lo_u32 v52, v3, s4
	v_mad_u64_u32 v[2:3], null, 0x104, v4, v[17:18]
	v_min_i32_e32 v9, s0, v64
	v_mul_lo_u32 v54, v4, s4
	v_mad_u64_u32 v[3:4], null, 0x104, v5, v[17:18]
	v_min_i32_e32 v10, s0, v10
	;; [unrolled: 3-line block ×4, first 2 shown]
	v_mul_lo_u32 v57, v7, s4
	v_mad_u64_u32 v[6:7], null, 0x104, v8, v[17:18]
	v_mul_lo_u32 v59, v8, s4
	v_mad_u64_u32 v[7:8], null, 0x104, v9, v[17:18]
	;; [unrolled: 2-line block ×3, first 2 shown]
	s_add_i32 s1, s6, -1
	v_mul_lo_u32 v61, v10, s4
	v_mad_u64_u32 v[9:10], null, 0x104, v11, v[17:18]
	v_mul_lo_u32 v62, v11, s4
	v_mad_u64_u32 v[10:11], null, 0x104, v12, v[17:18]
	v_cvt_f64_i32_e32 v[18:19], s1
	v_add_nc_u32_e32 v13, 0x58, v35
	v_add_nc_u32_e32 v51, s11, v35
	v_mul_lo_u32 v63, v12, s4
	v_add_nc_u32_e32 v11, 0x60, v35
	v_lshlrev_b32_e32 v69, 5, v35
	v_min_i32_e32 v13, s0, v13
	v_add_nc_u32_e32 v12, 8, v51
	v_add_nc_u32_e32 v14, 16, v51
	v_min_i32_e32 v32, s0, v11
	v_add_nc_u32_e32 v28, 40, v51
	v_mul_lo_u32 v68, v13, s4
	v_cvt_f64_u32_e32 v[20:21], v12
	v_cvt_f64_u32_e32 v[22:23], v14
	v_add_nc_u32_e32 v14, 24, v51
	v_cvt_f64_u32_e32 v[15:16], v51
	v_cvt_f64_u32_e32 v[28:29], v28
	v_add_nc_u32_e32 v40, 0x78, v35
	v_mul_lo_u32 v71, v32, s4
	v_cvt_f64_u32_e32 v[24:25], v14
	v_add_nc_u32_e32 v14, 0x68, v35
	v_cmp_ne_u32_e32 vcc_lo, 0, v34
	v_min_i32_e32 v70, s0, v40
	v_dual_mov_b32 v38, 0 :: v_dual_lshlrev_b32 v43, 2, v36
	s_delay_alu instid0(VALU_DEP_4) | instskip(SKIP_1) | instid1(VALU_DEP_4)
	v_min_i32_e32 v39, s0, v14
	v_add_nc_u32_e32 v14, 0x70, v35
	v_mul_lo_u32 v76, v70, s4
	v_lshrrev_b32_e32 v42, 5, v36
	v_and_b32_e32 v47, 0x7c, v43
	v_mul_lo_u32 v73, v39, s4
	v_min_i32_e32 v66, s0, v14
	v_mul_u32_u24_e32 v114, 0x104, v36
	s_mov_b32 s5, 0
	s_delay_alu instid0(VALU_DEP_2) | instskip(SKIP_3) | instid1(VALU_DEP_2)
	v_mul_lo_u32 v74, v66, s4
	v_mad_u64_u32 v[11:12], null, 0x104, v13, v[17:18]
	v_add_nc_u32_e32 v13, 32, v51
	v_add_nc_u32_e32 v12, v69, v36
	v_cvt_f64_u32_e32 v[26:27], v13
	v_add_nc_u32_e32 v13, 48, v51
	s_delay_alu instid0(VALU_DEP_3) | instskip(SKIP_1) | instid1(VALU_DEP_3)
	v_and_b32_e32 v12, 0x7f, v12
	v_min_f64 v[20:21], v[20:21], v[18:19]
	v_cvt_f64_u32_e32 v[30:31], v13
	s_delay_alu instid0(VALU_DEP_3) | instskip(SKIP_2) | instid1(VALU_DEP_3)
	v_min_i32_e32 v65, s0, v12
	v_mad_u64_u32 v[12:13], null, 0x104, v32, v[17:18]
	v_min_f64 v[22:23], v[22:23], v[18:19]
	v_ashrrev_i32_e32 v13, 31, v65
	v_lshlrev_b32_e32 v75, 2, v65
	v_mul_lo_u32 v77, v65, s4
	s_delay_alu instid0(VALU_DEP_3)
	v_lshrrev_b32_e32 v67, 27, v13
	v_mad_u64_u32 v[13:14], null, 0x104, v39, v[17:18]
	v_min_f64 v[39:40], v[15:16], v[18:19]
	v_mad_u64_u32 v[14:15], null, 0x104, v66, v[17:18]
	v_mad_u64_u32 v[15:16], null, 0x104, v70, v[17:18]
	v_min_f64 v[16:17], v[24:25], v[18:19]
	v_add_nc_u32_e32 v67, v65, v67
	v_and_b32_e32 v65, 0xff, v79
	s_delay_alu instid0(VALU_DEP_2) | instskip(SKIP_1) | instid1(VALU_DEP_3)
	v_ashrrev_i32_e32 v66, 5, v67
	v_and_b32_e32 v67, 0x7f, v72
	v_lshlrev_b32_e32 v80, 1, v65
	s_delay_alu instid0(VALU_DEP_3) | instskip(NEXT) | instid1(VALU_DEP_3)
	v_lshlrev_b32_e32 v66, 2, v66
	v_min_i32_e32 v70, s0, v67
	v_min_f64 v[24:25], v[26:27], v[18:19]
	v_min_f64 v[26:27], v[28:29], v[18:19]
	v_xor_b32_e32 v67, 64, v67
	s_delay_alu instid0(VALU_DEP_4) | instskip(SKIP_2) | instid1(VALU_DEP_4)
	v_ashrrev_i32_e32 v78, 31, v70
	v_cvt_i32_f64_e32 v20, v[20:21]
	v_min_f64 v[28:29], v[30:31], v[18:19]
	v_min_i32_e32 v30, s0, v67
	v_mul_lo_u32 v81, v70, s4
	v_lshrrev_b32_e32 v31, 29, v78
	v_cvt_i32_f64_e32 v22, v[22:23]
	v_add3_u32 v78, v66, v75, 0xae40
	v_ashrrev_i32_e32 v66, 31, v30
	v_mul_lo_u32 v82, v30, s4
	v_add_nc_u32_e32 v31, v70, v31
	v_mov_b32_e32 v67, 0
	v_or_b32_e32 v49, 1, v46
	v_mov_b32_e32 v75, 0
	s_delay_alu instid0(VALU_DEP_4) | instskip(SKIP_1) | instid1(VALU_DEP_2)
	v_ashrrev_i32_e32 v31, 3, v31
	v_cvt_i32_f64_e32 v39, v[39:40]
	v_lshlrev_b32_e32 v31, 2, v31
	v_cvt_i32_f64_e32 v40, v[16:17]
	v_cvt_i32_f64_e32 v24, v[24:25]
	;; [unrolled: 1-line block ×3, first 2 shown]
	v_and_b32_e32 v27, 31, v36
	v_dual_mov_b32 v72, 0 :: v_dual_and_b32 v25, 63, v72
	v_mul_lo_u32 v88, s14, v20
	v_cvt_i32_f64_e32 v28, v[28:29]
	s_delay_alu instid0(VALU_DEP_3) | instskip(SKIP_2) | instid1(VALU_DEP_3)
	v_or_b32_e32 v29, s11, v25
	v_mul_lo_u32 v91, s14, v22
	v_add_nc_u32_e32 v22, 0x60, v36
	v_min_i32_e32 v29, s1, v29
	s_delay_alu instid0(VALU_DEP_2)
	v_lshrrev_b32_e32 v108, 3, v22
	v_dual_mov_b32 v22, 0 :: v_dual_lshlrev_b32 v119, 4, v22
	v_lshlrev_b32_e32 v85, 5, v41
	v_mov_b32_e32 v41, 0
	v_dual_mov_b32 v44, 0 :: v_dual_lshlrev_b32 v89, 5, v44
	v_mul_lo_u32 v86, s14, v39
	v_mov_b32_e32 v39, 0
	v_mul_lo_u32 v95, s14, v40
	v_mov_b32_e32 v40, 0
	v_dual_mov_b32 v53, 0 :: v_dual_lshlrev_b32 v94, 5, v53
	v_dual_mov_b32 v64, 0 :: v_dual_lshlrev_b32 v103, 5, v64
	v_mul_lo_u32 v98, s14, v24
	v_mul_lo_u32 v100, s14, v26
	v_and_b32_e32 v26, 60, v108
	v_mul_lo_u32 v102, s14, v28
	v_dual_mov_b32 v28, 0 :: v_dual_add_nc_u32 v33, 56, v51
	s_delay_alu instid0(VALU_DEP_3) | instskip(SKIP_1) | instid1(VALU_DEP_3)
	v_add3_u32 v113, v43, v26, 0xae40
	v_mov_b32_e32 v26, 0
	v_cvt_f64_u32_e32 v[32:33], v33
	s_delay_alu instid0(VALU_DEP_1)
	v_min_f64 v[18:19], v[32:33], v[18:19]
	v_add_co_ci_u32_e32 v32, vcc_lo, 0, v65, vcc_lo
	v_lshrrev_b32_e32 v33, 29, v66
	v_and_b32_e32 v66, 4, v43
	v_cmp_lt_u32_e32 vcc_lo, 1, v34
	v_and_b32_e32 v48, 28, v43
	v_lshlrev_b32_e32 v65, 4, v70
	v_add_nc_u32_e32 v33, v30, v33
	v_lshlrev_b32_e32 v30, 4, v30
	v_cndmask_b32_e32 v79, 0, v66, vcc_lo
	v_add_co_u32 v16, s0, s2, v48
	s_delay_alu instid0(VALU_DEP_4) | instskip(SKIP_3) | instid1(VALU_DEP_3)
	v_ashrrev_i32_e32 v33, 3, v33
	v_add_co_ci_u32_e64 v17, null, s3, 0, s0
	s_movk_i32 s0, 0x2080
	v_cndmask_b32_e64 v21, 0, 1, vcc_lo
	v_lshlrev_b32_e32 v33, 2, v33
	v_mad_u32_u24 v116, 0x104, v36, s0
	s_movk_i32 s0, 0x4100
	v_lshlrev_b32_e32 v121, 2, v32
	v_mad_u32_u24 v118, 0x104, v36, s0
	s_movk_i32 s0, 0x6180
	v_lshlrev_b32_e32 v122, 2, v21
	v_mad_u32_u24 v120, 0x104, v36, s0
	v_dual_mov_b32 v21, 0 :: v_dual_mov_b32 v32, 0
	v_mov_b32_e32 v70, 0
	v_cvt_i32_f64_e32 v66, v[18:19]
	v_mad_u64_u32 v[18:19], null, v29, s14, v[34:35]
	v_mov_b32_e32 v29, 0
	s_delay_alu instid0(VALU_DEP_3) | instskip(SKIP_2) | instid1(VALU_DEP_1)
	v_mul_lo_u32 v105, s14, v66
	v_mov_b32_e32 v66, 0
	v_dual_mov_b32 v45, 0 :: v_dual_lshlrev_b32 v92, 5, v45
	v_or_b32_e32 v20, v92, v27
	s_delay_alu instid0(VALU_DEP_1) | instskip(SKIP_1) | instid1(VALU_DEP_1)
	v_lshl_add_u32 v99, v20, 2, 0x8200
	v_or_b32_e32 v20, v96, v27
	v_lshl_add_u32 v104, v20, 2, 0x8200
	v_add_nc_u32_e32 v20, 64, v36
	s_delay_alu instid0(VALU_DEP_1) | instskip(SKIP_2) | instid1(VALU_DEP_1)
	v_lshrrev_b32_e32 v107, 3, v20
	v_dual_mov_b32 v20, 0 :: v_dual_lshlrev_b32 v117, 4, v20
	v_or_b32_e32 v19, v69, v27
	v_lshl_add_u32 v87, v19, 2, 0x8200
	v_or_b32_e32 v19, v85, v27
	s_delay_alu instid0(VALU_DEP_1) | instskip(SKIP_1) | instid1(VALU_DEP_1)
	v_lshl_add_u32 v93, v19, 2, 0x8200
	v_or_b32_e32 v19, v89, v27
	v_lshl_add_u32 v97, v19, 2, 0x8200
	v_or_b32_e32 v19, v94, v27
	s_delay_alu instid0(VALU_DEP_1) | instskip(SKIP_1) | instid1(VALU_DEP_1)
	v_lshl_add_u32 v101, v19, 2, 0x8200
	v_add_nc_u32_e32 v19, 32, v36
	v_lshrrev_b32_e32 v106, 3, v19
	v_lshlrev_b32_e32 v115, 4, v19
	v_mov_b32_e32 v19, 0
	v_dual_mov_b32 v34, 0 :: v_dual_lshlrev_b32 v23, 2, v34
	v_lshlrev_b32_e32 v83, 5, v37
	v_dual_mov_b32 v37, 0 :: v_dual_and_b32 v24, 60, v106
	s_delay_alu instid0(VALU_DEP_3)
	v_add3_u32 v31, v31, v23, 0xa200
	v_add3_u32 v33, v33, v23, 0xa200
	v_lshl_or_b32 v23, v25, 4, v23
	v_and_b32_e32 v25, 60, v107
	v_add3_u32 v111, v43, v24, 0xae40
	v_add_nc_u32_e32 v123, v31, v65
	v_add_nc_u32_e32 v124, v33, v30
	v_add_nc_u32_e32 v84, 0xaa40, v23
	v_or_b32_e32 v23, v83, v27
	v_add3_u32 v112, v43, v25, 0xae40
	v_dual_mov_b32 v30, 0 :: v_dual_mov_b32 v33, 0
	v_mov_b32_e32 v25, 0
	s_delay_alu instid0(VALU_DEP_4) | instskip(SKIP_4) | instid1(VALU_DEP_4)
	v_lshl_add_u32 v90, v23, 2, 0x8200
	v_or_b32_e32 v23, v103, v27
	v_lshrrev_b32_e32 v27, 3, v36
	v_dual_mov_b32 v65, 0 :: v_dual_mov_b32 v24, 0
	v_mov_b32_e32 v31, 0
	v_lshl_add_u32 v109, v23, 2, 0x8200
	v_lshlrev_b32_e32 v23, 2, v42
	v_lshlrev_b32_e32 v125, 2, v27
	v_mov_b32_e32 v27, 0
	s_delay_alu instid0(VALU_DEP_3)
	v_add3_u32 v110, v23, v43, 0xae40
	v_mov_b32_e32 v23, 0
.LBB174_5:                              ; =>This Loop Header: Depth=1
                                        ;     Child Loop BB174_6 Depth 2
                                        ;       Child Loop BB174_7 Depth 3
	s_mul_i32 s0, s5, 0xb0
	s_mul_hi_u32 s1, s5, 0xb0
	s_add_u32 s0, s7, s0
	s_addc_u32 s1, s13, s1
	s_mov_b32 s14, 0
	v_mad_u64_u32 v[126:127], null, 0xb0, v42, s[0:1]
	s_delay_alu instid0(VALU_DEP_1) | instskip(SKIP_3) | instid1(VALU_DEP_4)
	v_mad_i64_i32 v[128:129], null, 0xb0, v50, v[126:127]
	v_mad_i64_i32 v[130:131], null, 0xb0, v52, v[126:127]
	;; [unrolled: 1-line block ×4, first 2 shown]
	v_add_co_u32 v132, vcc_lo, v128, v47
	v_add_co_ci_u32_e32 v133, vcc_lo, 0, v129, vcc_lo
	v_add_co_u32 v128, vcc_lo, v128, v48
	v_add_co_ci_u32_e32 v129, vcc_lo, 0, v129, vcc_lo
	;; [unrolled: 2-line block ×6, first 2 shown]
	v_mad_i64_i32 v[144:145], null, 0xb0, v56, v[126:127]
	v_add_co_u32 v142, vcc_lo, v138, v47
	v_add_co_ci_u32_e32 v143, vcc_lo, 0, v139, vcc_lo
	v_add_co_u32 v138, vcc_lo, v138, v48
	v_add_co_ci_u32_e32 v139, vcc_lo, 0, v139, vcc_lo
	s_clause 0x7
	global_load_b32 v146, v[132:133], off offset:48
	global_load_b32 v147, v[128:129], off offset:16
	;; [unrolled: 1-line block ×8, first 2 shown]
	v_mad_i64_i32 v[128:129], null, 0xb0, v57, v[126:127]
	v_add_co_u32 v130, vcc_lo, v144, v47
	v_add_co_ci_u32_e32 v131, vcc_lo, 0, v145, vcc_lo
	v_add_co_u32 v132, vcc_lo, v144, v48
	v_mad_i64_i32 v[136:137], null, 0xb0, v59, v[126:127]
	v_add_co_ci_u32_e32 v133, vcc_lo, 0, v145, vcc_lo
	v_add_co_u32 v134, vcc_lo, v128, v47
	v_add_co_ci_u32_e32 v135, vcc_lo, 0, v129, vcc_lo
	v_add_co_u32 v128, vcc_lo, v128, v48
	v_mad_i64_i32 v[138:139], null, 0xb0, v60, v[126:127]
	v_add_co_ci_u32_e32 v129, vcc_lo, 0, v129, vcc_lo
	v_add_co_u32 v140, vcc_lo, v136, v47
	v_add_co_ci_u32_e32 v141, vcc_lo, 0, v137, vcc_lo
	v_add_co_u32 v136, vcc_lo, v136, v48
	v_add_co_ci_u32_e32 v137, vcc_lo, 0, v137, vcc_lo
	v_mad_i64_i32 v[144:145], null, 0xb0, v61, v[126:127]
	v_add_co_u32 v142, vcc_lo, v138, v47
	v_add_co_ci_u32_e32 v143, vcc_lo, 0, v139, vcc_lo
	v_add_co_u32 v138, vcc_lo, v138, v48
	v_add_co_ci_u32_e32 v139, vcc_lo, 0, v139, vcc_lo
	s_clause 0x7
	global_load_b32 v154, v[130:131], off offset:48
	global_load_b32 v155, v[132:133], off offset:16
	;; [unrolled: 1-line block ×8, first 2 shown]
	v_mad_i64_i32 v[128:129], null, 0xb0, v62, v[126:127]
	v_add_co_u32 v130, vcc_lo, v144, v47
	v_add_co_ci_u32_e32 v131, vcc_lo, 0, v145, vcc_lo
	v_add_co_u32 v132, vcc_lo, v144, v48
	v_mad_i64_i32 v[136:137], null, 0xb0, v63, v[126:127]
	v_add_co_ci_u32_e32 v133, vcc_lo, 0, v145, vcc_lo
	v_add_co_u32 v134, vcc_lo, v128, v47
	v_add_co_ci_u32_e32 v135, vcc_lo, 0, v129, vcc_lo
	v_add_co_u32 v128, vcc_lo, v128, v48
	v_mad_i64_i32 v[138:139], null, 0xb0, v68, v[126:127]
	v_add_co_ci_u32_e32 v129, vcc_lo, 0, v129, vcc_lo
	v_add_co_u32 v140, vcc_lo, v136, v47
	v_add_co_ci_u32_e32 v141, vcc_lo, 0, v137, vcc_lo
	v_add_co_u32 v136, vcc_lo, v136, v48
	v_add_co_ci_u32_e32 v137, vcc_lo, 0, v137, vcc_lo
	v_mad_i64_i32 v[144:145], null, 0xb0, v71, v[126:127]
	v_add_co_u32 v142, vcc_lo, v138, v47
	v_add_co_ci_u32_e32 v143, vcc_lo, 0, v139, vcc_lo
	v_add_co_u32 v138, vcc_lo, v138, v48
	v_add_co_ci_u32_e32 v139, vcc_lo, 0, v139, vcc_lo
	s_clause 0x7
	global_load_b32 v162, v[130:131], off offset:48
	global_load_b32 v163, v[132:133], off offset:16
	;; [unrolled: 1-line block ×8, first 2 shown]
	v_mad_i64_i32 v[128:129], null, 0xb0, v73, v[126:127]
	v_add_co_u32 v130, vcc_lo, v144, v47
	v_add_co_ci_u32_e32 v131, vcc_lo, 0, v145, vcc_lo
	v_add_co_u32 v132, vcc_lo, v144, v48
	v_add_co_ci_u32_e32 v133, vcc_lo, 0, v145, vcc_lo
	;; [unrolled: 2-line block ×4, first 2 shown]
	s_clause 0x3
	global_load_b32 v139, v[130:131], off offset:48
	global_load_b32 v141, v[132:133], off offset:16
	;; [unrolled: 1-line block ×4, first 2 shown]
	v_mad_i64_i32 v[128:129], null, 0xb0, v74, v[126:127]
	v_mad_i64_i32 v[130:131], null, 0xb0, v76, v[126:127]
	;; [unrolled: 1-line block ×3, first 2 shown]
	s_delay_alu instid0(VALU_DEP_3) | instskip(NEXT) | instid1(VALU_DEP_4)
	v_add_co_u32 v126, vcc_lo, v128, v47
	v_add_co_ci_u32_e32 v127, vcc_lo, 0, v129, vcc_lo
	v_add_co_u32 v128, vcc_lo, v128, v48
	v_add_co_ci_u32_e32 v129, vcc_lo, 0, v129, vcc_lo
	;; [unrolled: 2-line block ×4, first 2 shown]
	s_clause 0x3
	global_load_b32 v144, v[126:127], off offset:48
	global_load_b32 v145, v[128:129], off offset:16
	global_load_b32 v132, v[132:133], off offset:48
	global_load_b32 v133, v[130:131], off offset:16
	v_add_co_u32 v134, vcc_lo, v134, 4
	v_mad_i64_i32 v[126:127], null, 0xb0, v82, s[0:1]
	v_add_co_ci_u32_e32 v135, vcc_lo, 0, v135, vcc_lo
	s_delay_alu instid0(VALU_DEP_3) | instskip(SKIP_1) | instid1(VALU_DEP_3)
	v_add_co_u32 v130, vcc_lo, v134, v121
	v_mad_i64_i32 v[128:129], null, 0xb0, v77, s[0:1]
	v_add_co_ci_u32_e32 v131, vcc_lo, 0, v135, vcc_lo
	v_add_co_u32 v166, vcc_lo, v126, 4
	v_add_co_ci_u32_e32 v167, vcc_lo, 0, v127, vcc_lo
	global_load_b32 v168, v[130:131], off
	v_add_co_u32 v126, vcc_lo, v166, v121
	v_add_co_ci_u32_e32 v127, vcc_lo, 0, v167, vcc_lo
	v_add_co_u32 v130, vcc_lo, v134, v122
	v_add_co_ci_u32_e32 v131, vcc_lo, 0, v135, vcc_lo
	global_load_b32 v134, v[126:127], off
	v_add_co_u32 v126, vcc_lo, v166, v122
	v_add_co_ci_u32_e32 v127, vcc_lo, 0, v167, vcc_lo
	s_clause 0x2
	global_load_b32 v130, v[130:131], off
	global_load_b32 v126, v[126:127], off
	;; [unrolled: 1-line block ×3, first 2 shown]
	s_lshl_b32 s0, s5, 3
	s_mov_b32 s1, -1
	s_waitcnt vmcnt(36)
	v_lshrrev_b32_e32 v129, 4, v146
	s_waitcnt vmcnt(35)
	v_ashrrev_i32_e32 v131, v46, v147
	v_ashrrev_i32_e32 v135, v49, v147
	v_and_b32_e32 v128, 0xf0f0f0f, v146
	s_waitcnt vmcnt(34)
	v_and_b32_e32 v146, 0xf0f0f0f, v148
	v_lshrrev_b32_e32 v147, 4, v148
	s_waitcnt vmcnt(33)
	v_ashrrev_i32_e32 v148, v46, v149
	v_ashrrev_i32_e32 v149, v49, v149
	s_waitcnt vmcnt(32)
	v_and_b32_e32 v166, 0xf0f0f0f, v150
	v_lshrrev_b32_e32 v150, 4, v150
	s_waitcnt vmcnt(31)
	v_ashrrev_i32_e32 v167, v46, v151
	v_ashrrev_i32_e32 v151, v49, v151
	;; [unrolled: 6-line block ×3, first 2 shown]
	v_and_b32_e32 v129, 0xf0f0f0f, v129
	v_lshlrev_b32_e32 v131, 4, v131
	v_lshlrev_b32_e32 v135, 4, v135
	v_and_b32_e32 v147, 0xf0f0f0f, v147
	v_lshlrev_b32_e32 v148, 4, v148
	v_lshlrev_b32_e32 v149, 4, v149
	;; [unrolled: 3-line block ×4, first 2 shown]
	v_and_or_b32 v128, 0x10101010, v131, v128
	v_and_or_b32 v129, 0x10101010, v135, v129
	;; [unrolled: 1-line block ×8, first 2 shown]
	s_waitcnt vmcnt(28)
	v_and_b32_e32 v171, 0xf0f0f0f, v154
	v_lshrrev_b32_e32 v154, 4, v154
	s_waitcnt vmcnt(27)
	v_ashrrev_i32_e32 v172, v46, v155
	v_ashrrev_i32_e32 v155, v49, v155
	s_waitcnt vmcnt(26)
	v_and_b32_e32 v173, 0xf0f0f0f, v156
	v_lshrrev_b32_e32 v156, 4, v156
	s_waitcnt vmcnt(25)
	v_ashrrev_i32_e32 v174, v46, v157
	v_ashrrev_i32_e32 v157, v49, v157
	s_waitcnt vmcnt(24)
	v_and_b32_e32 v175, 0xf0f0f0f, v158
	v_lshrrev_b32_e32 v158, 4, v158
	s_waitcnt vmcnt(23)
	v_ashrrev_i32_e32 v176, v46, v159
	v_ashrrev_i32_e32 v159, v49, v159
	s_waitcnt vmcnt(22)
	v_and_b32_e32 v177, 0xf0f0f0f, v160
	v_lshrrev_b32_e32 v160, 4, v160
	s_waitcnt vmcnt(21)
	v_ashrrev_i32_e32 v178, v46, v161
	v_ashrrev_i32_e32 v161, v49, v161
	v_and_b32_e32 v154, 0xf0f0f0f, v154
	v_lshlrev_b32_e32 v172, 4, v172
	v_lshlrev_b32_e32 v155, 4, v155
	v_and_b32_e32 v156, 0xf0f0f0f, v156
	v_lshlrev_b32_e32 v174, 4, v174
	v_lshlrev_b32_e32 v157, 4, v157
	v_and_b32_e32 v158, 0xf0f0f0f, v158
	v_lshlrev_b32_e32 v176, 4, v176
	v_lshlrev_b32_e32 v159, 4, v159
	v_and_b32_e32 v160, 0xf0f0f0f, v160
	v_lshlrev_b32_e32 v178, 4, v178
	v_lshlrev_b32_e32 v161, 4, v161
	v_and_or_b32 v150, 0x10101010, v172, v171
	v_and_or_b32 v151, 0x10101010, v155, v154
	;; [unrolled: 1-line block ×8, first 2 shown]
	s_waitcnt vmcnt(20)
	v_and_b32_e32 v179, 0xf0f0f0f, v162
	v_lshrrev_b32_e32 v162, 4, v162
	s_waitcnt vmcnt(19)
	v_ashrrev_i32_e32 v180, v46, v163
	v_ashrrev_i32_e32 v163, v49, v163
	s_waitcnt vmcnt(18)
	v_and_b32_e32 v181, 0xf0f0f0f, v164
	v_lshrrev_b32_e32 v164, 4, v164
	s_waitcnt vmcnt(17)
	v_ashrrev_i32_e32 v182, v46, v165
	v_ashrrev_i32_e32 v165, v49, v165
	;; [unrolled: 6-line block ×4, first 2 shown]
	v_and_b32_e32 v162, 0xf0f0f0f, v162
	v_lshlrev_b32_e32 v180, 4, v180
	v_lshlrev_b32_e32 v163, 4, v163
	v_and_b32_e32 v164, 0xf0f0f0f, v164
	v_lshlrev_b32_e32 v182, 4, v182
	v_lshlrev_b32_e32 v165, 4, v165
	v_and_b32_e32 v140, 0xf0f0f0f, v140
	s_waitcnt vmcnt(12)
	v_and_b32_e32 v187, 0xf0f0f0f, v139
	v_lshrrev_b32_e32 v139, 4, v139
	s_waitcnt vmcnt(11)
	v_ashrrev_i32_e32 v188, v46, v141
	v_ashrrev_i32_e32 v141, v49, v141
	s_waitcnt vmcnt(10)
	v_lshrrev_b32_e32 v189, 4, v142
	s_waitcnt vmcnt(9)
	v_ashrrev_i32_e32 v190, v46, v143
	v_ashrrev_i32_e32 v143, v49, v143
	v_lshlrev_b32_e32 v184, 4, v184
	v_lshlrev_b32_e32 v136, 4, v136
	v_and_b32_e32 v137, 0xf0f0f0f, v137
	v_lshlrev_b32_e32 v186, 4, v186
	v_lshlrev_b32_e32 v138, 4, v138
	v_and_b32_e32 v139, 0xf0f0f0f, v139
	v_lshlrev_b32_e32 v188, 4, v188
	v_lshlrev_b32_e32 v141, 4, v141
	v_and_or_b32 v158, 0x10101010, v180, v179
	v_and_or_b32 v159, 0x10101010, v163, v162
	;; [unrolled: 1-line block ×6, first 2 shown]
	ds_store_2addr_b32 v0, v128, v129 offset1:8
	ds_store_2addr_b32 v1, v131, v135 offset1:8
	;; [unrolled: 1-line block ×10, first 2 shown]
	v_and_b32_e32 v128, 0xf0f0f0f, v142
	v_and_b32_e32 v129, 0xf0f0f0f, v189
	v_lshlrev_b32_e32 v131, 4, v190
	v_lshlrev_b32_e32 v135, 4, v143
	v_and_or_b32 v140, 0x10101010, v186, v185
	v_and_or_b32 v137, 0x10101010, v138, v137
	;; [unrolled: 1-line block ×4, first 2 shown]
	ds_store_2addr_b32 v10, v162, v136 offset1:8
	ds_store_2addr_b32 v11, v140, v137 offset1:8
	v_and_or_b32 v128, 0x10101010, v131, v128
	v_and_or_b32 v129, 0x10101010, v135, v129
	s_waitcnt vmcnt(8)
	v_lshrrev_b32_e32 v131, 4, v144
	s_waitcnt vmcnt(7)
	v_ashrrev_i32_e32 v135, v46, v145
	v_ashrrev_i32_e32 v136, v49, v145
	ds_store_2addr_b32 v12, v138, v139 offset1:8
	ds_store_2addr_b32 v13, v128, v129 offset1:8
	v_and_b32_e32 v128, 0xf0f0f0f, v144
	v_and_b32_e32 v129, 0xf0f0f0f, v131
	v_lshlrev_b32_e32 v131, 4, v135
	v_lshlrev_b32_e32 v135, 4, v136
	s_waitcnt vmcnt(5)
	v_ashrrev_i32_e32 v136, v46, v133
	v_lshrrev_b32_e32 v137, 4, v132
	v_ashrrev_i32_e32 v133, v49, v133
	v_and_or_b32 v128, 0x10101010, v131, v128
	v_and_b32_e32 v131, 0xf0f0f0f, v132
	v_lshlrev_b32_e32 v132, 4, v136
	v_and_b32_e32 v136, 0xf0f0f0f, v137
	v_lshlrev_b32_e32 v133, 4, v133
	s_waitcnt vmcnt(4)
	v_ashrrev_i32_e32 v137, v79, v168
	v_and_or_b32 v129, 0x10101010, v135, v129
	v_and_or_b32 v131, 0x10101010, v132, v131
	s_waitcnt vmcnt(3)
	v_ashrrev_i32_e32 v132, v79, v134
	v_and_or_b32 v133, 0x10101010, v133, v136
	v_and_b32_e32 v134, 0xf0f0f0f, v137
	ds_store_2addr_b32 v14, v128, v129 offset1:8
	s_waitcnt vmcnt(2)
	v_ashrrev_i32_e32 v130, v80, v130
	v_and_b32_e32 v128, 0xf0f0f0f, v132
	s_waitcnt vmcnt(1)
	v_ashrrev_i32_e32 v126, v80, v126
	ds_store_2addr_b32 v15, v131, v133 offset1:8
	s_waitcnt vmcnt(0)
	ds_store_b32 v78, v127
	v_and_or_b32 v129, 0x30303030, v130, v134
	v_and_or_b32 v127, 0x30303030, v126, v128
	v_add_nc_u32_e32 v126, s0, v18
	ds_store_b32 v123, v129
	ds_store_b32 v124, v127
.LBB174_6:                              ;   Parent Loop BB174_5 Depth=1
                                        ; =>  This Loop Header: Depth=2
                                        ;       Child Loop BB174_7 Depth 3
	v_lshl_add_u32 v127, s14, 5, v36
	v_lshl_add_u32 v145, s14, 2, v126
	s_lshl_b32 s14, s14, 4
	s_xor_b32 s1, s1, -1
	s_add_i32 s15, s14, 16
	v_lshrrev_b32_e32 v127, 3, v127
	s_delay_alu instid0(VALU_DEP_1) | instskip(NEXT) | instid1(VALU_DEP_1)
	v_add_nc_u32_e32 v139, s0, v127
	v_add_nc_u32_e32 v129, v139, v86
	;; [unrolled: 1-line block ×7, first 2 shown]
	v_mad_i64_i32 v[127:128], null, v129, 36, v[16:17]
	v_add_nc_u32_e32 v141, v139, v102
	v_mad_i64_i32 v[129:130], null, v131, 36, v[16:17]
	v_mad_i64_i32 v[131:132], null, v133, 36, v[16:17]
	v_add_nc_u32_e32 v143, v139, v105
	v_mad_i64_i32 v[133:134], null, v135, 36, v[16:17]
	v_mad_i64_i32 v[135:136], null, v137, 36, v[16:17]
	;; [unrolled: 1-line block ×5, first 2 shown]
	v_mad_u64_u32 v[143:144], null, v145, 36, s[2:3]
	s_clause 0x8
	global_load_b32 v127, v[127:128], off offset:4
	global_load_b32 v128, v[129:130], off offset:4
	;; [unrolled: 1-line block ×8, first 2 shown]
	global_load_b32 v135, v[143:144], off
	s_waitcnt vmcnt(8)
	ds_store_b32 v87, v127
	s_waitcnt vmcnt(7)
	ds_store_b32 v90, v128
	;; [unrolled: 2-line block ×9, first 2 shown]
	s_waitcnt lgkmcnt(0)
	s_barrier
	buffer_gl0_inv
	ds_load_b32 v128, v110
	ds_load_b32 v129, v111 offset:128
	ds_load_b32 v130, v112 offset:256
	;; [unrolled: 1-line block ×3, first 2 shown]
	s_waitcnt lgkmcnt(3)
	v_lshrrev_b32_e32 v132, 16, v128
	s_waitcnt lgkmcnt(2)
	v_lshrrev_b32_e32 v133, 16, v129
	;; [unrolled: 2-line block ×4, first 2 shown]
	v_cvt_f32_f16_e64 v127, v128
	v_cvt_f32_f16_e64 v128, v129
	;; [unrolled: 1-line block ×8, first 2 shown]
.LBB174_7:                              ;   Parent Loop BB174_5 Depth=1
                                        ;     Parent Loop BB174_6 Depth=2
                                        ; =>    This Inner Loop Header: Depth=3
	s_lshl_b32 s17, s14, 1
	s_lshl_b32 s16, s14, 3
	s_and_b32 s17, s17, 16
	v_add_nc_u32_e32 v143, s16, v114
	v_or_b32_e32 v142, s17, v69
	v_add_nc_u32_e32 v145, s16, v116
	v_add_nc_u32_e32 v146, s16, v118
	;; [unrolled: 1-line block ×3, first 2 shown]
	s_lshr_b32 s16, s14, 2
	v_lshlrev_b32_e32 v144, 2, v142
	s_and_b32 s16, s16, 0x3ffffffe
	v_lshrrev_b32_e32 v142, 1, v142
	s_add_i32 s16, s16, 0xa200
	ds_load_2addr_b32 v[183:184], v143 offset1:1
	ds_load_b128 v[135:138], v144 offset:33280
	ds_load_2addr_b32 v[185:186], v145 offset1:1
	ds_load_2addr_b32 v[193:194], v145 offset0:2 offset1:3
	ds_load_2addr_b32 v[187:188], v146 offset1:1
	ds_load_2addr_b32 v[189:190], v147 offset1:1
	ds_load_2addr_b32 v[197:198], v147 offset0:2 offset1:3
	ds_load_2addr_b32 v[191:192], v143 offset0:2 offset1:3
	;; [unrolled: 1-line block ×3, first 2 shown]
	s_add_i32 s14, s14, 8
	s_delay_alu instid0(SALU_CYCLE_1)
	s_cmp_lt_u32 s14, s15
	s_waitcnt lgkmcnt(7)
	v_dot4_i32_iu8 v139, v183, v135, 0 neg_lo:[1,1,0]
	s_waitcnt lgkmcnt(6)
	v_dot4_i32_iu8 v140, v185, v135, 0 neg_lo:[1,1,0]
	;; [unrolled: 2-line block ×4, first 2 shown]
	v_dot4_i32_iu8 v139, v184, v136, v139 neg_lo:[1,1,0]
	v_dot4_i32_iu8 v140, v186, v136, v140 neg_lo:[1,1,0]
	;; [unrolled: 1-line block ×3, first 2 shown]
	s_delay_alu instid0(VALU_DEP_4)
	v_dot4_i32_iu8 v135, v190, v136, v135 neg_lo:[1,1,0]
	s_waitcnt lgkmcnt(1)
	v_dot4_i32_iu8 v136, v191, v137, v139 neg_lo:[1,1,0]
	v_dot4_i32_iu8 v139, v193, v137, v140 neg_lo:[1,1,0]
	s_waitcnt lgkmcnt(0)
	v_dot4_i32_iu8 v140, v195, v137, v141 neg_lo:[1,1,0]
	v_or_b32_e32 v141, s17, v83
	v_dot4_i32_iu8 v135, v197, v137, v135 neg_lo:[1,1,0]
	v_dot4_i32_iu8 v230, v192, v138, v136 neg_lo:[1,1,0]
	;; [unrolled: 1-line block ×4, first 2 shown]
	v_lshlrev_b32_e32 v148, 2, v141
	v_dot4_i32_iu8 v236, v198, v138, v135 neg_lo:[1,1,0]
	v_lshrrev_b32_e32 v141, 1, v141
	ds_load_b128 v[135:138], v148 offset:33280
	s_waitcnt lgkmcnt(0)
	v_dot4_i32_iu8 v139, v135, v183, 0 neg_lo:[1,1,0]
	v_dot4_i32_iu8 v140, v135, v185, 0 neg_lo:[1,1,0]
	;; [unrolled: 1-line block ×4, first 2 shown]
	s_delay_alu instid0(VALU_DEP_4) | instskip(NEXT) | instid1(VALU_DEP_4)
	v_dot4_i32_iu8 v139, v136, v184, v139 neg_lo:[1,1,0]
	v_dot4_i32_iu8 v140, v136, v186, v140 neg_lo:[1,1,0]
	s_delay_alu instid0(VALU_DEP_4) | instskip(NEXT) | instid1(VALU_DEP_4)
	v_dot4_i32_iu8 v149, v136, v188, v149 neg_lo:[1,1,0]
	v_dot4_i32_iu8 v135, v136, v190, v135 neg_lo:[1,1,0]
	s_delay_alu instid0(VALU_DEP_4) | instskip(NEXT) | instid1(VALU_DEP_4)
	v_dot4_i32_iu8 v136, v137, v191, v139 neg_lo:[1,1,0]
	v_dot4_i32_iu8 v139, v137, v193, v140 neg_lo:[1,1,0]
	s_delay_alu instid0(VALU_DEP_4) | instskip(NEXT) | instid1(VALU_DEP_4)
	v_dot4_i32_iu8 v140, v137, v195, v149 neg_lo:[1,1,0]
	v_dot4_i32_iu8 v135, v137, v197, v135 neg_lo:[1,1,0]
	s_delay_alu instid0(VALU_DEP_4) | instskip(NEXT) | instid1(VALU_DEP_4)
	v_dot4_i32_iu8 v244, v138, v192, v136 neg_lo:[1,1,0]
	v_dot4_i32_iu8 v245, v138, v194, v139 neg_lo:[1,1,0]
	s_delay_alu instid0(VALU_DEP_4) | instskip(SKIP_2) | instid1(VALU_DEP_2)
	v_dot4_i32_iu8 v246, v138, v196, v140 neg_lo:[1,1,0]
	v_or_b32_e32 v140, s17, v85
	v_dot4_i32_iu8 v247, v138, v198, v135 neg_lo:[1,1,0]
	v_lshlrev_b32_e32 v149, 2, v140
	v_lshrrev_b32_e32 v140, 1, v140
	ds_load_b128 v[135:138], v149 offset:33280
	s_waitcnt lgkmcnt(0)
	v_dot4_i32_iu8 v139, v135, v183, 0 neg_lo:[1,1,0]
	v_dot4_i32_iu8 v150, v135, v185, 0 neg_lo:[1,1,0]
	;; [unrolled: 1-line block ×4, first 2 shown]
	s_delay_alu instid0(VALU_DEP_4) | instskip(NEXT) | instid1(VALU_DEP_4)
	v_dot4_i32_iu8 v139, v136, v184, v139 neg_lo:[1,1,0]
	v_dot4_i32_iu8 v150, v136, v186, v150 neg_lo:[1,1,0]
	s_delay_alu instid0(VALU_DEP_4) | instskip(NEXT) | instid1(VALU_DEP_4)
	v_dot4_i32_iu8 v151, v136, v188, v151 neg_lo:[1,1,0]
	v_dot4_i32_iu8 v135, v136, v190, v135 neg_lo:[1,1,0]
	;; [unrolled: 3-line block ×5, first 2 shown]
	v_or_b32_e32 v139, s17, v89
	v_dot4_i32_iu8 v160, v138, v196, v150 neg_lo:[1,1,0]
	v_dot4_i32_iu8 v161, v138, v198, v135 neg_lo:[1,1,0]
	s_delay_alu instid0(VALU_DEP_3)
	v_lshlrev_b32_e32 v150, 2, v139
	v_lshrrev_b32_e32 v139, 1, v139
	ds_load_b128 v[135:138], v150 offset:33280
	s_waitcnt lgkmcnt(0)
	v_dot4_i32_iu8 v151, v135, v183, 0 neg_lo:[1,1,0]
	v_dot4_i32_iu8 v152, v135, v185, 0 neg_lo:[1,1,0]
	;; [unrolled: 1-line block ×4, first 2 shown]
	s_delay_alu instid0(VALU_DEP_4) | instskip(NEXT) | instid1(VALU_DEP_4)
	v_dot4_i32_iu8 v151, v136, v184, v151 neg_lo:[1,1,0]
	v_dot4_i32_iu8 v152, v136, v186, v152 neg_lo:[1,1,0]
	s_delay_alu instid0(VALU_DEP_4) | instskip(NEXT) | instid1(VALU_DEP_4)
	v_dot4_i32_iu8 v153, v136, v188, v153 neg_lo:[1,1,0]
	v_dot4_i32_iu8 v135, v136, v190, v135 neg_lo:[1,1,0]
	;; [unrolled: 3-line block ×6, first 2 shown]
	v_or_b32_e32 v138, s17, v92
	s_delay_alu instid0(VALU_DEP_1)
	v_lshlrev_b32_e32 v151, 2, v138
	v_lshrrev_b32_e32 v138, 1, v138
	ds_load_b128 v[152:155], v151 offset:33280
	s_waitcnt lgkmcnt(0)
	v_dot4_i32_iu8 v137, v152, v187, 0 neg_lo:[1,1,0]
	v_dot4_i32_iu8 v135, v152, v183, 0 neg_lo:[1,1,0]
	v_dot4_i32_iu8 v136, v152, v185, 0 neg_lo:[1,1,0]
	v_dot4_i32_iu8 v152, v152, v189, 0 neg_lo:[1,1,0]
	s_delay_alu instid0(VALU_DEP_4) | instskip(NEXT) | instid1(VALU_DEP_4)
	v_dot4_i32_iu8 v137, v153, v188, v137 neg_lo:[1,1,0]
	v_dot4_i32_iu8 v135, v153, v184, v135 neg_lo:[1,1,0]
	s_delay_alu instid0(VALU_DEP_4) | instskip(NEXT) | instid1(VALU_DEP_4)
	v_dot4_i32_iu8 v136, v153, v186, v136 neg_lo:[1,1,0]
	v_dot4_i32_iu8 v152, v153, v190, v152 neg_lo:[1,1,0]
	s_delay_alu instid0(VALU_DEP_4) | instskip(NEXT) | instid1(VALU_DEP_4)
	v_dot4_i32_iu8 v137, v154, v195, v137 neg_lo:[1,1,0]
	v_dot4_i32_iu8 v135, v154, v191, v135 neg_lo:[1,1,0]
	s_delay_alu instid0(VALU_DEP_4) | instskip(NEXT) | instid1(VALU_DEP_4)
	v_dot4_i32_iu8 v136, v154, v193, v136 neg_lo:[1,1,0]
	v_dot4_i32_iu8 v152, v154, v197, v152 neg_lo:[1,1,0]
	s_delay_alu instid0(VALU_DEP_4) | instskip(SKIP_2) | instid1(VALU_DEP_4)
	v_dot4_i32_iu8 v168, v155, v196, v137 neg_lo:[1,1,0]
	v_or_b32_e32 v137, s17, v94
	v_dot4_i32_iu8 v166, v155, v192, v135 neg_lo:[1,1,0]
	v_dot4_i32_iu8 v169, v155, v198, v152 neg_lo:[1,1,0]
	v_dot4_i32_iu8 v167, v155, v194, v136 neg_lo:[1,1,0]
	s_delay_alu instid0(VALU_DEP_4)
	v_lshlrev_b32_e32 v152, 2, v137
	v_lshrrev_b32_e32 v137, 1, v137
	ds_load_b128 v[153:156], v152 offset:33280
	s_waitcnt lgkmcnt(0)
	v_dot4_i32_iu8 v136, v153, v185, 0 neg_lo:[1,1,0]
	v_dot4_i32_iu8 v135, v153, v183, 0 neg_lo:[1,1,0]
	v_dot4_i32_iu8 v157, v153, v187, 0 neg_lo:[1,1,0]
	v_dot4_i32_iu8 v153, v153, v189, 0 neg_lo:[1,1,0]
	s_delay_alu instid0(VALU_DEP_4) | instskip(NEXT) | instid1(VALU_DEP_4)
	v_dot4_i32_iu8 v136, v154, v186, v136 neg_lo:[1,1,0]
	v_dot4_i32_iu8 v135, v154, v184, v135 neg_lo:[1,1,0]
	s_delay_alu instid0(VALU_DEP_4) | instskip(NEXT) | instid1(VALU_DEP_4)
	v_dot4_i32_iu8 v157, v154, v188, v157 neg_lo:[1,1,0]
	v_dot4_i32_iu8 v153, v154, v190, v153 neg_lo:[1,1,0]
	s_delay_alu instid0(VALU_DEP_4) | instskip(NEXT) | instid1(VALU_DEP_4)
	v_dot4_i32_iu8 v136, v155, v193, v136 neg_lo:[1,1,0]
	v_dot4_i32_iu8 v135, v155, v191, v135 neg_lo:[1,1,0]
	s_delay_alu instid0(VALU_DEP_4) | instskip(NEXT) | instid1(VALU_DEP_4)
	v_dot4_i32_iu8 v154, v155, v195, v157 neg_lo:[1,1,0]
	v_dot4_i32_iu8 v153, v155, v197, v153 neg_lo:[1,1,0]
	s_delay_alu instid0(VALU_DEP_4) | instskip(SKIP_2) | instid1(VALU_DEP_4)
	v_dot4_i32_iu8 v171, v156, v194, v136 neg_lo:[1,1,0]
	v_or_b32_e32 v136, s17, v96
	v_dot4_i32_iu8 v170, v156, v192, v135 neg_lo:[1,1,0]
	v_dot4_i32_iu8 v173, v156, v198, v153 neg_lo:[1,1,0]
	v_dot4_i32_iu8 v172, v156, v196, v154 neg_lo:[1,1,0]
	s_delay_alu instid0(VALU_DEP_4)
	;; [unrolled: 27-line block ×3, first 2 shown]
	v_lshlrev_b32_e32 v154, 2, v135
	v_lshrrev_b32_e32 v135, 1, v135
	ds_load_b128 v[179:182], v154 offset:33280
	s_waitcnt lgkmcnt(0)
	v_dot4_i32_iu8 v155, v179, v183, 0 neg_lo:[1,1,0]
	v_dot4_i32_iu8 v156, v179, v185, 0 neg_lo:[1,1,0]
	v_dot4_i32_iu8 v157, v179, v187, 0 neg_lo:[1,1,0]
	v_dot4_i32_iu8 v178, v179, v189, 0 neg_lo:[1,1,0]
	s_delay_alu instid0(VALU_DEP_4) | instskip(NEXT) | instid1(VALU_DEP_4)
	v_dot4_i32_iu8 v155, v180, v184, v155 neg_lo:[1,1,0]
	v_dot4_i32_iu8 v156, v180, v186, v156 neg_lo:[1,1,0]
	s_delay_alu instid0(VALU_DEP_4) | instskip(NEXT) | instid1(VALU_DEP_4)
	v_dot4_i32_iu8 v157, v180, v188, v157 neg_lo:[1,1,0]
	v_dot4_i32_iu8 v183, v180, v190, v178 neg_lo:[1,1,0]
	s_delay_alu instid0(VALU_DEP_4) | instskip(NEXT) | instid1(VALU_DEP_1)
	v_dot4_i32_iu8 v155, v181, v191, v155 neg_lo:[1,1,0]
	v_dot4_i32_iu8 v178, v182, v192, v155 neg_lo:[1,1,0]
	;; [unrolled: 1-line block ×3, first 2 shown]
	s_delay_alu instid0(VALU_DEP_1) | instskip(SKIP_1) | instid1(VALU_DEP_1)
	v_dot4_i32_iu8 v179, v182, v194, v155 neg_lo:[1,1,0]
	v_dot4_i32_iu8 v155, v181, v195, v157 neg_lo:[1,1,0]
	;; [unrolled: 1-line block ×4, first 2 shown]
	s_delay_alu instid0(VALU_DEP_1)
	v_dot4_i32_iu8 v181, v182, v198, v155 neg_lo:[1,1,0]
	ds_load_2addr_b32 v[155:156], v143 offset0:8 offset1:9
	ds_load_b128 v[182:185], v144 offset:33312
	ds_load_2addr_b32 v[215:216], v145 offset0:8 offset1:9
	ds_load_2addr_b32 v[223:224], v145 offset0:10 offset1:11
	;; [unrolled: 1-line block ×7, first 2 shown]
	s_waitcnt lgkmcnt(7)
	v_dot4_i32_iu8 v157, v155, v182, 0 neg_lo:[1,1,0]
	s_waitcnt lgkmcnt(6)
	v_dot4_i32_iu8 v186, v215, v182, 0 neg_lo:[1,1,0]
	;; [unrolled: 2-line block ×4, first 2 shown]
	v_dot4_i32_iu8 v157, v156, v183, v157 neg_lo:[1,1,0]
	v_dot4_i32_iu8 v186, v216, v183, v186 neg_lo:[1,1,0]
	;; [unrolled: 1-line block ×3, first 2 shown]
	s_delay_alu instid0(VALU_DEP_4)
	v_dot4_i32_iu8 v182, v220, v183, v182 neg_lo:[1,1,0]
	s_waitcnt lgkmcnt(1)
	v_dot4_i32_iu8 v157, v221, v184, v157 neg_lo:[1,1,0]
	v_dot4_i32_iu8 v183, v223, v184, v186 neg_lo:[1,1,0]
	s_waitcnt lgkmcnt(0)
	v_dot4_i32_iu8 v186, v225, v184, v187 neg_lo:[1,1,0]
	v_dot4_i32_iu8 v182, v227, v184, v182 neg_lo:[1,1,0]
	;; [unrolled: 1-line block ×4, first 2 shown]
	s_delay_alu instid0(VALU_DEP_4) | instskip(NEXT) | instid1(VALU_DEP_4)
	v_dot4_i32_iu8 v187, v226, v185, v186 neg_lo:[1,1,0]
	v_dot4_i32_iu8 v182, v228, v185, v182 neg_lo:[1,1,0]
	ds_load_b128 v[183:186], v148 offset:33312
	s_waitcnt lgkmcnt(0)
	v_dot4_i32_iu8 v157, v183, v155, 0 neg_lo:[1,1,0]
	v_dot4_i32_iu8 v190, v183, v215, 0 neg_lo:[1,1,0]
	v_dot4_i32_iu8 v191, v183, v217, 0 neg_lo:[1,1,0]
	v_dot4_i32_iu8 v183, v183, v219, 0 neg_lo:[1,1,0]
	s_delay_alu instid0(VALU_DEP_4) | instskip(NEXT) | instid1(VALU_DEP_4)
	v_dot4_i32_iu8 v157, v184, v156, v157 neg_lo:[1,1,0]
	v_dot4_i32_iu8 v190, v184, v216, v190 neg_lo:[1,1,0]
	s_delay_alu instid0(VALU_DEP_4) | instskip(NEXT) | instid1(VALU_DEP_4)
	v_dot4_i32_iu8 v191, v184, v218, v191 neg_lo:[1,1,0]
	v_dot4_i32_iu8 v183, v184, v220, v183 neg_lo:[1,1,0]
	s_delay_alu instid0(VALU_DEP_4) | instskip(NEXT) | instid1(VALU_DEP_4)
	v_dot4_i32_iu8 v157, v185, v221, v157 neg_lo:[1,1,0]
	v_dot4_i32_iu8 v184, v185, v223, v190 neg_lo:[1,1,0]
	s_delay_alu instid0(VALU_DEP_4) | instskip(NEXT) | instid1(VALU_DEP_4)
	v_dot4_i32_iu8 v190, v185, v225, v191 neg_lo:[1,1,0]
	v_dot4_i32_iu8 v191, v185, v227, v183 neg_lo:[1,1,0]
	s_delay_alu instid0(VALU_DEP_4) | instskip(NEXT) | instid1(VALU_DEP_4)
	v_dot4_i32_iu8 v183, v186, v222, v157 neg_lo:[1,1,0]
	v_dot4_i32_iu8 v184, v186, v224, v184 neg_lo:[1,1,0]
	s_delay_alu instid0(VALU_DEP_4) | instskip(NEXT) | instid1(VALU_DEP_4)
	v_dot4_i32_iu8 v185, v186, v226, v190 neg_lo:[1,1,0]
	v_dot4_i32_iu8 v186, v186, v228, v191 neg_lo:[1,1,0]
	ds_load_b128 v[190:193], v149 offset:33312
	s_waitcnt lgkmcnt(0)
	v_dot4_i32_iu8 v157, v190, v155, 0 neg_lo:[1,1,0]
	v_dot4_i32_iu8 v194, v190, v215, 0 neg_lo:[1,1,0]
	v_dot4_i32_iu8 v195, v190, v217, 0 neg_lo:[1,1,0]
	v_dot4_i32_iu8 v190, v190, v219, 0 neg_lo:[1,1,0]
	s_delay_alu instid0(VALU_DEP_4) | instskip(NEXT) | instid1(VALU_DEP_4)
	v_dot4_i32_iu8 v157, v191, v156, v157 neg_lo:[1,1,0]
	v_dot4_i32_iu8 v194, v191, v216, v194 neg_lo:[1,1,0]
	s_delay_alu instid0(VALU_DEP_4) | instskip(NEXT) | instid1(VALU_DEP_4)
	v_dot4_i32_iu8 v195, v191, v218, v195 neg_lo:[1,1,0]
	v_dot4_i32_iu8 v190, v191, v220, v190 neg_lo:[1,1,0]
	s_delay_alu instid0(VALU_DEP_4) | instskip(NEXT) | instid1(VALU_DEP_4)
	v_dot4_i32_iu8 v157, v192, v221, v157 neg_lo:[1,1,0]
	v_dot4_i32_iu8 v191, v192, v223, v194 neg_lo:[1,1,0]
	s_delay_alu instid0(VALU_DEP_4) | instskip(NEXT) | instid1(VALU_DEP_4)
	v_dot4_i32_iu8 v194, v192, v225, v195 neg_lo:[1,1,0]
	v_dot4_i32_iu8 v195, v192, v227, v190 neg_lo:[1,1,0]
	s_delay_alu instid0(VALU_DEP_4) | instskip(NEXT) | instid1(VALU_DEP_4)
	v_dot4_i32_iu8 v190, v193, v222, v157 neg_lo:[1,1,0]
	v_dot4_i32_iu8 v191, v193, v224, v191 neg_lo:[1,1,0]
	;; [unrolled: 24-line block ×6, first 2 shown]
	s_delay_alu instid0(VALU_DEP_4) | instskip(NEXT) | instid1(VALU_DEP_4)
	v_dot4_i32_iu8 v208, v209, v226, v210 neg_lo:[1,1,0]
	v_dot4_i32_iu8 v209, v209, v228, v211 neg_lo:[1,1,0]
	ds_load_b128 v[211:214], v154 offset:33312
	s_waitcnt lgkmcnt(0)
	v_dot4_i32_iu8 v155, v211, v155, 0 neg_lo:[1,1,0]
	v_dot4_i32_iu8 v157, v211, v217, 0 neg_lo:[1,1,0]
	;; [unrolled: 1-line block ×3, first 2 shown]
	s_delay_alu instid0(VALU_DEP_3) | instskip(SKIP_1) | instid1(VALU_DEP_4)
	v_dot4_i32_iu8 v155, v212, v156, v155 neg_lo:[1,1,0]
	v_dot4_i32_iu8 v156, v211, v215, 0 neg_lo:[1,1,0]
	;; [unrolled: 1-line block ×3, first 2 shown]
	s_delay_alu instid0(VALU_DEP_4) | instskip(NEXT) | instid1(VALU_DEP_4)
	v_dot4_i32_iu8 v215, v212, v220, v210 neg_lo:[1,1,0]
	v_dot4_i32_iu8 v155, v213, v221, v155 neg_lo:[1,1,0]
	s_delay_alu instid0(VALU_DEP_4) | instskip(NEXT) | instid1(VALU_DEP_2)
	v_dot4_i32_iu8 v156, v212, v216, v156 neg_lo:[1,1,0]
	v_dot4_i32_iu8 v210, v214, v222, v155 neg_lo:[1,1,0]
	s_delay_alu instid0(VALU_DEP_2) | instskip(NEXT) | instid1(VALU_DEP_1)
	v_dot4_i32_iu8 v155, v213, v223, v156 neg_lo:[1,1,0]
	v_dot4_i32_iu8 v211, v214, v224, v155 neg_lo:[1,1,0]
	;; [unrolled: 1-line block ×3, first 2 shown]
	s_delay_alu instid0(VALU_DEP_1) | instskip(SKIP_1) | instid1(VALU_DEP_1)
	v_dot4_i32_iu8 v212, v214, v226, v155 neg_lo:[1,1,0]
	v_dot4_i32_iu8 v155, v213, v227, v215 neg_lo:[1,1,0]
	;; [unrolled: 1-line block ×3, first 2 shown]
	ds_load_2addr_b32 v[228:229], v143 offset0:4 offset1:5
	ds_load_b128 v[214:217], v144 offset:33296
	ds_load_2addr_b32 v[240:241], v146 offset0:6 offset1:7
	ds_load_2addr_b32 v[238:239], v145 offset0:6 offset1:7
	;; [unrolled: 1-line block ×3, first 2 shown]
	s_waitcnt lgkmcnt(3)
	v_dot4_i32_iu8 v155, v228, v214, v230 neg_lo:[1,1,0]
	ds_load_2addr_b32 v[230:231], v145 offset0:4 offset1:5
	v_dot4_i32_iu8 v155, v229, v215, v155 neg_lo:[1,1,0]
	s_waitcnt lgkmcnt(0)
	v_dot4_i32_iu8 v156, v230, v214, v232 neg_lo:[1,1,0]
	ds_load_2addr_b32 v[232:233], v146 offset0:4 offset1:5
	v_dot4_i32_iu8 v156, v231, v215, v156 neg_lo:[1,1,0]
	s_delay_alu instid0(VALU_DEP_1)
	v_dot4_i32_iu8 v156, v238, v216, v156 neg_lo:[1,1,0]
	s_waitcnt lgkmcnt(0)
	v_dot4_i32_iu8 v157, v232, v214, v234 neg_lo:[1,1,0]
	ds_load_2addr_b32 v[234:235], v147 offset0:4 offset1:5
	v_dot4_i32_iu8 v157, v233, v215, v157 neg_lo:[1,1,0]
	s_waitcnt lgkmcnt(0)
	v_dot4_i32_iu8 v214, v234, v214, v236 neg_lo:[1,1,0]
	ds_load_2addr_b32 v[236:237], v143 offset0:6 offset1:7
	v_dot4_i32_iu8 v214, v235, v215, v214 neg_lo:[1,1,0]
	v_dot4_i32_iu8 v215, v240, v216, v157 neg_lo:[1,1,0]
	v_dot4_i32_iu8 v157, v239, v217, v156 neg_lo:[1,1,0]
	s_delay_alu instid0(VALU_DEP_2) | instskip(SKIP_3) | instid1(VALU_DEP_2)
	v_dot4_i32_iu8 v156, v241, v217, v215 neg_lo:[1,1,0]
	s_waitcnt lgkmcnt(0)
	v_dot4_i32_iu8 v155, v236, v216, v155 neg_lo:[1,1,0]
	v_dot4_i32_iu8 v216, v242, v216, v214 neg_lo:[1,1,0]
	;; [unrolled: 1-line block ×3, first 2 shown]
	s_delay_alu instid0(VALU_DEP_2)
	v_dot4_i32_iu8 v155, v243, v217, v216 neg_lo:[1,1,0]
	ds_load_b128 v[215:218], v148 offset:33296
	s_waitcnt lgkmcnt(0)
	v_dot4_i32_iu8 v219, v215, v228, v244 neg_lo:[1,1,0]
	v_dot4_i32_iu8 v220, v215, v230, v245 neg_lo:[1,1,0]
	v_dot4_i32_iu8 v221, v215, v232, v246 neg_lo:[1,1,0]
	v_dot4_i32_iu8 v215, v215, v234, v247 neg_lo:[1,1,0]
	s_delay_alu instid0(VALU_DEP_4) | instskip(NEXT) | instid1(VALU_DEP_4)
	v_dot4_i32_iu8 v219, v216, v229, v219 neg_lo:[1,1,0]
	v_dot4_i32_iu8 v220, v216, v231, v220 neg_lo:[1,1,0]
	s_delay_alu instid0(VALU_DEP_4) | instskip(NEXT) | instid1(VALU_DEP_4)
	v_dot4_i32_iu8 v221, v216, v233, v221 neg_lo:[1,1,0]
	v_dot4_i32_iu8 v215, v216, v235, v215 neg_lo:[1,1,0]
	s_delay_alu instid0(VALU_DEP_4) | instskip(NEXT) | instid1(VALU_DEP_4)
	v_dot4_i32_iu8 v216, v217, v236, v219 neg_lo:[1,1,0]
	v_dot4_i32_iu8 v219, v217, v238, v220 neg_lo:[1,1,0]
	s_delay_alu instid0(VALU_DEP_4) | instskip(NEXT) | instid1(VALU_DEP_4)
	v_dot4_i32_iu8 v220, v217, v240, v221 neg_lo:[1,1,0]
	v_dot4_i32_iu8 v215, v217, v242, v215 neg_lo:[1,1,0]
	s_delay_alu instid0(VALU_DEP_4) | instskip(NEXT) | instid1(VALU_DEP_4)
	v_dot4_i32_iu8 v244, v218, v237, v216 neg_lo:[1,1,0]
	v_dot4_i32_iu8 v245, v218, v239, v219 neg_lo:[1,1,0]
	s_delay_alu instid0(VALU_DEP_4) | instskip(NEXT) | instid1(VALU_DEP_4)
	v_dot4_i32_iu8 v227, v218, v241, v220 neg_lo:[1,1,0]
	v_dot4_i32_iu8 v225, v218, v243, v215 neg_lo:[1,1,0]
	ds_load_b128 v[215:218], v149 offset:33296
	s_waitcnt lgkmcnt(0)
	v_dot4_i32_iu8 v158, v215, v228, v158 neg_lo:[1,1,0]
	v_dot4_i32_iu8 v159, v215, v230, v159 neg_lo:[1,1,0]
	v_dot4_i32_iu8 v160, v215, v232, v160 neg_lo:[1,1,0]
	v_dot4_i32_iu8 v161, v215, v234, v161 neg_lo:[1,1,0]
	s_delay_alu instid0(VALU_DEP_4) | instskip(NEXT) | instid1(VALU_DEP_4)
	v_dot4_i32_iu8 v158, v216, v229, v158 neg_lo:[1,1,0]
	v_dot4_i32_iu8 v159, v216, v231, v159 neg_lo:[1,1,0]
	s_delay_alu instid0(VALU_DEP_4) | instskip(NEXT) | instid1(VALU_DEP_4)
	v_dot4_i32_iu8 v160, v216, v233, v160 neg_lo:[1,1,0]
	v_dot4_i32_iu8 v161, v216, v235, v161 neg_lo:[1,1,0]
	s_delay_alu instid0(VALU_DEP_4) | instskip(NEXT) | instid1(VALU_DEP_4)
	v_dot4_i32_iu8 v158, v217, v236, v158 neg_lo:[1,1,0]
	v_dot4_i32_iu8 v159, v217, v238, v159 neg_lo:[1,1,0]
	s_delay_alu instid0(VALU_DEP_4) | instskip(NEXT) | instid1(VALU_DEP_4)
	v_dot4_i32_iu8 v160, v217, v240, v160 neg_lo:[1,1,0]
	v_dot4_i32_iu8 v161, v217, v242, v161 neg_lo:[1,1,0]
	s_delay_alu instid0(VALU_DEP_4) | instskip(NEXT) | instid1(VALU_DEP_4)
	v_dot4_i32_iu8 v226, v218, v237, v158 neg_lo:[1,1,0]
	v_dot4_i32_iu8 v224, v218, v239, v159 neg_lo:[1,1,0]
	s_delay_alu instid0(VALU_DEP_4) | instskip(NEXT) | instid1(VALU_DEP_4)
	v_dot4_i32_iu8 v223, v218, v241, v160 neg_lo:[1,1,0]
	;; [unrolled: 24-line block ×5, first 2 shown]
	v_dot4_i32_iu8 v165, v161, v243, v158 neg_lo:[1,1,0]
	ds_load_b128 v[158:161], v153 offset:33296
	s_waitcnt lgkmcnt(0)
	v_dot4_i32_iu8 v162, v158, v228, v174 neg_lo:[1,1,0]
	ds_load_b128 v[171:174], v154 offset:33296
	v_dot4_i32_iu8 v163, v158, v230, v175 neg_lo:[1,1,0]
	v_dot4_i32_iu8 v164, v158, v232, v176 neg_lo:[1,1,0]
	;; [unrolled: 1-line block ×4, first 2 shown]
	s_delay_alu instid0(VALU_DEP_4) | instskip(NEXT) | instid1(VALU_DEP_4)
	v_dot4_i32_iu8 v163, v159, v231, v163 neg_lo:[1,1,0]
	v_dot4_i32_iu8 v164, v159, v233, v164 neg_lo:[1,1,0]
	s_delay_alu instid0(VALU_DEP_4) | instskip(NEXT) | instid1(VALU_DEP_4)
	v_dot4_i32_iu8 v158, v159, v235, v158 neg_lo:[1,1,0]
	v_dot4_i32_iu8 v159, v160, v236, v162 neg_lo:[1,1,0]
	s_delay_alu instid0(VALU_DEP_4) | instskip(NEXT) | instid1(VALU_DEP_4)
	v_dot4_i32_iu8 v162, v160, v238, v163 neg_lo:[1,1,0]
	v_dot4_i32_iu8 v163, v160, v240, v164 neg_lo:[1,1,0]
	s_delay_alu instid0(VALU_DEP_4) | instskip(NEXT) | instid1(VALU_DEP_4)
	v_dot4_i32_iu8 v158, v160, v242, v158 neg_lo:[1,1,0]
	v_dot4_i32_iu8 v166, v161, v237, v159 neg_lo:[1,1,0]
	s_delay_alu instid0(VALU_DEP_4) | instskip(NEXT) | instid1(VALU_DEP_4)
	v_dot4_i32_iu8 v164, v161, v239, v162 neg_lo:[1,1,0]
	v_dot4_i32_iu8 v163, v161, v241, v163 neg_lo:[1,1,0]
	s_delay_alu instid0(VALU_DEP_4)
	v_dot4_i32_iu8 v162, v161, v243, v158 neg_lo:[1,1,0]
	s_waitcnt lgkmcnt(0)
	v_dot4_i32_iu8 v158, v171, v228, v178 neg_lo:[1,1,0]
	v_dot4_i32_iu8 v159, v171, v230, v179 neg_lo:[1,1,0]
	;; [unrolled: 1-line block ×4, first 2 shown]
	s_delay_alu instid0(VALU_DEP_4) | instskip(NEXT) | instid1(VALU_DEP_4)
	v_dot4_i32_iu8 v158, v172, v229, v158 neg_lo:[1,1,0]
	v_dot4_i32_iu8 v159, v172, v231, v159 neg_lo:[1,1,0]
	s_delay_alu instid0(VALU_DEP_4) | instskip(NEXT) | instid1(VALU_DEP_4)
	v_dot4_i32_iu8 v160, v172, v233, v160 neg_lo:[1,1,0]
	v_dot4_i32_iu8 v161, v172, v235, v161 neg_lo:[1,1,0]
	;; [unrolled: 3-line block ×6, first 2 shown]
	ds_load_2addr_b32 v[175:176], v143 offset0:12 offset1:13
	ds_load_b128 v[171:174], v144 offset:33328
	ds_load_2addr_b32 v[177:178], v145 offset0:12 offset1:13
	ds_load_2addr_b32 v[179:180], v146 offset0:12 offset1:13
	;; [unrolled: 1-line block ×3, first 2 shown]
	s_waitcnt lgkmcnt(3)
	v_dot4_i32_iu8 v144, v175, v171, v189 neg_lo:[1,1,0]
	s_waitcnt lgkmcnt(2)
	v_dot4_i32_iu8 v181, v177, v171, v188 neg_lo:[1,1,0]
	;; [unrolled: 2-line block ×3, first 2 shown]
	ds_load_2addr_b32 v[187:188], v147 offset0:12 offset1:13
	v_dot4_i32_iu8 v144, v176, v172, v144 neg_lo:[1,1,0]
	v_dot4_i32_iu8 v228, v178, v172, v181 neg_lo:[1,1,0]
	;; [unrolled: 1-line block ×3, first 2 shown]
	s_waitcnt lgkmcnt(0)
	v_dot4_i32_iu8 v171, v187, v171, v182 neg_lo:[1,1,0]
	ds_load_2addr_b32 v[181:182], v145 offset0:14 offset1:15
	v_dot4_i32_iu8 v232, v188, v172, v171 neg_lo:[1,1,0]
	ds_load_2addr_b32 v[171:172], v143 offset0:14 offset1:15
	s_waitcnt lgkmcnt(0)
	v_dot4_i32_iu8 v143, v171, v173, v144 neg_lo:[1,1,0]
	v_dot4_i32_iu8 v144, v181, v173, v228 neg_lo:[1,1,0]
	ds_load_2addr_b32 v[228:229], v146 offset0:14 offset1:15
	v_dot4_i32_iu8 v146, v230, v173, v232 neg_lo:[1,1,0]
	v_dot4_i32_iu8 v147, v172, v174, v143 neg_lo:[1,1,0]
	s_waitcnt lgkmcnt(0)
	v_dot4_i32_iu8 v145, v228, v173, v189 neg_lo:[1,1,0]
	v_dot4_i32_iu8 v173, v182, v174, v144 neg_lo:[1,1,0]
	s_delay_alu instid0(VALU_DEP_2)
	v_dot4_i32_iu8 v189, v229, v174, v145 neg_lo:[1,1,0]
	v_dot4_i32_iu8 v174, v231, v174, v146 neg_lo:[1,1,0]
	ds_load_b128 v[143:146], v148 offset:33328
	s_waitcnt lgkmcnt(0)
	v_dot4_i32_iu8 v148, v143, v175, v183 neg_lo:[1,1,0]
	v_dot4_i32_iu8 v183, v143, v177, v184 neg_lo:[1,1,0]
	v_dot4_i32_iu8 v184, v143, v179, v185 neg_lo:[1,1,0]
	v_dot4_i32_iu8 v143, v143, v187, v186 neg_lo:[1,1,0]
	s_delay_alu instid0(VALU_DEP_4) | instskip(NEXT) | instid1(VALU_DEP_4)
	v_dot4_i32_iu8 v148, v144, v176, v148 neg_lo:[1,1,0]
	v_dot4_i32_iu8 v183, v144, v178, v183 neg_lo:[1,1,0]
	s_delay_alu instid0(VALU_DEP_4) | instskip(NEXT) | instid1(VALU_DEP_4)
	v_dot4_i32_iu8 v184, v144, v180, v184 neg_lo:[1,1,0]
	v_dot4_i32_iu8 v143, v144, v188, v143 neg_lo:[1,1,0]
	s_delay_alu instid0(VALU_DEP_4) | instskip(NEXT) | instid1(VALU_DEP_4)
	v_dot4_i32_iu8 v144, v145, v171, v148 neg_lo:[1,1,0]
	v_dot4_i32_iu8 v148, v145, v181, v183 neg_lo:[1,1,0]
	s_delay_alu instid0(VALU_DEP_4) | instskip(NEXT) | instid1(VALU_DEP_4)
	v_dot4_i32_iu8 v183, v145, v228, v184 neg_lo:[1,1,0]
	v_dot4_i32_iu8 v143, v145, v230, v143 neg_lo:[1,1,0]
	s_delay_alu instid0(VALU_DEP_4) | instskip(NEXT) | instid1(VALU_DEP_4)
	v_dot4_i32_iu8 v184, v146, v172, v144 neg_lo:[1,1,0]
	v_dot4_i32_iu8 v148, v146, v182, v148 neg_lo:[1,1,0]
	s_delay_alu instid0(VALU_DEP_4) | instskip(NEXT) | instid1(VALU_DEP_4)
	v_dot4_i32_iu8 v183, v146, v229, v183 neg_lo:[1,1,0]
	v_dot4_i32_iu8 v185, v146, v231, v143 neg_lo:[1,1,0]
	ds_load_b128 v[143:146], v149 offset:33328
	s_waitcnt lgkmcnt(0)
	v_dot4_i32_iu8 v149, v143, v175, v190 neg_lo:[1,1,0]
	v_dot4_i32_iu8 v186, v143, v177, v191 neg_lo:[1,1,0]
	v_dot4_i32_iu8 v190, v143, v179, v192 neg_lo:[1,1,0]
	v_dot4_i32_iu8 v143, v143, v187, v193 neg_lo:[1,1,0]
	s_delay_alu instid0(VALU_DEP_4) | instskip(NEXT) | instid1(VALU_DEP_4)
	v_dot4_i32_iu8 v149, v144, v176, v149 neg_lo:[1,1,0]
	v_dot4_i32_iu8 v186, v144, v178, v186 neg_lo:[1,1,0]
	s_delay_alu instid0(VALU_DEP_4) | instskip(NEXT) | instid1(VALU_DEP_4)
	v_dot4_i32_iu8 v190, v144, v180, v190 neg_lo:[1,1,0]
	v_dot4_i32_iu8 v143, v144, v188, v143 neg_lo:[1,1,0]
	s_delay_alu instid0(VALU_DEP_4) | instskip(NEXT) | instid1(VALU_DEP_4)
	v_dot4_i32_iu8 v144, v145, v171, v149 neg_lo:[1,1,0]
	v_dot4_i32_iu8 v149, v145, v181, v186 neg_lo:[1,1,0]
	s_delay_alu instid0(VALU_DEP_4) | instskip(NEXT) | instid1(VALU_DEP_4)
	v_dot4_i32_iu8 v186, v145, v228, v190 neg_lo:[1,1,0]
	v_dot4_i32_iu8 v143, v145, v230, v143 neg_lo:[1,1,0]
	s_delay_alu instid0(VALU_DEP_4) | instskip(NEXT) | instid1(VALU_DEP_4)
	v_dot4_i32_iu8 v190, v146, v172, v144 neg_lo:[1,1,0]
	v_dot4_i32_iu8 v149, v146, v182, v149 neg_lo:[1,1,0]
	s_delay_alu instid0(VALU_DEP_4) | instskip(NEXT) | instid1(VALU_DEP_4)
	;; [unrolled: 24-line block ×6, first 2 shown]
	v_dot4_i32_iu8 v201, v146, v229, v201 neg_lo:[1,1,0]
	v_dot4_i32_iu8 v203, v146, v231, v143 neg_lo:[1,1,0]
	ds_load_b128 v[143:146], v154 offset:33328
	s_waitcnt lgkmcnt(0)
	v_dot4_i32_iu8 v154, v143, v175, v210 neg_lo:[1,1,0]
	v_dot4_i32_iu8 v175, v143, v177, v211 neg_lo:[1,1,0]
	s_delay_alu instid0(VALU_DEP_2) | instskip(SKIP_2) | instid1(VALU_DEP_4)
	v_dot4_i32_iu8 v154, v144, v176, v154 neg_lo:[1,1,0]
	v_dot4_i32_iu8 v176, v143, v179, v212 neg_lo:[1,1,0]
	;; [unrolled: 1-line block ×4, first 2 shown]
	s_delay_alu instid0(VALU_DEP_3) | instskip(NEXT) | instid1(VALU_DEP_3)
	v_dot4_i32_iu8 v176, v144, v180, v176 neg_lo:[1,1,0]
	v_dot4_i32_iu8 v143, v144, v188, v143 neg_lo:[1,1,0]
	;; [unrolled: 1-line block ×3, first 2 shown]
	s_delay_alu instid0(VALU_DEP_4) | instskip(NEXT) | instid1(VALU_DEP_4)
	v_dot4_i32_iu8 v154, v145, v181, v175 neg_lo:[1,1,0]
	v_dot4_i32_iu8 v171, v145, v228, v176 neg_lo:[1,1,0]
	s_delay_alu instid0(VALU_DEP_4) | instskip(NEXT) | instid1(VALU_DEP_4)
	v_dot4_i32_iu8 v143, v145, v230, v143 neg_lo:[1,1,0]
	v_dot4_i32_iu8 v144, v146, v172, v144 neg_lo:[1,1,0]
	;; [unrolled: 3-line block ×3, first 2 shown]
	s_delay_alu instid0(VALU_DEP_4) | instskip(SKIP_1) | instid1(VALU_DEP_1)
	v_dot4_i32_iu8 v145, v146, v231, v143 neg_lo:[1,1,0]
	v_lshlrev_b32_e32 v143, 2, v43
	v_add3_u32 v146, s16, v125, v143
	ds_load_u16 v143, v146
	s_waitcnt lgkmcnt(0)
	v_and_b32_e32 v175, 0xff, v143
	v_lshrrev_b16 v172, 8, v143
	s_delay_alu instid0(VALU_DEP_2) | instskip(NEXT) | instid1(VALU_DEP_2)
	v_mul_lo_u32 v143, v214, v175
	v_and_b32_e32 v172, 0xffff, v172
	s_delay_alu instid0(VALU_DEP_1) | instskip(SKIP_1) | instid1(VALU_DEP_4)
	v_mul_lo_u32 v147, v147, v172
	v_mul_lo_u32 v184, v184, v172
	v_cvt_f32_i32_e32 v176, v143
	ds_load_b64 v[142:143], v142 offset:43584
	v_mul_lo_u32 v190, v190, v172
	v_mul_lo_u32 v193, v193, v172
	v_mul_lo_u32 v196, v196, v172
	v_mul_lo_u32 v144, v144, v172
	v_cvt_f32_i32_e32 v147, v147
	v_cvt_f32_i32_e32 v184, v184
	v_cvt_f32_i32_e32 v190, v190
	v_cvt_f32_i32_e32 v193, v193
	v_cvt_f32_i32_e32 v196, v196
	v_cvt_f32_i32_e32 v144, v144
	s_waitcnt lgkmcnt(0)
	v_fma_mix_f32 v176, v142, v176, 0 op_sel_hi:[1,0,0]
	s_delay_alu instid0(VALU_DEP_1) | instskip(SKIP_1) | instid1(VALU_DEP_1)
	v_fma_mix_f32 v147, v143, v147, v176 op_sel_hi:[1,0,0]
	v_lshlrev_b32_e32 v176, 2, v106
	v_add3_u32 v176, s16, v176, v115
	ds_load_u16 v177, v176
	s_waitcnt lgkmcnt(0)
	v_lshrrev_b16 v178, 8, v177
	v_and_b32_e32 v177, 0xff, v177
	s_delay_alu instid0(VALU_DEP_2) | instskip(NEXT) | instid1(VALU_DEP_2)
	v_and_b32_e32 v178, 0xffff, v178
	v_mul_lo_u32 v157, v157, v177
	v_mul_lo_u32 v216, v216, v177
	;; [unrolled: 1-line block ×3, first 2 shown]
	s_delay_alu instid0(VALU_DEP_4)
	v_mul_lo_u32 v173, v173, v178
	v_mul_lo_u32 v148, v148, v178
	;; [unrolled: 1-line block ×4, first 2 shown]
	v_cvt_f32_i32_e32 v157, v157
	v_mul_lo_u32 v151, v151, v178
	v_cvt_f32_i32_e32 v216, v216
	v_cvt_f32_i32_e32 v168, v168
	;; [unrolled: 1-line block ×3, first 2 shown]
	v_fma_mix_f32 v157, v142, v157, 0 op_sel_hi:[1,0,0]
	v_cvt_f32_i32_e32 v148, v148
	v_cvt_f32_i32_e32 v149, v149
	;; [unrolled: 1-line block ×4, first 2 shown]
	v_fma_mix_f32 v157, v143, v173, v157 op_sel_hi:[1,0,0]
	v_lshlrev_b32_e32 v173, 2, v107
	s_delay_alu instid0(VALU_DEP_1) | instskip(SKIP_4) | instid1(VALU_DEP_2)
	v_add3_u32 v173, s16, v173, v117
	ds_load_u16 v179, v173
	s_waitcnt lgkmcnt(0)
	v_lshrrev_b16 v180, 8, v179
	v_and_b32_e32 v179, 0xff, v179
	v_and_b32_e32 v180, 0xffff, v180
	s_delay_alu instid0(VALU_DEP_2) | instskip(SKIP_2) | instid1(VALU_DEP_4)
	v_mul_lo_u32 v156, v156, v179
	v_mul_lo_u32 v215, v215, v179
	;; [unrolled: 1-line block ×7, first 2 shown]
	v_cvt_f32_i32_e32 v156, v156
	v_mul_lo_u32 v195, v195, v180
	v_cvt_f32_i32_e32 v215, v215
	v_cvt_f32_i32_e32 v167, v167
	;; [unrolled: 1-line block ×3, first 2 shown]
	v_fma_mix_f32 v156, v142, v156, 0 op_sel_hi:[1,0,0]
	v_cvt_f32_i32_e32 v183, v183
	v_cvt_f32_i32_e32 v186, v186
	v_cvt_f32_i32_e32 v192, v192
	v_cvt_f32_i32_e32 v195, v195
	v_fma_mix_f32 v156, v143, v181, v156 op_sel_hi:[1,0,0]
	v_lshlrev_b32_e32 v181, 2, v108
	v_mul_lo_u32 v171, v171, v180
	s_delay_alu instid0(VALU_DEP_2) | instskip(SKIP_4) | instid1(VALU_DEP_2)
	v_add3_u32 v181, s16, v181, v119
	ds_load_u16 v182, v181
	s_waitcnt lgkmcnt(0)
	v_lshrrev_b16 v187, 8, v182
	v_and_b32_e32 v182, 0xff, v182
	v_and_b32_e32 v187, 0xffff, v187
	s_delay_alu instid0(VALU_DEP_2)
	v_mul_lo_u32 v155, v155, v182
	v_mul_lo_u32 v169, v169, v182
	;; [unrolled: 1-line block ×8, first 2 shown]
	v_cvt_f32_i32_e32 v155, v155
	v_mul_lo_u32 v197, v197, v187
	v_cvt_f32_i32_e32 v169, v169
	v_cvt_f32_i32_e32 v165, v165
	v_cvt_f32_i32_e32 v174, v174
	v_fma_mix_f32 v155, v142, v155, 0 op_sel_hi:[1,0,0]
	v_cvt_f32_i32_e32 v185, v185
	v_cvt_f32_i32_e32 v191, v191
	;; [unrolled: 1-line block ×4, first 2 shown]
	v_fma_mix_f32 v155, v143, v174, v155 op_sel_hi:[1,0,0]
	ds_load_u16 v174, v176 offset:8
	ds_load_u16 v173, v173 offset:8
	;; [unrolled: 1-line block ×4, first 2 shown]
	v_cvt_f32_i32_e32 v162, v162
	s_waitcnt lgkmcnt(3)
	v_cvt_f32_ubyte0_e32 v181, v174
	s_waitcnt lgkmcnt(2)
	v_cvt_f32_ubyte0_e32 v188, v173
	;; [unrolled: 2-line block ×4, first 2 shown]
	v_cvt_f32_ubyte1_e32 v174, v174
	v_cvt_f32_ubyte1_e32 v173, v173
	v_cvt_f32_ubyte1_e32 v176, v176
	v_cvt_f32_ubyte1_e32 v146, v146
	v_fma_mix_f32 v205, v142, v181, 0 op_sel:[1,0,0] op_sel_hi:[1,0,0]
	v_fma_mix_f32 v206, v142, v188, 0 op_sel:[1,0,0] op_sel_hi:[1,0,0]
	;; [unrolled: 1-line block ×4, first 2 shown]
	s_delay_alu instid0(VALU_DEP_4) | instskip(NEXT) | instid1(VALU_DEP_4)
	v_fma_mix_f32 v205, v143, v174, v205 op_sel:[1,0,0] op_sel_hi:[1,0,0]
	v_fma_mix_f32 v206, v143, v173, v206 op_sel:[1,0,0] op_sel_hi:[1,0,0]
	s_delay_alu instid0(VALU_DEP_4) | instskip(NEXT) | instid1(VALU_DEP_4)
	v_fma_mix_f32 v207, v143, v176, v207 op_sel:[1,0,0] op_sel_hi:[1,0,0]
	v_fma_mix_f32 v143, v143, v146, v142 op_sel:[1,0,0] op_sel_hi:[1,0,0]
	v_mul_lo_u32 v142, v244, v175
	s_delay_alu instid0(VALU_DEP_1)
	v_cvt_f32_i32_e32 v208, v142
	ds_load_b64 v[141:142], v141 offset:43584
	s_waitcnt lgkmcnt(0)
	v_fma_mix_f32 v208, v141, v208, 0 op_sel_hi:[1,0,0]
	v_fma_mix_f32 v209, v188, v141, 0 op_sel:[0,1,0] op_sel_hi:[0,1,0]
	v_fma_mix_f32 v210, v189, v141, 0 op_sel:[0,1,0] op_sel_hi:[0,1,0]
	s_delay_alu instid0(VALU_DEP_3) | instskip(SKIP_1) | instid1(VALU_DEP_4)
	v_fma_mix_f32 v184, v142, v184, v208 op_sel_hi:[1,0,0]
	v_mul_lo_u32 v208, v245, v177
	v_fma_mix_f32 v209, v173, v142, v209 op_sel:[0,1,0] op_sel_hi:[0,1,0]
	s_delay_alu instid0(VALU_DEP_4) | instskip(NEXT) | instid1(VALU_DEP_3)
	v_fma_mix_f32 v210, v176, v142, v210 op_sel:[0,1,0] op_sel_hi:[0,1,0]
	v_cvt_f32_i32_e32 v208, v208
	s_delay_alu instid0(VALU_DEP_1) | instskip(NEXT) | instid1(VALU_DEP_1)
	v_fma_mix_f32 v208, v141, v208, 0 op_sel_hi:[1,0,0]
	v_fma_mix_f32 v148, v142, v148, v208 op_sel_hi:[1,0,0]
	v_mul_lo_u32 v208, v227, v179
	s_delay_alu instid0(VALU_DEP_1) | instskip(NEXT) | instid1(VALU_DEP_1)
	v_cvt_f32_i32_e32 v208, v208
	v_fma_mix_f32 v208, v141, v208, 0 op_sel_hi:[1,0,0]
	s_delay_alu instid0(VALU_DEP_1) | instskip(SKIP_1) | instid1(VALU_DEP_1)
	v_fma_mix_f32 v183, v142, v183, v208 op_sel_hi:[1,0,0]
	v_mul_lo_u32 v208, v225, v182
	v_cvt_f32_i32_e32 v208, v208
	s_delay_alu instid0(VALU_DEP_1) | instskip(NEXT) | instid1(VALU_DEP_1)
	v_fma_mix_f32 v208, v141, v208, 0 op_sel_hi:[1,0,0]
	v_fma_mix_f32 v185, v142, v185, v208 op_sel_hi:[1,0,0]
	v_fma_mix_f32 v208, v181, v141, 0 op_sel:[0,1,0] op_sel_hi:[0,1,0]
	v_fma_mix_f32 v141, v204, v141, 0 op_sel:[0,1,0] op_sel_hi:[0,1,0]
	s_delay_alu instid0(VALU_DEP_2) | instskip(NEXT) | instid1(VALU_DEP_2)
	v_fma_mix_f32 v208, v174, v142, v208 op_sel:[0,1,0] op_sel_hi:[0,1,0]
	v_fma_mix_f32 v142, v146, v142, v141 op_sel:[0,1,0] op_sel_hi:[0,1,0]
	v_mul_lo_u32 v141, v226, v175
	s_delay_alu instid0(VALU_DEP_2) | instskip(NEXT) | instid1(VALU_DEP_2)
	v_mul_f32_e32 v142, v142, v131
	v_cvt_f32_i32_e32 v211, v141
	ds_load_b64 v[140:141], v140 offset:43584
	v_fma_f32 v142, v184, v127, -v142
	s_delay_alu instid0(VALU_DEP_1) | instskip(SKIP_4) | instid1(VALU_DEP_3)
	v_add_f32_e32 v67, v67, v142
	s_waitcnt lgkmcnt(0)
	v_fma_mix_f32 v211, v140, v211, 0 op_sel_hi:[1,0,0]
	v_fma_mix_f32 v212, v188, v140, 0 op_sel:[0,1,0] op_sel_hi:[0,1,0]
	v_fma_mix_f32 v213, v189, v140, 0 op_sel:[0,1,0] op_sel_hi:[0,1,0]
	v_fma_mix_f32 v190, v141, v190, v211 op_sel_hi:[1,0,0]
	v_mul_lo_u32 v211, v224, v177
	s_delay_alu instid0(VALU_DEP_4) | instskip(NEXT) | instid1(VALU_DEP_4)
	v_fma_mix_f32 v212, v173, v141, v212 op_sel:[0,1,0] op_sel_hi:[0,1,0]
	v_fma_mix_f32 v213, v176, v141, v213 op_sel:[0,1,0] op_sel_hi:[0,1,0]
	s_delay_alu instid0(VALU_DEP_3) | instskip(NEXT) | instid1(VALU_DEP_1)
	v_cvt_f32_i32_e32 v211, v211
	v_fma_mix_f32 v211, v140, v211, 0 op_sel_hi:[1,0,0]
	s_delay_alu instid0(VALU_DEP_1) | instskip(SKIP_1) | instid1(VALU_DEP_1)
	v_fma_mix_f32 v149, v141, v149, v211 op_sel_hi:[1,0,0]
	v_mul_lo_u32 v211, v223, v179
	v_cvt_f32_i32_e32 v211, v211
	s_delay_alu instid0(VALU_DEP_1) | instskip(NEXT) | instid1(VALU_DEP_1)
	v_fma_mix_f32 v211, v140, v211, 0 op_sel_hi:[1,0,0]
	v_fma_mix_f32 v186, v141, v186, v211 op_sel_hi:[1,0,0]
	v_mul_lo_u32 v211, v221, v182
	s_delay_alu instid0(VALU_DEP_1) | instskip(NEXT) | instid1(VALU_DEP_1)
	v_cvt_f32_i32_e32 v211, v211
	v_fma_mix_f32 v211, v140, v211, 0 op_sel_hi:[1,0,0]
	s_delay_alu instid0(VALU_DEP_1) | instskip(SKIP_2) | instid1(VALU_DEP_2)
	v_fma_mix_f32 v191, v141, v191, v211 op_sel_hi:[1,0,0]
	v_fma_mix_f32 v211, v181, v140, 0 op_sel:[0,1,0] op_sel_hi:[0,1,0]
	v_fma_mix_f32 v140, v204, v140, 0 op_sel:[0,1,0] op_sel_hi:[0,1,0]
	;; [unrolled: 1-line block ×3, first 2 shown]
	s_delay_alu instid0(VALU_DEP_2) | instskip(SKIP_1) | instid1(VALU_DEP_2)
	v_fma_mix_f32 v141, v146, v141, v140 op_sel:[0,1,0] op_sel_hi:[0,1,0]
	v_mul_lo_u32 v140, v222, v175
	v_mul_f32_e32 v141, v141, v131
	s_delay_alu instid0(VALU_DEP_2) | instskip(SKIP_4) | instid1(VALU_DEP_1)
	v_cvt_f32_i32_e32 v214, v140
	ds_load_b64 v[139:140], v139 offset:43584
	v_fma_f32 v141, v190, v127, -v141
	s_waitcnt lgkmcnt(0)
	v_fma_mix_f32 v214, v139, v214, 0 op_sel_hi:[1,0,0]
	v_fma_mix_f32 v193, v140, v193, v214 op_sel_hi:[1,0,0]
	v_mul_lo_u32 v214, v220, v177
	s_delay_alu instid0(VALU_DEP_1) | instskip(NEXT) | instid1(VALU_DEP_1)
	v_cvt_f32_i32_e32 v214, v214
	v_fma_mix_f32 v214, v139, v214, 0 op_sel_hi:[1,0,0]
	s_delay_alu instid0(VALU_DEP_1) | instskip(SKIP_2) | instid1(VALU_DEP_1)
	v_fma_mix_f32 v150, v140, v150, v214 op_sel_hi:[1,0,0]
	v_mul_lo_u32 v214, v219, v179
	v_fma_mix_f32 v219, v189, v139, 0 op_sel:[0,1,0] op_sel_hi:[0,1,0]
	v_fma_mix_f32 v219, v176, v140, v219 op_sel:[0,1,0] op_sel_hi:[0,1,0]
	s_delay_alu instid0(VALU_DEP_3) | instskip(NEXT) | instid1(VALU_DEP_1)
	v_cvt_f32_i32_e32 v214, v214
	v_fma_mix_f32 v214, v139, v214, 0 op_sel_hi:[1,0,0]
	s_delay_alu instid0(VALU_DEP_1) | instskip(SKIP_2) | instid1(VALU_DEP_1)
	v_fma_mix_f32 v192, v140, v192, v214 op_sel_hi:[1,0,0]
	v_mul_lo_u32 v214, v217, v182
	v_fma_mix_f32 v217, v188, v139, 0 op_sel:[0,1,0] op_sel_hi:[0,1,0]
	v_fma_mix_f32 v217, v173, v140, v217 op_sel:[0,1,0] op_sel_hi:[0,1,0]
	s_delay_alu instid0(VALU_DEP_3) | instskip(NEXT) | instid1(VALU_DEP_1)
	v_cvt_f32_i32_e32 v214, v214
	v_fma_mix_f32 v214, v139, v214, 0 op_sel_hi:[1,0,0]
	s_delay_alu instid0(VALU_DEP_1) | instskip(SKIP_2) | instid1(VALU_DEP_2)
	v_fma_mix_f32 v194, v140, v194, v214 op_sel_hi:[1,0,0]
	v_fma_mix_f32 v214, v181, v139, 0 op_sel:[0,1,0] op_sel_hi:[0,1,0]
	v_fma_mix_f32 v139, v204, v139, 0 op_sel:[0,1,0] op_sel_hi:[0,1,0]
	;; [unrolled: 1-line block ×3, first 2 shown]
	s_delay_alu instid0(VALU_DEP_2) | instskip(SKIP_1) | instid1(VALU_DEP_2)
	v_fma_mix_f32 v140, v146, v140, v139 op_sel:[0,1,0] op_sel_hi:[0,1,0]
	v_mul_lo_u32 v139, v218, v175
	v_mul_f32_e32 v140, v140, v131
	s_delay_alu instid0(VALU_DEP_2) | instskip(SKIP_2) | instid1(VALU_DEP_1)
	v_cvt_f32_i32_e32 v218, v139
	ds_load_b64 v[138:139], v138 offset:43584
	v_fma_f32 v140, v193, v127, -v140
	v_add_f32_e32 v41, v41, v140
	s_waitcnt lgkmcnt(0)
	v_fma_mix_f32 v216, v138, v216, 0 op_sel_hi:[1,0,0]
	v_fma_mix_f32 v215, v138, v215, 0 op_sel_hi:[1,0,0]
	;; [unrolled: 1-line block ×4, first 2 shown]
	s_delay_alu instid0(VALU_DEP_4) | instskip(NEXT) | instid1(VALU_DEP_4)
	v_fma_mix_f32 v151, v139, v151, v216 op_sel_hi:[1,0,0]
	v_fma_mix_f32 v195, v139, v195, v215 op_sel_hi:[1,0,0]
	s_delay_alu instid0(VALU_DEP_4)
	v_fma_mix_f32 v169, v139, v197, v169 op_sel_hi:[1,0,0]
	v_fma_mix_f32 v197, v181, v138, 0 op_sel:[0,1,0] op_sel_hi:[0,1,0]
	v_fma_mix_f32 v215, v188, v138, 0 op_sel:[0,1,0] op_sel_hi:[0,1,0]
	;; [unrolled: 1-line block ×4, first 2 shown]
	v_fma_mix_f32 v196, v139, v196, v218 op_sel_hi:[1,0,0]
	v_fma_mix_f32 v197, v174, v139, v197 op_sel:[0,1,0] op_sel_hi:[0,1,0]
	v_fma_mix_f32 v215, v173, v139, v215 op_sel:[0,1,0] op_sel_hi:[0,1,0]
	;; [unrolled: 1-line block ×4, first 2 shown]
	v_mul_lo_u32 v138, v170, v175
	v_mul_lo_u32 v170, v199, v172
	s_delay_alu instid0(VALU_DEP_3)
	v_mul_f32_e32 v139, v139, v131
	v_mul_lo_u32 v152, v152, v178
	v_mul_lo_u32 v153, v153, v178
	;; [unrolled: 1-line block ×3, first 2 shown]
	v_cvt_f32_i32_e32 v199, v138
	ds_load_b64 v[137:138], v137 offset:43584
	v_cvt_f32_i32_e32 v170, v170
	v_fma_f32 v139, v196, v127, -v139
	v_cvt_f32_i32_e32 v152, v152
	v_cvt_f32_i32_e32 v153, v153
	;; [unrolled: 1-line block ×3, first 2 shown]
	s_waitcnt lgkmcnt(0)
	v_fma_mix_f32 v168, v137, v168, 0 op_sel_hi:[1,0,0]
	v_fma_mix_f32 v167, v137, v167, 0 op_sel_hi:[1,0,0]
	v_fma_mix_f32 v165, v137, v165, 0 op_sel_hi:[1,0,0]
	v_fma_mix_f32 v199, v137, v199, 0 op_sel_hi:[1,0,0]
	s_delay_alu instid0(VALU_DEP_4) | instskip(SKIP_2) | instid1(VALU_DEP_4)
	v_fma_mix_f32 v152, v138, v152, v168 op_sel_hi:[1,0,0]
	v_mul_lo_u32 v168, v198, v180
	v_fma_mix_f32 v198, v188, v137, 0 op_sel:[0,1,0] op_sel_hi:[0,1,0]
	v_fma_mix_f32 v170, v138, v170, v199 op_sel_hi:[1,0,0]
	v_fma_mix_f32 v199, v189, v137, 0 op_sel:[0,1,0] op_sel_hi:[0,1,0]
	s_delay_alu instid0(VALU_DEP_3) | instskip(SKIP_1) | instid1(VALU_DEP_3)
	v_fma_mix_f32 v198, v173, v138, v198 op_sel:[0,1,0] op_sel_hi:[0,1,0]
	v_cvt_f32_i32_e32 v168, v168
	v_fma_mix_f32 v199, v176, v138, v199 op_sel:[0,1,0] op_sel_hi:[0,1,0]
	s_delay_alu instid0(VALU_DEP_2) | instskip(SKIP_1) | instid1(VALU_DEP_1)
	v_fma_mix_f32 v167, v138, v168, v167 op_sel_hi:[1,0,0]
	v_mul_lo_u32 v168, v200, v187
	v_cvt_f32_i32_e32 v168, v168
	s_delay_alu instid0(VALU_DEP_1) | instskip(SKIP_2) | instid1(VALU_DEP_2)
	v_fma_mix_f32 v165, v138, v168, v165 op_sel_hi:[1,0,0]
	v_fma_mix_f32 v168, v181, v137, 0 op_sel:[0,1,0] op_sel_hi:[0,1,0]
	v_fma_mix_f32 v137, v204, v137, 0 op_sel:[0,1,0] op_sel_hi:[0,1,0]
	v_fma_mix_f32 v168, v174, v138, v168 op_sel:[0,1,0] op_sel_hi:[0,1,0]
	s_delay_alu instid0(VALU_DEP_2) | instskip(NEXT) | instid1(VALU_DEP_2)
	v_fma_mix_f32 v138, v146, v138, v137 op_sel:[0,1,0] op_sel_hi:[0,1,0]
	v_mul_f32_e32 v168, v168, v132
	v_mul_lo_u32 v137, v166, v175
	s_delay_alu instid0(VALU_DEP_3)
	v_mul_f32_e32 v138, v138, v131
	v_mul_lo_u32 v164, v164, v177
	v_mul_lo_u32 v166, v202, v172
	v_fma_f32 v152, v152, v128, -v168
	v_mul_f32_e32 v168, v198, v133
	v_mul_lo_u32 v158, v158, v175
	v_mul_lo_u32 v159, v159, v177
	v_cvt_f32_i32_e32 v200, v137
	ds_load_b64 v[136:137], v136 offset:43584
	v_cvt_f32_i32_e32 v164, v164
	v_fma_f32 v167, v167, v129, -v168
	v_mul_f32_e32 v168, v199, v134
	v_mul_lo_u32 v163, v163, v179
	v_cvt_f32_i32_e32 v166, v166
	v_cvt_f32_i32_e32 v158, v158
	v_mul_lo_u32 v160, v160, v179
	v_mul_f32_e32 v172, v216, v134
	v_fma_f32 v138, v170, v127, -v138
	v_fma_f32 v165, v165, v130, -v168
	v_dual_add_f32 v34, v34, v139 :: v_dual_add_f32 v29, v29, v152
	v_cvt_f32_i32_e32 v163, v163
	v_fma_f32 v169, v169, v130, -v172
	s_delay_alu instid0(VALU_DEP_4) | instskip(NEXT) | instid1(VALU_DEP_2)
	v_add_f32_e32 v27, v27, v165
	v_add_f32_e32 v31, v31, v169
	s_waitcnt lgkmcnt(0)
	v_fma_mix_f32 v164, v136, v164, 0 op_sel_hi:[1,0,0]
	v_fma_mix_f32 v163, v136, v163, 0 op_sel_hi:[1,0,0]
	;; [unrolled: 1-line block ×4, first 2 shown]
	s_delay_alu instid0(VALU_DEP_4) | instskip(SKIP_1) | instid1(VALU_DEP_4)
	v_fma_mix_f32 v153, v137, v153, v164 op_sel_hi:[1,0,0]
	v_mul_lo_u32 v164, v201, v180
	v_fma_mix_f32 v166, v137, v166, v200 op_sel_hi:[1,0,0]
	v_fma_mix_f32 v200, v188, v136, 0 op_sel:[0,1,0] op_sel_hi:[0,1,0]
	v_fma_mix_f32 v201, v189, v136, 0 op_sel:[0,1,0] op_sel_hi:[0,1,0]
	s_delay_alu instid0(VALU_DEP_2) | instskip(SKIP_1) | instid1(VALU_DEP_3)
	v_fma_mix_f32 v200, v173, v137, v200 op_sel:[0,1,0] op_sel_hi:[0,1,0]
	v_cvt_f32_i32_e32 v164, v164
	v_fma_mix_f32 v201, v176, v137, v201 op_sel:[0,1,0] op_sel_hi:[0,1,0]
	s_delay_alu instid0(VALU_DEP_2) | instskip(SKIP_1) | instid1(VALU_DEP_1)
	v_fma_mix_f32 v163, v137, v164, v163 op_sel_hi:[1,0,0]
	v_mul_lo_u32 v164, v203, v187
	v_cvt_f32_i32_e32 v164, v164
	s_delay_alu instid0(VALU_DEP_1) | instskip(SKIP_2) | instid1(VALU_DEP_2)
	v_fma_mix_f32 v162, v137, v164, v162 op_sel_hi:[1,0,0]
	v_fma_mix_f32 v164, v181, v136, 0 op_sel:[0,1,0] op_sel_hi:[0,1,0]
	v_fma_mix_f32 v136, v204, v136, 0 op_sel:[0,1,0] op_sel_hi:[0,1,0]
	;; [unrolled: 1-line block ×3, first 2 shown]
	s_delay_alu instid0(VALU_DEP_2) | instskip(SKIP_3) | instid1(VALU_DEP_2)
	v_fma_mix_f32 v137, v146, v137, v136 op_sel:[0,1,0] op_sel_hi:[0,1,0]
	ds_load_b64 v[135:136], v135 offset:43584
	v_mul_f32_e32 v164, v164, v132
	v_mul_lo_u32 v145, v145, v187
	v_fma_f32 v153, v153, v128, -v164
	v_mul_f32_e32 v164, v200, v133
	v_add_f32_e32 v30, v30, v138
	s_delay_alu instid0(VALU_DEP_4) | instskip(NEXT) | instid1(VALU_DEP_4)
	v_cvt_f32_i32_e32 v145, v145
	v_add_f32_e32 v25, v25, v153
	s_delay_alu instid0(VALU_DEP_4) | instskip(SKIP_1) | instid1(VALU_DEP_2)
	v_fma_f32 v163, v163, v129, -v164
	v_mul_f32_e32 v164, v201, v134
	v_add_f32_e32 v24, v24, v163
	s_waitcnt lgkmcnt(0)
	v_fma_mix_f32 v158, v135, v158, 0 op_sel_hi:[1,0,0]
	v_fma_mix_f32 v181, v181, v135, 0 op_sel:[0,1,0] op_sel_hi:[0,1,0]
	v_fma_f32 v162, v162, v130, -v164
	v_add_f32_e32 v28, v28, v167
	s_delay_alu instid0(VALU_DEP_4) | instskip(SKIP_1) | instid1(VALU_DEP_4)
	v_fma_mix_f32 v144, v136, v144, v158 op_sel_hi:[1,0,0]
	v_cvt_f32_i32_e32 v158, v159
	v_add_f32_e32 v23, v23, v162
	v_cvt_f32_i32_e32 v159, v171
	v_mul_f32_e32 v171, v197, v132
	v_mul_lo_u32 v161, v161, v182
	v_fma_mix_f32 v158, v135, v158, 0 op_sel_hi:[1,0,0]
	v_fma_mix_f32 v174, v174, v136, v181 op_sel:[0,1,0] op_sel_hi:[0,1,0]
	v_fma_mix_f32 v181, v188, v135, 0 op_sel:[0,1,0] op_sel_hi:[0,1,0]
	v_mul_f32_e32 v137, v137, v131
	v_fma_f32 v151, v151, v128, -v171
	v_fma_mix_f32 v154, v136, v154, v158 op_sel_hi:[1,0,0]
	v_cvt_f32_i32_e32 v158, v160
	v_fma_mix_f32 v173, v173, v136, v181 op_sel:[0,1,0] op_sel_hi:[0,1,0]
	v_fma_mix_f32 v181, v189, v135, 0 op_sel:[0,1,0] op_sel_hi:[0,1,0]
	v_dual_mul_f32 v160, v214, v132 :: v_dual_mul_f32 v171, v215, v133
	s_delay_alu instid0(VALU_DEP_4) | instskip(SKIP_1) | instid1(VALU_DEP_4)
	v_fma_mix_f32 v158, v135, v158, 0 op_sel_hi:[1,0,0]
	v_add_f32_e32 v33, v33, v151
	v_fma_mix_f32 v176, v176, v136, v181 op_sel:[0,1,0] op_sel_hi:[0,1,0]
	v_fma_mix_f32 v181, v204, v135, 0 op_sel:[0,1,0] op_sel_hi:[0,1,0]
	v_fma_f32 v150, v150, v128, -v160
	v_fma_mix_f32 v158, v136, v159, v158 op_sel_hi:[1,0,0]
	v_cvt_f32_i32_e32 v159, v161
	v_mul_f32_e32 v160, v217, v133
	v_fma_mix_f32 v146, v146, v136, v181 op_sel:[0,1,0] op_sel_hi:[0,1,0]
	v_mul_f32_e32 v161, v219, v134
	v_fma_f32 v171, v195, v129, -v171
	v_fma_mix_f32 v135, v135, v159, 0 op_sel_hi:[1,0,0]
	s_delay_alu instid0(VALU_DEP_4) | instskip(SKIP_2) | instid1(VALU_DEP_4)
	v_dual_mul_f32 v159, v213, v134 :: v_dual_mul_f32 v146, v146, v131
	v_fma_f32 v160, v192, v129, -v160
	v_fma_f32 v161, v194, v130, -v161
	v_fma_mix_f32 v135, v136, v145, v135 op_sel_hi:[1,0,0]
	v_dual_mul_f32 v136, v143, v131 :: v_dual_mul_f32 v143, v205, v132
	v_fma_f32 v144, v144, v127, -v146
	v_mul_f32_e32 v146, v174, v132
	v_mul_f32_e32 v145, v206, v133
	s_delay_alu instid0(VALU_DEP_4)
	v_fma_f32 v136, v147, v127, -v136
	v_mul_f32_e32 v147, v207, v134
	v_fma_f32 v143, v157, v128, -v143
	v_mul_f32_e32 v157, v211, v132
	;; [unrolled: 2-line block ×3, first 2 shown]
	v_fma_f32 v147, v155, v130, -v147
	v_add_f32_e32 v75, v75, v143
	v_mul_f32_e32 v155, v208, v132
	v_fma_f32 v145, v156, v129, -v145
	v_mul_f32_e32 v156, v210, v134
	v_fma_f32 v149, v149, v128, -v157
	;; [unrolled: 2-line block ×4, first 2 shown]
	v_fma_f32 v156, v185, v130, -v156
	v_fma_f32 v157, v186, v129, -v157
	;; [unrolled: 1-line block ×4, first 2 shown]
	v_mul_f32_e32 v158, v176, v134
	v_fma_f32 v137, v166, v127, -v137
	v_add_f32_e32 v38, v38, v136
	s_delay_alu instid0(VALU_DEP_4) | instskip(NEXT) | instid1(VALU_DEP_4)
	v_dual_add_f32 v72, v72, v145 :: v_dual_add_f32 v65, v65, v155
	v_fma_f32 v135, v135, v130, -v158
	v_dual_add_f32 v70, v70, v147 :: v_dual_add_f32 v53, v53, v149
	v_dual_add_f32 v66, v66, v148 :: v_dual_add_f32 v45, v45, v157
	;; [unrolled: 1-line block ×4, first 2 shown]
	v_add_f32_e32 v44, v44, v159
	v_add_f32_e32 v40, v40, v150
	;; [unrolled: 1-line block ×3, first 2 shown]
	v_dual_add_f32 v26, v26, v137 :: v_dual_add_f32 v21, v21, v146
	v_dual_add_f32 v22, v22, v144 :: v_dual_add_f32 v19, v19, v135
	v_add_f32_e32 v20, v20, v154
	s_cbranch_scc1 .LBB174_7
; %bb.8:                                ;   in Loop: Header=BB174_6 Depth=2
	s_mov_b32 s14, 1
	s_and_b32 vcc_lo, exec_lo, s1
	s_mov_b32 s1, 0
	s_barrier
	buffer_gl0_inv
	s_cbranch_vccz .LBB174_6
; %bb.9:                                ;   in Loop: Header=BB174_5 Depth=1
	s_add_i32 s5, s5, 1
	s_delay_alu instid0(SALU_CYCLE_1)
	s_cmp_eq_u32 s5, s4
	s_cbranch_scc0 .LBB174_5
; %bb.10:
	v_dual_mov_b32 v1, v35 :: v_dual_mov_b32 v0, v36
.LBB174_11:
	s_mov_b32 s0, exec_lo
	v_cmpx_gt_u32_e64 s6, v51
	s_cbranch_execz .LBB174_62
; %bb.12:
	s_delay_alu instid0(VALU_DEP_2) | instskip(SKIP_1) | instid1(VALU_DEP_2)
	v_add_nc_u32_e32 v0, s12, v0
	v_mul_lo_u32 v5, v51, s10
	v_cmp_gt_u32_e32 vcc_lo, s10, v0
	s_and_saveexec_b32 s1, vcc_lo
	s_cbranch_execz .LBB174_14
; %bb.13:
	v_bfe_u32 v3, v38, 16, 1
	s_delay_alu instid0(VALU_DEP_3) | instskip(SKIP_1) | instid1(VALU_DEP_3)
	v_add_nc_u32_e32 v2, v0, v5
	v_cmp_o_f32_e64 s0, v38, v38
	v_add3_u32 v4, v38, v3, 0x7fff
	v_mov_b32_e32 v3, 0
	s_delay_alu instid0(VALU_DEP_2) | instskip(NEXT) | instid1(VALU_DEP_2)
	v_lshrrev_b32_e32 v4, 16, v4
	v_lshlrev_b64 v[2:3], 1, v[2:3]
	s_delay_alu instid0(VALU_DEP_2) | instskip(SKIP_1) | instid1(VALU_DEP_2)
	v_cndmask_b32_e64 v4, 0x7fc0, v4, s0
	s_waitcnt lgkmcnt(0)
	v_add_co_u32 v2, s0, s8, v2
	s_delay_alu instid0(VALU_DEP_1)
	v_add_co_ci_u32_e64 v3, s0, s9, v3, s0
	global_store_b16 v[2:3], v4, off
.LBB174_14:
	s_or_b32 exec_lo, exec_lo, s1
	v_add_nc_u32_e32 v2, 32, v0
	s_delay_alu instid0(VALU_DEP_1) | instskip(NEXT) | instid1(VALU_DEP_1)
	v_cmp_gt_u32_e64 s0, s10, v2
	s_and_saveexec_b32 s2, s0
	s_cbranch_execz .LBB174_16
; %bb.15:
	v_bfe_u32 v4, v75, 16, 1
	v_add_nc_u32_e32 v3, v2, v5
	v_cmp_o_f32_e64 s1, v75, v75
	s_delay_alu instid0(VALU_DEP_3) | instskip(SKIP_1) | instid1(VALU_DEP_2)
	v_add3_u32 v6, v75, v4, 0x7fff
	v_mov_b32_e32 v4, 0
	v_lshrrev_b32_e32 v6, 16, v6
	s_delay_alu instid0(VALU_DEP_2) | instskip(NEXT) | instid1(VALU_DEP_2)
	v_lshlrev_b64 v[3:4], 1, v[3:4]
	v_cndmask_b32_e64 v6, 0x7fc0, v6, s1
	s_waitcnt lgkmcnt(0)
	s_delay_alu instid0(VALU_DEP_2) | instskip(NEXT) | instid1(VALU_DEP_1)
	v_add_co_u32 v3, s1, s8, v3
	v_add_co_ci_u32_e64 v4, s1, s9, v4, s1
	global_store_b16 v[3:4], v6, off
.LBB174_16:
	s_or_b32 exec_lo, exec_lo, s2
	v_add_nc_u32_e32 v3, 64, v0
	s_delay_alu instid0(VALU_DEP_1) | instskip(NEXT) | instid1(VALU_DEP_1)
	v_cmp_gt_u32_e64 s1, s10, v3
	s_and_saveexec_b32 s3, s1
	s_cbranch_execz .LBB174_18
; %bb.17:
	v_bfe_u32 v4, v72, 16, 1
	v_dual_mov_b32 v7, 0 :: v_dual_add_nc_u32 v6, v3, v5
	v_cmp_o_f32_e64 s2, v72, v72
	s_delay_alu instid0(VALU_DEP_3) | instskip(NEXT) | instid1(VALU_DEP_3)
	v_add3_u32 v4, v72, v4, 0x7fff
	v_lshlrev_b64 v[6:7], 1, v[6:7]
	s_delay_alu instid0(VALU_DEP_2) | instskip(NEXT) | instid1(VALU_DEP_1)
	v_lshrrev_b32_e32 v4, 16, v4
	v_cndmask_b32_e64 v4, 0x7fc0, v4, s2
	s_waitcnt lgkmcnt(0)
	s_delay_alu instid0(VALU_DEP_3) | instskip(NEXT) | instid1(VALU_DEP_1)
	v_add_co_u32 v6, s2, s8, v6
	v_add_co_ci_u32_e64 v7, s2, s9, v7, s2
	global_store_b16 v[6:7], v4, off
.LBB174_18:
	s_or_b32 exec_lo, exec_lo, s3
	v_add_nc_u32_e32 v4, 0x60, v0
	s_delay_alu instid0(VALU_DEP_1) | instskip(NEXT) | instid1(VALU_DEP_1)
	v_cmp_gt_u32_e64 s2, s10, v4
	s_and_saveexec_b32 s4, s2
	s_cbranch_execz .LBB174_20
; %bb.19:
	v_bfe_u32 v6, v70, 16, 1
	v_add_nc_u32_e32 v5, v4, v5
	v_cmp_o_f32_e64 s3, v70, v70
	s_delay_alu instid0(VALU_DEP_3) | instskip(SKIP_1) | instid1(VALU_DEP_2)
	v_add3_u32 v7, v70, v6, 0x7fff
	v_mov_b32_e32 v6, 0
	v_lshrrev_b32_e32 v7, 16, v7
	s_delay_alu instid0(VALU_DEP_2) | instskip(NEXT) | instid1(VALU_DEP_2)
	v_lshlrev_b64 v[5:6], 1, v[5:6]
	v_cndmask_b32_e64 v7, 0x7fc0, v7, s3
	s_waitcnt lgkmcnt(0)
	s_delay_alu instid0(VALU_DEP_2) | instskip(NEXT) | instid1(VALU_DEP_1)
	v_add_co_u32 v5, s3, s8, v5
	v_add_co_ci_u32_e64 v6, s3, s9, v6, s3
	global_store_b16 v[5:6], v7, off
.LBB174_20:
	s_or_b32 exec_lo, exec_lo, s4
	v_add3_u32 v5, v1, s11, 8
	s_delay_alu instid0(VALU_DEP_1) | instskip(NEXT) | instid1(VALU_DEP_1)
	v_cmp_gt_u32_e64 s3, s6, v5
	s_and_b32 exec_lo, exec_lo, s3
	s_cbranch_execz .LBB174_62
; %bb.21:
	v_mul_lo_u32 v5, v5, s10
	s_and_saveexec_b32 s4, vcc_lo
	s_cbranch_execnz .LBB174_63
; %bb.22:
	s_or_b32 exec_lo, exec_lo, s4
	s_and_saveexec_b32 s4, s0
	s_cbranch_execnz .LBB174_64
.LBB174_23:
	s_or_b32 exec_lo, exec_lo, s4
	s_and_saveexec_b32 s4, s1
	s_cbranch_execnz .LBB174_65
.LBB174_24:
	s_or_b32 exec_lo, exec_lo, s4
	s_and_saveexec_b32 s4, s2
	s_cbranch_execz .LBB174_26
.LBB174_25:
	v_bfe_u32 v6, v64, 16, 1
	v_add_nc_u32_e32 v5, v5, v4
	v_cmp_o_f32_e64 s3, v64, v64
	s_delay_alu instid0(VALU_DEP_3) | instskip(SKIP_1) | instid1(VALU_DEP_2)
	v_add3_u32 v7, v64, v6, 0x7fff
	v_mov_b32_e32 v6, 0
	v_lshrrev_b32_e32 v7, 16, v7
	s_delay_alu instid0(VALU_DEP_2) | instskip(NEXT) | instid1(VALU_DEP_2)
	v_lshlrev_b64 v[5:6], 1, v[5:6]
	v_cndmask_b32_e64 v7, 0x7fc0, v7, s3
	s_waitcnt lgkmcnt(0)
	s_delay_alu instid0(VALU_DEP_2) | instskip(NEXT) | instid1(VALU_DEP_1)
	v_add_co_u32 v5, s3, s8, v5
	v_add_co_ci_u32_e64 v6, s3, s9, v6, s3
	global_store_b16 v[5:6], v7, off
.LBB174_26:
	s_or_b32 exec_lo, exec_lo, s4
	v_add3_u32 v5, v1, s11, 16
	s_delay_alu instid0(VALU_DEP_1) | instskip(NEXT) | instid1(VALU_DEP_1)
	v_cmp_gt_u32_e64 s3, s6, v5
	s_and_b32 exec_lo, exec_lo, s3
	s_cbranch_execz .LBB174_62
; %bb.27:
	v_mul_lo_u32 v5, v5, s10
	s_and_saveexec_b32 s4, vcc_lo
	s_cbranch_execnz .LBB174_66
; %bb.28:
	s_or_b32 exec_lo, exec_lo, s4
	s_and_saveexec_b32 s4, s0
	s_cbranch_execnz .LBB174_67
.LBB174_29:
	s_or_b32 exec_lo, exec_lo, s4
	s_and_saveexec_b32 s4, s1
	s_cbranch_execnz .LBB174_68
.LBB174_30:
	s_or_b32 exec_lo, exec_lo, s4
	s_and_saveexec_b32 s4, s2
	s_cbranch_execz .LBB174_32
.LBB174_31:
	v_bfe_u32 v6, v44, 16, 1
	v_add_nc_u32_e32 v5, v5, v4
	v_cmp_o_f32_e64 s3, v44, v44
	s_delay_alu instid0(VALU_DEP_3) | instskip(SKIP_1) | instid1(VALU_DEP_2)
	v_add3_u32 v7, v44, v6, 0x7fff
	v_mov_b32_e32 v6, 0
	v_lshrrev_b32_e32 v7, 16, v7
	s_delay_alu instid0(VALU_DEP_2) | instskip(NEXT) | instid1(VALU_DEP_2)
	v_lshlrev_b64 v[5:6], 1, v[5:6]
	v_cndmask_b32_e64 v7, 0x7fc0, v7, s3
	s_waitcnt lgkmcnt(0)
	s_delay_alu instid0(VALU_DEP_2) | instskip(NEXT) | instid1(VALU_DEP_1)
	v_add_co_u32 v5, s3, s8, v5
	v_add_co_ci_u32_e64 v6, s3, s9, v6, s3
	global_store_b16 v[5:6], v7, off
.LBB174_32:
	s_or_b32 exec_lo, exec_lo, s4
	v_add3_u32 v5, v1, s11, 24
	s_delay_alu instid0(VALU_DEP_1) | instskip(NEXT) | instid1(VALU_DEP_1)
	v_cmp_gt_u32_e64 s3, s6, v5
	s_and_b32 exec_lo, exec_lo, s3
	s_cbranch_execz .LBB174_62
; %bb.33:
	v_mul_lo_u32 v5, v5, s10
	s_and_saveexec_b32 s4, vcc_lo
	s_cbranch_execnz .LBB174_69
; %bb.34:
	s_or_b32 exec_lo, exec_lo, s4
	s_and_saveexec_b32 s4, s0
	s_cbranch_execnz .LBB174_70
.LBB174_35:
	s_or_b32 exec_lo, exec_lo, s4
	s_and_saveexec_b32 s4, s1
	s_cbranch_execnz .LBB174_71
.LBB174_36:
	s_or_b32 exec_lo, exec_lo, s4
	s_and_saveexec_b32 s4, s2
	s_cbranch_execz .LBB174_38
.LBB174_37:
	v_bfe_u32 v6, v37, 16, 1
	v_add_nc_u32_e32 v5, v5, v4
	v_cmp_o_f32_e64 s3, v37, v37
	s_delay_alu instid0(VALU_DEP_3) | instskip(SKIP_1) | instid1(VALU_DEP_2)
	v_add3_u32 v7, v37, v6, 0x7fff
	v_mov_b32_e32 v6, 0
	v_lshrrev_b32_e32 v7, 16, v7
	s_delay_alu instid0(VALU_DEP_2) | instskip(NEXT) | instid1(VALU_DEP_2)
	v_lshlrev_b64 v[5:6], 1, v[5:6]
	v_cndmask_b32_e64 v7, 0x7fc0, v7, s3
	s_waitcnt lgkmcnt(0)
	s_delay_alu instid0(VALU_DEP_2) | instskip(NEXT) | instid1(VALU_DEP_1)
	v_add_co_u32 v5, s3, s8, v5
	v_add_co_ci_u32_e64 v6, s3, s9, v6, s3
	global_store_b16 v[5:6], v7, off
.LBB174_38:
	s_or_b32 exec_lo, exec_lo, s4
	v_add3_u32 v5, v1, s11, 32
	s_delay_alu instid0(VALU_DEP_1) | instskip(NEXT) | instid1(VALU_DEP_1)
	v_cmp_gt_u32_e64 s3, s6, v5
	s_and_b32 exec_lo, exec_lo, s3
	s_cbranch_execz .LBB174_62
; %bb.39:
	v_mul_lo_u32 v5, v5, s10
	s_and_saveexec_b32 s4, vcc_lo
	s_cbranch_execnz .LBB174_72
; %bb.40:
	s_or_b32 exec_lo, exec_lo, s4
	s_and_saveexec_b32 s4, s0
	s_cbranch_execnz .LBB174_73
.LBB174_41:
	s_or_b32 exec_lo, exec_lo, s4
	s_and_saveexec_b32 s4, s1
	s_cbranch_execnz .LBB174_74
.LBB174_42:
	s_or_b32 exec_lo, exec_lo, s4
	s_and_saveexec_b32 s4, s2
	s_cbranch_execz .LBB174_44
.LBB174_43:
	v_bfe_u32 v6, v31, 16, 1
	v_add_nc_u32_e32 v5, v5, v4
	v_cmp_o_f32_e64 s3, v31, v31
	s_delay_alu instid0(VALU_DEP_3) | instskip(SKIP_1) | instid1(VALU_DEP_2)
	v_add3_u32 v7, v31, v6, 0x7fff
	v_mov_b32_e32 v6, 0
	v_lshrrev_b32_e32 v7, 16, v7
	s_delay_alu instid0(VALU_DEP_2) | instskip(NEXT) | instid1(VALU_DEP_2)
	v_lshlrev_b64 v[5:6], 1, v[5:6]
	v_cndmask_b32_e64 v7, 0x7fc0, v7, s3
	s_waitcnt lgkmcnt(0)
	s_delay_alu instid0(VALU_DEP_2) | instskip(NEXT) | instid1(VALU_DEP_1)
	v_add_co_u32 v5, s3, s8, v5
	v_add_co_ci_u32_e64 v6, s3, s9, v6, s3
	global_store_b16 v[5:6], v7, off
.LBB174_44:
	s_or_b32 exec_lo, exec_lo, s4
	v_add3_u32 v5, v1, s11, 40
	s_delay_alu instid0(VALU_DEP_1) | instskip(NEXT) | instid1(VALU_DEP_1)
	v_cmp_gt_u32_e64 s3, s6, v5
	s_and_b32 exec_lo, exec_lo, s3
	s_cbranch_execz .LBB174_62
; %bb.45:
	v_mul_lo_u32 v5, v5, s10
	s_and_saveexec_b32 s4, vcc_lo
	s_cbranch_execnz .LBB174_75
; %bb.46:
	s_or_b32 exec_lo, exec_lo, s4
	s_and_saveexec_b32 s4, s0
	s_cbranch_execnz .LBB174_76
.LBB174_47:
	s_or_b32 exec_lo, exec_lo, s4
	s_and_saveexec_b32 s4, s1
	s_cbranch_execnz .LBB174_77
.LBB174_48:
	s_or_b32 exec_lo, exec_lo, s4
	s_and_saveexec_b32 s4, s2
	s_cbranch_execz .LBB174_50
.LBB174_49:
	v_bfe_u32 v6, v27, 16, 1
	v_add_nc_u32_e32 v5, v5, v4
	v_cmp_o_f32_e64 s3, v27, v27
	s_delay_alu instid0(VALU_DEP_3) | instskip(SKIP_1) | instid1(VALU_DEP_2)
	v_add3_u32 v7, v27, v6, 0x7fff
	v_mov_b32_e32 v6, 0
	v_lshrrev_b32_e32 v7, 16, v7
	s_delay_alu instid0(VALU_DEP_2) | instskip(NEXT) | instid1(VALU_DEP_2)
	v_lshlrev_b64 v[5:6], 1, v[5:6]
	v_cndmask_b32_e64 v7, 0x7fc0, v7, s3
	s_waitcnt lgkmcnt(0)
	s_delay_alu instid0(VALU_DEP_2) | instskip(NEXT) | instid1(VALU_DEP_1)
	v_add_co_u32 v5, s3, s8, v5
	v_add_co_ci_u32_e64 v6, s3, s9, v6, s3
	global_store_b16 v[5:6], v7, off
.LBB174_50:
	s_or_b32 exec_lo, exec_lo, s4
	v_add3_u32 v5, v1, s11, 48
	s_delay_alu instid0(VALU_DEP_1) | instskip(NEXT) | instid1(VALU_DEP_1)
	v_cmp_gt_u32_e64 s3, s6, v5
	s_and_b32 exec_lo, exec_lo, s3
	s_cbranch_execz .LBB174_62
; %bb.51:
	v_mul_lo_u32 v5, v5, s10
	s_and_saveexec_b32 s4, vcc_lo
	s_cbranch_execnz .LBB174_78
; %bb.52:
	s_or_b32 exec_lo, exec_lo, s4
	s_and_saveexec_b32 s4, s0
	s_cbranch_execnz .LBB174_79
.LBB174_53:
	s_or_b32 exec_lo, exec_lo, s4
	s_and_saveexec_b32 s4, s1
	s_cbranch_execnz .LBB174_80
.LBB174_54:
	s_or_b32 exec_lo, exec_lo, s4
	s_and_saveexec_b32 s4, s2
	s_cbranch_execz .LBB174_56
.LBB174_55:
	v_bfe_u32 v6, v23, 16, 1
	v_add_nc_u32_e32 v5, v5, v4
	v_cmp_o_f32_e64 s3, v23, v23
	s_delay_alu instid0(VALU_DEP_3) | instskip(SKIP_1) | instid1(VALU_DEP_2)
	v_add3_u32 v7, v23, v6, 0x7fff
	v_mov_b32_e32 v6, 0
	v_lshrrev_b32_e32 v7, 16, v7
	s_delay_alu instid0(VALU_DEP_2) | instskip(NEXT) | instid1(VALU_DEP_2)
	v_lshlrev_b64 v[5:6], 1, v[5:6]
	v_cndmask_b32_e64 v7, 0x7fc0, v7, s3
	s_waitcnt lgkmcnt(0)
	s_delay_alu instid0(VALU_DEP_2) | instskip(NEXT) | instid1(VALU_DEP_1)
	v_add_co_u32 v5, s3, s8, v5
	v_add_co_ci_u32_e64 v6, s3, s9, v6, s3
	global_store_b16 v[5:6], v7, off
.LBB174_56:
	s_or_b32 exec_lo, exec_lo, s4
	v_add3_u32 v1, v1, s11, 56
	s_delay_alu instid0(VALU_DEP_1) | instskip(NEXT) | instid1(VALU_DEP_1)
	v_cmp_gt_u32_e64 s3, s6, v1
	s_and_b32 exec_lo, exec_lo, s3
	s_cbranch_execz .LBB174_62
; %bb.57:
	v_mul_lo_u32 v1, v1, s10
	s_and_saveexec_b32 s3, vcc_lo
	s_cbranch_execnz .LBB174_81
; %bb.58:
	s_or_b32 exec_lo, exec_lo, s3
	s_and_saveexec_b32 s3, s0
	s_cbranch_execnz .LBB174_82
.LBB174_59:
	s_or_b32 exec_lo, exec_lo, s3
	s_and_saveexec_b32 s0, s1
	s_cbranch_execnz .LBB174_83
.LBB174_60:
	s_or_b32 exec_lo, exec_lo, s0
	s_delay_alu instid0(SALU_CYCLE_1)
	s_and_b32 exec_lo, exec_lo, s2
	s_cbranch_execz .LBB174_62
.LBB174_61:
	v_bfe_u32 v2, v19, 16, 1
	v_dual_mov_b32 v1, 0 :: v_dual_add_nc_u32 v0, v1, v4
	v_cmp_o_f32_e32 vcc_lo, v19, v19
	s_delay_alu instid0(VALU_DEP_3) | instskip(NEXT) | instid1(VALU_DEP_3)
	v_add3_u32 v2, v19, v2, 0x7fff
	v_lshlrev_b64 v[0:1], 1, v[0:1]
	s_delay_alu instid0(VALU_DEP_2) | instskip(NEXT) | instid1(VALU_DEP_1)
	v_lshrrev_b32_e32 v2, 16, v2
	v_cndmask_b32_e32 v2, 0x7fc0, v2, vcc_lo
	s_waitcnt lgkmcnt(0)
	s_delay_alu instid0(VALU_DEP_3) | instskip(NEXT) | instid1(VALU_DEP_4)
	v_add_co_u32 v0, vcc_lo, s8, v0
	v_add_co_ci_u32_e32 v1, vcc_lo, s9, v1, vcc_lo
	global_store_b16 v[0:1], v2, off
.LBB174_62:
	s_nop 0
	s_sendmsg sendmsg(MSG_DEALLOC_VGPRS)
	s_endpgm
.LBB174_63:
	v_bfe_u32 v7, v67, 16, 1
	s_delay_alu instid0(VALU_DEP_2) | instskip(SKIP_1) | instid1(VALU_DEP_3)
	v_add_nc_u32_e32 v6, v5, v0
	v_cmp_o_f32_e64 s3, v67, v67
	v_add3_u32 v8, v67, v7, 0x7fff
	v_mov_b32_e32 v7, 0
	s_delay_alu instid0(VALU_DEP_2) | instskip(NEXT) | instid1(VALU_DEP_2)
	v_lshrrev_b32_e32 v8, 16, v8
	v_lshlrev_b64 v[6:7], 1, v[6:7]
	s_delay_alu instid0(VALU_DEP_2) | instskip(SKIP_1) | instid1(VALU_DEP_2)
	v_cndmask_b32_e64 v8, 0x7fc0, v8, s3
	s_waitcnt lgkmcnt(0)
	v_add_co_u32 v6, s3, s8, v6
	s_delay_alu instid0(VALU_DEP_1)
	v_add_co_ci_u32_e64 v7, s3, s9, v7, s3
	global_store_b16 v[6:7], v8, off
	s_or_b32 exec_lo, exec_lo, s4
	s_and_saveexec_b32 s4, s0
	s_cbranch_execz .LBB174_23
.LBB174_64:
	v_bfe_u32 v7, v66, 16, 1
	s_delay_alu instid0(VALU_DEP_2) | instskip(SKIP_1) | instid1(VALU_DEP_3)
	v_add_nc_u32_e32 v6, v5, v2
	v_cmp_o_f32_e64 s3, v66, v66
	v_add3_u32 v8, v66, v7, 0x7fff
	v_mov_b32_e32 v7, 0
	s_delay_alu instid0(VALU_DEP_2) | instskip(NEXT) | instid1(VALU_DEP_2)
	v_lshrrev_b32_e32 v8, 16, v8
	v_lshlrev_b64 v[6:7], 1, v[6:7]
	s_delay_alu instid0(VALU_DEP_2) | instskip(SKIP_1) | instid1(VALU_DEP_2)
	v_cndmask_b32_e64 v8, 0x7fc0, v8, s3
	s_waitcnt lgkmcnt(0)
	v_add_co_u32 v6, s3, s8, v6
	s_delay_alu instid0(VALU_DEP_1)
	v_add_co_ci_u32_e64 v7, s3, s9, v7, s3
	global_store_b16 v[6:7], v8, off
	s_or_b32 exec_lo, exec_lo, s4
	s_and_saveexec_b32 s4, s1
	s_cbranch_execz .LBB174_24
.LBB174_65:
	v_bfe_u32 v7, v65, 16, 1
	v_add_nc_u32_e32 v6, v5, v3
	v_cmp_o_f32_e64 s3, v65, v65
	s_delay_alu instid0(VALU_DEP_3) | instskip(SKIP_1) | instid1(VALU_DEP_2)
	v_add3_u32 v8, v65, v7, 0x7fff
	v_mov_b32_e32 v7, 0
	v_lshrrev_b32_e32 v8, 16, v8
	s_delay_alu instid0(VALU_DEP_2) | instskip(NEXT) | instid1(VALU_DEP_2)
	v_lshlrev_b64 v[6:7], 1, v[6:7]
	v_cndmask_b32_e64 v8, 0x7fc0, v8, s3
	s_waitcnt lgkmcnt(0)
	s_delay_alu instid0(VALU_DEP_2) | instskip(NEXT) | instid1(VALU_DEP_1)
	v_add_co_u32 v6, s3, s8, v6
	v_add_co_ci_u32_e64 v7, s3, s9, v7, s3
	global_store_b16 v[6:7], v8, off
	s_or_b32 exec_lo, exec_lo, s4
	s_and_saveexec_b32 s4, s2
	s_cbranch_execnz .LBB174_25
	s_branch .LBB174_26
.LBB174_66:
	v_bfe_u32 v7, v58, 16, 1
	s_delay_alu instid0(VALU_DEP_2) | instskip(SKIP_1) | instid1(VALU_DEP_3)
	v_add_nc_u32_e32 v6, v5, v0
	v_cmp_o_f32_e64 s3, v58, v58
	v_add3_u32 v8, v58, v7, 0x7fff
	v_mov_b32_e32 v7, 0
	s_delay_alu instid0(VALU_DEP_2) | instskip(NEXT) | instid1(VALU_DEP_2)
	v_lshrrev_b32_e32 v8, 16, v8
	v_lshlrev_b64 v[6:7], 1, v[6:7]
	s_delay_alu instid0(VALU_DEP_2) | instskip(SKIP_1) | instid1(VALU_DEP_2)
	v_cndmask_b32_e64 v8, 0x7fc0, v8, s3
	s_waitcnt lgkmcnt(0)
	v_add_co_u32 v6, s3, s8, v6
	s_delay_alu instid0(VALU_DEP_1)
	v_add_co_ci_u32_e64 v7, s3, s9, v7, s3
	global_store_b16 v[6:7], v8, off
	s_or_b32 exec_lo, exec_lo, s4
	s_and_saveexec_b32 s4, s0
	s_cbranch_execz .LBB174_29
.LBB174_67:
	v_bfe_u32 v7, v53, 16, 1
	s_delay_alu instid0(VALU_DEP_2) | instskip(SKIP_1) | instid1(VALU_DEP_3)
	v_add_nc_u32_e32 v6, v5, v2
	v_cmp_o_f32_e64 s3, v53, v53
	v_add3_u32 v8, v53, v7, 0x7fff
	v_mov_b32_e32 v7, 0
	s_delay_alu instid0(VALU_DEP_2) | instskip(NEXT) | instid1(VALU_DEP_2)
	v_lshrrev_b32_e32 v8, 16, v8
	v_lshlrev_b64 v[6:7], 1, v[6:7]
	s_delay_alu instid0(VALU_DEP_2) | instskip(SKIP_1) | instid1(VALU_DEP_2)
	v_cndmask_b32_e64 v8, 0x7fc0, v8, s3
	s_waitcnt lgkmcnt(0)
	v_add_co_u32 v6, s3, s8, v6
	s_delay_alu instid0(VALU_DEP_1)
	v_add_co_ci_u32_e64 v7, s3, s9, v7, s3
	global_store_b16 v[6:7], v8, off
	s_or_b32 exec_lo, exec_lo, s4
	s_and_saveexec_b32 s4, s1
	s_cbranch_execz .LBB174_30
.LBB174_68:
	v_bfe_u32 v7, v45, 16, 1
	v_add_nc_u32_e32 v6, v5, v3
	v_cmp_o_f32_e64 s3, v45, v45
	s_delay_alu instid0(VALU_DEP_3) | instskip(SKIP_1) | instid1(VALU_DEP_2)
	v_add3_u32 v8, v45, v7, 0x7fff
	v_mov_b32_e32 v7, 0
	v_lshrrev_b32_e32 v8, 16, v8
	s_delay_alu instid0(VALU_DEP_2) | instskip(NEXT) | instid1(VALU_DEP_2)
	v_lshlrev_b64 v[6:7], 1, v[6:7]
	v_cndmask_b32_e64 v8, 0x7fc0, v8, s3
	s_waitcnt lgkmcnt(0)
	s_delay_alu instid0(VALU_DEP_2) | instskip(NEXT) | instid1(VALU_DEP_1)
	v_add_co_u32 v6, s3, s8, v6
	v_add_co_ci_u32_e64 v7, s3, s9, v7, s3
	global_store_b16 v[6:7], v8, off
	s_or_b32 exec_lo, exec_lo, s4
	s_and_saveexec_b32 s4, s2
	s_cbranch_execnz .LBB174_31
	s_branch .LBB174_32
.LBB174_69:
	v_bfe_u32 v7, v41, 16, 1
	s_delay_alu instid0(VALU_DEP_2) | instskip(SKIP_1) | instid1(VALU_DEP_3)
	v_add_nc_u32_e32 v6, v5, v0
	v_cmp_o_f32_e64 s3, v41, v41
	v_add3_u32 v8, v41, v7, 0x7fff
	v_mov_b32_e32 v7, 0
	s_delay_alu instid0(VALU_DEP_2) | instskip(NEXT) | instid1(VALU_DEP_2)
	v_lshrrev_b32_e32 v8, 16, v8
	v_lshlrev_b64 v[6:7], 1, v[6:7]
	s_delay_alu instid0(VALU_DEP_2) | instskip(SKIP_1) | instid1(VALU_DEP_2)
	v_cndmask_b32_e64 v8, 0x7fc0, v8, s3
	s_waitcnt lgkmcnt(0)
	v_add_co_u32 v6, s3, s8, v6
	s_delay_alu instid0(VALU_DEP_1)
	v_add_co_ci_u32_e64 v7, s3, s9, v7, s3
	global_store_b16 v[6:7], v8, off
	s_or_b32 exec_lo, exec_lo, s4
	s_and_saveexec_b32 s4, s0
	s_cbranch_execz .LBB174_35
.LBB174_70:
	v_bfe_u32 v7, v40, 16, 1
	s_delay_alu instid0(VALU_DEP_2) | instskip(SKIP_1) | instid1(VALU_DEP_3)
	v_add_nc_u32_e32 v6, v5, v2
	v_cmp_o_f32_e64 s3, v40, v40
	v_add3_u32 v8, v40, v7, 0x7fff
	v_mov_b32_e32 v7, 0
	s_delay_alu instid0(VALU_DEP_2) | instskip(NEXT) | instid1(VALU_DEP_2)
	v_lshrrev_b32_e32 v8, 16, v8
	v_lshlrev_b64 v[6:7], 1, v[6:7]
	s_delay_alu instid0(VALU_DEP_2) | instskip(SKIP_1) | instid1(VALU_DEP_2)
	v_cndmask_b32_e64 v8, 0x7fc0, v8, s3
	s_waitcnt lgkmcnt(0)
	v_add_co_u32 v6, s3, s8, v6
	s_delay_alu instid0(VALU_DEP_1)
	v_add_co_ci_u32_e64 v7, s3, s9, v7, s3
	global_store_b16 v[6:7], v8, off
	s_or_b32 exec_lo, exec_lo, s4
	s_and_saveexec_b32 s4, s1
	s_cbranch_execz .LBB174_36
.LBB174_71:
	v_bfe_u32 v7, v39, 16, 1
	v_add_nc_u32_e32 v6, v5, v3
	v_cmp_o_f32_e64 s3, v39, v39
	s_delay_alu instid0(VALU_DEP_3) | instskip(SKIP_1) | instid1(VALU_DEP_2)
	v_add3_u32 v8, v39, v7, 0x7fff
	v_mov_b32_e32 v7, 0
	v_lshrrev_b32_e32 v8, 16, v8
	s_delay_alu instid0(VALU_DEP_2) | instskip(NEXT) | instid1(VALU_DEP_2)
	v_lshlrev_b64 v[6:7], 1, v[6:7]
	v_cndmask_b32_e64 v8, 0x7fc0, v8, s3
	s_waitcnt lgkmcnt(0)
	s_delay_alu instid0(VALU_DEP_2) | instskip(NEXT) | instid1(VALU_DEP_1)
	v_add_co_u32 v6, s3, s8, v6
	v_add_co_ci_u32_e64 v7, s3, s9, v7, s3
	global_store_b16 v[6:7], v8, off
	s_or_b32 exec_lo, exec_lo, s4
	s_and_saveexec_b32 s4, s2
	s_cbranch_execnz .LBB174_37
	s_branch .LBB174_38
.LBB174_72:
	v_bfe_u32 v7, v34, 16, 1
	s_delay_alu instid0(VALU_DEP_2) | instskip(SKIP_1) | instid1(VALU_DEP_3)
	v_add_nc_u32_e32 v6, v5, v0
	v_cmp_o_f32_e64 s3, v34, v34
	v_add3_u32 v8, v34, v7, 0x7fff
	v_mov_b32_e32 v7, 0
	s_delay_alu instid0(VALU_DEP_2) | instskip(NEXT) | instid1(VALU_DEP_2)
	v_lshrrev_b32_e32 v8, 16, v8
	v_lshlrev_b64 v[6:7], 1, v[6:7]
	s_delay_alu instid0(VALU_DEP_2) | instskip(SKIP_1) | instid1(VALU_DEP_2)
	v_cndmask_b32_e64 v8, 0x7fc0, v8, s3
	s_waitcnt lgkmcnt(0)
	v_add_co_u32 v6, s3, s8, v6
	s_delay_alu instid0(VALU_DEP_1)
	v_add_co_ci_u32_e64 v7, s3, s9, v7, s3
	global_store_b16 v[6:7], v8, off
	s_or_b32 exec_lo, exec_lo, s4
	s_and_saveexec_b32 s4, s0
	s_cbranch_execz .LBB174_41
.LBB174_73:
	v_bfe_u32 v7, v33, 16, 1
	s_delay_alu instid0(VALU_DEP_2) | instskip(SKIP_1) | instid1(VALU_DEP_3)
	v_add_nc_u32_e32 v6, v5, v2
	v_cmp_o_f32_e64 s3, v33, v33
	v_add3_u32 v8, v33, v7, 0x7fff
	v_mov_b32_e32 v7, 0
	s_delay_alu instid0(VALU_DEP_2) | instskip(NEXT) | instid1(VALU_DEP_2)
	v_lshrrev_b32_e32 v8, 16, v8
	v_lshlrev_b64 v[6:7], 1, v[6:7]
	s_delay_alu instid0(VALU_DEP_2) | instskip(SKIP_1) | instid1(VALU_DEP_2)
	v_cndmask_b32_e64 v8, 0x7fc0, v8, s3
	s_waitcnt lgkmcnt(0)
	v_add_co_u32 v6, s3, s8, v6
	s_delay_alu instid0(VALU_DEP_1)
	v_add_co_ci_u32_e64 v7, s3, s9, v7, s3
	global_store_b16 v[6:7], v8, off
	s_or_b32 exec_lo, exec_lo, s4
	s_and_saveexec_b32 s4, s1
	s_cbranch_execz .LBB174_42
.LBB174_74:
	v_bfe_u32 v7, v32, 16, 1
	v_add_nc_u32_e32 v6, v5, v3
	v_cmp_o_f32_e64 s3, v32, v32
	s_delay_alu instid0(VALU_DEP_3) | instskip(SKIP_1) | instid1(VALU_DEP_2)
	v_add3_u32 v8, v32, v7, 0x7fff
	v_mov_b32_e32 v7, 0
	v_lshrrev_b32_e32 v8, 16, v8
	s_delay_alu instid0(VALU_DEP_2) | instskip(NEXT) | instid1(VALU_DEP_2)
	v_lshlrev_b64 v[6:7], 1, v[6:7]
	v_cndmask_b32_e64 v8, 0x7fc0, v8, s3
	s_waitcnt lgkmcnt(0)
	s_delay_alu instid0(VALU_DEP_2) | instskip(NEXT) | instid1(VALU_DEP_1)
	v_add_co_u32 v6, s3, s8, v6
	v_add_co_ci_u32_e64 v7, s3, s9, v7, s3
	global_store_b16 v[6:7], v8, off
	s_or_b32 exec_lo, exec_lo, s4
	s_and_saveexec_b32 s4, s2
	s_cbranch_execnz .LBB174_43
	s_branch .LBB174_44
.LBB174_75:
	v_bfe_u32 v7, v30, 16, 1
	s_delay_alu instid0(VALU_DEP_2) | instskip(SKIP_1) | instid1(VALU_DEP_3)
	v_add_nc_u32_e32 v6, v5, v0
	v_cmp_o_f32_e64 s3, v30, v30
	v_add3_u32 v8, v30, v7, 0x7fff
	v_mov_b32_e32 v7, 0
	s_delay_alu instid0(VALU_DEP_2) | instskip(NEXT) | instid1(VALU_DEP_2)
	v_lshrrev_b32_e32 v8, 16, v8
	v_lshlrev_b64 v[6:7], 1, v[6:7]
	s_delay_alu instid0(VALU_DEP_2) | instskip(SKIP_1) | instid1(VALU_DEP_2)
	v_cndmask_b32_e64 v8, 0x7fc0, v8, s3
	s_waitcnt lgkmcnt(0)
	v_add_co_u32 v6, s3, s8, v6
	s_delay_alu instid0(VALU_DEP_1)
	v_add_co_ci_u32_e64 v7, s3, s9, v7, s3
	global_store_b16 v[6:7], v8, off
	s_or_b32 exec_lo, exec_lo, s4
	s_and_saveexec_b32 s4, s0
	s_cbranch_execz .LBB174_47
.LBB174_76:
	v_bfe_u32 v7, v29, 16, 1
	s_delay_alu instid0(VALU_DEP_2) | instskip(SKIP_1) | instid1(VALU_DEP_3)
	v_add_nc_u32_e32 v6, v5, v2
	v_cmp_o_f32_e64 s3, v29, v29
	v_add3_u32 v8, v29, v7, 0x7fff
	v_mov_b32_e32 v7, 0
	s_delay_alu instid0(VALU_DEP_2) | instskip(NEXT) | instid1(VALU_DEP_2)
	v_lshrrev_b32_e32 v8, 16, v8
	v_lshlrev_b64 v[6:7], 1, v[6:7]
	s_delay_alu instid0(VALU_DEP_2) | instskip(SKIP_1) | instid1(VALU_DEP_2)
	v_cndmask_b32_e64 v8, 0x7fc0, v8, s3
	s_waitcnt lgkmcnt(0)
	v_add_co_u32 v6, s3, s8, v6
	s_delay_alu instid0(VALU_DEP_1)
	v_add_co_ci_u32_e64 v7, s3, s9, v7, s3
	global_store_b16 v[6:7], v8, off
	s_or_b32 exec_lo, exec_lo, s4
	s_and_saveexec_b32 s4, s1
	s_cbranch_execz .LBB174_48
.LBB174_77:
	v_bfe_u32 v7, v28, 16, 1
	v_add_nc_u32_e32 v6, v5, v3
	v_cmp_o_f32_e64 s3, v28, v28
	s_delay_alu instid0(VALU_DEP_3) | instskip(SKIP_1) | instid1(VALU_DEP_2)
	v_add3_u32 v8, v28, v7, 0x7fff
	v_mov_b32_e32 v7, 0
	v_lshrrev_b32_e32 v8, 16, v8
	s_delay_alu instid0(VALU_DEP_2) | instskip(NEXT) | instid1(VALU_DEP_2)
	v_lshlrev_b64 v[6:7], 1, v[6:7]
	v_cndmask_b32_e64 v8, 0x7fc0, v8, s3
	s_waitcnt lgkmcnt(0)
	s_delay_alu instid0(VALU_DEP_2) | instskip(NEXT) | instid1(VALU_DEP_1)
	v_add_co_u32 v6, s3, s8, v6
	v_add_co_ci_u32_e64 v7, s3, s9, v7, s3
	global_store_b16 v[6:7], v8, off
	s_or_b32 exec_lo, exec_lo, s4
	s_and_saveexec_b32 s4, s2
	s_cbranch_execnz .LBB174_49
	s_branch .LBB174_50
.LBB174_78:
	v_bfe_u32 v7, v26, 16, 1
	s_delay_alu instid0(VALU_DEP_2) | instskip(SKIP_1) | instid1(VALU_DEP_3)
	v_add_nc_u32_e32 v6, v5, v0
	v_cmp_o_f32_e64 s3, v26, v26
	v_add3_u32 v8, v26, v7, 0x7fff
	v_mov_b32_e32 v7, 0
	s_delay_alu instid0(VALU_DEP_2) | instskip(NEXT) | instid1(VALU_DEP_2)
	v_lshrrev_b32_e32 v8, 16, v8
	v_lshlrev_b64 v[6:7], 1, v[6:7]
	s_delay_alu instid0(VALU_DEP_2) | instskip(SKIP_1) | instid1(VALU_DEP_2)
	v_cndmask_b32_e64 v8, 0x7fc0, v8, s3
	s_waitcnt lgkmcnt(0)
	v_add_co_u32 v6, s3, s8, v6
	s_delay_alu instid0(VALU_DEP_1)
	v_add_co_ci_u32_e64 v7, s3, s9, v7, s3
	global_store_b16 v[6:7], v8, off
	s_or_b32 exec_lo, exec_lo, s4
	s_and_saveexec_b32 s4, s0
	s_cbranch_execz .LBB174_53
.LBB174_79:
	v_bfe_u32 v7, v25, 16, 1
	s_delay_alu instid0(VALU_DEP_2) | instskip(SKIP_1) | instid1(VALU_DEP_3)
	v_add_nc_u32_e32 v6, v5, v2
	v_cmp_o_f32_e64 s3, v25, v25
	v_add3_u32 v8, v25, v7, 0x7fff
	v_mov_b32_e32 v7, 0
	s_delay_alu instid0(VALU_DEP_2) | instskip(NEXT) | instid1(VALU_DEP_2)
	v_lshrrev_b32_e32 v8, 16, v8
	v_lshlrev_b64 v[6:7], 1, v[6:7]
	s_delay_alu instid0(VALU_DEP_2) | instskip(SKIP_1) | instid1(VALU_DEP_2)
	v_cndmask_b32_e64 v8, 0x7fc0, v8, s3
	s_waitcnt lgkmcnt(0)
	v_add_co_u32 v6, s3, s8, v6
	s_delay_alu instid0(VALU_DEP_1)
	v_add_co_ci_u32_e64 v7, s3, s9, v7, s3
	global_store_b16 v[6:7], v8, off
	s_or_b32 exec_lo, exec_lo, s4
	s_and_saveexec_b32 s4, s1
	s_cbranch_execz .LBB174_54
.LBB174_80:
	v_bfe_u32 v7, v24, 16, 1
	v_add_nc_u32_e32 v6, v5, v3
	v_cmp_o_f32_e64 s3, v24, v24
	s_delay_alu instid0(VALU_DEP_3) | instskip(SKIP_1) | instid1(VALU_DEP_2)
	v_add3_u32 v8, v24, v7, 0x7fff
	v_mov_b32_e32 v7, 0
	v_lshrrev_b32_e32 v8, 16, v8
	s_delay_alu instid0(VALU_DEP_2) | instskip(NEXT) | instid1(VALU_DEP_2)
	v_lshlrev_b64 v[6:7], 1, v[6:7]
	v_cndmask_b32_e64 v8, 0x7fc0, v8, s3
	s_waitcnt lgkmcnt(0)
	s_delay_alu instid0(VALU_DEP_2) | instskip(NEXT) | instid1(VALU_DEP_1)
	v_add_co_u32 v6, s3, s8, v6
	v_add_co_ci_u32_e64 v7, s3, s9, v7, s3
	global_store_b16 v[6:7], v8, off
	s_or_b32 exec_lo, exec_lo, s4
	s_and_saveexec_b32 s4, s2
	s_cbranch_execnz .LBB174_55
	s_branch .LBB174_56
.LBB174_81:
	v_bfe_u32 v6, v22, 16, 1
	s_delay_alu instid0(VALU_DEP_2) | instskip(SKIP_1) | instid1(VALU_DEP_3)
	v_add_nc_u32_e32 v5, v1, v0
	v_cmp_o_f32_e32 vcc_lo, v22, v22
	v_add3_u32 v0, v22, v6, 0x7fff
	v_mov_b32_e32 v6, 0
	s_delay_alu instid0(VALU_DEP_2) | instskip(NEXT) | instid1(VALU_DEP_2)
	v_lshrrev_b32_e32 v0, 16, v0
	v_lshlrev_b64 v[5:6], 1, v[5:6]
	s_delay_alu instid0(VALU_DEP_2) | instskip(SKIP_1) | instid1(VALU_DEP_2)
	v_cndmask_b32_e32 v0, 0x7fc0, v0, vcc_lo
	s_waitcnt lgkmcnt(0)
	v_add_co_u32 v5, vcc_lo, s8, v5
	s_delay_alu instid0(VALU_DEP_3)
	v_add_co_ci_u32_e32 v6, vcc_lo, s9, v6, vcc_lo
	global_store_b16 v[5:6], v0, off
	s_or_b32 exec_lo, exec_lo, s3
	s_and_saveexec_b32 s3, s0
	s_cbranch_execz .LBB174_59
.LBB174_82:
	v_bfe_u32 v0, v21, 16, 1
	s_delay_alu instid0(VALU_DEP_2) | instskip(SKIP_1) | instid1(VALU_DEP_3)
	v_dual_mov_b32 v6, 0 :: v_dual_add_nc_u32 v5, v1, v2
	v_cmp_o_f32_e32 vcc_lo, v21, v21
	v_add3_u32 v0, v21, v0, 0x7fff
	s_delay_alu instid0(VALU_DEP_3) | instskip(NEXT) | instid1(VALU_DEP_2)
	v_lshlrev_b64 v[5:6], 1, v[5:6]
	v_lshrrev_b32_e32 v0, 16, v0
	s_delay_alu instid0(VALU_DEP_1) | instskip(SKIP_1) | instid1(VALU_DEP_3)
	v_cndmask_b32_e32 v0, 0x7fc0, v0, vcc_lo
	s_waitcnt lgkmcnt(0)
	v_add_co_u32 v5, vcc_lo, s8, v5
	s_delay_alu instid0(VALU_DEP_4)
	v_add_co_ci_u32_e32 v6, vcc_lo, s9, v6, vcc_lo
	global_store_b16 v[5:6], v0, off
	s_or_b32 exec_lo, exec_lo, s3
	s_and_saveexec_b32 s0, s1
	s_cbranch_execz .LBB174_60
.LBB174_83:
	v_bfe_u32 v0, v20, 16, 1
	v_dual_mov_b32 v3, 0 :: v_dual_add_nc_u32 v2, v1, v3
	v_cmp_o_f32_e32 vcc_lo, v20, v20
	s_delay_alu instid0(VALU_DEP_3) | instskip(NEXT) | instid1(VALU_DEP_3)
	v_add3_u32 v0, v20, v0, 0x7fff
	v_lshlrev_b64 v[2:3], 1, v[2:3]
	s_delay_alu instid0(VALU_DEP_2) | instskip(NEXT) | instid1(VALU_DEP_1)
	v_lshrrev_b32_e32 v0, 16, v0
	v_cndmask_b32_e32 v0, 0x7fc0, v0, vcc_lo
	s_waitcnt lgkmcnt(0)
	s_delay_alu instid0(VALU_DEP_3) | instskip(NEXT) | instid1(VALU_DEP_4)
	v_add_co_u32 v2, vcc_lo, s8, v2
	v_add_co_ci_u32_e32 v3, vcc_lo, s9, v3, vcc_lo
	global_store_b16 v[2:3], v0, off
	s_or_b32 exec_lo, exec_lo, s0
	s_delay_alu instid0(SALU_CYCLE_1)
	s_and_b32 exec_lo, exec_lo, s2
	s_cbranch_execnz .LBB174_61
	s_branch .LBB174_62
	.section	.rodata,"a",@progbits
	.p2align	6, 0x0
	.amdhsa_kernel _ZL12mul_mat_q5_KIN3c108BFloat16ELb1EEvPKvS3_PT_iiiii
		.amdhsa_group_segment_fixed_size 45136
		.amdhsa_private_segment_fixed_size 0
		.amdhsa_kernarg_size 44
		.amdhsa_user_sgpr_count 14
		.amdhsa_user_sgpr_dispatch_ptr 0
		.amdhsa_user_sgpr_queue_ptr 0
		.amdhsa_user_sgpr_kernarg_segment_ptr 1
		.amdhsa_user_sgpr_dispatch_id 0
		.amdhsa_user_sgpr_private_segment_size 0
		.amdhsa_wavefront_size32 1
		.amdhsa_uses_dynamic_stack 0
		.amdhsa_enable_private_segment 0
		.amdhsa_system_sgpr_workgroup_id_x 1
		.amdhsa_system_sgpr_workgroup_id_y 1
		.amdhsa_system_sgpr_workgroup_id_z 0
		.amdhsa_system_sgpr_workgroup_info 0
		.amdhsa_system_vgpr_workitem_id 1
		.amdhsa_next_free_vgpr 248
		.amdhsa_next_free_sgpr 18
		.amdhsa_reserve_vcc 1
		.amdhsa_float_round_mode_32 0
		.amdhsa_float_round_mode_16_64 0
		.amdhsa_float_denorm_mode_32 3
		.amdhsa_float_denorm_mode_16_64 3
		.amdhsa_dx10_clamp 1
		.amdhsa_ieee_mode 1
		.amdhsa_fp16_overflow 0
		.amdhsa_workgroup_processor_mode 1
		.amdhsa_memory_ordered 1
		.amdhsa_forward_progress 0
		.amdhsa_shared_vgpr_count 0
		.amdhsa_exception_fp_ieee_invalid_op 0
		.amdhsa_exception_fp_denorm_src 0
		.amdhsa_exception_fp_ieee_div_zero 0
		.amdhsa_exception_fp_ieee_overflow 0
		.amdhsa_exception_fp_ieee_underflow 0
		.amdhsa_exception_fp_ieee_inexact 0
		.amdhsa_exception_int_div_zero 0
	.end_amdhsa_kernel
	.section	.text._ZL12mul_mat_q5_KIN3c108BFloat16ELb1EEvPKvS3_PT_iiiii,"axG",@progbits,_ZL12mul_mat_q5_KIN3c108BFloat16ELb1EEvPKvS3_PT_iiiii,comdat
.Lfunc_end174:
	.size	_ZL12mul_mat_q5_KIN3c108BFloat16ELb1EEvPKvS3_PT_iiiii, .Lfunc_end174-_ZL12mul_mat_q5_KIN3c108BFloat16ELb1EEvPKvS3_PT_iiiii
                                        ; -- End function
	.section	.AMDGPU.csdata,"",@progbits
; Kernel info:
; codeLenInByte = 17648
; NumSgprs: 20
; NumVgprs: 248
; ScratchSize: 0
; MemoryBound: 0
; FloatMode: 240
; IeeeMode: 1
; LDSByteSize: 45136 bytes/workgroup (compile time only)
; SGPRBlocks: 2
; VGPRBlocks: 30
; NumSGPRsForWavesPerEU: 20
; NumVGPRsForWavesPerEU: 248
; Occupancy: 4
; WaveLimiterHint : 0
; COMPUTE_PGM_RSRC2:SCRATCH_EN: 0
; COMPUTE_PGM_RSRC2:USER_SGPR: 14
; COMPUTE_PGM_RSRC2:TRAP_HANDLER: 0
; COMPUTE_PGM_RSRC2:TGID_X_EN: 1
; COMPUTE_PGM_RSRC2:TGID_Y_EN: 1
; COMPUTE_PGM_RSRC2:TGID_Z_EN: 0
; COMPUTE_PGM_RSRC2:TIDIG_COMP_CNT: 1
	.section	.text._ZL12mul_mat_q6_KIN3c108BFloat16ELb0EEvPKvS3_PT_iiiii,"axG",@progbits,_ZL12mul_mat_q6_KIN3c108BFloat16ELb0EEvPKvS3_PT_iiiii,comdat
	.globl	_ZL12mul_mat_q6_KIN3c108BFloat16ELb0EEvPKvS3_PT_iiiii ; -- Begin function _ZL12mul_mat_q6_KIN3c108BFloat16ELb0EEvPKvS3_PT_iiiii
	.p2align	8
	.type	_ZL12mul_mat_q6_KIN3c108BFloat16ELb0EEvPKvS3_PT_iiiii,@function
_ZL12mul_mat_q6_KIN3c108BFloat16ELb0EEvPKvS3_PT_iiiii: ; @_ZL12mul_mat_q6_KIN3c108BFloat16ELb0EEvPKvS3_PT_iiiii
; %bb.0:
	s_clause 0x1
	s_load_b32 s11, s[0:1], 0x18
	s_load_b128 s[4:7], s[0:1], 0x20
	v_bfe_u32 v35, v0, 10, 10
	v_and_b32_e32 v36, 0x3ff, v0
	s_waitcnt lgkmcnt(0)
	s_lshl_b32 s7, s15, 6
	s_cmpk_gt_i32 s11, 0xff
	s_cbranch_scc1 .LBB175_2
; %bb.1:
	v_bfe_u32 v1, v0, 10, 10
	v_and_b32_e32 v0, 0x3ff, v0
	s_mov_b32 s2, 0
	s_mov_b32 s3, 0
	s_delay_alu instid0(VALU_DEP_2)
	v_add_nc_u32_e32 v2, s7, v1
	s_branch .LBB175_3
.LBB175_2:
	s_mov_b32 s2, -1
                                        ; implicit-def: $sgpr3
                                        ; implicit-def: $vgpr1
                                        ; implicit-def: $vgpr0
                                        ; implicit-def: $vgpr2
.LBB175_3:
	s_load_b64 s[8:9], s[0:1], 0x10
	v_dual_mov_b32 v17, s3 :: v_dual_mov_b32 v40, s3
	v_dual_mov_b32 v21, s3 :: v_dual_mov_b32 v46, s3
	;; [unrolled: 1-line block ×15, first 2 shown]
	v_mov_b32_e32 v45, s3
	v_mov_b32_e32 v51, s3
	s_and_not1_b32 vcc_lo, exec_lo, s2
	s_lshl_b32 s10, s14, 7
	s_cbranch_vccnz .LBB175_11
; %bb.4:
	s_load_b128 s[0:3], s[0:1], 0x0
	s_ashr_i32 s12, s11, 31
	s_ashr_i32 s13, s5, 31
	s_lshr_b32 s12, s12, 24
	v_dual_mov_b32 v51, 0 :: v_dual_and_b32 v18, 31, v36
	s_add_i32 s11, s11, s12
	s_lshr_b32 s12, s13, 27
	s_ashr_i32 s11, s11, 8
	s_add_i32 s5, s5, s12
	s_mul_i32 s12, s11, s10
	v_dual_mov_b32 v32, 0 :: v_dual_add_nc_u32 v13, s7, v35
	s_ashr_i32 s13, s5, 5
	s_mul_i32 s5, s12, 0xd2
	v_cmp_lt_u32_e32 vcc_lo, 15, v18
	s_mul_hi_i32 s12, s12, 0xd2
	v_add_nc_u16 v23, v18, -16
	v_mul_i32_i24_e32 v26, s11, v35
	v_cvt_f64_u32_e32 v[0:1], v13
	s_waitcnt lgkmcnt(0)
	s_add_u32 s5, s0, s5
	s_addc_u32 s12, s1, s12
	s_lshl_b32 s0, s11, 3
	v_cndmask_b32_e64 v16, 0, 1, vcc_lo
	v_mad_i32_i24 v5, s11, v35, s0
	v_cmp_gt_u32_e32 vcc_lo, 16, v18
	v_add_nc_u32_e32 v4, 8, v13
	s_add_i32 s1, s4, -1
	v_dual_mov_b32 v45, 0 :: v_dual_add_nc_u32 v6, 16, v13
	v_cvt_f64_i32_e32 v[2:3], s1
	scratch_store_b32 off, v5, off          ; 4-byte Folded Spill
	v_dual_mov_b32 v39, 0 :: v_dual_add_nc_u32 v52, s0, v5
	v_cndmask_b32_e32 v23, v23, v18, vcc_lo
	v_cvt_f64_u32_e32 v[4:5], v4
	v_dual_mov_b32 v79, 0 :: v_dual_add_nc_u32 v8, 24, v13
	s_delay_alu instid0(VALU_DEP_4)
	v_add_nc_u32_e32 v53, s0, v52
	v_cvt_f64_u32_e32 v[6:7], v6
	v_lshrrev_b32_e32 v28, 5, v36
	v_lshlrev_b32_e32 v47, 5, v35
	v_cmp_lt_u16_e32 vcc_lo, 7, v23
	v_add_nc_u32_e32 v55, s0, v53
	v_cvt_f64_u32_e32 v[8:9], v8
	v_mov_b32_e32 v50, v28
	v_add_nc_u32_e32 v24, v47, v36
	v_cndmask_b32_e64 v23, 0, 1, vcc_lo
	v_dual_mov_b32 v48, 0 :: v_dual_add_nc_u32 v57, s0, v55
	v_dual_mov_b32 v38, 0 :: v_dual_and_b32 v19, 7, v36
	v_dual_mov_b32 v34, 0 :: v_dual_lshlrev_b32 v25, 5, v16
	s_delay_alu instid0(VALU_DEP_3)
	v_add_nc_u32_e32 v58, s0, v57
	v_dual_mov_b32 v29, 0 :: v_dual_lshlrev_b32 v66, 1, v23
	v_mov_b32_e32 v23, 0
	v_dual_mov_b32 v30, 0 :: v_dual_and_b32 v27, 0x7f, v24
	v_dual_mov_b32 v43, 0 :: v_dual_add_nc_u32 v10, 32, v13
	v_dual_mov_b32 v37, 0 :: v_dual_add_nc_u32 v12, 40, v13
	;; [unrolled: 1-line block ×4, first 2 shown]
	v_lshl_or_b32 v65, v19, 2, v25
	v_mul_i32_i24_e32 v19, s11, v27
	v_cvt_f64_u32_e32 v[10:11], v10
	scratch_store_b32 off, v13, off offset:36 ; 4-byte Folded Spill
	v_cvt_f64_u32_e32 v[12:13], v12
	v_min_f64 v[4:5], v[4:5], v[2:3]
	v_cvt_f64_u32_e32 v[14:15], v14
	v_cvt_f64_u32_e32 v[16:17], v17
	v_min_f64 v[0:1], v[0:1], v[2:3]
	v_min_f64 v[6:7], v[6:7], v[2:3]
	v_lshlrev_b32_e32 v21, 3, v35
	v_lshrrev_b32_e32 v22, 2, v36
	v_mul_u32_u24_e32 v20, 0x41, v35
	v_mov_b32_e32 v46, 0
	v_min_f64 v[8:9], v[8:9], v[2:3]
	v_add_nc_u32_e32 v98, 0x200, v47
	v_add_nc_u32_e32 v102, 0x300, v47
	v_add_nc_u32_e32 v105, 0x400, v47
	v_add_nc_u32_e32 v108, 0x500, v47
	v_add_nc_u32_e32 v109, 0x600, v47
	v_add_nc_u32_e32 v96, 0x100, v47
	v_add_nc_u32_e32 v113, 0x700, v47
	v_dual_mov_b32 v49, 0 :: v_dual_lshlrev_b32 v54, 2, v18
	v_mul_u32_u24_e32 v125, 0x104, v36
	v_mov_b32_e32 v59, 0
	v_dual_mov_b32 v33, 0 :: v_dual_mov_b32 v56, 0
	scratch_store_b32 off, v19, off offset:12 ; 4-byte Folded Spill
	v_add_nc_u16 v19, v22, v21
	v_mov_b32_e32 v40, 0
	v_min_f64 v[10:11], v[10:11], v[2:3]
	v_min_f64 v[12:13], v[12:13], v[2:3]
	v_cvt_i32_f64_e32 v4, v[4:5]
	v_lshlrev_b32_e32 v5, 2, v27
	v_dual_mov_b32 v27, 0 :: v_dual_add_nc_u32 v60, s0, v58
	v_min_f64 v[14:15], v[14:15], v[2:3]
	v_min_f64 v[2:3], v[16:17], v[2:3]
	v_add_nc_u32_e32 v17, v22, v21
	v_cvt_i32_f64_e32 v22, v[0:1]
	v_add_nc_u32_e32 v62, s0, v60
	v_cvt_i32_f64_e32 v6, v[6:7]
	v_lshrrev_b16 v0, 1, v19
	v_and_b32_e32 v21, 0x7f, v17
	s_delay_alu instid0(VALU_DEP_4) | instskip(NEXT) | instid1(VALU_DEP_3)
	v_add_nc_u32_e32 v64, s0, v62
	v_and_b32_e32 v0, 60, v0
	s_delay_alu instid0(VALU_DEP_3) | instskip(NEXT) | instid1(VALU_DEP_3)
	v_xor_b32_e32 v7, 64, v21
	v_add_nc_u32_e32 v67, s0, v64
	s_delay_alu instid0(VALU_DEP_1) | instskip(NEXT) | instid1(VALU_DEP_1)
	v_add_nc_u32_e32 v71, s0, v67
	v_add_nc_u32_e32 v75, s0, v71
	s_delay_alu instid0(VALU_DEP_1) | instskip(NEXT) | instid1(VALU_DEP_1)
	v_add_nc_u32_e32 v80, s0, v75
	v_add_nc_u32_e32 v83, s0, v80
	v_mul_lo_u32 v101, s13, v4
	v_or_b32_e32 v4, v105, v18
	s_delay_alu instid0(VALU_DEP_3)
	v_add_nc_u32_e32 v16, s0, v83
	scratch_store_b32 off, v26, off offset:4 ; 4-byte Folded Spill
	v_and_or_b32 v26, v36, 15, v25
	v_lshl_add_u32 v112, v4, 2, 0x8200
	v_or_b32_e32 v4, v109, v18
	s_clause 0x1
	scratch_store_b32 off, v16, off offset:8
	scratch_store_b32 off, v35, off offset:32
	v_and_b32_e32 v16, 3, v36
	v_add_lshl_u32 v63, v26, v20, 2
	v_lshrrev_b32_e32 v20, 3, v24
	v_mul_lo_u32 v104, s13, v6
	v_lshl_add_u32 v117, v4, 2, 0x8200
	v_lshlrev_b32_e32 v90, 2, v16
	v_add_nc_u32_e32 v4, 32, v36
	v_and_b32_e32 v1, 12, v20
	v_add_nc_u32_e32 v6, 0x60, v36
	v_mov_b32_e32 v24, 0
	v_lshl_or_b32 v19, v21, 4, v90
	v_mov_b32_e32 v20, 0
	v_add3_u32 v1, v5, v1, 0xae40
	v_cvt_i32_f64_e32 v5, v[8:9]
	v_and_b32_e32 v8, 63, v17
	v_add3_u32 v0, v19, v0, 0xa200
	v_cvt_i32_f64_e32 v9, v[10:11]
	scratch_store_b32 off, v1, off offset:16 ; 4-byte Folded Spill
	v_mul_i32_i24_e32 v1, s11, v21
	v_cvt_i32_f64_e32 v11, v[12:13]
	scratch_store_b32 off, v0, off offset:24 ; 4-byte Folded Spill
	v_mul_i32_i24_e32 v0, s11, v7
	v_cvt_i32_f64_e32 v13, v[14:15]
	scratch_store_b32 off, v1, off offset:20 ; 4-byte Folded Spill
	v_lshl_or_b32 v1, v7, 4, v90
	v_cvt_i32_f64_e32 v14, v[2:3]
	scratch_store_b32 off, v0, off offset:28 ; 4-byte Folded Spill
	v_lshrrev_b32_e32 v0, 1, v7
	v_or_b32_e32 v7, s7, v8
	v_lshl_or_b32 v8, v8, 4, v90
	v_lshlrev_b32_e32 v10, 2, v36
	v_mul_lo_u32 v99, s13, v22
	v_and_b32_e32 v0, 60, v0
	v_min_i32_e32 v7, s1, v7
	v_add_nc_u32_e32 v97, 0xaa40, v8
	v_lshrrev_b32_e32 v8, 3, v6
	v_and_b32_e32 v12, 28, v10
	v_add3_u32 v95, v1, v0, 0xa200
	v_mad_u64_u32 v[2:3], null, v7, s13, v[16:17]
	v_or_b32_e32 v3, v47, v18
	v_or_b32_e32 v7, v96, v18
	v_and_b32_e32 v8, 60, v8
	v_add_co_u32 v0, s0, s2, v12
	s_delay_alu instid0(VALU_DEP_4)
	v_lshl_add_u32 v100, v3, 2, 0x8200
	v_or_b32_e32 v3, v98, v18
	v_lshl_add_u32 v103, v7, 2, 0x8200
	v_add3_u32 v123, v10, v8, 0xae40
	v_lshrrev_b32_e32 v8, 1, v6
	v_lshlrev_b32_e32 v12, 4, v36
	v_lshl_add_u32 v106, v3, 2, 0x8200
	v_or_b32_e32 v3, v102, v18
	v_mul_lo_u32 v107, s13, v5
	v_add_nc_u32_e32 v5, 64, v36
	v_mul_lo_u32 v111, s13, v9
	v_lshrrev_b32_e32 v9, 1, v36
	v_lshl_add_u32 v110, v3, 2, 0x8200
	v_or_b32_e32 v3, v108, v18
	v_lshrrev_b32_e32 v7, 3, v5
	v_mul_lo_u32 v114, s13, v11
	v_lshlrev_b32_e32 v11, 2, v28
	v_and_b32_e32 v9, 0x7c, v9
	v_lshl_add_u32 v115, v3, 2, 0x8200
	v_or_b32_e32 v3, v113, v18
	v_and_b32_e32 v7, 60, v7
	v_and_b32_e32 v8, 0xfc, v8
	v_lshlrev_b32_e32 v6, 4, v6
	v_mul_lo_u32 v116, s13, v13
	v_lshl_add_u32 v119, v3, 2, 0x8200
	v_lshrrev_b32_e32 v3, 3, v4
	v_add3_u32 v122, v10, v7, 0xae40
	v_lshrrev_b32_e32 v7, 1, v5
	v_lshlrev_b32_e32 v5, 4, v5
	v_mul_lo_u32 v118, s13, v14
	v_and_b32_e32 v3, 60, v3
	v_add_co_ci_u32_e64 v1, null, s3, 0, s0
	v_and_b32_e32 v7, 0xfc, v7
	s_movk_i32 s0, 0x104
	s_delay_alu instid0(VALU_DEP_3)
	v_add3_u32 v121, v10, v3, 0xae40
	v_lshrrev_b32_e32 v3, 1, v4
	v_lshlrev_b32_e32 v4, 4, v4
	v_add3_u32 v120, v11, v10, 0xae40
	v_add3_u32 v124, v12, v9, 0xa200
	v_mad_u32_u24 v127, v36, s0, 0x2080
	v_and_b32_e32 v3, 0xfc, v3
	v_add3_u32 v128, v5, v7, 0xa200
	v_mad_u32_u24 v129, v36, s0, 0x4100
	v_add3_u32 v130, v6, v8, 0xa200
	v_mad_u32_u24 v131, v36, s0, 0x6180
	v_add3_u32 v126, v4, v3, 0xa200
	v_dual_mov_b32 v28, 0 :: v_dual_mov_b32 v19, 0
	v_mov_b32_e32 v26, 0
	v_mov_b32_e32 v22, 0
	v_dual_mov_b32 v18, 0 :: v_dual_mov_b32 v25, 0
	v_mov_b32_e32 v21, 0
	v_mov_b32_e32 v17, 0
	s_mov_b32 s13, 0
.LBB175_5:                              ; =>This Loop Header: Depth=1
                                        ;     Child Loop BB175_6 Depth 2
                                        ;       Child Loop BB175_7 Depth 3
	s_clause 0x1
	scratch_load_b32 v7, off, off offset:4
	scratch_load_b32 v9, off, off
	s_mul_i32 s0, s13, 0xd2
	s_mul_hi_u32 s1, s13, 0xd2
	s_add_u32 s0, s5, s0
	s_addc_u32 s1, s12, s1
	v_add_nc_u32_e32 v35, 0x820, v63
	v_mad_u64_u32 v[3:4], null, 0xd2, v50, s[0:1]
	s_mov_b32 s14, 0
	s_delay_alu instid0(VALU_DEP_1)
	v_mad_u64_u32 v[132:133], null, 0xd2, v53, v[3:4]
	v_mad_u64_u32 v[139:140], null, 0xd2, v55, v[3:4]
	s_waitcnt vmcnt(1)
	v_mad_u64_u32 v[5:6], null, 0xd2, v7, v[3:4]
	s_waitcnt vmcnt(0)
	v_mad_u64_u32 v[7:8], null, 0xd2, v9, v[3:4]
	v_mad_u64_u32 v[9:10], null, 0xd2, v52, v[3:4]
	s_delay_alu instid0(VALU_DEP_3) | instskip(NEXT) | instid1(VALU_DEP_4)
	v_add_co_u32 v11, vcc_lo, v5, v54
	v_add_co_ci_u32_e32 v12, vcc_lo, 0, v6, vcc_lo
	v_add_co_u32 v5, vcc_lo, v5, v65
	v_add_co_ci_u32_e32 v6, vcc_lo, 0, v6, vcc_lo
	;; [unrolled: 2-line block ×9, first 2 shown]
	s_clause 0x8
	global_load_b32 v137, v[11:12], off
	global_load_b32 v138, v[5:6], off offset:128
	global_load_b32 v135, v[13:14], off
	global_load_b32 v136, v[7:8], off offset:128
	;; [unrolled: 2-line block ×4, first 2 shown]
	global_load_b32 v134, v[145:146], off
	v_mad_u64_u32 v[5:6], null, 0xd2, v57, v[3:4]
	v_add_co_u32 v7, vcc_lo, v139, v65
	v_mad_u64_u32 v[9:10], null, 0xd2, v58, v[3:4]
	v_add_co_ci_u32_e32 v8, vcc_lo, 0, v140, vcc_lo
	s_delay_alu instid0(VALU_DEP_4)
	v_add_co_u32 v11, vcc_lo, v5, v54
	v_add_co_ci_u32_e32 v12, vcc_lo, 0, v6, vcc_lo
	v_add_co_u32 v5, vcc_lo, v5, v65
	v_add_co_ci_u32_e32 v6, vcc_lo, 0, v6, vcc_lo
	;; [unrolled: 2-line block ×3, first 2 shown]
	s_clause 0x3
	global_load_b32 v157, v[7:8], off offset:128
	global_load_b32 v158, v[11:12], off
	global_load_b32 v159, v[5:6], off offset:128
	global_load_b32 v160, v[13:14], off offset:128
	v_add_co_u32 v5, vcc_lo, v9, v54
	v_add_co_ci_u32_e32 v6, vcc_lo, 0, v10, vcc_lo
	v_mad_u64_u32 v[7:8], null, 0xd2, v60, v[3:4]
	v_mad_u64_u32 v[9:10], null, 0xd2, v62, v[3:4]
	global_load_b32 v6, v[5:6], off
	v_mad_u64_u32 v[11:12], null, 0xd2, v64, v[3:4]
	v_mad_u64_u32 v[13:14], null, 0xd2, v67, v[3:4]
	v_add_co_u32 v145, vcc_lo, v7, v54
	v_add_co_ci_u32_e32 v146, vcc_lo, 0, v8, vcc_lo
	v_add_co_u32 v7, vcc_lo, v7, v65
	v_add_co_ci_u32_e32 v8, vcc_lo, 0, v8, vcc_lo
	;; [unrolled: 2-line block ×5, first 2 shown]
	v_add_co_u32 v11, vcc_lo, v11, v65
	v_mad_u64_u32 v[139:140], null, 0xd2, v71, v[3:4]
	v_add_co_ci_u32_e32 v12, vcc_lo, 0, v12, vcc_lo
	v_add_co_u32 v151, vcc_lo, v13, v54
	v_add_co_ci_u32_e32 v152, vcc_lo, 0, v14, vcc_lo
	v_add_co_u32 v153, vcc_lo, v13, v65
	v_mad_u64_u32 v[141:142], null, 0xd2, v75, v[3:4]
	v_add_co_ci_u32_e32 v154, vcc_lo, 0, v14, vcc_lo
	s_clause 0x1
	global_load_b32 v161, v[145:146], off
	global_load_b32 v162, v[7:8], off offset:128
	v_add_co_u32 v7, vcc_lo, v139, v54
	v_add_co_ci_u32_e32 v8, vcc_lo, 0, v140, vcc_lo
	v_add_co_u32 v139, vcc_lo, v139, v65
	v_mad_u64_u32 v[143:144], null, 0xd2, v80, v[3:4]
	v_add_co_ci_u32_e32 v140, vcc_lo, 0, v140, vcc_lo
	v_add_co_u32 v145, vcc_lo, v141, v54
	v_add_co_ci_u32_e32 v146, vcc_lo, 0, v142, vcc_lo
	v_add_co_u32 v141, vcc_lo, v141, v65
	;; [unrolled: 2-line block ×4, first 2 shown]
	v_add_co_ci_u32_e32 v144, vcc_lo, 0, v144, vcc_lo
	s_clause 0xb
	global_load_b32 v147, v[147:148], off
	global_load_b32 v148, v[9:10], off offset:128
	global_load_b32 v14, v[149:150], off
	global_load_b32 v149, v[11:12], off offset:128
	;; [unrolled: 2-line block ×6, first 2 shown]
	s_waitcnt vmcnt(27)
	v_and_b32_e32 v139, 0xf0f0f0f, v137
	s_waitcnt vmcnt(26)
	v_ashrrev_i32_e32 v138, v66, v138
	v_lshrrev_b32_e32 v137, 4, v137
	s_waitcnt vmcnt(24)
	v_ashrrev_i32_e32 v136, v66, v136
	v_and_b32_e32 v140, 0xf0f0f0f, v135
	v_lshrrev_b32_e32 v135, 4, v135
	s_waitcnt vmcnt(22)
	v_ashrrev_i32_e32 v133, v66, v133
	s_waitcnt vmcnt(20)
	v_ashrrev_i32_e32 v16, v66, v16
	v_lshlrev_b32_e32 v152, 4, v138
	v_and_b32_e32 v138, 0x30303030, v138
	v_lshlrev_b32_e32 v153, 4, v136
	v_and_b32_e32 v136, 0x30303030, v136
	v_and_b32_e32 v141, 0xf0f0f0f, v132
	v_lshrrev_b32_e32 v132, 4, v132
	v_and_b32_e32 v142, 0xf0f0f0f, v15
	v_lshrrev_b32_e32 v15, 4, v15
	s_waitcnt vmcnt(19)
	v_and_b32_e32 v143, 0xf0f0f0f, v134
	v_lshrrev_b32_e32 v134, 4, v134
	v_lshlrev_b32_e32 v154, 4, v133
	v_and_b32_e32 v133, 0x30303030, v133
	v_lshlrev_b32_e32 v155, 4, v16
	v_and_b32_e32 v16, 0x30303030, v16
	v_and_or_b32 v139, 0x30303030, v152, v139
	v_and_or_b32 v137, 0xf0f0f0f, v137, v138
	;; [unrolled: 1-line block ×4, first 2 shown]
	s_waitcnt vmcnt(18)
	v_ashrrev_i32_e32 v144, v66, v157
	s_waitcnt vmcnt(17)
	v_and_b32_e32 v145, 0xf0f0f0f, v158
	s_waitcnt vmcnt(16)
	v_ashrrev_i32_e32 v150, v66, v159
	v_lshrrev_b32_e32 v146, 4, v158
	v_and_or_b32 v136, 0x30303030, v154, v141
	v_lshlrev_b32_e32 v156, 4, v144
	v_and_b32_e32 v144, 0x30303030, v144
	v_lshlrev_b32_e32 v157, 4, v150
	v_and_b32_e32 v150, 0x30303030, v150
	v_and_or_b32 v132, 0xf0f0f0f, v132, v133
	v_and_or_b32 v133, 0x30303030, v155, v142
	;; [unrolled: 1-line block ×7, first 2 shown]
	v_lshrrev_b32_e32 v142, 16, v139
	v_and_b32_e32 v143, 0x3f00, v139
	v_lshlrev_b16 v139, 8, v139
	v_lshrrev_b32_e32 v144, 16, v137
	v_and_b32_e32 v145, 0x3f00, v137
	v_lshlrev_b16 v137, 8, v137
	v_lshrrev_b32_e32 v146, 16, v138
	v_lshrrev_b32_e32 v152, 16, v135
	v_and_b32_e32 v150, 0x3f00, v138
	v_lshlrev_b16 v138, 8, v138
	v_and_b32_e32 v153, 0x3f00, v135
	v_lshlrev_b16 v135, 8, v135
	v_lshrrev_b32_e32 v154, 16, v136
	v_lshrrev_b32_e32 v156, 16, v132
	v_add_nc_u16 v139, v139, 0xe000
	v_and_b32_e32 v172, 0x3f00, v142
	v_lshlrev_b16 v142, 8, v142
	v_add_nc_u16 v137, v137, 0xe000
	v_and_b32_e32 v173, 0x3f00, v144
	v_lshlrev_b16 v144, 8, v144
	v_and_b32_e32 v174, 0x3f00, v146
	v_lshlrev_b16 v146, 8, v146
	;; [unrolled: 2-line block ×3, first 2 shown]
	s_waitcnt vmcnt(15)
	v_ashrrev_i32_e32 v151, v66, v160
	v_and_b32_e32 v155, 0x3f00, v136
	v_lshlrev_b16 v136, 8, v136
	v_and_b32_e32 v157, 0x3f00, v132
	v_lshlrev_b16 v132, 8, v132
	v_lshrrev_b32_e32 v158, 16, v133
	v_lshrrev_b32_e32 v160, 16, v15
	v_add_nc_u16 v138, v138, 0xe000
	v_add_nc_u16 v135, v135, 0xe000
	v_and_b32_e32 v176, 0x3f00, v154
	v_lshlrev_b16 v154, 8, v154
	v_and_b32_e32 v177, 0x3f00, v156
	v_lshlrev_b16 v156, 8, v156
	v_lshrrev_b16 v139, 8, v139
	v_add_nc_u16 v142, v142, 0xe000
	v_lshrrev_b16 v137, 8, v137
	v_add_nc_u16 v144, v144, 0xe000
	v_add_nc_u16 v146, v146, 0xe000
	v_add_nc_u16 v152, v152, 0xe000
	v_and_b32_e32 v159, 0x3f00, v133
	v_lshlrev_b16 v133, 8, v133
	v_and_b32_e32 v163, 0x3f00, v15
	v_lshlrev_b16 v15, 8, v15
	v_lshrrev_b32_e32 v164, 16, v16
	v_lshrrev_b32_e32 v166, 16, v134
	v_add_nc_u16 v136, v136, 0xe000
	v_add_nc_u16 v132, v132, 0xe000
	v_and_b32_e32 v178, 0x3f00, v158
	v_lshlrev_b16 v158, 8, v158
	v_and_b32_e32 v179, 0x3f00, v160
	v_lshlrev_b16 v160, 8, v160
	v_lshrrev_b16 v138, 8, v138
	v_lshrrev_b16 v135, 8, v135
	v_add_nc_u16 v154, v154, 0xe000
	v_add_nc_u16 v156, v156, 0xe000
	v_or_b32_e32 v139, v143, v139
	v_lshrrev_b16 v142, 8, v142
	v_or_b32_e32 v137, v145, v137
	v_lshrrev_b16 v143, 8, v144
	v_lshrrev_b16 v144, 8, v146
	;; [unrolled: 1-line block ×3, first 2 shown]
	v_and_b32_e32 v165, 0x3f00, v16
	v_lshlrev_b16 v16, 8, v16
	v_and_b32_e32 v167, 0x3f00, v134
	v_lshlrev_b16 v134, 8, v134
	v_add_nc_u16 v133, v133, 0xe000
	v_add_nc_u16 v15, v15, 0xe000
	v_and_b32_e32 v180, 0x3f00, v164
	v_lshlrev_b16 v164, 8, v164
	v_and_b32_e32 v181, 0x3f00, v166
	v_lshlrev_b16 v166, 8, v166
	v_lshrrev_b16 v136, 8, v136
	v_lshrrev_b16 v132, 8, v132
	v_add_nc_u16 v158, v158, 0xe000
	v_add_nc_u16 v160, v160, 0xe000
	v_or_b32_e32 v138, v150, v138
	v_or_b32_e32 v135, v153, v135
	v_lshrrev_b16 v146, 8, v154
	v_lshrrev_b16 v150, 8, v156
	v_or_b32_e32 v142, v172, v142
	v_or_b32_e32 v143, v173, v143
	;; [unrolled: 1-line block ×4, first 2 shown]
	v_add_nc_u16 v16, v16, 0xe000
	v_add_nc_u16 v134, v134, 0xe000
	v_lshrrev_b16 v133, 8, v133
	v_lshrrev_b16 v15, 8, v15
	v_add_nc_u16 v164, v164, 0xe000
	v_add_nc_u16 v166, v166, 0xe000
	v_or_b32_e32 v136, v155, v136
	v_or_b32_e32 v132, v157, v132
	v_lshrrev_b16 v152, 8, v158
	v_lshrrev_b16 v153, 8, v160
	v_add_nc_u16 v139, v139, 0xe000
	v_add_nc_u16 v137, v137, 0xe000
	;; [unrolled: 1-line block ×4, first 2 shown]
	v_or_b32_e32 v146, v176, v146
	v_or_b32_e32 v150, v177, v150
	v_add_nc_u16 v142, v142, 0xe000
	v_add_nc_u16 v143, v143, 0xe000
	;; [unrolled: 1-line block ×4, first 2 shown]
	v_lshrrev_b16 v16, 8, v16
	v_lshrrev_b16 v134, 8, v134
	v_or_b32_e32 v133, v159, v133
	v_or_b32_e32 v15, v163, v15
	v_lshrrev_b16 v154, 8, v164
	v_lshrrev_b16 v155, 8, v166
	v_add_nc_u16 v136, v136, 0xe000
	v_add_nc_u16 v132, v132, 0xe000
	v_or_b32_e32 v152, v178, v152
	v_or_b32_e32 v153, v179, v153
	v_and_b32_e32 v139, 0xffff, v139
	v_and_b32_e32 v137, 0xffff, v137
	;; [unrolled: 1-line block ×4, first 2 shown]
	v_add_nc_u16 v146, v146, 0xe000
	v_add_nc_u16 v150, v150, 0xe000
	v_lshlrev_b32_e32 v142, 16, v142
	v_lshlrev_b32_e32 v143, 16, v143
	;; [unrolled: 1-line block ×4, first 2 shown]
	v_lshrrev_b32_e32 v168, 16, v140
	v_or_b32_e32 v16, v165, v16
	v_or_b32_e32 v134, v167, v134
	v_add_nc_u16 v133, v133, 0xe000
	v_add_nc_u16 v15, v15, 0xe000
	v_or_b32_e32 v154, v180, v154
	v_or_b32_e32 v155, v181, v155
	v_and_b32_e32 v136, 0xffff, v136
	v_and_b32_e32 v132, 0xffff, v132
	v_add_nc_u16 v152, v152, 0xe000
	v_add_nc_u16 v153, v153, 0xe000
	v_lshlrev_b32_e32 v146, 16, v146
	v_lshlrev_b32_e32 v150, 16, v150
	v_or_b32_e32 v139, v139, v142
	v_or_b32_e32 v137, v137, v143
	v_or_b32_e32 v138, v138, v144
	v_or_b32_e32 v135, v135, v145
	v_and_b32_e32 v169, 0x3f00, v140
	v_lshlrev_b16 v140, 8, v140
	v_and_b32_e32 v182, 0x3f00, v168
	v_lshlrev_b16 v168, 8, v168
	v_lshrrev_b32_e32 v170, 16, v141
	v_and_b32_e32 v171, 0x3f00, v141
	v_lshlrev_b16 v141, 8, v141
	v_add_nc_u16 v16, v16, 0xe000
	v_add_nc_u16 v134, v134, 0xe000
	v_and_b32_e32 v133, 0xffff, v133
	v_and_b32_e32 v15, 0xffff, v15
	v_add_nc_u16 v154, v154, 0xe000
	v_add_nc_u16 v155, v155, 0xe000
	v_lshlrev_b32_e32 v152, 16, v152
	v_lshlrev_b32_e32 v153, 16, v153
	v_or_b32_e32 v136, v136, v146
	v_or_b32_e32 v132, v132, v150
	ds_store_2addr_b32 v63, v139, v137 offset1:16
	ds_store_2addr_b32 v35, v138, v135 offset1:16
	v_add_nc_u32_e32 v35, 0x1040, v63
	v_add_nc_u16 v140, v140, 0xe000
	v_add_nc_u16 v168, v168, 0xe000
	;; [unrolled: 1-line block ×3, first 2 shown]
	v_lshlrev_b16 v183, 8, v170
	v_and_b32_e32 v16, 0xffff, v16
	v_and_b32_e32 v134, 0xffff, v134
	v_lshlrev_b32_e32 v154, 16, v154
	v_lshlrev_b32_e32 v155, 16, v155
	v_or_b32_e32 v133, v133, v152
	v_or_b32_e32 v15, v15, v153
	ds_store_2addr_b32 v35, v136, v132 offset1:16
	v_add_nc_u32_e32 v35, 0x1860, v63
	v_lshrrev_b16 v140, 8, v140
	v_lshrrev_b16 v156, 8, v168
	v_lshrrev_b16 v141, 8, v141
	v_add_nc_u16 v183, v183, 0xe000
	v_or_b32_e32 v16, v16, v154
	v_or_b32_e32 v134, v134, v155
	ds_store_2addr_b32 v35, v133, v15 offset1:16
	v_add_nc_u32_e32 v15, 0x2080, v63
	v_or_b32_e32 v140, v169, v140
	v_or_b32_e32 v156, v182, v156
	v_lshrrev_b16 v132, 8, v183
	s_waitcnt vmcnt(14)
	v_and_b32_e32 v133, 0xf0f0f0f, v6
	ds_store_2addr_b32 v15, v16, v134 offset1:16
	v_or_b32_e32 v15, v171, v141
	v_and_b32_e32 v16, 0x3f00, v170
	v_add_nc_u16 v140, v140, 0xe000
	v_add_nc_u16 v156, v156, 0xe000
	v_lshlrev_b32_e32 v134, 4, v151
	v_add_nc_u16 v137, v15, 0xe000
	v_or_b32_e32 v132, v16, v132
	v_mad_u64_u32 v[15:16], null, 0xd2, v83, v[3:4]
	v_and_b32_e32 v135, 0xffff, v140
	v_lshlrev_b32_e32 v136, 16, v156
	v_and_or_b32 v134, 0x30303030, v134, v133
	v_add_nc_u32_e32 v35, 0x28a0, v63
	v_lshrrev_b32_e32 v6, 4, v6
	v_and_b32_e32 v140, 0x30303030, v151
	v_or_b32_e32 v135, v135, v136
	v_and_b32_e32 v136, 0xffff, v137
	v_add_nc_u16 v137, v132, 0xe000
	v_add_co_u32 v132, vcc_lo, v15, v54
	v_add_co_ci_u32_e32 v133, vcc_lo, 0, v16, vcc_lo
	v_add_co_u32 v15, vcc_lo, v15, v65
	v_add_co_ci_u32_e32 v16, vcc_lo, 0, v16, vcc_lo
	s_clause 0x1
	global_load_b32 v142, v[132:133], off
	global_load_b32 v143, v[15:16], off offset:128
	v_lshlrev_b32_e32 v15, 16, v137
	v_lshrrev_b32_e32 v138, 16, v134
	v_and_or_b32 v6, 0xf0f0f0f, v6, v140
	v_lshlrev_b16 v139, 8, v134
	v_and_b32_e32 v132, 0x3f00, v134
	v_or_b32_e32 v15, v136, v15
	v_lshlrev_b16 v141, 8, v138
	v_and_b32_e32 v134, 0x3f00, v138
	v_lshlrev_b16 v136, 8, v6
	v_add_nc_u16 v139, v139, 0xe000
	ds_store_2addr_b32 v35, v135, v15 offset1:16
	scratch_load_b32 v35, off, off offset:8 ; 4-byte Folded Reload
	v_add_nc_u16 v16, v141, 0xe000
	v_add_nc_u16 v15, v136, 0xe000
	v_lshrrev_b16 v133, 8, v139
	v_lshrrev_b32_e32 v137, 16, v6
	v_and_b32_e32 v6, 0x3f00, v6
	v_lshrrev_b16 v16, 8, v16
	v_lshrrev_b16 v135, 8, v15
	s_waitcnt vmcnt(15)
	v_ashrrev_i32_e32 v136, v66, v162
	v_or_b32_e32 v132, v132, v133
	v_lshlrev_b16 v133, 8, v137
	v_or_b32_e32 v16, v134, v16
	v_or_b32_e32 v6, v6, v135
	v_and_b32_e32 v135, 0x3f00, v137
	v_and_b32_e32 v137, 0xf0f0f0f, v161
	v_lshlrev_b32_e32 v138, 4, v136
	v_add_nc_u16 v134, v16, 0xe000
	v_add_nc_u16 v133, v133, 0xe000
	v_lshrrev_b32_e32 v139, 4, v161
	v_add_nc_u16 v132, v132, 0xe000
	v_add_nc_u16 v6, v6, 0xe000
	v_lshlrev_b32_e32 v134, 16, v134
	v_lshrrev_b16 v133, 8, v133
	s_waitcnt vmcnt(9)
	v_ashrrev_i32_e32 v13, v66, v13
	v_and_b32_e32 v132, 0xffff, v132
	v_and_b32_e32 v6, 0xffff, v6
	s_waitcnt vmcnt(7)
	v_ashrrev_i32_e32 v11, v66, v11
	s_waitcnt vmcnt(5)
	v_ashrrev_i32_e32 v9, v66, v9
	;; [unrolled: 2-line block ×3, first 2 shown]
	v_or_b32_e32 v134, v132, v134
	s_waitcnt vmcnt(0)
	v_mad_u64_u32 v[15:16], null, 0xd2, v35, v[3:4]
	s_delay_alu instid0(VALU_DEP_1) | instskip(NEXT) | instid1(VALU_DEP_2)
	v_add_co_u32 v3, vcc_lo, v15, v54
	v_add_co_ci_u32_e32 v4, vcc_lo, 0, v16, vcc_lo
	v_add_co_u32 v15, vcc_lo, v15, v65
	v_add_co_ci_u32_e32 v16, vcc_lo, 0, v16, vcc_lo
	s_clause 0x1
	global_load_b32 v140, v[3:4], off
	global_load_b32 v141, v[15:16], off offset:128
	v_and_or_b32 v4, 0x30303030, v138, v137
	v_and_b32_e32 v3, 0x30303030, v136
	v_or_b32_e32 v15, v135, v133
	scratch_load_b32 v35, off, off offset:20 ; 4-byte Folded Reload
	v_and_b32_e32 v138, 0xf0f0f0f, v147
	v_lshrrev_b32_e32 v16, 16, v4
	v_and_or_b32 v3, 0xf0f0f0f, v139, v3
	v_lshlrev_b16 v132, 8, v4
	v_add_nc_u16 v15, v15, 0xe000
	v_and_b32_e32 v4, 0x3f00, v4
	v_lshlrev_b16 v135, 8, v16
	v_lshrrev_b32_e32 v133, 16, v3
	v_and_b32_e32 v16, 0x3f00, v16
	v_add_nc_u16 v132, v132, 0xe000
	v_lshlrev_b32_e32 v15, 16, v15
	v_add_nc_u16 v135, v135, 0xe000
	v_lshlrev_b16 v137, 8, v133
	v_and_b32_e32 v133, 0x3f00, v133
	v_lshrrev_b16 v132, 8, v132
	v_or_b32_e32 v6, v6, v15
	v_lshrrev_b16 v135, 8, v135
	v_add_nc_u16 v137, v137, 0xe000
	v_lshlrev_b16 v136, 8, v3
	v_or_b32_e32 v4, v4, v132
	v_and_b32_e32 v3, 0x3f00, v3
	v_or_b32_e32 v16, v16, v135
	v_lshrrev_b16 v137, 8, v137
	v_add_nc_u16 v136, v136, 0xe000
	v_add_nc_u16 v4, v4, 0xe000
	v_ashrrev_i32_e32 v135, v66, v148
	v_add_nc_u16 v15, v16, 0xe000
	v_or_b32_e32 v132, v133, v137
	v_lshrrev_b16 v136, 8, v136
	s_delay_alu instid0(VALU_DEP_4) | instskip(NEXT) | instid1(VALU_DEP_4)
	v_lshlrev_b32_e32 v139, 4, v135
	v_lshlrev_b32_e32 v133, 16, v15
	scratch_load_b32 v15, off, off offset:12 ; 4-byte Folded Reload
	v_or_b32_e32 v3, v3, v136
	v_add_nc_u16 v16, v132, 0xe000
	v_and_b32_e32 v132, 0xffff, v4
	v_and_b32_e32 v135, 0x30303030, v135
	s_delay_alu instid0(VALU_DEP_4) | instskip(NEXT) | instid1(VALU_DEP_4)
	v_add_nc_u16 v3, v3, 0xe000
	v_lshlrev_b32_e32 v137, 16, v16
	s_delay_alu instid0(VALU_DEP_4) | instskip(NEXT) | instid1(VALU_DEP_3)
	v_or_b32_e32 v144, v132, v133
	v_and_b32_e32 v136, 0xffff, v3
	s_delay_alu instid0(VALU_DEP_1) | instskip(SKIP_2) | instid1(VALU_DEP_1)
	v_or_b32_e32 v136, v136, v137
	v_and_or_b32 v137, 0x30303030, v139, v138
	v_lshrrev_b32_e32 v139, 4, v147
	v_and_or_b32 v135, 0xf0f0f0f, v139, v135
	s_waitcnt vmcnt(0)
	v_mad_u64_u32 v[3:4], null, 0xd2, v15, s[0:1]
	v_add_co_u32 v15, s0, s0, v90
	s_delay_alu instid0(VALU_DEP_1) | instskip(SKIP_2) | instid1(VALU_DEP_1)
	v_add_co_ci_u32_e64 v16, null, s1, 0, s0
	s_lshl_b32 s0, s13, 3
	s_mov_b32 s1, -1
	v_mad_u64_u32 v[132:133], null, 0xd2, v35, v[15:16]
	global_load_u16 v138, v[3:4], off offset:208
	scratch_load_b32 v35, off, off offset:28 ; 4-byte Folded Reload
	global_load_b32 v133, v[132:133], off offset:192
	s_waitcnt vmcnt(1)
	v_mad_u64_u32 v[3:4], null, 0xd2, v35, v[15:16]
	v_lshlrev_b16 v15, 8, v137
	v_lshrrev_b32_e32 v16, 16, v137
	v_add_nc_u32_e32 v35, 0x30c0, v63
	s_delay_alu instid0(VALU_DEP_3)
	v_add_nc_u16 v15, v15, 0xe000
	global_load_b32 v3, v[3:4], off offset:192
	v_lshlrev_b16 v132, 8, v16
	v_and_b32_e32 v4, 0x3f00, v137
	ds_store_2addr_b32 v35, v134, v6 offset1:16
	v_lshrrev_b16 v15, 8, v15
	v_add_nc_u32_e32 v35, 0x38e0, v63
	v_add_nc_u16 v6, v132, 0xe000
	v_lshrrev_b32_e32 v132, 16, v135
	s_delay_alu instid0(VALU_DEP_4)
	v_or_b32_e32 v4, v4, v15
	ds_store_2addr_b32 v35, v144, v136 offset1:16
	v_and_b32_e32 v15, 0x3f00, v16
	v_lshrrev_b16 v6, 8, v6
	v_lshlrev_b16 v16, 8, v135
	v_lshlrev_b16 v134, 8, v132
	v_ashrrev_i32_e32 v136, v66, v149
	v_and_b32_e32 v135, 0x3f00, v135
	v_or_b32_e32 v6, v15, v6
	v_add_nc_u16 v15, v16, 0xe000
	v_add_nc_u16 v16, v134, 0xe000
	v_and_b32_e32 v134, 0xf0f0f0f, v14
	v_lshlrev_b32_e32 v137, 4, v136
	v_and_b32_e32 v132, 0x3f00, v132
	v_lshrrev_b16 v15, 8, v15
	v_lshrrev_b16 v16, 8, v16
	v_add_nc_u16 v4, v4, 0xe000
	v_and_or_b32 v134, 0x30303030, v137, v134
	v_add_nc_u16 v6, v6, 0xe000
	v_or_b32_e32 v15, v135, v15
	v_or_b32_e32 v16, v132, v16
	v_lshrrev_b32_e32 v14, 4, v14
	v_lshlrev_b16 v132, 8, v134
	v_lshrrev_b32_e32 v135, 16, v134
	v_add_nc_u16 v15, v15, 0xe000
	v_add_nc_u16 v16, v16, 0xe000
	v_and_b32_e32 v136, 0x30303030, v136
	v_add_nc_u16 v132, v132, 0xe000
	v_lshlrev_b16 v137, 8, v135
	v_and_b32_e32 v134, 0x3f00, v134
	v_and_b32_e32 v4, 0xffff, v4
	v_lshlrev_b32_e32 v6, 16, v6
	v_lshrrev_b16 v132, 8, v132
	v_add_nc_u16 v137, v137, 0xe000
	v_and_b32_e32 v15, 0xffff, v15
	v_lshlrev_b32_e32 v16, 16, v16
	v_and_or_b32 v14, 0xf0f0f0f, v14, v136
	v_or_b32_e32 v132, v134, v132
	v_and_b32_e32 v134, 0x3f00, v135
	v_lshrrev_b16 v135, 8, v137
	v_or_b32_e32 v4, v4, v6
	v_lshrrev_b32_e32 v6, 16, v14
	v_or_b32_e32 v15, v15, v16
	v_add_nc_u16 v132, v132, 0xe000
	v_or_b32_e32 v16, v134, v135
	v_lshlrev_b16 v134, 8, v14
	v_lshlrev_b16 v135, 8, v6
	v_and_b32_e32 v136, 0xf0f0f0f, v12
	v_lshlrev_b32_e32 v137, 4, v13
	v_add_nc_u16 v16, v16, 0xe000
	v_add_nc_u16 v134, v134, 0xe000
	v_and_b32_e32 v132, 0xffff, v132
	v_add_nc_u16 v135, v135, 0xe000
	v_and_b32_e32 v14, 0x3f00, v14
	v_and_or_b32 v136, 0x30303030, v137, v136
	v_lshrrev_b16 v134, 8, v134
	v_lshlrev_b32_e32 v16, 16, v16
	v_add_nc_u32_e32 v35, 0x4100, v63
	v_and_b32_e32 v6, 0x3f00, v6
	v_lshrrev_b16 v135, 8, v135
	v_lshrrev_b32_e32 v12, 4, v12
	v_and_b32_e32 v13, 0x30303030, v13
	ds_store_2addr_b32 v35, v4, v15 offset1:16
	v_or_b32_e32 v4, v14, v134
	v_lshlrev_b16 v14, 8, v136
	v_or_b32_e32 v15, v132, v16
	v_lshrrev_b32_e32 v16, 16, v136
	v_or_b32_e32 v6, v6, v135
	v_add_nc_u16 v4, v4, 0xe000
	v_add_nc_u16 v14, v14, 0xe000
	v_and_b32_e32 v134, 0x3f00, v136
	v_lshlrev_b16 v132, 8, v16
	v_add_nc_u16 v6, v6, 0xe000
	v_and_or_b32 v12, 0xf0f0f0f, v12, v13
	v_lshrrev_b16 v14, 8, v14
	v_and_b32_e32 v4, 0xffff, v4
	v_add_nc_u16 v132, v132, 0xe000
	v_lshlrev_b32_e32 v6, 16, v6
	v_add_nc_u32_e32 v35, 0x4920, v63
	v_or_b32_e32 v13, v134, v14
	v_and_b32_e32 v14, 0x3f00, v16
	v_lshrrev_b16 v16, 8, v132
	v_lshrrev_b32_e32 v132, 16, v12
	v_or_b32_e32 v4, v4, v6
	v_lshlrev_b16 v6, 8, v12
	v_add_nc_u16 v13, v13, 0xe000
	v_or_b32_e32 v14, v14, v16
	v_lshlrev_b16 v16, 8, v132
	ds_store_2addr_b32 v35, v15, v4 offset1:16
	v_add_nc_u16 v4, v6, 0xe000
	v_and_b32_e32 v6, 0xffff, v13
	v_add_nc_u16 v13, v14, 0xe000
	v_add_nc_u16 v14, v16, 0xe000
	v_and_b32_e32 v12, 0x3f00, v12
	v_lshrrev_b16 v4, 8, v4
	v_and_b32_e32 v15, 0x3f00, v132
	v_and_b32_e32 v16, 0xf0f0f0f, v10
	v_lshrrev_b16 v14, 8, v14
	v_lshlrev_b32_e32 v132, 4, v11
	v_lshrrev_b32_e32 v10, 4, v10
	v_and_b32_e32 v11, 0x30303030, v11
	v_or_b32_e32 v4, v12, v4
	v_or_b32_e32 v12, v15, v14
	v_and_or_b32 v14, 0x30303030, v132, v16
	v_lshlrev_b32_e32 v13, 16, v13
	v_and_or_b32 v10, 0xf0f0f0f, v10, v11
	v_add_nc_u16 v4, v4, 0xe000
	v_add_nc_u16 v12, v12, 0xe000
	v_lshrrev_b32_e32 v11, 16, v14
	v_or_b32_e32 v6, v6, v13
	v_lshrrev_b32_e32 v15, 16, v10
	v_lshlrev_b16 v13, 8, v14
	v_lshlrev_b16 v132, 8, v10
	;; [unrolled: 1-line block ×3, first 2 shown]
	v_and_b32_e32 v14, 0x3f00, v14
	v_lshlrev_b16 v134, 8, v15
	v_add_nc_u16 v13, v13, 0xe000
	v_add_nc_u16 v132, v132, 0xe000
	;; [unrolled: 1-line block ×3, first 2 shown]
	v_and_b32_e32 v11, 0x3f00, v11
	v_add_nc_u16 v134, v134, 0xe000
	v_lshrrev_b16 v13, 8, v13
	v_and_b32_e32 v15, 0x3f00, v15
	v_lshrrev_b16 v16, 8, v16
	v_and_b32_e32 v10, 0x3f00, v10
	v_lshrrev_b16 v134, 8, v134
	v_lshrrev_b16 v132, 8, v132
	v_or_b32_e32 v13, v14, v13
	v_or_b32_e32 v11, v11, v16
	v_lshlrev_b32_e32 v16, 4, v9
	v_or_b32_e32 v14, v15, v134
	v_and_b32_e32 v15, 0xf0f0f0f, v8
	v_or_b32_e32 v10, v10, v132
	v_add_nc_u16 v13, v13, 0xe000
	v_add_nc_u16 v11, v11, 0xe000
	v_and_b32_e32 v4, 0xffff, v4
	v_and_or_b32 v15, 0x30303030, v16, v15
	v_lshlrev_b32_e32 v12, 16, v12
	v_add_nc_u16 v10, v10, 0xe000
	v_add_nc_u16 v14, v14, 0xe000
	v_and_b32_e32 v13, 0xffff, v13
	v_lshlrev_b32_e32 v11, 16, v11
	v_lshlrev_b16 v16, 8, v15
	v_and_b32_e32 v10, 0xffff, v10
	v_lshlrev_b32_e32 v14, 16, v14
	v_or_b32_e32 v4, v4, v12
	v_or_b32_e32 v11, v13, v11
	v_lshrrev_b32_e32 v12, 16, v15
	v_add_nc_u16 v13, v16, 0xe000
	v_lshrrev_b32_e32 v8, 4, v8
	v_and_b32_e32 v9, 0x30303030, v9
	v_add_nc_u32_e32 v16, 0x5140, v63
	v_or_b32_e32 v10, v10, v14
	v_lshlrev_b16 v14, 8, v12
	v_and_b32_e32 v15, 0x3f00, v15
	v_lshrrev_b16 v13, 8, v13
	ds_store_2addr_b32 v16, v6, v4 offset1:16
	v_and_or_b32 v4, 0xf0f0f0f, v8, v9
	v_add_nc_u32_e32 v8, 0x5960, v63
	v_add_nc_u16 v6, v14, 0xe000
	v_and_b32_e32 v9, 0x3f00, v12
	ds_store_2addr_b32 v8, v11, v10 offset1:16
	v_lshrrev_b32_e32 v10, 16, v4
	v_lshrrev_b16 v6, 8, v6
	v_lshlrev_b16 v11, 8, v4
	v_or_b32_e32 v8, v15, v13
	v_lshlrev_b32_e32 v13, 4, v7
	v_lshlrev_b16 v12, 8, v10
	v_or_b32_e32 v6, v9, v6
	v_add_nc_u16 v9, v11, 0xe000
	v_and_b32_e32 v11, 0xf0f0f0f, v5
	v_and_b32_e32 v4, 0x3f00, v4
	v_add_nc_u16 v12, v12, 0xe000
	v_and_b32_e32 v10, 0x3f00, v10
	v_lshrrev_b16 v9, 8, v9
	v_and_or_b32 v11, 0x30303030, v13, v11
	v_lshrrev_b32_e32 v5, 4, v5
	v_lshrrev_b16 v12, 8, v12
	v_and_b32_e32 v7, 0x30303030, v7
	v_or_b32_e32 v4, v4, v9
	v_lshrrev_b32_e32 v9, 16, v11
	v_add_nc_u16 v8, v8, 0xe000
	v_or_b32_e32 v10, v10, v12
	v_lshlrev_b16 v12, 8, v11
	v_add_nc_u16 v4, v4, 0xe000
	v_lshlrev_b16 v13, 8, v9
	v_and_b32_e32 v11, 0x3f00, v11
	v_add_nc_u16 v10, v10, 0xe000
	v_add_nc_u16 v12, v12, 0xe000
	v_and_or_b32 v5, 0xf0f0f0f, v5, v7
	v_add_nc_u16 v13, v13, 0xe000
	v_add_nc_u16 v6, v6, 0xe000
	v_and_b32_e32 v9, 0x3f00, v9
	v_lshrrev_b16 v12, 8, v12
	v_and_b32_e32 v4, 0xffff, v4
	v_lshrrev_b16 v7, 8, v13
	v_lshlrev_b32_e32 v10, 16, v10
	v_and_b32_e32 v8, 0xffff, v8
	v_or_b32_e32 v11, v11, v12
	v_lshlrev_b16 v12, 8, v5
	v_lshlrev_b32_e32 v6, 16, v6
	v_or_b32_e32 v7, v9, v7
	v_or_b32_e32 v4, v4, v10
	v_ashrrev_i32_e32 v10, v66, v143
	v_add_nc_u16 v9, v12, 0xe000
	v_or_b32_e32 v6, v8, v6
	v_add_nc_u16 v8, v11, 0xe000
	v_add_nc_u16 v7, v7, 0xe000
	v_lshrrev_b32_e32 v11, 16, v5
	v_and_b32_e32 v5, 0x3f00, v5
	v_lshrrev_b16 v9, 8, v9
	v_and_b32_e32 v12, 0xf0f0f0f, v142
	v_lshlrev_b32_e32 v13, 4, v10
	v_and_b32_e32 v8, 0xffff, v8
	v_lshlrev_b32_e32 v7, 16, v7
	v_or_b32_e32 v5, v5, v9
	v_lshlrev_b16 v9, 8, v11
	v_and_or_b32 v12, 0x30303030, v13, v12
	v_add_nc_u32_e32 v13, 0x6180, v63
	v_lshrrev_b32_e32 v15, 4, v140
	v_add_nc_u16 v5, v5, 0xe000
	ds_store_2addr_b32 v13, v6, v4 offset1:16
	v_or_b32_e32 v4, v8, v7
	v_add_nc_u16 v6, v9, 0xe000
	v_lshlrev_b16 v7, 8, v12
	v_lshrrev_b32_e32 v8, 4, v142
	v_and_b32_e32 v9, 0x30303030, v10
	v_and_b32_e32 v10, 0x3f00, v11
	v_lshrrev_b32_e32 v11, 16, v12
	v_add_nc_u16 v7, v7, 0xe000
	v_lshrrev_b16 v6, 8, v6
	v_and_or_b32 v8, 0xf0f0f0f, v8, v9
	v_and_b32_e32 v9, 0x3f00, v12
	v_lshlrev_b16 v12, 8, v11
	v_lshrrev_b16 v7, 8, v7
	v_or_b32_e32 v6, v10, v6
	v_lshlrev_b16 v10, 8, v8
	v_and_b32_e32 v5, 0xffff, v5
	v_add_nc_u16 v12, v12, 0xe000
	v_or_b32_e32 v7, v9, v7
	v_add_nc_u16 v6, v6, 0xe000
	v_add_nc_u16 v9, v10, 0xe000
	v_and_b32_e32 v10, 0x3f00, v11
	v_lshrrev_b16 v11, 8, v12
	v_and_b32_e32 v12, 0x3f00, v8
	v_lshrrev_b32_e32 v8, 16, v8
	v_lshrrev_b16 v9, 8, v9
	v_add_nc_u16 v7, v7, 0xe000
	v_or_b32_e32 v10, v10, v11
	v_ashrrev_i32_e32 v11, v66, v141
	v_lshlrev_b16 v14, 8, v8
	v_or_b32_e32 v9, v12, v9
	v_and_b32_e32 v12, 0xf0f0f0f, v140
	v_and_b32_e32 v8, 0x3f00, v8
	v_lshlrev_b32_e32 v13, 4, v11
	v_and_b32_e32 v11, 0x30303030, v11
	v_add_nc_u16 v10, v10, 0xe000
	v_lshlrev_b32_e32 v6, 16, v6
	v_and_b32_e32 v7, 0xffff, v7
	v_and_or_b32 v12, 0x30303030, v13, v12
	v_and_or_b32 v11, 0xf0f0f0f, v15, v11
	v_add_nc_u16 v13, v14, 0xe000
	v_add_nc_u16 v9, v9, 0xe000
	v_lshlrev_b32_e32 v10, 16, v10
	v_lshrrev_b32_e32 v14, 16, v12
	v_lshrrev_b32_e32 v16, 16, v11
	v_lshlrev_b16 v15, 8, v12
	v_lshlrev_b16 v134, 8, v11
	v_lshrrev_b16 v13, 8, v13
	v_lshlrev_b16 v132, 8, v14
	v_lshlrev_b16 v135, 8, v16
	v_add_nc_u16 v15, v15, 0xe000
	v_add_nc_u16 v134, v134, 0xe000
	v_and_b32_e32 v12, 0x3f00, v12
	v_add_nc_u16 v132, v132, 0xe000
	v_add_nc_u16 v135, v135, 0xe000
	v_lshrrev_b16 v15, 8, v15
	v_and_b32_e32 v14, 0x3f00, v14
	v_and_b32_e32 v11, 0x3f00, v11
	v_lshrrev_b16 v132, 8, v132
	v_lshrrev_b16 v134, 8, v134
	v_and_b32_e32 v16, 0x3f00, v16
	v_lshrrev_b16 v135, 8, v135
	v_or_b32_e32 v8, v8, v13
	v_or_b32_e32 v12, v12, v15
	;; [unrolled: 1-line block ×5, first 2 shown]
	v_add_nc_u16 v8, v8, 0xe000
	v_and_b32_e32 v9, 0xffff, v9
	v_add_nc_u16 v12, v12, 0xe000
	v_add_nc_u16 v13, v13, 0xe000
	;; [unrolled: 1-line block ×4, first 2 shown]
	v_lshlrev_b32_e32 v8, 16, v8
	v_or_b32_e32 v5, v5, v6
	v_or_b32_e32 v6, v7, v10
	v_add_nc_u32_e32 v10, 0x69a0, v63
	v_and_b32_e32 v12, 0xffff, v12
	v_lshlrev_b32_e32 v13, 16, v13
	v_and_b32_e32 v11, 0xffff, v11
	v_lshlrev_b32_e32 v14, 16, v14
	v_or_b32_e32 v7, v9, v8
	ds_store_2addr_b32 v10, v4, v5 offset1:16
	v_add_nc_u32_e32 v5, 0x71c0, v63
	v_or_b32_e32 v8, v12, v13
	v_or_b32_e32 v9, v11, v14
	v_cvt_f32_f16_e64 v4, v138
	v_add_nc_u32_e32 v132, s0, v2
	ds_store_2addr_b32 v5, v6, v7 offset1:16
	v_add_nc_u32_e32 v5, 0x79e0, v63
	ds_store_2addr_b32 v5, v8, v9 offset1:16
	scratch_load_b32 v5, off, off offset:16 ; 4-byte Folded Reload
	s_waitcnt vmcnt(0)
	ds_store_b32 v5, v4
	scratch_load_b32 v4, off, off offset:24 ; 4-byte Folded Reload
	s_waitcnt vmcnt(0)
	ds_store_b32 v4, v133
	ds_store_b32 v95, v3
.LBB175_6:                              ;   Parent Loop BB175_5 Depth=1
                                        ; =>  This Loop Header: Depth=2
                                        ;       Child Loop BB175_7 Depth 3
	v_lshl_add_u32 v3, s14, 5, v36
	v_lshl_add_u32 v16, s14, 2, v132
	s_lshl_b32 s14, s14, 4
	s_xor_b32 s1, s1, -1
	s_add_i32 s15, s14, 16
	v_lshrrev_b32_e32 v3, 3, v3
	s_delay_alu instid0(VALU_DEP_1) | instskip(NEXT) | instid1(VALU_DEP_1)
	v_add_nc_u32_e32 v15, s0, v3
	v_add_nc_u32_e32 v5, v15, v99
	;; [unrolled: 1-line block ×7, first 2 shown]
	v_mad_i64_i32 v[3:4], null, v5, 36, v[0:1]
	v_mad_i64_i32 v[5:6], null, v7, 36, v[0:1]
	;; [unrolled: 1-line block ×5, first 2 shown]
	v_mad_u64_u32 v[13:14], null, v16, 36, s[2:3]
	v_add_nc_u32_e32 v135, v15, v116
	v_add_nc_u32_e32 v137, v15, v118
	v_mad_i64_i32 v[15:16], null, v133, 36, v[0:1]
	s_delay_alu instid0(VALU_DEP_3) | instskip(NEXT) | instid1(VALU_DEP_3)
	v_mad_i64_i32 v[133:134], null, v135, 36, v[0:1]
	v_mad_i64_i32 v[135:136], null, v137, 36, v[0:1]
	s_clause 0x8
	global_load_b32 v13, v[13:14], off
	global_load_b32 v5, v[5:6], off offset:4
	global_load_b32 v6, v[7:8], off offset:4
	;; [unrolled: 1-line block ×8, first 2 shown]
	s_waitcnt vmcnt(8)
	v_cvt_f32_f16_e32 v4, v13
	s_waitcnt vmcnt(7)
	ds_store_b32 v103, v5
	s_waitcnt vmcnt(6)
	ds_store_b32 v106, v6
	;; [unrolled: 2-line block ×8, first 2 shown]
	ds_store_b32 v97, v4
	s_waitcnt lgkmcnt(0)
	s_waitcnt_vscnt null, 0x0
	s_barrier
	buffer_gl0_inv
	ds_load_b32 v133, v120
	ds_load_b32 v134, v121 offset:128
	ds_load_b32 v135, v122 offset:256
	;; [unrolled: 1-line block ×3, first 2 shown]
.LBB175_7:                              ;   Parent Loop BB175_5 Depth=1
                                        ;     Parent Loop BB175_6 Depth=2
                                        ; =>    This Inner Loop Header: Depth=3
	s_lshl_b32 s16, s14, 1
	s_lshl_b32 s17, s14, 3
	s_and_b32 s16, s16, 16
	v_add_nc_u32_e32 v138, s17, v125
	v_or_b32_e32 v137, s16, v47
	v_add_nc_u32_e32 v175, s17, v127
	v_add_nc_u32_e32 v176, s17, v129
	;; [unrolled: 1-line block ×3, first 2 shown]
	s_delay_alu instid0(VALU_DEP_4)
	v_lshlrev_b32_e32 v174, 2, v137
	v_lshrrev_b32_e32 v137, 1, v137
	ds_load_2addr_b32 v[3:4], v138 offset0:14 offset1:15
	ds_load_b128 v[139:142], v174 offset:33328
	ds_load_2addr_b32 v[187:188], v138 offset0:12 offset1:13
	ds_load_2addr_b32 v[15:16], v175 offset0:12 offset1:13
	;; [unrolled: 1-line block ×4, first 2 shown]
	s_waitcnt lgkmcnt(4)
	v_dot4_i32_iu8 v5, v3, v141, 0 neg_lo:[1,1,0]
	s_waitcnt lgkmcnt(3)
	s_delay_alu instid0(VALU_DEP_1) | instskip(SKIP_3) | instid1(VALU_DEP_1)
	v_dot4_i32_iu8 v143, v187, v139, v5 neg_lo:[1,1,0]
	ds_load_2addr_b32 v[5:6], v175 offset0:14 offset1:15
	s_waitcnt lgkmcnt(0)
	v_dot4_i32_iu8 v7, v5, v141, 0 neg_lo:[1,1,0]
	v_dot4_i32_iu8 v144, v15, v139, v7 neg_lo:[1,1,0]
	ds_load_2addr_b32 v[7:8], v176 offset0:14 offset1:15
	s_waitcnt lgkmcnt(0)
	v_dot4_i32_iu8 v9, v7, v141, 0 neg_lo:[1,1,0]
	s_delay_alu instid0(VALU_DEP_1) | instskip(SKIP_3) | instid1(VALU_DEP_1)
	v_dot4_i32_iu8 v145, v13, v139, v9 neg_lo:[1,1,0]
	ds_load_2addr_b32 v[9:10], v177 offset0:14 offset1:15
	s_waitcnt lgkmcnt(0)
	v_dot4_i32_iu8 v141, v9, v141, 0 neg_lo:[1,1,0]
	v_dot4_i32_iu8 v139, v11, v139, v141 neg_lo:[1,1,0]
	;; [unrolled: 1-line block ×5, first 2 shown]
	s_delay_alu instid0(VALU_DEP_4) | instskip(NEXT) | instid1(VALU_DEP_4)
	v_dot4_i32_iu8 v139, v12, v140, v139 neg_lo:[1,1,0]
	v_dot4_i32_iu8 v169, v4, v142, v141 neg_lo:[1,1,0]
	s_delay_alu instid0(VALU_DEP_4) | instskip(NEXT) | instid1(VALU_DEP_4)
	v_dot4_i32_iu8 v165, v6, v142, v143 neg_lo:[1,1,0]
	v_dot4_i32_iu8 v162, v8, v142, v144 neg_lo:[1,1,0]
	s_delay_alu instid0(VALU_DEP_4) | instskip(SKIP_1) | instid1(VALU_DEP_1)
	v_dot4_i32_iu8 v161, v10, v142, v139 neg_lo:[1,1,0]
	v_or_b32_e32 v139, s16, v96
	v_lshlrev_b32_e32 v178, 2, v139
	ds_load_b128 v[143:146], v178 offset:33328
	s_waitcnt lgkmcnt(0)
	v_dot4_i32_iu8 v140, v145, v3, 0 neg_lo:[1,1,0]
	v_dot4_i32_iu8 v141, v145, v5, 0 neg_lo:[1,1,0]
	v_dot4_i32_iu8 v142, v145, v7, 0 neg_lo:[1,1,0]
	v_dot4_i32_iu8 v145, v145, v9, 0 neg_lo:[1,1,0]
	s_delay_alu instid0(VALU_DEP_4) | instskip(NEXT) | instid1(VALU_DEP_4)
	v_dot4_i32_iu8 v140, v143, v187, v140 neg_lo:[1,1,0]
	v_dot4_i32_iu8 v141, v143, v15, v141 neg_lo:[1,1,0]
	s_delay_alu instid0(VALU_DEP_4) | instskip(NEXT) | instid1(VALU_DEP_4)
	v_dot4_i32_iu8 v142, v143, v13, v142 neg_lo:[1,1,0]
	v_dot4_i32_iu8 v143, v143, v11, v145 neg_lo:[1,1,0]
	s_delay_alu instid0(VALU_DEP_4) | instskip(NEXT) | instid1(VALU_DEP_4)
	v_dot4_i32_iu8 v140, v144, v188, v140 neg_lo:[1,1,0]
	v_dot4_i32_iu8 v141, v144, v16, v141 neg_lo:[1,1,0]
	s_delay_alu instid0(VALU_DEP_4) | instskip(NEXT) | instid1(VALU_DEP_4)
	v_dot4_i32_iu8 v142, v144, v14, v142 neg_lo:[1,1,0]
	v_dot4_i32_iu8 v147, v144, v12, v143 neg_lo:[1,1,0]
	s_delay_alu instid0(VALU_DEP_4) | instskip(SKIP_4) | instid1(VALU_DEP_4)
	v_dot4_i32_iu8 v145, v146, v4, v140 neg_lo:[1,1,0]
	v_or_b32_e32 v140, s16, v98
	v_dot4_i32_iu8 v144, v146, v6, v141 neg_lo:[1,1,0]
	v_dot4_i32_iu8 v143, v146, v8, v142 neg_lo:[1,1,0]
	v_dot4_i32_iu8 v142, v146, v10, v147 neg_lo:[1,1,0]
	v_lshlrev_b32_e32 v179, 2, v140
	ds_load_b128 v[148:151], v179 offset:33328
	s_waitcnt lgkmcnt(0)
	v_dot4_i32_iu8 v141, v150, v3, 0 neg_lo:[1,1,0]
	v_dot4_i32_iu8 v146, v150, v5, 0 neg_lo:[1,1,0]
	v_dot4_i32_iu8 v147, v150, v7, 0 neg_lo:[1,1,0]
	v_dot4_i32_iu8 v150, v150, v9, 0 neg_lo:[1,1,0]
	s_delay_alu instid0(VALU_DEP_4) | instskip(NEXT) | instid1(VALU_DEP_4)
	v_dot4_i32_iu8 v141, v148, v187, v141 neg_lo:[1,1,0]
	v_dot4_i32_iu8 v146, v148, v15, v146 neg_lo:[1,1,0]
	s_delay_alu instid0(VALU_DEP_4) | instskip(NEXT) | instid1(VALU_DEP_4)
	v_dot4_i32_iu8 v147, v148, v13, v147 neg_lo:[1,1,0]
	v_dot4_i32_iu8 v148, v148, v11, v150 neg_lo:[1,1,0]
	s_delay_alu instid0(VALU_DEP_4) | instskip(NEXT) | instid1(VALU_DEP_4)
	v_dot4_i32_iu8 v141, v149, v188, v141 neg_lo:[1,1,0]
	v_dot4_i32_iu8 v146, v149, v16, v146 neg_lo:[1,1,0]
	s_delay_alu instid0(VALU_DEP_4) | instskip(NEXT) | instid1(VALU_DEP_4)
	v_dot4_i32_iu8 v147, v149, v14, v147 neg_lo:[1,1,0]
	v_dot4_i32_iu8 v152, v149, v12, v148 neg_lo:[1,1,0]
	s_delay_alu instid0(VALU_DEP_4) | instskip(SKIP_4) | instid1(VALU_DEP_4)
	v_dot4_i32_iu8 v150, v151, v4, v141 neg_lo:[1,1,0]
	v_or_b32_e32 v141, s16, v102
	v_dot4_i32_iu8 v149, v151, v6, v146 neg_lo:[1,1,0]
	v_dot4_i32_iu8 v148, v151, v8, v147 neg_lo:[1,1,0]
	v_dot4_i32_iu8 v147, v151, v10, v152 neg_lo:[1,1,0]
	;; [unrolled: 25-line block ×5, first 2 shown]
	v_lshlrev_b32_e32 v192, 2, v156
	ds_load_b128 v[183:186], v192 offset:33328
	s_waitcnt lgkmcnt(0)
	v_dot4_i32_iu8 v163, v185, v3, 0 neg_lo:[1,1,0]
	v_dot4_i32_iu8 v170, v185, v5, 0 neg_lo:[1,1,0]
	;; [unrolled: 1-line block ×4, first 2 shown]
	s_delay_alu instid0(VALU_DEP_4) | instskip(NEXT) | instid1(VALU_DEP_4)
	v_dot4_i32_iu8 v163, v183, v187, v163 neg_lo:[1,1,0]
	v_dot4_i32_iu8 v170, v183, v15, v170 neg_lo:[1,1,0]
	s_delay_alu instid0(VALU_DEP_4) | instskip(NEXT) | instid1(VALU_DEP_4)
	v_dot4_i32_iu8 v171, v183, v13, v171 neg_lo:[1,1,0]
	v_dot4_i32_iu8 v172, v183, v11, v172 neg_lo:[1,1,0]
	;; [unrolled: 3-line block ×4, first 2 shown]
	s_delay_alu instid0(VALU_DEP_4)
	v_dot4_i32_iu8 v173, v186, v4, v163 neg_lo:[1,1,0]
	v_or_b32_e32 v163, s16, v113
	v_dot4_i32_iu8 v172, v186, v6, v170 neg_lo:[1,1,0]
	v_dot4_i32_iu8 v171, v186, v8, v171 neg_lo:[1,1,0]
	v_dot4_i32_iu8 v170, v186, v10, v183 neg_lo:[1,1,0]
	s_lshr_b32 s16, s14, 1
	v_lshlrev_b32_e32 v202, 2, v163
	s_add_i32 s14, s14, 8
	s_delay_alu instid0(SALU_CYCLE_1)
	s_cmp_lt_u32 s14, s15
	ds_load_b128 v[183:186], v202 offset:33328
	s_waitcnt lgkmcnt(0)
	v_dot4_i32_iu8 v3, v185, v3, 0 neg_lo:[1,1,0]
	v_dot4_i32_iu8 v5, v185, v5, 0 neg_lo:[1,1,0]
	;; [unrolled: 1-line block ×4, first 2 shown]
	s_delay_alu instid0(VALU_DEP_4) | instskip(NEXT) | instid1(VALU_DEP_4)
	v_dot4_i32_iu8 v3, v183, v187, v3 neg_lo:[1,1,0]
	v_dot4_i32_iu8 v5, v183, v15, v5 neg_lo:[1,1,0]
	s_delay_alu instid0(VALU_DEP_4) | instskip(NEXT) | instid1(VALU_DEP_4)
	v_dot4_i32_iu8 v7, v183, v13, v7 neg_lo:[1,1,0]
	v_dot4_i32_iu8 v9, v183, v11, v9 neg_lo:[1,1,0]
	;; [unrolled: 3-line block ×6, first 2 shown]
	ds_load_2addr_b32 v[207:208], v138 offset0:10 offset1:11
	ds_load_b128 v[7:10], v174 offset:33312
	ds_load_2addr_b32 v[211:212], v175 offset0:10 offset1:11
	ds_load_2addr_b32 v[217:218], v176 offset0:8 offset1:9
	;; [unrolled: 1-line block ×7, first 2 shown]
	ds_load_b128 v[203:206], v202 offset:33312
	s_waitcnt lgkmcnt(8)
	v_dot4_i32_iu8 v11, v207, v9, 0 neg_lo:[1,1,0]
	s_waitcnt lgkmcnt(7)
	v_dot4_i32_iu8 v12, v211, v9, 0 neg_lo:[1,1,0]
	;; [unrolled: 2-line block ×6, first 2 shown]
	v_dot4_i32_iu8 v13, v217, v7, v13 neg_lo:[1,1,0]
	v_dot4_i32_iu8 v7, v221, v7, v9 neg_lo:[1,1,0]
	;; [unrolled: 1-line block ×3, first 2 shown]
	s_delay_alu instid0(VALU_DEP_4) | instskip(NEXT) | instid1(VALU_DEP_4)
	v_dot4_i32_iu8 v11, v214, v8, v12 neg_lo:[1,1,0]
	v_dot4_i32_iu8 v12, v218, v8, v13 neg_lo:[1,1,0]
	s_delay_alu instid0(VALU_DEP_4) | instskip(NEXT) | instid1(VALU_DEP_4)
	v_dot4_i32_iu8 v7, v222, v8, v7 neg_lo:[1,1,0]
	v_dot4_i32_iu8 v251, v208, v10, v9 neg_lo:[1,1,0]
	;; [unrolled: 3-line block ×3, first 2 shown]
	s_delay_alu instid0(VALU_DEP_4)
	v_dot4_i32_iu8 v254, v220, v10, v7 neg_lo:[1,1,0]
	ds_load_b128 v[7:10], v178 offset:33312
	s_waitcnt lgkmcnt(0)
	v_dot4_i32_iu8 v11, v9, v207, 0 neg_lo:[1,1,0]
	v_dot4_i32_iu8 v12, v9, v211, 0 neg_lo:[1,1,0]
	v_dot4_i32_iu8 v13, v9, v215, 0 neg_lo:[1,1,0]
	v_dot4_i32_iu8 v9, v9, v219, 0 neg_lo:[1,1,0]
	s_delay_alu instid0(VALU_DEP_4) | instskip(NEXT) | instid1(VALU_DEP_4)
	v_dot4_i32_iu8 v11, v7, v209, v11 neg_lo:[1,1,0]
	v_dot4_i32_iu8 v12, v7, v213, v12 neg_lo:[1,1,0]
	s_delay_alu instid0(VALU_DEP_4) | instskip(NEXT) | instid1(VALU_DEP_4)
	v_dot4_i32_iu8 v13, v7, v217, v13 neg_lo:[1,1,0]
	v_dot4_i32_iu8 v7, v7, v221, v9 neg_lo:[1,1,0]
	s_delay_alu instid0(VALU_DEP_4) | instskip(NEXT) | instid1(VALU_DEP_4)
	v_dot4_i32_iu8 v9, v8, v210, v11 neg_lo:[1,1,0]
	v_dot4_i32_iu8 v11, v8, v214, v12 neg_lo:[1,1,0]
	s_delay_alu instid0(VALU_DEP_4) | instskip(NEXT) | instid1(VALU_DEP_4)
	v_dot4_i32_iu8 v12, v8, v218, v13 neg_lo:[1,1,0]
	v_dot4_i32_iu8 v7, v8, v222, v7 neg_lo:[1,1,0]
	s_delay_alu instid0(VALU_DEP_4) | instskip(NEXT) | instid1(VALU_DEP_4)
	v_dot4_i32_iu8 v201, v10, v208, v9 neg_lo:[1,1,0]
	v_dot4_i32_iu8 v200, v10, v212, v11 neg_lo:[1,1,0]
	s_delay_alu instid0(VALU_DEP_4) | instskip(NEXT) | instid1(VALU_DEP_4)
	v_dot4_i32_iu8 v199, v10, v216, v12 neg_lo:[1,1,0]
	v_dot4_i32_iu8 v198, v10, v220, v7 neg_lo:[1,1,0]
	ds_load_b128 v[7:10], v179 offset:33312
	s_waitcnt lgkmcnt(0)
	v_dot4_i32_iu8 v11, v9, v207, 0 neg_lo:[1,1,0]
	v_dot4_i32_iu8 v12, v9, v211, 0 neg_lo:[1,1,0]
	v_dot4_i32_iu8 v13, v9, v215, 0 neg_lo:[1,1,0]
	v_dot4_i32_iu8 v9, v9, v219, 0 neg_lo:[1,1,0]
	s_delay_alu instid0(VALU_DEP_4) | instskip(NEXT) | instid1(VALU_DEP_4)
	v_dot4_i32_iu8 v11, v7, v209, v11 neg_lo:[1,1,0]
	v_dot4_i32_iu8 v12, v7, v213, v12 neg_lo:[1,1,0]
	s_delay_alu instid0(VALU_DEP_4) | instskip(NEXT) | instid1(VALU_DEP_4)
	v_dot4_i32_iu8 v13, v7, v217, v13 neg_lo:[1,1,0]
	v_dot4_i32_iu8 v7, v7, v221, v9 neg_lo:[1,1,0]
	s_delay_alu instid0(VALU_DEP_4) | instskip(NEXT) | instid1(VALU_DEP_4)
	v_dot4_i32_iu8 v9, v8, v210, v11 neg_lo:[1,1,0]
	v_dot4_i32_iu8 v11, v8, v214, v12 neg_lo:[1,1,0]
	s_delay_alu instid0(VALU_DEP_4) | instskip(NEXT) | instid1(VALU_DEP_4)
	v_dot4_i32_iu8 v12, v8, v218, v13 neg_lo:[1,1,0]
	v_dot4_i32_iu8 v7, v8, v222, v7 neg_lo:[1,1,0]
	s_delay_alu instid0(VALU_DEP_4) | instskip(NEXT) | instid1(VALU_DEP_4)
	v_dot4_i32_iu8 v197, v10, v208, v9 neg_lo:[1,1,0]
	v_dot4_i32_iu8 v196, v10, v212, v11 neg_lo:[1,1,0]
	s_delay_alu instid0(VALU_DEP_4) | instskip(NEXT) | instid1(VALU_DEP_4)
	v_dot4_i32_iu8 v195, v10, v216, v12 neg_lo:[1,1,0]
	;; [unrolled: 24-line block ×5, first 2 shown]
	v_dot4_i32_iu8 v15, v10, v220, v7 neg_lo:[1,1,0]
	ds_load_b128 v[7:10], v192 offset:33312
	s_waitcnt lgkmcnt(0)
	v_dot4_i32_iu8 v11, v9, v207, 0 neg_lo:[1,1,0]
	v_dot4_i32_iu8 v12, v9, v211, 0 neg_lo:[1,1,0]
	;; [unrolled: 1-line block ×4, first 2 shown]
	s_delay_alu instid0(VALU_DEP_4) | instskip(NEXT) | instid1(VALU_DEP_4)
	v_dot4_i32_iu8 v11, v7, v209, v11 neg_lo:[1,1,0]
	v_dot4_i32_iu8 v12, v7, v213, v12 neg_lo:[1,1,0]
	s_delay_alu instid0(VALU_DEP_4) | instskip(NEXT) | instid1(VALU_DEP_4)
	v_dot4_i32_iu8 v13, v7, v217, v13 neg_lo:[1,1,0]
	v_dot4_i32_iu8 v7, v7, v221, v9 neg_lo:[1,1,0]
	s_delay_alu instid0(VALU_DEP_4) | instskip(NEXT) | instid1(VALU_DEP_4)
	v_dot4_i32_iu8 v9, v8, v210, v11 neg_lo:[1,1,0]
	v_dot4_i32_iu8 v11, v8, v214, v12 neg_lo:[1,1,0]
	s_delay_alu instid0(VALU_DEP_4) | instskip(NEXT) | instid1(VALU_DEP_4)
	v_dot4_i32_iu8 v12, v8, v218, v13 neg_lo:[1,1,0]
	v_dot4_i32_iu8 v7, v8, v222, v7 neg_lo:[1,1,0]
	v_dot4_i32_iu8 v8, v205, v211, 0 neg_lo:[1,1,0]
	v_dot4_i32_iu8 v14, v10, v208, v9 neg_lo:[1,1,0]
	;; [unrolled: 1-line block ×9, first 2 shown]
	s_delay_alu instid0(VALU_DEP_4) | instskip(NEXT) | instid1(VALU_DEP_4)
	v_dot4_i32_iu8 v7, v203, v209, v7 neg_lo:[1,1,0]
	v_dot4_i32_iu8 v8, v204, v214, v8 neg_lo:[1,1,0]
	s_delay_alu instid0(VALU_DEP_4) | instskip(SKIP_1) | instid1(VALU_DEP_4)
	v_dot4_i32_iu8 v207, v204, v218, v9 neg_lo:[1,1,0]
	v_dot4_i32_iu8 v9, v205, v219, 0 neg_lo:[1,1,0]
	;; [unrolled: 1-line block ×3, first 2 shown]
	s_delay_alu instid0(VALU_DEP_2) | instskip(NEXT) | instid1(VALU_DEP_2)
	v_dot4_i32_iu8 v9, v203, v221, v9 neg_lo:[1,1,0]
	v_dot4_i32_iu8 v10, v206, v208, v7 neg_lo:[1,1,0]
	s_delay_alu instid0(VALU_DEP_2) | instskip(SKIP_2) | instid1(VALU_DEP_3)
	v_dot4_i32_iu8 v203, v204, v222, v9 neg_lo:[1,1,0]
	v_dot4_i32_iu8 v9, v206, v212, v8 neg_lo:[1,1,0]
	v_dot4_i32_iu8 v8, v206, v216, v207 neg_lo:[1,1,0]
	v_dot4_i32_iu8 v7, v206, v220, v203 neg_lo:[1,1,0]
	ds_load_2addr_b32 v[235:236], v138 offset0:6 offset1:7
	ds_load_b128 v[203:206], v174 offset:33296
	ds_load_2addr_b32 v[239:240], v175 offset0:6 offset1:7
	ds_load_2addr_b32 v[245:246], v176 offset0:4 offset1:5
	;; [unrolled: 1-line block ×7, first 2 shown]
	ds_load_b128 v[231:234], v202 offset:33296
	s_waitcnt lgkmcnt(8)
	v_dot4_i32_iu8 v207, v235, v205, 0 neg_lo:[1,1,0]
	s_waitcnt lgkmcnt(7)
	v_dot4_i32_iu8 v208, v239, v205, 0 neg_lo:[1,1,0]
	;; [unrolled: 2-line block ×6, first 2 shown]
	v_dot4_i32_iu8 v209, v245, v203, v209 neg_lo:[1,1,0]
	v_dot4_i32_iu8 v203, v249, v203, v205 neg_lo:[1,1,0]
	;; [unrolled: 1-line block ×3, first 2 shown]
	s_delay_alu instid0(VALU_DEP_4) | instskip(NEXT) | instid1(VALU_DEP_4)
	v_dot4_i32_iu8 v207, v242, v204, v208 neg_lo:[1,1,0]
	v_dot4_i32_iu8 v208, v246, v204, v209 neg_lo:[1,1,0]
	s_delay_alu instid0(VALU_DEP_4) | instskip(NEXT) | instid1(VALU_DEP_4)
	v_dot4_i32_iu8 v203, v250, v204, v203 neg_lo:[1,1,0]
	v_dot4_i32_iu8 v255, v236, v206, v205 neg_lo:[1,1,0]
	;; [unrolled: 3-line block ×3, first 2 shown]
	s_delay_alu instid0(VALU_DEP_4)
	v_dot4_i32_iu8 v44, v248, v206, v203 neg_lo:[1,1,0]
	ds_load_b128 v[203:206], v178 offset:33296
	s_waitcnt lgkmcnt(0)
	v_dot4_i32_iu8 v207, v205, v235, 0 neg_lo:[1,1,0]
	v_dot4_i32_iu8 v208, v205, v239, 0 neg_lo:[1,1,0]
	v_dot4_i32_iu8 v209, v205, v243, 0 neg_lo:[1,1,0]
	v_dot4_i32_iu8 v205, v205, v247, 0 neg_lo:[1,1,0]
	s_delay_alu instid0(VALU_DEP_4) | instskip(NEXT) | instid1(VALU_DEP_4)
	v_dot4_i32_iu8 v207, v203, v237, v207 neg_lo:[1,1,0]
	v_dot4_i32_iu8 v208, v203, v241, v208 neg_lo:[1,1,0]
	s_delay_alu instid0(VALU_DEP_4) | instskip(NEXT) | instid1(VALU_DEP_4)
	v_dot4_i32_iu8 v209, v203, v245, v209 neg_lo:[1,1,0]
	v_dot4_i32_iu8 v203, v203, v249, v205 neg_lo:[1,1,0]
	s_delay_alu instid0(VALU_DEP_4) | instskip(NEXT) | instid1(VALU_DEP_4)
	v_dot4_i32_iu8 v205, v204, v238, v207 neg_lo:[1,1,0]
	v_dot4_i32_iu8 v207, v204, v242, v208 neg_lo:[1,1,0]
	s_delay_alu instid0(VALU_DEP_4) | instskip(NEXT) | instid1(VALU_DEP_4)
	v_dot4_i32_iu8 v208, v204, v246, v209 neg_lo:[1,1,0]
	v_dot4_i32_iu8 v203, v204, v250, v203 neg_lo:[1,1,0]
	s_delay_alu instid0(VALU_DEP_4) | instskip(NEXT) | instid1(VALU_DEP_4)
	v_dot4_i32_iu8 v230, v206, v236, v205 neg_lo:[1,1,0]
	v_dot4_i32_iu8 v229, v206, v240, v207 neg_lo:[1,1,0]
	s_delay_alu instid0(VALU_DEP_4) | instskip(NEXT) | instid1(VALU_DEP_4)
	v_dot4_i32_iu8 v228, v206, v244, v208 neg_lo:[1,1,0]
	v_dot4_i32_iu8 v227, v206, v248, v203 neg_lo:[1,1,0]
	ds_load_b128 v[203:206], v179 offset:33296
	s_waitcnt lgkmcnt(0)
	v_dot4_i32_iu8 v207, v205, v235, 0 neg_lo:[1,1,0]
	v_dot4_i32_iu8 v208, v205, v239, 0 neg_lo:[1,1,0]
	v_dot4_i32_iu8 v209, v205, v243, 0 neg_lo:[1,1,0]
	v_dot4_i32_iu8 v205, v205, v247, 0 neg_lo:[1,1,0]
	s_delay_alu instid0(VALU_DEP_4) | instskip(NEXT) | instid1(VALU_DEP_4)
	v_dot4_i32_iu8 v207, v203, v237, v207 neg_lo:[1,1,0]
	v_dot4_i32_iu8 v208, v203, v241, v208 neg_lo:[1,1,0]
	s_delay_alu instid0(VALU_DEP_4) | instskip(NEXT) | instid1(VALU_DEP_4)
	v_dot4_i32_iu8 v209, v203, v245, v209 neg_lo:[1,1,0]
	v_dot4_i32_iu8 v203, v203, v249, v205 neg_lo:[1,1,0]
	s_delay_alu instid0(VALU_DEP_4) | instskip(NEXT) | instid1(VALU_DEP_4)
	v_dot4_i32_iu8 v205, v204, v238, v207 neg_lo:[1,1,0]
	v_dot4_i32_iu8 v207, v204, v242, v208 neg_lo:[1,1,0]
	s_delay_alu instid0(VALU_DEP_4) | instskip(NEXT) | instid1(VALU_DEP_4)
	v_dot4_i32_iu8 v208, v204, v246, v209 neg_lo:[1,1,0]
	v_dot4_i32_iu8 v203, v204, v250, v203 neg_lo:[1,1,0]
	s_delay_alu instid0(VALU_DEP_4) | instskip(NEXT) | instid1(VALU_DEP_4)
	v_dot4_i32_iu8 v226, v206, v236, v205 neg_lo:[1,1,0]
	v_dot4_i32_iu8 v225, v206, v240, v207 neg_lo:[1,1,0]
	s_delay_alu instid0(VALU_DEP_4) | instskip(NEXT) | instid1(VALU_DEP_4)
	v_dot4_i32_iu8 v224, v206, v244, v208 neg_lo:[1,1,0]
	;; [unrolled: 24-line block ×5, first 2 shown]
	v_dot4_i32_iu8 v211, v206, v248, v203 neg_lo:[1,1,0]
	ds_load_b128 v[203:206], v192 offset:33296
	s_waitcnt lgkmcnt(0)
	v_dot4_i32_iu8 v207, v205, v235, 0 neg_lo:[1,1,0]
	v_dot4_i32_iu8 v208, v205, v239, 0 neg_lo:[1,1,0]
	;; [unrolled: 1-line block ×4, first 2 shown]
	s_delay_alu instid0(VALU_DEP_4) | instskip(NEXT) | instid1(VALU_DEP_4)
	v_dot4_i32_iu8 v207, v203, v237, v207 neg_lo:[1,1,0]
	v_dot4_i32_iu8 v208, v203, v241, v208 neg_lo:[1,1,0]
	s_delay_alu instid0(VALU_DEP_4) | instskip(NEXT) | instid1(VALU_DEP_4)
	v_dot4_i32_iu8 v209, v203, v245, v209 neg_lo:[1,1,0]
	v_dot4_i32_iu8 v203, v203, v249, v205 neg_lo:[1,1,0]
	;; [unrolled: 3-line block ×4, first 2 shown]
	v_dot4_i32_iu8 v204, v233, v239, 0 neg_lo:[1,1,0]
	v_dot4_i32_iu8 v210, v206, v236, v205 neg_lo:[1,1,0]
	;; [unrolled: 1-line block ×9, first 2 shown]
	s_delay_alu instid0(VALU_DEP_4) | instskip(NEXT) | instid1(VALU_DEP_4)
	v_dot4_i32_iu8 v203, v231, v237, v203 neg_lo:[1,1,0]
	v_dot4_i32_iu8 v204, v232, v242, v204 neg_lo:[1,1,0]
	s_delay_alu instid0(VALU_DEP_4) | instskip(SKIP_1) | instid1(VALU_DEP_4)
	v_dot4_i32_iu8 v235, v232, v246, v205 neg_lo:[1,1,0]
	v_dot4_i32_iu8 v205, v233, v247, 0 neg_lo:[1,1,0]
	;; [unrolled: 1-line block ×3, first 2 shown]
	s_delay_alu instid0(VALU_DEP_2) | instskip(NEXT) | instid1(VALU_DEP_2)
	v_dot4_i32_iu8 v205, v231, v249, v205 neg_lo:[1,1,0]
	v_dot4_i32_iu8 v206, v234, v236, v203 neg_lo:[1,1,0]
	s_delay_alu instid0(VALU_DEP_2) | instskip(SKIP_2) | instid1(VALU_DEP_3)
	v_dot4_i32_iu8 v231, v232, v250, v205 neg_lo:[1,1,0]
	v_dot4_i32_iu8 v205, v234, v240, v204 neg_lo:[1,1,0]
	;; [unrolled: 1-line block ×4, first 2 shown]
	ds_load_2addr_b32 v[235:236], v138 offset0:2 offset1:3
	ds_load_2addr_b32 v[237:238], v138 offset1:1
	ds_load_b128 v[231:234], v174 offset:33280
	ds_load_2addr_b32 v[239:240], v175 offset0:2 offset1:3
	ds_load_2addr_b32 v[241:242], v175 offset1:1
	ds_load_2addr_b32 v[243:244], v176 offset0:2 offset1:3
	ds_load_2addr_b32 v[245:246], v176 offset1:1
	;; [unrolled: 2-line block ×3, first 2 shown]
	s_waitcnt lgkmcnt(6)
	v_dot4_i32_iu8 v138, v235, v233, 0 neg_lo:[1,1,0]
	s_waitcnt lgkmcnt(5)
	v_dot4_i32_iu8 v174, v239, v233, 0 neg_lo:[1,1,0]
	;; [unrolled: 2-line block ×4, first 2 shown]
	v_dot4_i32_iu8 v138, v237, v231, v138 neg_lo:[1,1,0]
	v_dot4_i32_iu8 v174, v241, v231, v174 neg_lo:[1,1,0]
	;; [unrolled: 1-line block ×3, first 2 shown]
	s_waitcnt lgkmcnt(0)
	v_dot4_i32_iu8 v176, v249, v231, v176 neg_lo:[1,1,0]
	v_dot4_i32_iu8 v138, v238, v232, v138 neg_lo:[1,1,0]
	;; [unrolled: 1-line block ×4, first 2 shown]
	s_delay_alu instid0(VALU_DEP_4) | instskip(NEXT) | instid1(VALU_DEP_4)
	v_dot4_i32_iu8 v176, v250, v232, v176 neg_lo:[1,1,0]
	v_dot4_i32_iu8 v231, v236, v234, v138 neg_lo:[1,1,0]
	s_delay_alu instid0(VALU_DEP_4) | instskip(NEXT) | instid1(VALU_DEP_4)
	v_dot4_i32_iu8 v232, v240, v234, v174 neg_lo:[1,1,0]
	v_dot4_i32_iu8 v233, v244, v234, v175 neg_lo:[1,1,0]
	s_delay_alu instid0(VALU_DEP_4)
	v_dot4_i32_iu8 v234, v248, v234, v176 neg_lo:[1,1,0]
	ds_load_b128 v[174:177], v178 offset:33280
	s_waitcnt lgkmcnt(0)
	v_dot4_i32_iu8 v138, v176, v235, 0 neg_lo:[1,1,0]
	v_dot4_i32_iu8 v178, v176, v239, 0 neg_lo:[1,1,0]
	v_dot4_i32_iu8 v61, v176, v243, 0 neg_lo:[1,1,0]
	v_dot4_i32_iu8 v176, v176, v247, 0 neg_lo:[1,1,0]
	s_delay_alu instid0(VALU_DEP_4) | instskip(NEXT) | instid1(VALU_DEP_4)
	v_dot4_i32_iu8 v138, v174, v237, v138 neg_lo:[1,1,0]
	v_dot4_i32_iu8 v178, v174, v241, v178 neg_lo:[1,1,0]
	s_delay_alu instid0(VALU_DEP_4) | instskip(NEXT) | instid1(VALU_DEP_4)
	v_dot4_i32_iu8 v61, v174, v245, v61 neg_lo:[1,1,0]
	v_dot4_i32_iu8 v174, v174, v249, v176 neg_lo:[1,1,0]
	s_delay_alu instid0(VALU_DEP_4) | instskip(NEXT) | instid1(VALU_DEP_4)
	v_dot4_i32_iu8 v138, v175, v238, v138 neg_lo:[1,1,0]
	v_dot4_i32_iu8 v176, v175, v242, v178 neg_lo:[1,1,0]
	s_delay_alu instid0(VALU_DEP_4) | instskip(NEXT) | instid1(VALU_DEP_4)
	v_dot4_i32_iu8 v61, v175, v246, v61 neg_lo:[1,1,0]
	v_dot4_i32_iu8 v174, v175, v250, v174 neg_lo:[1,1,0]
	s_delay_alu instid0(VALU_DEP_4) | instskip(NEXT) | instid1(VALU_DEP_4)
	v_dot4_i32_iu8 v68, v177, v236, v138 neg_lo:[1,1,0]
	v_dot4_i32_iu8 v69, v177, v240, v176 neg_lo:[1,1,0]
	s_delay_alu instid0(VALU_DEP_4) | instskip(NEXT) | instid1(VALU_DEP_4)
	v_dot4_i32_iu8 v61, v177, v244, v61 neg_lo:[1,1,0]
	v_dot4_i32_iu8 v70, v177, v248, v174 neg_lo:[1,1,0]
	ds_load_b128 v[174:177], v179 offset:33280
	s_waitcnt lgkmcnt(0)
	v_dot4_i32_iu8 v138, v176, v235, 0 neg_lo:[1,1,0]
	v_dot4_i32_iu8 v178, v176, v239, 0 neg_lo:[1,1,0]
	v_dot4_i32_iu8 v179, v176, v243, 0 neg_lo:[1,1,0]
	v_dot4_i32_iu8 v176, v176, v247, 0 neg_lo:[1,1,0]
	s_delay_alu instid0(VALU_DEP_4) | instskip(NEXT) | instid1(VALU_DEP_4)
	v_dot4_i32_iu8 v138, v174, v237, v138 neg_lo:[1,1,0]
	v_dot4_i32_iu8 v178, v174, v241, v178 neg_lo:[1,1,0]
	s_delay_alu instid0(VALU_DEP_4) | instskip(NEXT) | instid1(VALU_DEP_4)
	v_dot4_i32_iu8 v179, v174, v245, v179 neg_lo:[1,1,0]
	v_dot4_i32_iu8 v174, v174, v249, v176 neg_lo:[1,1,0]
	s_delay_alu instid0(VALU_DEP_4) | instskip(NEXT) | instid1(VALU_DEP_4)
	v_dot4_i32_iu8 v138, v175, v238, v138 neg_lo:[1,1,0]
	v_dot4_i32_iu8 v176, v175, v242, v178 neg_lo:[1,1,0]
	s_delay_alu instid0(VALU_DEP_4) | instskip(NEXT) | instid1(VALU_DEP_4)
	v_dot4_i32_iu8 v178, v175, v246, v179 neg_lo:[1,1,0]
	v_dot4_i32_iu8 v174, v175, v250, v174 neg_lo:[1,1,0]
	s_delay_alu instid0(VALU_DEP_4) | instskip(NEXT) | instid1(VALU_DEP_4)
	v_dot4_i32_iu8 v72, v177, v236, v138 neg_lo:[1,1,0]
	v_dot4_i32_iu8 v73, v177, v240, v176 neg_lo:[1,1,0]
	s_delay_alu instid0(VALU_DEP_4) | instskip(NEXT) | instid1(VALU_DEP_4)
	v_dot4_i32_iu8 v74, v177, v244, v178 neg_lo:[1,1,0]
	;; [unrolled: 24-line block ×6, first 2 shown]
	v_dot4_i32_iu8 v94, v177, v248, v174 neg_lo:[1,1,0]
	ds_load_b128 v[174:177], v202 offset:33280
	s_waitcnt lgkmcnt(0)
	v_dot4_i32_iu8 v138, v176, v235, 0 neg_lo:[1,1,0]
	v_dot4_i32_iu8 v178, v176, v239, 0 neg_lo:[1,1,0]
	;; [unrolled: 1-line block ×4, first 2 shown]
	s_delay_alu instid0(VALU_DEP_4) | instskip(NEXT) | instid1(VALU_DEP_4)
	v_dot4_i32_iu8 v138, v174, v237, v138 neg_lo:[1,1,0]
	v_dot4_i32_iu8 v178, v174, v241, v178 neg_lo:[1,1,0]
	s_delay_alu instid0(VALU_DEP_4) | instskip(NEXT) | instid1(VALU_DEP_4)
	v_dot4_i32_iu8 v179, v174, v245, v179 neg_lo:[1,1,0]
	v_dot4_i32_iu8 v174, v174, v249, v176 neg_lo:[1,1,0]
	;; [unrolled: 3-line block ×4, first 2 shown]
	s_delay_alu instid0(VALU_DEP_4) | instskip(SKIP_2) | instid1(VALU_DEP_4)
	v_dot4_i32_iu8 v202, v177, v236, v138 neg_lo:[1,1,0]
	v_add_nc_u32_e32 v138, s16, v124
	v_dot4_i32_iu8 v235, v177, v240, v178 neg_lo:[1,1,0]
	v_dot4_i32_iu8 v237, v177, v248, v174 neg_lo:[1,1,0]
	;; [unrolled: 1-line block ×3, first 2 shown]
	ds_load_b32 v176, v138
	s_waitcnt lgkmcnt(0)
	v_bfe_i32 v238, v176, 8, 8
	v_bfe_i32 v239, v176, 0, 8
	;; [unrolled: 1-line block ×3, first 2 shown]
	s_delay_alu instid0(VALU_DEP_3) | instskip(NEXT) | instid1(VALU_DEP_1)
	v_mul_lo_u32 v138, v255, v238
	v_mad_u64_u32 v[174:175], null, v231, v239, v[138:139]
	v_ashrrev_i32_e32 v231, 24, v176
	s_delay_alu instid0(VALU_DEP_1) | instskip(SKIP_1) | instid1(VALU_DEP_2)
	v_mul_lo_u32 v138, v169, v231
	v_mul_lo_u32 v3, v3, v231
	v_mad_u64_u32 v[175:176], null, v251, v240, v[138:139]
	v_add_nc_u32_e32 v138, s16, v126
	ds_load_b32 v169, v138
	s_waitcnt lgkmcnt(0)
	v_bfe_i32 v241, v169, 8, 8
	v_bfe_i32 v242, v169, 0, 8
	s_delay_alu instid0(VALU_DEP_2) | instskip(SKIP_2) | instid1(VALU_DEP_3)
	v_mul_lo_u32 v138, v35, v241
	v_ashrrev_i32_e32 v35, 24, v169
	v_bfe_i32 v169, v169, 16, 8
	v_mad_u64_u32 v[176:177], null, v232, v242, v[138:139]
	s_delay_alu instid0(VALU_DEP_3) | instskip(NEXT) | instid1(VALU_DEP_1)
	v_mul_lo_u32 v138, v165, v35
	v_mad_u64_u32 v[177:178], null, v252, v169, v[138:139]
	v_add_nc_u32_e32 v138, s16, v128
	ds_load_b32 v165, v138
	s_waitcnt lgkmcnt(0)
	v_bfe_i32 v232, v165, 8, 8
	v_bfe_i32 v243, v165, 0, 8
	s_delay_alu instid0(VALU_DEP_2) | instskip(SKIP_2) | instid1(VALU_DEP_3)
	v_mul_lo_u32 v138, v41, v232
	v_ashrrev_i32_e32 v41, 24, v165
	v_bfe_i32 v165, v165, 16, 8
	v_mad_u64_u32 v[178:179], null, v233, v243, v[138:139]
	s_delay_alu instid0(VALU_DEP_3) | instskip(NEXT) | instid1(VALU_DEP_1)
	v_mul_lo_u32 v138, v162, v41
	v_mad_u64_u32 v[179:180], null, v253, v165, v[138:139]
	v_add_nc_u32_e32 v138, s16, v130
	ds_load_b32 v162, v138
	s_waitcnt lgkmcnt(0)
	v_bfe_i32 v233, v162, 8, 8
	v_bfe_i32 v244, v162, 0, 8
	s_delay_alu instid0(VALU_DEP_2) | instskip(SKIP_1) | instid1(VALU_DEP_2)
	v_mul_lo_u32 v138, v44, v233
	v_ashrrev_i32_e32 v44, 24, v162
	v_mad_u64_u32 v[180:181], null, v234, v244, v[138:139]
	s_delay_alu instid0(VALU_DEP_2) | instskip(SKIP_1) | instid1(VALU_DEP_1)
	v_mul_lo_u32 v138, v161, v44
	v_bfe_i32 v181, v162, 16, 8
	v_mad_u64_u32 v[161:162], null, v254, v181, v[138:139]
	ds_load_b64 v[137:138], v137 offset:43584
	v_cvt_f32_i32_e32 v162, v174
	v_cvt_f32_i32_e32 v174, v175
	;; [unrolled: 1-line block ×8, first 2 shown]
	s_waitcnt lgkmcnt(0)
	v_fma_f32 v180, v137, v162, 0
	v_fma_f32 v234, v137, v175, 0
	v_fma_f32 v245, v137, v177, 0
	v_fma_f32 v246, v137, v179, 0
	v_mul_lo_u32 v137, v230, v238
	v_fmac_f32_e32 v180, v138, v174
	v_fmac_f32_e32 v234, v138, v176
	;; [unrolled: 1-line block ×4, first 2 shown]
	s_delay_alu instid0(VALU_DEP_3) | instskip(SKIP_3) | instid1(VALU_DEP_2)
	v_fmac_f32_e32 v79, v134, v234
	v_mad_u64_u32 v[161:162], null, v68, v239, v[137:138]
	v_mul_lo_u32 v137, v145, v231
	v_fmac_f32_e32 v59, v135, v245
	v_mad_u64_u32 v[174:175], null, v201, v240, v[137:138]
	v_mul_lo_u32 v137, v229, v241
	s_delay_alu instid0(VALU_DEP_2) | instskip(NEXT) | instid1(VALU_DEP_2)
	v_cvt_f32_i32_e32 v68, v174
	v_mad_u64_u32 v[175:176], null, v69, v242, v[137:138]
	v_mul_lo_u32 v137, v144, v35
	s_delay_alu instid0(VALU_DEP_2) | instskip(NEXT) | instid1(VALU_DEP_2)
	v_cvt_f32_i32_e32 v69, v175
	v_mad_u64_u32 v[144:145], null, v200, v169, v[137:138]
	v_mul_lo_u32 v137, v228, v232
	s_delay_alu instid0(VALU_DEP_1) | instskip(SKIP_2) | instid1(VALU_DEP_2)
	v_mad_u64_u32 v[176:177], null, v61, v243, v[137:138]
	v_mul_lo_u32 v137, v143, v41
	v_cvt_f32_i32_e32 v61, v161
	v_mad_u64_u32 v[177:178], null, v199, v165, v[137:138]
	v_mul_lo_u32 v137, v227, v233
	s_delay_alu instid0(VALU_DEP_1) | instskip(SKIP_3) | instid1(VALU_DEP_4)
	v_mad_u64_u32 v[178:179], null, v70, v244, v[137:138]
	v_mul_lo_u32 v137, v142, v44
	v_cvt_f32_i32_e32 v70, v144
	v_cvt_f32_i32_e32 v144, v177
	;; [unrolled: 1-line block ×3, first 2 shown]
	s_delay_alu instid0(VALU_DEP_4)
	v_mad_u64_u32 v[142:143], null, v198, v181, v[137:138]
	v_lshrrev_b32_e32 v137, 1, v139
	v_cvt_f32_i32_e32 v143, v176
	ds_load_b64 v[137:138], v137 offset:43584
	v_cvt_f32_i32_e32 v142, v142
	s_waitcnt lgkmcnt(0)
	v_fma_f32 v61, v137, v61, 0
	s_delay_alu instid0(VALU_DEP_1) | instskip(SKIP_2) | instid1(VALU_DEP_2)
	v_fmac_f32_e32 v61, v138, v68
	v_fma_f32 v68, v137, v69, 0
	v_fma_f32 v69, v137, v143, 0
	v_dual_fmac_f32 v51, v133, v61 :: v_dual_fmac_f32 v68, v138, v70
	v_fma_f32 v70, v137, v145, 0
	v_mul_lo_u32 v137, v226, v238
	s_delay_alu instid0(VALU_DEP_4) | instskip(NEXT) | instid1(VALU_DEP_3)
	v_fmac_f32_e32 v69, v138, v144
	v_fmac_f32_e32 v70, v138, v142
	s_delay_alu instid0(VALU_DEP_3) | instskip(SKIP_1) | instid1(VALU_DEP_2)
	v_mad_u64_u32 v[138:139], null, v72, v239, v[137:138]
	v_mul_lo_u32 v137, v150, v231
	v_cvt_f32_i32_e32 v72, v138
	s_delay_alu instid0(VALU_DEP_2) | instskip(SKIP_1) | instid1(VALU_DEP_1)
	v_mad_u64_u32 v[142:143], null, v197, v240, v[137:138]
	v_mul_lo_u32 v137, v225, v241
	v_mad_u64_u32 v[143:144], null, v73, v242, v[137:138]
	v_mul_lo_u32 v137, v149, v35
	s_delay_alu instid0(VALU_DEP_4) | instskip(NEXT) | instid1(VALU_DEP_2)
	v_cvt_f32_i32_e32 v73, v142
	v_mad_u64_u32 v[144:145], null, v196, v169, v[137:138]
	v_mul_lo_u32 v137, v224, v232
	s_delay_alu instid0(VALU_DEP_1) | instskip(SKIP_2) | instid1(VALU_DEP_3)
	v_mad_u64_u32 v[149:150], null, v74, v243, v[137:138]
	v_mul_lo_u32 v137, v148, v41
	v_cvt_f32_i32_e32 v74, v143
	v_cvt_f32_i32_e32 v139, v149
	s_delay_alu instid0(VALU_DEP_3) | instskip(SKIP_1) | instid1(VALU_DEP_2)
	v_mad_u64_u32 v[161:162], null, v195, v165, v[137:138]
	v_mul_lo_u32 v137, v223, v233
	v_cvt_f32_i32_e32 v142, v161
	s_delay_alu instid0(VALU_DEP_2) | instskip(SKIP_2) | instid1(VALU_DEP_3)
	v_mad_u64_u32 v[174:175], null, v76, v244, v[137:138]
	v_mul_lo_u32 v137, v147, v44
	v_cvt_f32_i32_e32 v76, v144
	v_cvt_f32_i32_e32 v143, v174
	s_delay_alu instid0(VALU_DEP_3)
	v_mad_u64_u32 v[147:148], null, v194, v181, v[137:138]
	v_lshrrev_b32_e32 v137, 1, v140
	ds_load_b64 v[137:138], v137 offset:43584
	v_cvt_f32_i32_e32 v144, v147
	s_waitcnt lgkmcnt(0)
	v_fma_f32 v72, v137, v72, 0
	s_delay_alu instid0(VALU_DEP_1) | instskip(SKIP_2) | instid1(VALU_DEP_3)
	v_fmac_f32_e32 v72, v138, v73
	v_fma_f32 v73, v137, v74, 0
	v_fma_f32 v74, v137, v139, 0
	v_fmac_f32_e32 v45, v133, v72
	s_delay_alu instid0(VALU_DEP_3) | instskip(SKIP_3) | instid1(VALU_DEP_4)
	v_fmac_f32_e32 v73, v138, v76
	v_fma_f32 v76, v137, v143, 0
	v_mul_lo_u32 v137, v222, v238
	v_fmac_f32_e32 v74, v138, v142
	v_fmac_f32_e32 v43, v134, v73
	s_delay_alu instid0(VALU_DEP_4) | instskip(NEXT) | instid1(VALU_DEP_4)
	v_fmac_f32_e32 v76, v138, v144
	v_mad_u64_u32 v[138:139], null, v77, v239, v[137:138]
	v_mul_lo_u32 v137, v155, v231
	s_delay_alu instid0(VALU_DEP_2) | instskip(NEXT) | instid1(VALU_DEP_2)
	v_cvt_f32_i32_e32 v77, v138
	v_mad_u64_u32 v[139:140], null, v193, v240, v[137:138]
	v_mul_lo_u32 v137, v221, v241
	s_delay_alu instid0(VALU_DEP_1) | instskip(SKIP_1) | instid1(VALU_DEP_4)
	v_mad_u64_u32 v[142:143], null, v78, v242, v[137:138]
	v_mul_lo_u32 v137, v154, v35
	v_cvt_f32_i32_e32 v78, v139
	s_delay_alu instid0(VALU_DEP_2) | instskip(SKIP_1) | instid1(VALU_DEP_1)
	v_mad_u64_u32 v[143:144], null, v191, v169, v[137:138]
	v_mul_lo_u32 v137, v220, v232
	v_mad_u64_u32 v[144:145], null, v81, v243, v[137:138]
	v_mul_lo_u32 v137, v153, v41
	v_cvt_f32_i32_e32 v81, v142
	s_delay_alu instid0(VALU_DEP_3) | instskip(NEXT) | instid1(VALU_DEP_3)
	v_cvt_f32_i32_e32 v139, v144
	v_mad_u64_u32 v[147:148], null, v190, v165, v[137:138]
	v_mul_lo_u32 v137, v219, v233
	s_delay_alu instid0(VALU_DEP_2) | instskip(NEXT) | instid1(VALU_DEP_2)
	v_cvt_f32_i32_e32 v140, v147
	v_mad_u64_u32 v[148:149], null, v82, v244, v[137:138]
	v_mul_lo_u32 v137, v152, v44
	v_cvt_f32_i32_e32 v82, v143
	s_delay_alu instid0(VALU_DEP_3) | instskip(NEXT) | instid1(VALU_DEP_3)
	v_cvt_f32_i32_e32 v142, v148
	v_mad_u64_u32 v[149:150], null, v189, v181, v[137:138]
	v_lshrrev_b32_e32 v137, 1, v141
	ds_load_b64 v[137:138], v137 offset:43584
	v_cvt_f32_i32_e32 v143, v149
	s_waitcnt lgkmcnt(0)
	v_fma_f32 v77, v137, v77, 0
	s_delay_alu instid0(VALU_DEP_1) | instskip(SKIP_2) | instid1(VALU_DEP_2)
	v_fmac_f32_e32 v77, v138, v78
	v_fma_f32 v78, v137, v81, 0
	v_fma_f32 v81, v137, v139, 0
	v_dual_fmac_f32 v39, v133, v77 :: v_dual_fmac_f32 v78, v138, v82
	v_fma_f32 v82, v137, v142, 0
	v_mul_lo_u32 v137, v218, v238
	s_delay_alu instid0(VALU_DEP_4) | instskip(NEXT) | instid1(VALU_DEP_4)
	v_fmac_f32_e32 v81, v138, v140
	v_fmac_f32_e32 v37, v134, v78
	s_delay_alu instid0(VALU_DEP_4) | instskip(NEXT) | instid1(VALU_DEP_4)
	v_fmac_f32_e32 v82, v138, v143
	v_mad_u64_u32 v[138:139], null, v84, v239, v[137:138]
	v_mul_lo_u32 v137, v160, v231
	s_delay_alu instid0(VALU_DEP_3) | instskip(NEXT) | instid1(VALU_DEP_3)
	v_fmac_f32_e32 v33, v136, v82
	v_cvt_f32_i32_e32 v84, v138
	s_delay_alu instid0(VALU_DEP_3) | instskip(SKIP_1) | instid1(VALU_DEP_1)
	v_mad_u64_u32 v[139:140], null, v188, v240, v[137:138]
	v_mul_lo_u32 v137, v217, v241
	v_mad_u64_u32 v[140:141], null, v85, v242, v[137:138]
	v_mul_lo_u32 v137, v159, v35
	s_delay_alu instid0(VALU_DEP_4) | instskip(NEXT) | instid1(VALU_DEP_2)
	v_cvt_f32_i32_e32 v85, v139
	v_mad_u64_u32 v[141:142], null, v187, v169, v[137:138]
	v_mul_lo_u32 v137, v216, v232
	s_delay_alu instid0(VALU_DEP_1) | instskip(SKIP_2) | instid1(VALU_DEP_3)
	v_mad_u64_u32 v[142:143], null, v86, v243, v[137:138]
	v_mul_lo_u32 v137, v158, v41
	v_cvt_f32_i32_e32 v86, v140
	v_cvt_f32_i32_e32 v139, v142
	s_delay_alu instid0(VALU_DEP_3) | instskip(SKIP_1) | instid1(VALU_DEP_2)
	v_mad_u64_u32 v[143:144], null, v186, v165, v[137:138]
	v_mul_lo_u32 v137, v215, v233
	v_cvt_f32_i32_e32 v140, v143
	s_delay_alu instid0(VALU_DEP_2) | instskip(SKIP_2) | instid1(VALU_DEP_3)
	v_mad_u64_u32 v[144:145], null, v87, v244, v[137:138]
	v_mul_lo_u32 v137, v157, v44
	v_cvt_f32_i32_e32 v87, v141
	v_cvt_f32_i32_e32 v141, v144
	s_delay_alu instid0(VALU_DEP_3)
	v_mad_u64_u32 v[147:148], null, v185, v181, v[137:138]
	v_lshrrev_b32_e32 v137, 1, v146
	ds_load_b64 v[137:138], v137 offset:43584
	v_cvt_f32_i32_e32 v142, v147
	s_waitcnt lgkmcnt(0)
	v_fma_f32 v84, v137, v84, 0
	s_delay_alu instid0(VALU_DEP_1) | instskip(SKIP_2) | instid1(VALU_DEP_2)
	v_fmac_f32_e32 v84, v138, v85
	v_fma_f32 v85, v137, v86, 0
	v_fma_f32 v86, v137, v139, 0
	v_dual_fmac_f32 v32, v133, v84 :: v_dual_fmac_f32 v85, v138, v87
	v_fma_f32 v87, v137, v141, 0
	v_mul_lo_u32 v137, v214, v238
	s_delay_alu instid0(VALU_DEP_3) | instskip(NEXT) | instid1(VALU_DEP_3)
	v_dual_fmac_f32 v38, v133, v180 :: v_dual_fmac_f32 v31, v134, v85
	v_fmac_f32_e32 v87, v138, v142
	v_fmac_f32_e32 v86, v138, v140
	s_delay_alu instid0(VALU_DEP_4) | instskip(SKIP_1) | instid1(VALU_DEP_1)
	v_mad_u64_u32 v[138:139], null, v182, v239, v[137:138]
	v_mul_lo_u32 v137, v168, v231
	v_mad_u64_u32 v[139:140], null, v184, v240, v[137:138]
	v_mul_lo_u32 v137, v213, v241
	s_delay_alu instid0(VALU_DEP_1) | instskip(SKIP_2) | instid1(VALU_DEP_2)
	v_mad_u64_u32 v[140:141], null, v88, v242, v[137:138]
	v_mul_lo_u32 v137, v167, v35
	v_cvt_f32_i32_e32 v88, v138
	v_mad_u64_u32 v[141:142], null, v183, v169, v[137:138]
	v_mul_lo_u32 v137, v212, v232
	s_delay_alu instid0(VALU_DEP_1) | instskip(SKIP_2) | instid1(VALU_DEP_2)
	v_mad_u64_u32 v[142:143], null, v89, v243, v[137:138]
	v_mul_lo_u32 v137, v166, v41
	v_cvt_f32_i32_e32 v89, v139
	v_mad_u64_u32 v[143:144], null, v16, v165, v[137:138]
	v_mul_lo_u32 v16, v211, v233
	v_cvt_f32_i32_e32 v138, v142
	v_cvt_f32_i32_e32 v137, v141
	s_delay_alu instid0(VALU_DEP_4) | instskip(NEXT) | instid1(VALU_DEP_4)
	v_cvt_f32_i32_e32 v139, v143
	v_mad_u64_u32 v[144:145], null, v91, v244, v[16:17]
	v_mul_lo_u32 v16, v164, v44
	v_cvt_f32_i32_e32 v91, v140
	s_delay_alu instid0(VALU_DEP_3) | instskip(NEXT) | instid1(VALU_DEP_3)
	v_cvt_f32_i32_e32 v140, v144
	v_mad_u64_u32 v[145:146], null, v15, v181, v[16:17]
	v_lshrrev_b32_e32 v15, 1, v151
	ds_load_b64 v[15:16], v15 offset:43584
	v_cvt_f32_i32_e32 v141, v145
	s_waitcnt lgkmcnt(0)
	v_fma_f32 v88, v15, v88, 0
	v_fma_f32 v144, v15, v140, 0
	s_delay_alu instid0(VALU_DEP_2)
	v_fmac_f32_e32 v88, v16, v89
	v_fmac_f32_e32 v29, v136, v87
	v_fma_f32 v89, v15, v91, 0
	v_fma_f32 v91, v15, v138, 0
	v_mul_lo_u32 v15, v210, v238
	v_fmac_f32_e32 v144, v16, v141
	v_fmac_f32_e32 v48, v135, v69
	v_fmac_f32_e32 v89, v16, v137
	v_fmac_f32_e32 v91, v16, v139
	v_fmac_f32_e32 v56, v136, v246
	v_fmac_f32_e32 v30, v135, v86
	s_delay_alu instid0(VALU_DEP_4) | instskip(SKIP_3) | instid1(VALU_DEP_2)
	v_dual_fmac_f32 v28, v133, v88 :: v_dual_fmac_f32 v27, v134, v89
	v_mad_u64_u32 v[137:138], null, v192, v239, v[15:16]
	v_mul_lo_u32 v15, v173, v231
	v_dual_fmac_f32 v26, v135, v91 :: v_dual_fmac_f32 v25, v136, v144
	v_mad_u64_u32 v[138:139], null, v14, v240, v[15:16]
	v_mul_lo_u32 v14, v209, v241
	s_delay_alu instid0(VALU_DEP_1) | instskip(SKIP_1) | instid1(VALU_DEP_4)
	v_mad_u64_u32 v[15:16], null, v92, v242, v[14:15]
	v_mul_lo_u32 v14, v172, v35
	v_cvt_f32_i32_e32 v16, v138
	s_delay_alu instid0(VALU_DEP_2) | instskip(SKIP_2) | instid1(VALU_DEP_3)
	v_mad_u64_u32 v[139:140], null, v13, v169, v[14:15]
	v_mul_lo_u32 v13, v208, v232
	v_cvt_f32_i32_e32 v15, v15
	v_cvt_f32_i32_e32 v92, v139
	s_delay_alu instid0(VALU_DEP_3) | instskip(SKIP_1) | instid1(VALU_DEP_2)
	v_mad_u64_u32 v[140:141], null, v93, v243, v[13:14]
	v_mul_lo_u32 v13, v171, v41
	v_cvt_f32_i32_e32 v93, v140
	s_delay_alu instid0(VALU_DEP_2) | instskip(SKIP_1) | instid1(VALU_DEP_1)
	v_mad_u64_u32 v[141:142], null, v12, v165, v[13:14]
	v_mul_lo_u32 v12, v207, v233
	v_mad_u64_u32 v[13:14], null, v94, v244, v[12:13]
	v_mul_lo_u32 v12, v170, v44
	v_cvt_f32_i32_e32 v14, v137
	v_cvt_f32_i32_e32 v94, v141
	s_delay_alu instid0(VALU_DEP_3)
	v_mad_u64_u32 v[142:143], null, v11, v181, v[12:13]
	v_lshrrev_b32_e32 v11, 1, v156
	v_cvt_f32_i32_e32 v13, v13
	ds_load_b64 v[11:12], v11 offset:43584
	v_cvt_f32_i32_e32 v137, v142
	s_waitcnt lgkmcnt(0)
	v_fma_f32 v139, v11, v15, 0
	v_fma_f32 v138, v11, v14, 0
	s_delay_alu instid0(VALU_DEP_2)
	v_fmac_f32_e32 v139, v12, v92
	v_fma_f32 v92, v11, v93, 0
	v_fma_f32 v93, v11, v13, 0
	v_mul_lo_u32 v11, v206, v238
	v_fmac_f32_e32 v138, v12, v16
	v_dual_fmac_f32 v46, v136, v70 :: v_dual_fmac_f32 v23, v134, v139
	v_fmac_f32_e32 v92, v12, v94
	v_dual_fmac_f32 v93, v12, v137 :: v_dual_fmac_f32 v42, v135, v74
	s_delay_alu instid0(VALU_DEP_4) | instskip(SKIP_1) | instid1(VALU_DEP_3)
	v_fmac_f32_e32 v24, v133, v138
	v_mad_u64_u32 v[12:13], null, v202, v239, v[11:12]
	v_fmac_f32_e32 v21, v136, v93
	v_mad_u64_u32 v[13:14], null, v10, v240, v[3:4]
	v_mul_lo_u32 v3, v205, v241
	s_delay_alu instid0(VALU_DEP_1) | instskip(SKIP_1) | instid1(VALU_DEP_1)
	v_mad_u64_u32 v[10:11], null, v235, v242, v[3:4]
	v_mul_lo_u32 v3, v4, v35
	v_mad_u64_u32 v[14:15], null, v9, v169, v[3:4]
	v_mul_lo_u32 v3, v204, v232
	s_delay_alu instid0(VALU_DEP_1) | instskip(SKIP_1) | instid1(VALU_DEP_2)
	v_mad_u64_u32 v[15:16], null, v236, v243, v[3:4]
	v_mul_lo_u32 v3, v5, v41
	v_cvt_f32_i32_e32 v11, v15
	s_delay_alu instid0(VALU_DEP_2) | instskip(SKIP_1) | instid1(VALU_DEP_1)
	v_mad_u64_u32 v[4:5], null, v8, v165, v[3:4]
	v_mul_lo_u32 v3, v203, v233
	v_mad_u64_u32 v[8:9], null, v237, v244, v[3:4]
	v_mul_lo_u32 v3, v6, v44
	v_cvt_f32_i32_e32 v9, v10
	v_cvt_f32_i32_e32 v10, v14
	s_delay_alu instid0(VALU_DEP_4) | instskip(NEXT) | instid1(VALU_DEP_4)
	v_cvt_f32_i32_e32 v8, v8
	v_mad_u64_u32 v[5:6], null, v7, v181, v[3:4]
	v_lshrrev_b32_e32 v3, 1, v163
	v_cvt_f32_i32_e32 v6, v12
	v_cvt_f32_i32_e32 v12, v4
	v_cvt_f32_i32_e32 v7, v13
	ds_load_b64 v[3:4], v3 offset:43584
	v_cvt_f32_i32_e32 v5, v5
	s_waitcnt lgkmcnt(0)
	v_fma_f32 v6, v3, v6, 0
	s_delay_alu instid0(VALU_DEP_1) | instskip(SKIP_3) | instid1(VALU_DEP_4)
	v_fmac_f32_e32 v6, v4, v7
	v_fma_f32 v7, v3, v9, 0
	v_fma_f32 v9, v3, v11, 0
	;; [unrolled: 1-line block ×3, first 2 shown]
	v_fmac_f32_e32 v20, v133, v6
	s_delay_alu instid0(VALU_DEP_4) | instskip(NEXT) | instid1(VALU_DEP_4)
	v_fmac_f32_e32 v7, v4, v10
	v_fmac_f32_e32 v9, v4, v12
	s_delay_alu instid0(VALU_DEP_4) | instskip(SKIP_1) | instid1(VALU_DEP_4)
	v_fmac_f32_e32 v3, v4, v5
	v_fmac_f32_e32 v49, v134, v68
	v_dual_fmac_f32 v40, v136, v76 :: v_dual_fmac_f32 v19, v134, v7
	s_delay_alu instid0(VALU_DEP_3)
	v_dual_fmac_f32 v34, v135, v81 :: v_dual_fmac_f32 v17, v136, v3
	v_fmac_f32_e32 v22, v135, v92
	v_fmac_f32_e32 v18, v135, v9
	s_cbranch_scc1 .LBB175_7
; %bb.8:                                ;   in Loop: Header=BB175_6 Depth=2
	s_mov_b32 s14, 1
	s_and_b32 vcc_lo, exec_lo, s1
	s_mov_b32 s1, 0
	s_barrier
	buffer_gl0_inv
	s_cbranch_vccz .LBB175_6
; %bb.9:                                ;   in Loop: Header=BB175_5 Depth=1
	s_add_i32 s13, s13, 1
	s_delay_alu instid0(SALU_CYCLE_1)
	s_cmp_eq_u32 s13, s11
	s_cbranch_scc0 .LBB175_5
; %bb.10:
	s_clause 0x1
	scratch_load_b32 v1, off, off offset:32
	scratch_load_b32 v2, off, off offset:36
	v_mov_b32_e32 v0, v36
.LBB175_11:
	s_mov_b32 s0, exec_lo
	s_waitcnt vmcnt(0)
	v_cmpx_gt_u32_e64 s4, v2
	s_cbranch_execz .LBB175_62
; %bb.12:
	v_add_nc_u32_e32 v0, s10, v0
	v_mul_lo_u32 v5, v2, s6
	s_delay_alu instid0(VALU_DEP_2)
	v_cmp_gt_u32_e32 vcc_lo, s6, v0
	s_and_saveexec_b32 s1, vcc_lo
	s_cbranch_execz .LBB175_14
; %bb.13:
	v_bfe_u32 v3, v38, 16, 1
	s_delay_alu instid0(VALU_DEP_3) | instskip(SKIP_1) | instid1(VALU_DEP_3)
	v_add_nc_u32_e32 v2, v0, v5
	v_cmp_o_f32_e64 s0, v38, v38
	v_add3_u32 v4, v38, v3, 0x7fff
	v_mov_b32_e32 v3, 0
	s_delay_alu instid0(VALU_DEP_2) | instskip(NEXT) | instid1(VALU_DEP_2)
	v_lshrrev_b32_e32 v4, 16, v4
	v_lshlrev_b64 v[2:3], 1, v[2:3]
	s_delay_alu instid0(VALU_DEP_2) | instskip(SKIP_1) | instid1(VALU_DEP_2)
	v_cndmask_b32_e64 v4, 0x7fc0, v4, s0
	s_waitcnt lgkmcnt(0)
	v_add_co_u32 v2, s0, s8, v2
	s_delay_alu instid0(VALU_DEP_1)
	v_add_co_ci_u32_e64 v3, s0, s9, v3, s0
	global_store_b16 v[2:3], v4, off
.LBB175_14:
	s_or_b32 exec_lo, exec_lo, s1
	v_add_nc_u32_e32 v2, 32, v0
	s_delay_alu instid0(VALU_DEP_1) | instskip(NEXT) | instid1(VALU_DEP_1)
	v_cmp_gt_u32_e64 s0, s6, v2
	s_and_saveexec_b32 s2, s0
	s_cbranch_execz .LBB175_16
; %bb.15:
	v_bfe_u32 v4, v79, 16, 1
	v_add_nc_u32_e32 v3, v2, v5
	v_cmp_o_f32_e64 s1, v79, v79
	s_delay_alu instid0(VALU_DEP_3) | instskip(SKIP_1) | instid1(VALU_DEP_2)
	v_add3_u32 v6, v79, v4, 0x7fff
	v_mov_b32_e32 v4, 0
	v_lshrrev_b32_e32 v6, 16, v6
	s_delay_alu instid0(VALU_DEP_2) | instskip(NEXT) | instid1(VALU_DEP_2)
	v_lshlrev_b64 v[3:4], 1, v[3:4]
	v_cndmask_b32_e64 v6, 0x7fc0, v6, s1
	s_waitcnt lgkmcnt(0)
	s_delay_alu instid0(VALU_DEP_2) | instskip(NEXT) | instid1(VALU_DEP_1)
	v_add_co_u32 v3, s1, s8, v3
	v_add_co_ci_u32_e64 v4, s1, s9, v4, s1
	global_store_b16 v[3:4], v6, off
.LBB175_16:
	s_or_b32 exec_lo, exec_lo, s2
	v_add_nc_u32_e32 v3, 64, v0
	s_delay_alu instid0(VALU_DEP_1) | instskip(NEXT) | instid1(VALU_DEP_1)
	v_cmp_gt_u32_e64 s1, s6, v3
	s_and_saveexec_b32 s3, s1
	s_cbranch_execz .LBB175_18
; %bb.17:
	v_bfe_u32 v4, v59, 16, 1
	v_dual_mov_b32 v7, 0 :: v_dual_add_nc_u32 v6, v3, v5
	v_cmp_o_f32_e64 s2, v59, v59
	s_delay_alu instid0(VALU_DEP_3) | instskip(NEXT) | instid1(VALU_DEP_3)
	v_add3_u32 v4, v59, v4, 0x7fff
	v_lshlrev_b64 v[6:7], 1, v[6:7]
	s_delay_alu instid0(VALU_DEP_2) | instskip(NEXT) | instid1(VALU_DEP_1)
	v_lshrrev_b32_e32 v4, 16, v4
	v_cndmask_b32_e64 v4, 0x7fc0, v4, s2
	s_waitcnt lgkmcnt(0)
	s_delay_alu instid0(VALU_DEP_3) | instskip(NEXT) | instid1(VALU_DEP_1)
	v_add_co_u32 v6, s2, s8, v6
	v_add_co_ci_u32_e64 v7, s2, s9, v7, s2
	global_store_b16 v[6:7], v4, off
.LBB175_18:
	s_or_b32 exec_lo, exec_lo, s3
	v_add_nc_u32_e32 v4, 0x60, v0
	s_delay_alu instid0(VALU_DEP_1) | instskip(NEXT) | instid1(VALU_DEP_1)
	v_cmp_gt_u32_e64 s2, s6, v4
	s_and_saveexec_b32 s5, s2
	s_cbranch_execz .LBB175_20
; %bb.19:
	v_bfe_u32 v6, v56, 16, 1
	v_add_nc_u32_e32 v5, v4, v5
	v_cmp_o_f32_e64 s3, v56, v56
	s_delay_alu instid0(VALU_DEP_3) | instskip(SKIP_1) | instid1(VALU_DEP_2)
	v_add3_u32 v7, v56, v6, 0x7fff
	v_mov_b32_e32 v6, 0
	v_lshrrev_b32_e32 v7, 16, v7
	s_delay_alu instid0(VALU_DEP_2) | instskip(NEXT) | instid1(VALU_DEP_2)
	v_lshlrev_b64 v[5:6], 1, v[5:6]
	v_cndmask_b32_e64 v7, 0x7fc0, v7, s3
	s_waitcnt lgkmcnt(0)
	s_delay_alu instid0(VALU_DEP_2) | instskip(NEXT) | instid1(VALU_DEP_1)
	v_add_co_u32 v5, s3, s8, v5
	v_add_co_ci_u32_e64 v6, s3, s9, v6, s3
	global_store_b16 v[5:6], v7, off
.LBB175_20:
	s_or_b32 exec_lo, exec_lo, s5
	v_add3_u32 v5, v1, s7, 8
	s_delay_alu instid0(VALU_DEP_1) | instskip(NEXT) | instid1(VALU_DEP_1)
	v_cmp_gt_u32_e64 s3, s4, v5
	s_and_b32 exec_lo, exec_lo, s3
	s_cbranch_execz .LBB175_62
; %bb.21:
	v_mul_lo_u32 v5, v5, s6
	s_and_saveexec_b32 s5, vcc_lo
	s_cbranch_execnz .LBB175_63
; %bb.22:
	s_or_b32 exec_lo, exec_lo, s5
	s_and_saveexec_b32 s5, s0
	s_cbranch_execnz .LBB175_64
.LBB175_23:
	s_or_b32 exec_lo, exec_lo, s5
	s_and_saveexec_b32 s5, s1
	s_cbranch_execnz .LBB175_65
.LBB175_24:
	s_or_b32 exec_lo, exec_lo, s5
	s_and_saveexec_b32 s5, s2
	s_cbranch_execz .LBB175_26
.LBB175_25:
	v_bfe_u32 v6, v46, 16, 1
	v_add_nc_u32_e32 v5, v5, v4
	v_cmp_o_f32_e64 s3, v46, v46
	s_delay_alu instid0(VALU_DEP_3) | instskip(SKIP_1) | instid1(VALU_DEP_2)
	v_add3_u32 v7, v46, v6, 0x7fff
	v_mov_b32_e32 v6, 0
	v_lshrrev_b32_e32 v7, 16, v7
	s_delay_alu instid0(VALU_DEP_2) | instskip(NEXT) | instid1(VALU_DEP_2)
	v_lshlrev_b64 v[5:6], 1, v[5:6]
	v_cndmask_b32_e64 v7, 0x7fc0, v7, s3
	s_waitcnt lgkmcnt(0)
	s_delay_alu instid0(VALU_DEP_2) | instskip(NEXT) | instid1(VALU_DEP_1)
	v_add_co_u32 v5, s3, s8, v5
	v_add_co_ci_u32_e64 v6, s3, s9, v6, s3
	global_store_b16 v[5:6], v7, off
.LBB175_26:
	s_or_b32 exec_lo, exec_lo, s5
	v_add3_u32 v5, v1, s7, 16
	s_delay_alu instid0(VALU_DEP_1) | instskip(NEXT) | instid1(VALU_DEP_1)
	v_cmp_gt_u32_e64 s3, s4, v5
	s_and_b32 exec_lo, exec_lo, s3
	s_cbranch_execz .LBB175_62
; %bb.27:
	v_mul_lo_u32 v5, v5, s6
	s_and_saveexec_b32 s5, vcc_lo
	s_cbranch_execnz .LBB175_66
; %bb.28:
	s_or_b32 exec_lo, exec_lo, s5
	s_and_saveexec_b32 s5, s0
	s_cbranch_execnz .LBB175_67
.LBB175_29:
	s_or_b32 exec_lo, exec_lo, s5
	s_and_saveexec_b32 s5, s1
	s_cbranch_execnz .LBB175_68
.LBB175_30:
	s_or_b32 exec_lo, exec_lo, s5
	s_and_saveexec_b32 s5, s2
	s_cbranch_execz .LBB175_32
.LBB175_31:
	v_bfe_u32 v6, v40, 16, 1
	v_add_nc_u32_e32 v5, v5, v4
	v_cmp_o_f32_e64 s3, v40, v40
	s_delay_alu instid0(VALU_DEP_3) | instskip(SKIP_1) | instid1(VALU_DEP_2)
	v_add3_u32 v7, v40, v6, 0x7fff
	v_mov_b32_e32 v6, 0
	v_lshrrev_b32_e32 v7, 16, v7
	s_delay_alu instid0(VALU_DEP_2) | instskip(NEXT) | instid1(VALU_DEP_2)
	v_lshlrev_b64 v[5:6], 1, v[5:6]
	v_cndmask_b32_e64 v7, 0x7fc0, v7, s3
	s_waitcnt lgkmcnt(0)
	s_delay_alu instid0(VALU_DEP_2) | instskip(NEXT) | instid1(VALU_DEP_1)
	v_add_co_u32 v5, s3, s8, v5
	v_add_co_ci_u32_e64 v6, s3, s9, v6, s3
	global_store_b16 v[5:6], v7, off
.LBB175_32:
	s_or_b32 exec_lo, exec_lo, s5
	v_add3_u32 v5, v1, s7, 24
	s_delay_alu instid0(VALU_DEP_1) | instskip(NEXT) | instid1(VALU_DEP_1)
	v_cmp_gt_u32_e64 s3, s4, v5
	s_and_b32 exec_lo, exec_lo, s3
	s_cbranch_execz .LBB175_62
; %bb.33:
	v_mul_lo_u32 v5, v5, s6
	s_and_saveexec_b32 s5, vcc_lo
	s_cbranch_execnz .LBB175_69
; %bb.34:
	s_or_b32 exec_lo, exec_lo, s5
	s_and_saveexec_b32 s5, s0
	s_cbranch_execnz .LBB175_70
.LBB175_35:
	s_or_b32 exec_lo, exec_lo, s5
	s_and_saveexec_b32 s5, s1
	s_cbranch_execnz .LBB175_71
.LBB175_36:
	s_or_b32 exec_lo, exec_lo, s5
	s_and_saveexec_b32 s5, s2
	s_cbranch_execz .LBB175_38
.LBB175_37:
	v_bfe_u32 v6, v33, 16, 1
	v_add_nc_u32_e32 v5, v5, v4
	v_cmp_o_f32_e64 s3, v33, v33
	s_delay_alu instid0(VALU_DEP_3) | instskip(SKIP_1) | instid1(VALU_DEP_2)
	v_add3_u32 v7, v33, v6, 0x7fff
	v_mov_b32_e32 v6, 0
	v_lshrrev_b32_e32 v7, 16, v7
	s_delay_alu instid0(VALU_DEP_2) | instskip(NEXT) | instid1(VALU_DEP_2)
	v_lshlrev_b64 v[5:6], 1, v[5:6]
	v_cndmask_b32_e64 v7, 0x7fc0, v7, s3
	s_waitcnt lgkmcnt(0)
	s_delay_alu instid0(VALU_DEP_2) | instskip(NEXT) | instid1(VALU_DEP_1)
	v_add_co_u32 v5, s3, s8, v5
	v_add_co_ci_u32_e64 v6, s3, s9, v6, s3
	global_store_b16 v[5:6], v7, off
.LBB175_38:
	s_or_b32 exec_lo, exec_lo, s5
	v_add3_u32 v5, v1, s7, 32
	s_delay_alu instid0(VALU_DEP_1) | instskip(NEXT) | instid1(VALU_DEP_1)
	v_cmp_gt_u32_e64 s3, s4, v5
	s_and_b32 exec_lo, exec_lo, s3
	s_cbranch_execz .LBB175_62
; %bb.39:
	v_mul_lo_u32 v5, v5, s6
	s_and_saveexec_b32 s5, vcc_lo
	s_cbranch_execnz .LBB175_72
; %bb.40:
	s_or_b32 exec_lo, exec_lo, s5
	s_and_saveexec_b32 s5, s0
	s_cbranch_execnz .LBB175_73
.LBB175_41:
	s_or_b32 exec_lo, exec_lo, s5
	s_and_saveexec_b32 s5, s1
	s_cbranch_execnz .LBB175_74
.LBB175_42:
	s_or_b32 exec_lo, exec_lo, s5
	s_and_saveexec_b32 s5, s2
	s_cbranch_execz .LBB175_44
.LBB175_43:
	v_bfe_u32 v6, v29, 16, 1
	v_add_nc_u32_e32 v5, v5, v4
	v_cmp_o_f32_e64 s3, v29, v29
	s_delay_alu instid0(VALU_DEP_3) | instskip(SKIP_1) | instid1(VALU_DEP_2)
	v_add3_u32 v7, v29, v6, 0x7fff
	v_mov_b32_e32 v6, 0
	v_lshrrev_b32_e32 v7, 16, v7
	s_delay_alu instid0(VALU_DEP_2) | instskip(NEXT) | instid1(VALU_DEP_2)
	v_lshlrev_b64 v[5:6], 1, v[5:6]
	v_cndmask_b32_e64 v7, 0x7fc0, v7, s3
	s_waitcnt lgkmcnt(0)
	s_delay_alu instid0(VALU_DEP_2) | instskip(NEXT) | instid1(VALU_DEP_1)
	v_add_co_u32 v5, s3, s8, v5
	v_add_co_ci_u32_e64 v6, s3, s9, v6, s3
	global_store_b16 v[5:6], v7, off
.LBB175_44:
	s_or_b32 exec_lo, exec_lo, s5
	v_add3_u32 v5, v1, s7, 40
	s_delay_alu instid0(VALU_DEP_1) | instskip(NEXT) | instid1(VALU_DEP_1)
	v_cmp_gt_u32_e64 s3, s4, v5
	s_and_b32 exec_lo, exec_lo, s3
	s_cbranch_execz .LBB175_62
; %bb.45:
	v_mul_lo_u32 v5, v5, s6
	s_and_saveexec_b32 s5, vcc_lo
	s_cbranch_execnz .LBB175_75
; %bb.46:
	s_or_b32 exec_lo, exec_lo, s5
	s_and_saveexec_b32 s5, s0
	s_cbranch_execnz .LBB175_76
.LBB175_47:
	s_or_b32 exec_lo, exec_lo, s5
	s_and_saveexec_b32 s5, s1
	s_cbranch_execnz .LBB175_77
.LBB175_48:
	s_or_b32 exec_lo, exec_lo, s5
	s_and_saveexec_b32 s5, s2
	s_cbranch_execz .LBB175_50
.LBB175_49:
	v_bfe_u32 v6, v25, 16, 1
	v_add_nc_u32_e32 v5, v5, v4
	v_cmp_o_f32_e64 s3, v25, v25
	s_delay_alu instid0(VALU_DEP_3) | instskip(SKIP_1) | instid1(VALU_DEP_2)
	v_add3_u32 v7, v25, v6, 0x7fff
	v_mov_b32_e32 v6, 0
	v_lshrrev_b32_e32 v7, 16, v7
	s_delay_alu instid0(VALU_DEP_2) | instskip(NEXT) | instid1(VALU_DEP_2)
	v_lshlrev_b64 v[5:6], 1, v[5:6]
	v_cndmask_b32_e64 v7, 0x7fc0, v7, s3
	s_waitcnt lgkmcnt(0)
	s_delay_alu instid0(VALU_DEP_2) | instskip(NEXT) | instid1(VALU_DEP_1)
	v_add_co_u32 v5, s3, s8, v5
	v_add_co_ci_u32_e64 v6, s3, s9, v6, s3
	global_store_b16 v[5:6], v7, off
.LBB175_50:
	s_or_b32 exec_lo, exec_lo, s5
	v_add3_u32 v5, v1, s7, 48
	s_delay_alu instid0(VALU_DEP_1) | instskip(NEXT) | instid1(VALU_DEP_1)
	v_cmp_gt_u32_e64 s3, s4, v5
	s_and_b32 exec_lo, exec_lo, s3
	s_cbranch_execz .LBB175_62
; %bb.51:
	v_mul_lo_u32 v5, v5, s6
	s_and_saveexec_b32 s5, vcc_lo
	s_cbranch_execnz .LBB175_78
; %bb.52:
	s_or_b32 exec_lo, exec_lo, s5
	s_and_saveexec_b32 s5, s0
	s_cbranch_execnz .LBB175_79
.LBB175_53:
	s_or_b32 exec_lo, exec_lo, s5
	s_and_saveexec_b32 s5, s1
	s_cbranch_execnz .LBB175_80
.LBB175_54:
	s_or_b32 exec_lo, exec_lo, s5
	s_and_saveexec_b32 s5, s2
	s_cbranch_execz .LBB175_56
.LBB175_55:
	v_bfe_u32 v6, v21, 16, 1
	v_add_nc_u32_e32 v5, v5, v4
	v_cmp_o_f32_e64 s3, v21, v21
	s_delay_alu instid0(VALU_DEP_3) | instskip(SKIP_1) | instid1(VALU_DEP_2)
	v_add3_u32 v7, v21, v6, 0x7fff
	v_mov_b32_e32 v6, 0
	v_lshrrev_b32_e32 v7, 16, v7
	s_delay_alu instid0(VALU_DEP_2) | instskip(NEXT) | instid1(VALU_DEP_2)
	v_lshlrev_b64 v[5:6], 1, v[5:6]
	v_cndmask_b32_e64 v7, 0x7fc0, v7, s3
	s_waitcnt lgkmcnt(0)
	s_delay_alu instid0(VALU_DEP_2) | instskip(NEXT) | instid1(VALU_DEP_1)
	v_add_co_u32 v5, s3, s8, v5
	v_add_co_ci_u32_e64 v6, s3, s9, v6, s3
	global_store_b16 v[5:6], v7, off
.LBB175_56:
	s_or_b32 exec_lo, exec_lo, s5
	v_add3_u32 v1, v1, s7, 56
	s_delay_alu instid0(VALU_DEP_1) | instskip(NEXT) | instid1(VALU_DEP_1)
	v_cmp_gt_u32_e64 s3, s4, v1
	s_and_b32 exec_lo, exec_lo, s3
	s_cbranch_execz .LBB175_62
; %bb.57:
	v_mul_lo_u32 v1, v1, s6
	s_and_saveexec_b32 s3, vcc_lo
	s_cbranch_execnz .LBB175_81
; %bb.58:
	s_or_b32 exec_lo, exec_lo, s3
	s_and_saveexec_b32 s3, s0
	s_cbranch_execnz .LBB175_82
.LBB175_59:
	s_or_b32 exec_lo, exec_lo, s3
	s_and_saveexec_b32 s0, s1
	s_cbranch_execnz .LBB175_83
.LBB175_60:
	s_or_b32 exec_lo, exec_lo, s0
	s_delay_alu instid0(SALU_CYCLE_1)
	s_and_b32 exec_lo, exec_lo, s2
	s_cbranch_execz .LBB175_62
.LBB175_61:
	v_bfe_u32 v2, v17, 16, 1
	v_dual_mov_b32 v1, 0 :: v_dual_add_nc_u32 v0, v1, v4
	v_cmp_o_f32_e32 vcc_lo, v17, v17
	s_delay_alu instid0(VALU_DEP_3) | instskip(NEXT) | instid1(VALU_DEP_3)
	v_add3_u32 v2, v17, v2, 0x7fff
	v_lshlrev_b64 v[0:1], 1, v[0:1]
	s_delay_alu instid0(VALU_DEP_2) | instskip(NEXT) | instid1(VALU_DEP_1)
	v_lshrrev_b32_e32 v2, 16, v2
	v_cndmask_b32_e32 v2, 0x7fc0, v2, vcc_lo
	s_waitcnt lgkmcnt(0)
	s_delay_alu instid0(VALU_DEP_3) | instskip(NEXT) | instid1(VALU_DEP_4)
	v_add_co_u32 v0, vcc_lo, s8, v0
	v_add_co_ci_u32_e32 v1, vcc_lo, s9, v1, vcc_lo
	global_store_b16 v[0:1], v2, off
.LBB175_62:
	s_nop 0
	s_sendmsg sendmsg(MSG_DEALLOC_VGPRS)
	s_endpgm
.LBB175_63:
	v_bfe_u32 v7, v51, 16, 1
	s_delay_alu instid0(VALU_DEP_2) | instskip(SKIP_1) | instid1(VALU_DEP_3)
	v_add_nc_u32_e32 v6, v5, v0
	v_cmp_o_f32_e64 s3, v51, v51
	v_add3_u32 v8, v51, v7, 0x7fff
	v_mov_b32_e32 v7, 0
	s_delay_alu instid0(VALU_DEP_2) | instskip(NEXT) | instid1(VALU_DEP_2)
	v_lshrrev_b32_e32 v8, 16, v8
	v_lshlrev_b64 v[6:7], 1, v[6:7]
	s_delay_alu instid0(VALU_DEP_2) | instskip(SKIP_1) | instid1(VALU_DEP_2)
	v_cndmask_b32_e64 v8, 0x7fc0, v8, s3
	s_waitcnt lgkmcnt(0)
	v_add_co_u32 v6, s3, s8, v6
	s_delay_alu instid0(VALU_DEP_1)
	v_add_co_ci_u32_e64 v7, s3, s9, v7, s3
	global_store_b16 v[6:7], v8, off
	s_or_b32 exec_lo, exec_lo, s5
	s_and_saveexec_b32 s5, s0
	s_cbranch_execz .LBB175_23
.LBB175_64:
	v_bfe_u32 v7, v49, 16, 1
	s_delay_alu instid0(VALU_DEP_2) | instskip(SKIP_1) | instid1(VALU_DEP_3)
	v_add_nc_u32_e32 v6, v5, v2
	v_cmp_o_f32_e64 s3, v49, v49
	v_add3_u32 v8, v49, v7, 0x7fff
	v_mov_b32_e32 v7, 0
	s_delay_alu instid0(VALU_DEP_2) | instskip(NEXT) | instid1(VALU_DEP_2)
	v_lshrrev_b32_e32 v8, 16, v8
	v_lshlrev_b64 v[6:7], 1, v[6:7]
	s_delay_alu instid0(VALU_DEP_2) | instskip(SKIP_1) | instid1(VALU_DEP_2)
	v_cndmask_b32_e64 v8, 0x7fc0, v8, s3
	s_waitcnt lgkmcnt(0)
	v_add_co_u32 v6, s3, s8, v6
	s_delay_alu instid0(VALU_DEP_1)
	v_add_co_ci_u32_e64 v7, s3, s9, v7, s3
	global_store_b16 v[6:7], v8, off
	s_or_b32 exec_lo, exec_lo, s5
	s_and_saveexec_b32 s5, s1
	s_cbranch_execz .LBB175_24
.LBB175_65:
	v_bfe_u32 v7, v48, 16, 1
	v_add_nc_u32_e32 v6, v5, v3
	v_cmp_o_f32_e64 s3, v48, v48
	s_delay_alu instid0(VALU_DEP_3) | instskip(SKIP_1) | instid1(VALU_DEP_2)
	v_add3_u32 v8, v48, v7, 0x7fff
	v_mov_b32_e32 v7, 0
	v_lshrrev_b32_e32 v8, 16, v8
	s_delay_alu instid0(VALU_DEP_2) | instskip(NEXT) | instid1(VALU_DEP_2)
	v_lshlrev_b64 v[6:7], 1, v[6:7]
	v_cndmask_b32_e64 v8, 0x7fc0, v8, s3
	s_waitcnt lgkmcnt(0)
	s_delay_alu instid0(VALU_DEP_2) | instskip(NEXT) | instid1(VALU_DEP_1)
	v_add_co_u32 v6, s3, s8, v6
	v_add_co_ci_u32_e64 v7, s3, s9, v7, s3
	global_store_b16 v[6:7], v8, off
	s_or_b32 exec_lo, exec_lo, s5
	s_and_saveexec_b32 s5, s2
	s_cbranch_execnz .LBB175_25
	s_branch .LBB175_26
.LBB175_66:
	v_bfe_u32 v7, v45, 16, 1
	s_delay_alu instid0(VALU_DEP_2) | instskip(SKIP_1) | instid1(VALU_DEP_3)
	v_add_nc_u32_e32 v6, v5, v0
	v_cmp_o_f32_e64 s3, v45, v45
	v_add3_u32 v8, v45, v7, 0x7fff
	v_mov_b32_e32 v7, 0
	s_delay_alu instid0(VALU_DEP_2) | instskip(NEXT) | instid1(VALU_DEP_2)
	v_lshrrev_b32_e32 v8, 16, v8
	v_lshlrev_b64 v[6:7], 1, v[6:7]
	s_delay_alu instid0(VALU_DEP_2) | instskip(SKIP_1) | instid1(VALU_DEP_2)
	v_cndmask_b32_e64 v8, 0x7fc0, v8, s3
	s_waitcnt lgkmcnt(0)
	v_add_co_u32 v6, s3, s8, v6
	s_delay_alu instid0(VALU_DEP_1)
	v_add_co_ci_u32_e64 v7, s3, s9, v7, s3
	global_store_b16 v[6:7], v8, off
	s_or_b32 exec_lo, exec_lo, s5
	s_and_saveexec_b32 s5, s0
	s_cbranch_execz .LBB175_29
.LBB175_67:
	v_bfe_u32 v7, v43, 16, 1
	s_delay_alu instid0(VALU_DEP_2) | instskip(SKIP_1) | instid1(VALU_DEP_3)
	v_add_nc_u32_e32 v6, v5, v2
	v_cmp_o_f32_e64 s3, v43, v43
	v_add3_u32 v8, v43, v7, 0x7fff
	v_mov_b32_e32 v7, 0
	s_delay_alu instid0(VALU_DEP_2) | instskip(NEXT) | instid1(VALU_DEP_2)
	v_lshrrev_b32_e32 v8, 16, v8
	v_lshlrev_b64 v[6:7], 1, v[6:7]
	s_delay_alu instid0(VALU_DEP_2) | instskip(SKIP_1) | instid1(VALU_DEP_2)
	v_cndmask_b32_e64 v8, 0x7fc0, v8, s3
	s_waitcnt lgkmcnt(0)
	v_add_co_u32 v6, s3, s8, v6
	s_delay_alu instid0(VALU_DEP_1)
	v_add_co_ci_u32_e64 v7, s3, s9, v7, s3
	global_store_b16 v[6:7], v8, off
	s_or_b32 exec_lo, exec_lo, s5
	s_and_saveexec_b32 s5, s1
	s_cbranch_execz .LBB175_30
.LBB175_68:
	v_bfe_u32 v7, v42, 16, 1
	v_add_nc_u32_e32 v6, v5, v3
	v_cmp_o_f32_e64 s3, v42, v42
	s_delay_alu instid0(VALU_DEP_3) | instskip(SKIP_1) | instid1(VALU_DEP_2)
	v_add3_u32 v8, v42, v7, 0x7fff
	v_mov_b32_e32 v7, 0
	v_lshrrev_b32_e32 v8, 16, v8
	s_delay_alu instid0(VALU_DEP_2) | instskip(NEXT) | instid1(VALU_DEP_2)
	v_lshlrev_b64 v[6:7], 1, v[6:7]
	v_cndmask_b32_e64 v8, 0x7fc0, v8, s3
	s_waitcnt lgkmcnt(0)
	s_delay_alu instid0(VALU_DEP_2) | instskip(NEXT) | instid1(VALU_DEP_1)
	v_add_co_u32 v6, s3, s8, v6
	v_add_co_ci_u32_e64 v7, s3, s9, v7, s3
	global_store_b16 v[6:7], v8, off
	s_or_b32 exec_lo, exec_lo, s5
	s_and_saveexec_b32 s5, s2
	s_cbranch_execnz .LBB175_31
	s_branch .LBB175_32
.LBB175_69:
	v_bfe_u32 v7, v39, 16, 1
	s_delay_alu instid0(VALU_DEP_2) | instskip(SKIP_1) | instid1(VALU_DEP_3)
	v_add_nc_u32_e32 v6, v5, v0
	v_cmp_o_f32_e64 s3, v39, v39
	v_add3_u32 v8, v39, v7, 0x7fff
	v_mov_b32_e32 v7, 0
	s_delay_alu instid0(VALU_DEP_2) | instskip(NEXT) | instid1(VALU_DEP_2)
	v_lshrrev_b32_e32 v8, 16, v8
	v_lshlrev_b64 v[6:7], 1, v[6:7]
	s_delay_alu instid0(VALU_DEP_2) | instskip(SKIP_1) | instid1(VALU_DEP_2)
	v_cndmask_b32_e64 v8, 0x7fc0, v8, s3
	s_waitcnt lgkmcnt(0)
	v_add_co_u32 v6, s3, s8, v6
	s_delay_alu instid0(VALU_DEP_1)
	v_add_co_ci_u32_e64 v7, s3, s9, v7, s3
	global_store_b16 v[6:7], v8, off
	s_or_b32 exec_lo, exec_lo, s5
	s_and_saveexec_b32 s5, s0
	s_cbranch_execz .LBB175_35
.LBB175_70:
	v_bfe_u32 v7, v37, 16, 1
	s_delay_alu instid0(VALU_DEP_2) | instskip(SKIP_1) | instid1(VALU_DEP_3)
	v_add_nc_u32_e32 v6, v5, v2
	v_cmp_o_f32_e64 s3, v37, v37
	v_add3_u32 v8, v37, v7, 0x7fff
	v_mov_b32_e32 v7, 0
	s_delay_alu instid0(VALU_DEP_2) | instskip(NEXT) | instid1(VALU_DEP_2)
	v_lshrrev_b32_e32 v8, 16, v8
	v_lshlrev_b64 v[6:7], 1, v[6:7]
	s_delay_alu instid0(VALU_DEP_2) | instskip(SKIP_1) | instid1(VALU_DEP_2)
	v_cndmask_b32_e64 v8, 0x7fc0, v8, s3
	s_waitcnt lgkmcnt(0)
	v_add_co_u32 v6, s3, s8, v6
	s_delay_alu instid0(VALU_DEP_1)
	v_add_co_ci_u32_e64 v7, s3, s9, v7, s3
	global_store_b16 v[6:7], v8, off
	s_or_b32 exec_lo, exec_lo, s5
	s_and_saveexec_b32 s5, s1
	s_cbranch_execz .LBB175_36
.LBB175_71:
	v_bfe_u32 v7, v34, 16, 1
	v_add_nc_u32_e32 v6, v5, v3
	v_cmp_o_f32_e64 s3, v34, v34
	s_delay_alu instid0(VALU_DEP_3) | instskip(SKIP_1) | instid1(VALU_DEP_2)
	v_add3_u32 v8, v34, v7, 0x7fff
	v_mov_b32_e32 v7, 0
	v_lshrrev_b32_e32 v8, 16, v8
	s_delay_alu instid0(VALU_DEP_2) | instskip(NEXT) | instid1(VALU_DEP_2)
	v_lshlrev_b64 v[6:7], 1, v[6:7]
	v_cndmask_b32_e64 v8, 0x7fc0, v8, s3
	s_waitcnt lgkmcnt(0)
	s_delay_alu instid0(VALU_DEP_2) | instskip(NEXT) | instid1(VALU_DEP_1)
	v_add_co_u32 v6, s3, s8, v6
	v_add_co_ci_u32_e64 v7, s3, s9, v7, s3
	global_store_b16 v[6:7], v8, off
	s_or_b32 exec_lo, exec_lo, s5
	s_and_saveexec_b32 s5, s2
	s_cbranch_execnz .LBB175_37
	s_branch .LBB175_38
.LBB175_72:
	v_bfe_u32 v7, v32, 16, 1
	s_delay_alu instid0(VALU_DEP_2) | instskip(SKIP_1) | instid1(VALU_DEP_3)
	v_add_nc_u32_e32 v6, v5, v0
	v_cmp_o_f32_e64 s3, v32, v32
	v_add3_u32 v8, v32, v7, 0x7fff
	v_mov_b32_e32 v7, 0
	s_delay_alu instid0(VALU_DEP_2) | instskip(NEXT) | instid1(VALU_DEP_2)
	v_lshrrev_b32_e32 v8, 16, v8
	v_lshlrev_b64 v[6:7], 1, v[6:7]
	s_delay_alu instid0(VALU_DEP_2) | instskip(SKIP_1) | instid1(VALU_DEP_2)
	v_cndmask_b32_e64 v8, 0x7fc0, v8, s3
	s_waitcnt lgkmcnt(0)
	v_add_co_u32 v6, s3, s8, v6
	s_delay_alu instid0(VALU_DEP_1)
	v_add_co_ci_u32_e64 v7, s3, s9, v7, s3
	global_store_b16 v[6:7], v8, off
	s_or_b32 exec_lo, exec_lo, s5
	s_and_saveexec_b32 s5, s0
	s_cbranch_execz .LBB175_41
.LBB175_73:
	v_bfe_u32 v7, v31, 16, 1
	s_delay_alu instid0(VALU_DEP_2) | instskip(SKIP_1) | instid1(VALU_DEP_3)
	v_add_nc_u32_e32 v6, v5, v2
	v_cmp_o_f32_e64 s3, v31, v31
	v_add3_u32 v8, v31, v7, 0x7fff
	v_mov_b32_e32 v7, 0
	s_delay_alu instid0(VALU_DEP_2) | instskip(NEXT) | instid1(VALU_DEP_2)
	v_lshrrev_b32_e32 v8, 16, v8
	v_lshlrev_b64 v[6:7], 1, v[6:7]
	s_delay_alu instid0(VALU_DEP_2) | instskip(SKIP_1) | instid1(VALU_DEP_2)
	v_cndmask_b32_e64 v8, 0x7fc0, v8, s3
	s_waitcnt lgkmcnt(0)
	v_add_co_u32 v6, s3, s8, v6
	s_delay_alu instid0(VALU_DEP_1)
	v_add_co_ci_u32_e64 v7, s3, s9, v7, s3
	global_store_b16 v[6:7], v8, off
	s_or_b32 exec_lo, exec_lo, s5
	s_and_saveexec_b32 s5, s1
	s_cbranch_execz .LBB175_42
.LBB175_74:
	v_bfe_u32 v7, v30, 16, 1
	v_add_nc_u32_e32 v6, v5, v3
	v_cmp_o_f32_e64 s3, v30, v30
	s_delay_alu instid0(VALU_DEP_3) | instskip(SKIP_1) | instid1(VALU_DEP_2)
	v_add3_u32 v8, v30, v7, 0x7fff
	v_mov_b32_e32 v7, 0
	v_lshrrev_b32_e32 v8, 16, v8
	s_delay_alu instid0(VALU_DEP_2) | instskip(NEXT) | instid1(VALU_DEP_2)
	v_lshlrev_b64 v[6:7], 1, v[6:7]
	v_cndmask_b32_e64 v8, 0x7fc0, v8, s3
	s_waitcnt lgkmcnt(0)
	s_delay_alu instid0(VALU_DEP_2) | instskip(NEXT) | instid1(VALU_DEP_1)
	v_add_co_u32 v6, s3, s8, v6
	v_add_co_ci_u32_e64 v7, s3, s9, v7, s3
	global_store_b16 v[6:7], v8, off
	s_or_b32 exec_lo, exec_lo, s5
	s_and_saveexec_b32 s5, s2
	s_cbranch_execnz .LBB175_43
	s_branch .LBB175_44
.LBB175_75:
	v_bfe_u32 v7, v28, 16, 1
	s_delay_alu instid0(VALU_DEP_2) | instskip(SKIP_1) | instid1(VALU_DEP_3)
	v_add_nc_u32_e32 v6, v5, v0
	v_cmp_o_f32_e64 s3, v28, v28
	v_add3_u32 v8, v28, v7, 0x7fff
	v_mov_b32_e32 v7, 0
	s_delay_alu instid0(VALU_DEP_2) | instskip(NEXT) | instid1(VALU_DEP_2)
	v_lshrrev_b32_e32 v8, 16, v8
	v_lshlrev_b64 v[6:7], 1, v[6:7]
	s_delay_alu instid0(VALU_DEP_2) | instskip(SKIP_1) | instid1(VALU_DEP_2)
	v_cndmask_b32_e64 v8, 0x7fc0, v8, s3
	s_waitcnt lgkmcnt(0)
	v_add_co_u32 v6, s3, s8, v6
	s_delay_alu instid0(VALU_DEP_1)
	v_add_co_ci_u32_e64 v7, s3, s9, v7, s3
	global_store_b16 v[6:7], v8, off
	s_or_b32 exec_lo, exec_lo, s5
	s_and_saveexec_b32 s5, s0
	s_cbranch_execz .LBB175_47
.LBB175_76:
	v_bfe_u32 v7, v27, 16, 1
	s_delay_alu instid0(VALU_DEP_2) | instskip(SKIP_1) | instid1(VALU_DEP_3)
	v_add_nc_u32_e32 v6, v5, v2
	v_cmp_o_f32_e64 s3, v27, v27
	v_add3_u32 v8, v27, v7, 0x7fff
	v_mov_b32_e32 v7, 0
	s_delay_alu instid0(VALU_DEP_2) | instskip(NEXT) | instid1(VALU_DEP_2)
	v_lshrrev_b32_e32 v8, 16, v8
	v_lshlrev_b64 v[6:7], 1, v[6:7]
	s_delay_alu instid0(VALU_DEP_2) | instskip(SKIP_1) | instid1(VALU_DEP_2)
	v_cndmask_b32_e64 v8, 0x7fc0, v8, s3
	s_waitcnt lgkmcnt(0)
	v_add_co_u32 v6, s3, s8, v6
	s_delay_alu instid0(VALU_DEP_1)
	v_add_co_ci_u32_e64 v7, s3, s9, v7, s3
	global_store_b16 v[6:7], v8, off
	s_or_b32 exec_lo, exec_lo, s5
	s_and_saveexec_b32 s5, s1
	s_cbranch_execz .LBB175_48
.LBB175_77:
	v_bfe_u32 v7, v26, 16, 1
	v_add_nc_u32_e32 v6, v5, v3
	v_cmp_o_f32_e64 s3, v26, v26
	s_delay_alu instid0(VALU_DEP_3) | instskip(SKIP_1) | instid1(VALU_DEP_2)
	v_add3_u32 v8, v26, v7, 0x7fff
	v_mov_b32_e32 v7, 0
	v_lshrrev_b32_e32 v8, 16, v8
	s_delay_alu instid0(VALU_DEP_2) | instskip(NEXT) | instid1(VALU_DEP_2)
	v_lshlrev_b64 v[6:7], 1, v[6:7]
	v_cndmask_b32_e64 v8, 0x7fc0, v8, s3
	s_waitcnt lgkmcnt(0)
	s_delay_alu instid0(VALU_DEP_2) | instskip(NEXT) | instid1(VALU_DEP_1)
	v_add_co_u32 v6, s3, s8, v6
	v_add_co_ci_u32_e64 v7, s3, s9, v7, s3
	global_store_b16 v[6:7], v8, off
	s_or_b32 exec_lo, exec_lo, s5
	s_and_saveexec_b32 s5, s2
	s_cbranch_execnz .LBB175_49
	s_branch .LBB175_50
.LBB175_78:
	v_bfe_u32 v7, v24, 16, 1
	s_delay_alu instid0(VALU_DEP_2) | instskip(SKIP_1) | instid1(VALU_DEP_3)
	v_add_nc_u32_e32 v6, v5, v0
	v_cmp_o_f32_e64 s3, v24, v24
	v_add3_u32 v8, v24, v7, 0x7fff
	v_mov_b32_e32 v7, 0
	s_delay_alu instid0(VALU_DEP_2) | instskip(NEXT) | instid1(VALU_DEP_2)
	v_lshrrev_b32_e32 v8, 16, v8
	v_lshlrev_b64 v[6:7], 1, v[6:7]
	s_delay_alu instid0(VALU_DEP_2) | instskip(SKIP_1) | instid1(VALU_DEP_2)
	v_cndmask_b32_e64 v8, 0x7fc0, v8, s3
	s_waitcnt lgkmcnt(0)
	v_add_co_u32 v6, s3, s8, v6
	s_delay_alu instid0(VALU_DEP_1)
	v_add_co_ci_u32_e64 v7, s3, s9, v7, s3
	global_store_b16 v[6:7], v8, off
	s_or_b32 exec_lo, exec_lo, s5
	s_and_saveexec_b32 s5, s0
	s_cbranch_execz .LBB175_53
.LBB175_79:
	v_bfe_u32 v7, v23, 16, 1
	s_delay_alu instid0(VALU_DEP_2) | instskip(SKIP_1) | instid1(VALU_DEP_3)
	v_add_nc_u32_e32 v6, v5, v2
	v_cmp_o_f32_e64 s3, v23, v23
	v_add3_u32 v8, v23, v7, 0x7fff
	v_mov_b32_e32 v7, 0
	s_delay_alu instid0(VALU_DEP_2) | instskip(NEXT) | instid1(VALU_DEP_2)
	v_lshrrev_b32_e32 v8, 16, v8
	v_lshlrev_b64 v[6:7], 1, v[6:7]
	s_delay_alu instid0(VALU_DEP_2) | instskip(SKIP_1) | instid1(VALU_DEP_2)
	v_cndmask_b32_e64 v8, 0x7fc0, v8, s3
	s_waitcnt lgkmcnt(0)
	v_add_co_u32 v6, s3, s8, v6
	s_delay_alu instid0(VALU_DEP_1)
	v_add_co_ci_u32_e64 v7, s3, s9, v7, s3
	global_store_b16 v[6:7], v8, off
	s_or_b32 exec_lo, exec_lo, s5
	s_and_saveexec_b32 s5, s1
	s_cbranch_execz .LBB175_54
.LBB175_80:
	v_bfe_u32 v7, v22, 16, 1
	v_add_nc_u32_e32 v6, v5, v3
	v_cmp_o_f32_e64 s3, v22, v22
	s_delay_alu instid0(VALU_DEP_3) | instskip(SKIP_1) | instid1(VALU_DEP_2)
	v_add3_u32 v8, v22, v7, 0x7fff
	v_mov_b32_e32 v7, 0
	v_lshrrev_b32_e32 v8, 16, v8
	s_delay_alu instid0(VALU_DEP_2) | instskip(NEXT) | instid1(VALU_DEP_2)
	v_lshlrev_b64 v[6:7], 1, v[6:7]
	v_cndmask_b32_e64 v8, 0x7fc0, v8, s3
	s_waitcnt lgkmcnt(0)
	s_delay_alu instid0(VALU_DEP_2) | instskip(NEXT) | instid1(VALU_DEP_1)
	v_add_co_u32 v6, s3, s8, v6
	v_add_co_ci_u32_e64 v7, s3, s9, v7, s3
	global_store_b16 v[6:7], v8, off
	s_or_b32 exec_lo, exec_lo, s5
	s_and_saveexec_b32 s5, s2
	s_cbranch_execnz .LBB175_55
	s_branch .LBB175_56
.LBB175_81:
	v_bfe_u32 v6, v20, 16, 1
	s_delay_alu instid0(VALU_DEP_2) | instskip(SKIP_1) | instid1(VALU_DEP_3)
	v_add_nc_u32_e32 v5, v1, v0
	v_cmp_o_f32_e32 vcc_lo, v20, v20
	v_add3_u32 v0, v20, v6, 0x7fff
	v_mov_b32_e32 v6, 0
	s_delay_alu instid0(VALU_DEP_2) | instskip(NEXT) | instid1(VALU_DEP_2)
	v_lshrrev_b32_e32 v0, 16, v0
	v_lshlrev_b64 v[5:6], 1, v[5:6]
	s_delay_alu instid0(VALU_DEP_2) | instskip(SKIP_1) | instid1(VALU_DEP_2)
	v_cndmask_b32_e32 v0, 0x7fc0, v0, vcc_lo
	s_waitcnt lgkmcnt(0)
	v_add_co_u32 v5, vcc_lo, s8, v5
	s_delay_alu instid0(VALU_DEP_3)
	v_add_co_ci_u32_e32 v6, vcc_lo, s9, v6, vcc_lo
	global_store_b16 v[5:6], v0, off
	s_or_b32 exec_lo, exec_lo, s3
	s_and_saveexec_b32 s3, s0
	s_cbranch_execz .LBB175_59
.LBB175_82:
	v_bfe_u32 v0, v19, 16, 1
	s_delay_alu instid0(VALU_DEP_2) | instskip(SKIP_1) | instid1(VALU_DEP_3)
	v_dual_mov_b32 v6, 0 :: v_dual_add_nc_u32 v5, v1, v2
	v_cmp_o_f32_e32 vcc_lo, v19, v19
	v_add3_u32 v0, v19, v0, 0x7fff
	s_delay_alu instid0(VALU_DEP_3) | instskip(NEXT) | instid1(VALU_DEP_2)
	v_lshlrev_b64 v[5:6], 1, v[5:6]
	v_lshrrev_b32_e32 v0, 16, v0
	s_delay_alu instid0(VALU_DEP_1) | instskip(SKIP_1) | instid1(VALU_DEP_3)
	v_cndmask_b32_e32 v0, 0x7fc0, v0, vcc_lo
	s_waitcnt lgkmcnt(0)
	v_add_co_u32 v5, vcc_lo, s8, v5
	s_delay_alu instid0(VALU_DEP_4)
	v_add_co_ci_u32_e32 v6, vcc_lo, s9, v6, vcc_lo
	global_store_b16 v[5:6], v0, off
	s_or_b32 exec_lo, exec_lo, s3
	s_and_saveexec_b32 s0, s1
	s_cbranch_execz .LBB175_60
.LBB175_83:
	v_bfe_u32 v0, v18, 16, 1
	v_dual_mov_b32 v3, 0 :: v_dual_add_nc_u32 v2, v1, v3
	v_cmp_o_f32_e32 vcc_lo, v18, v18
	s_delay_alu instid0(VALU_DEP_3) | instskip(NEXT) | instid1(VALU_DEP_3)
	v_add3_u32 v0, v18, v0, 0x7fff
	v_lshlrev_b64 v[2:3], 1, v[2:3]
	s_delay_alu instid0(VALU_DEP_2) | instskip(NEXT) | instid1(VALU_DEP_1)
	v_lshrrev_b32_e32 v0, 16, v0
	v_cndmask_b32_e32 v0, 0x7fc0, v0, vcc_lo
	s_waitcnt lgkmcnt(0)
	s_delay_alu instid0(VALU_DEP_3) | instskip(NEXT) | instid1(VALU_DEP_4)
	v_add_co_u32 v2, vcc_lo, s8, v2
	v_add_co_ci_u32_e32 v3, vcc_lo, s9, v3, vcc_lo
	global_store_b16 v[2:3], v0, off
	s_or_b32 exec_lo, exec_lo, s0
	s_delay_alu instid0(SALU_CYCLE_1)
	s_and_b32 exec_lo, exec_lo, s2
	s_cbranch_execnz .LBB175_61
	s_branch .LBB175_62
	.section	.rodata,"a",@progbits
	.p2align	6, 0x0
	.amdhsa_kernel _ZL12mul_mat_q6_KIN3c108BFloat16ELb0EEvPKvS3_PT_iiiii
		.amdhsa_group_segment_fixed_size 45136
		.amdhsa_private_segment_fixed_size 44
		.amdhsa_kernarg_size 44
		.amdhsa_user_sgpr_count 14
		.amdhsa_user_sgpr_dispatch_ptr 0
		.amdhsa_user_sgpr_queue_ptr 0
		.amdhsa_user_sgpr_kernarg_segment_ptr 1
		.amdhsa_user_sgpr_dispatch_id 0
		.amdhsa_user_sgpr_private_segment_size 0
		.amdhsa_wavefront_size32 1
		.amdhsa_uses_dynamic_stack 0
		.amdhsa_enable_private_segment 1
		.amdhsa_system_sgpr_workgroup_id_x 1
		.amdhsa_system_sgpr_workgroup_id_y 1
		.amdhsa_system_sgpr_workgroup_id_z 0
		.amdhsa_system_sgpr_workgroup_info 0
		.amdhsa_system_vgpr_workitem_id 1
		.amdhsa_next_free_vgpr 256
		.amdhsa_next_free_sgpr 18
		.amdhsa_reserve_vcc 1
		.amdhsa_float_round_mode_32 0
		.amdhsa_float_round_mode_16_64 0
		.amdhsa_float_denorm_mode_32 3
		.amdhsa_float_denorm_mode_16_64 3
		.amdhsa_dx10_clamp 1
		.amdhsa_ieee_mode 1
		.amdhsa_fp16_overflow 0
		.amdhsa_workgroup_processor_mode 1
		.amdhsa_memory_ordered 1
		.amdhsa_forward_progress 0
		.amdhsa_shared_vgpr_count 0
		.amdhsa_exception_fp_ieee_invalid_op 0
		.amdhsa_exception_fp_denorm_src 0
		.amdhsa_exception_fp_ieee_div_zero 0
		.amdhsa_exception_fp_ieee_overflow 0
		.amdhsa_exception_fp_ieee_underflow 0
		.amdhsa_exception_fp_ieee_inexact 0
		.amdhsa_exception_int_div_zero 0
	.end_amdhsa_kernel
	.section	.text._ZL12mul_mat_q6_KIN3c108BFloat16ELb0EEvPKvS3_PT_iiiii,"axG",@progbits,_ZL12mul_mat_q6_KIN3c108BFloat16ELb0EEvPKvS3_PT_iiiii,comdat
.Lfunc_end175:
	.size	_ZL12mul_mat_q6_KIN3c108BFloat16ELb0EEvPKvS3_PT_iiiii, .Lfunc_end175-_ZL12mul_mat_q6_KIN3c108BFloat16ELb0EEvPKvS3_PT_iiiii
                                        ; -- End function
	.section	.AMDGPU.csdata,"",@progbits
; Kernel info:
; codeLenInByte = 20528
; NumSgprs: 20
; NumVgprs: 256
; ScratchSize: 44
; MemoryBound: 0
; FloatMode: 240
; IeeeMode: 1
; LDSByteSize: 45136 bytes/workgroup (compile time only)
; SGPRBlocks: 2
; VGPRBlocks: 31
; NumSGPRsForWavesPerEU: 20
; NumVGPRsForWavesPerEU: 256
; Occupancy: 4
; WaveLimiterHint : 0
; COMPUTE_PGM_RSRC2:SCRATCH_EN: 1
; COMPUTE_PGM_RSRC2:USER_SGPR: 14
; COMPUTE_PGM_RSRC2:TRAP_HANDLER: 0
; COMPUTE_PGM_RSRC2:TGID_X_EN: 1
; COMPUTE_PGM_RSRC2:TGID_Y_EN: 1
; COMPUTE_PGM_RSRC2:TGID_Z_EN: 0
; COMPUTE_PGM_RSRC2:TIDIG_COMP_CNT: 1
	.section	.text._ZL12mul_mat_q6_KIN3c108BFloat16ELb1EEvPKvS3_PT_iiiii,"axG",@progbits,_ZL12mul_mat_q6_KIN3c108BFloat16ELb1EEvPKvS3_PT_iiiii,comdat
	.globl	_ZL12mul_mat_q6_KIN3c108BFloat16ELb1EEvPKvS3_PT_iiiii ; -- Begin function _ZL12mul_mat_q6_KIN3c108BFloat16ELb1EEvPKvS3_PT_iiiii
	.p2align	8
	.type	_ZL12mul_mat_q6_KIN3c108BFloat16ELb1EEvPKvS3_PT_iiiii,@function
_ZL12mul_mat_q6_KIN3c108BFloat16ELb1EEvPKvS3_PT_iiiii: ; @_ZL12mul_mat_q6_KIN3c108BFloat16ELb1EEvPKvS3_PT_iiiii
; %bb.0:
	s_clause 0x1
	s_load_b128 s[4:7], s[0:1], 0x18
	s_load_b32 s10, s[0:1], 0x28
	v_bfe_u32 v49, v0, 10, 10
	v_and_b32_e32 v50, 0x3ff, v0
	s_lshl_b32 s11, s15, 6
	s_waitcnt lgkmcnt(0)
	s_cmpk_gt_i32 s4, 0xff
	s_cbranch_scc1 .LBB176_2
; %bb.1:
	v_bfe_u32 v1, v0, 10, 10
	v_and_b32_e32 v0, 0x3ff, v0
	s_mov_b32 s2, 0
	s_mov_b32 s3, 0
	s_delay_alu instid0(VALU_DEP_2)
	v_add_nc_u32_e32 v2, s11, v1
	s_branch .LBB176_3
.LBB176_2:
	s_mov_b32 s2, -1
                                        ; implicit-def: $sgpr3
                                        ; implicit-def: $vgpr1
                                        ; implicit-def: $vgpr0
                                        ; implicit-def: $vgpr2
.LBB176_3:
	s_load_b64 s[8:9], s[0:1], 0x10
	v_dual_mov_b32 v33, s3 :: v_dual_mov_b32 v52, s3
	v_dual_mov_b32 v37, s3 :: v_dual_mov_b32 v34, s3
	;; [unrolled: 1-line block ×13, first 2 shown]
	v_mov_b32_e32 v65, s3
	v_mov_b32_e32 v75, s3
	;; [unrolled: 1-line block ×6, first 2 shown]
	s_and_not1_b32 vcc_lo, exec_lo, s2
	s_lshl_b32 s12, s14, 7
	s_cbranch_vccnz .LBB176_11
; %bb.4:
	s_load_b128 s[0:3], s[0:1], 0x0
	s_ashr_i32 s13, s4, 31
	v_dual_mov_b32 v51, 0 :: v_dual_and_b32 v36, 31, v50
	s_lshr_b32 s13, s13, 24
	s_ashr_i32 s14, s7, 31
	s_add_i32 s4, s4, s13
	s_lshr_b32 s14, s14, 27
	s_ashr_i32 s4, s4, 8
	v_add_nc_u16 v1, v36, -16
	v_cmp_gt_u32_e32 vcc_lo, 16, v36
	s_add_i32 s7, s7, s14
	s_mul_i32 s13, s4, s12
	s_ashr_i32 s14, s7, 5
	s_mul_i32 s7, s13, 0xd2
	s_mul_hi_i32 s13, s13, 0xd2
	v_dual_cndmask_b32 v1, v1, v36 :: v_dual_and_b32 v0, 7, v50
	v_cmp_lt_u32_e32 vcc_lo, 15, v36
	v_dual_mov_b32 v87, 0 :: v_dual_and_b32 v2, 15, v50
	s_waitcnt lgkmcnt(0)
	s_add_u32 s7, s0, s7
	s_addc_u32 s13, s1, s13
	s_not_b32 s0, s12
	v_dual_mov_b32 v54, 0 :: v_dual_add_nc_u32 v31, s11, v49
	s_add_i32 s0, s0, s5
	v_dual_mov_b32 v55, 0 :: v_dual_lshlrev_b32 v0, 2, v0
	v_cndmask_b32_e64 v3, 0, 1, vcc_lo
	v_min_i32_e32 v4, s0, v49
	v_cmp_lt_u16_e32 vcc_lo, 7, v1
	v_dual_mov_b32 v75, 0 :: v_dual_lshlrev_b32 v2, 2, v2
	v_dual_mov_b32 v74, 0 :: v_dual_add_nc_u32 v13, 16, v31
	v_add_nc_u32_e32 v16, 0x50, v49
	v_dual_mov_b32 v70, 0 :: v_dual_add_nc_u32 v37, 8, v49
	v_lshl_or_b32 v61, v3, 5, v0
	v_mul_lo_u32 v0, v4, s4
	v_cndmask_b32_e64 v1, 0, 1, vcc_lo
	v_lshl_or_b32 v17, v3, 7, v2
	v_cvt_f64_u32_e32 v[22:23], v13
	v_min_i32_e32 v13, s0, v16
	v_min_i32_e32 v3, s0, v37
	v_dual_mov_b32 v65, 0 :: v_dual_lshlrev_b32 v62, 1, v1
	v_add_nc_u32_e32 v38, 16, v49
	s_delay_alu instid0(VALU_DEP_4)
	v_mul_lo_u32 v16, v13, s4
	scratch_store_b32 off, v0, off          ; 4-byte Folded Spill
	v_mad_u64_u32 v[0:1], null, 0x104, v4, v[17:18]
	v_mul_lo_u32 v1, v3, s4
	v_min_i32_e32 v4, s0, v38
	v_add_nc_u32_e32 v39, 24, v49
	v_add_nc_u32_e32 v40, 32, v49
	v_add_nc_u32_e32 v43, 56, v49
	v_add_nc_u32_e32 v41, 40, v49
	v_add_nc_u32_e32 v42, 48, v49
	v_min_i32_e32 v5, s0, v39
	s_clause 0x1
	scratch_store_b32 off, v1, off offset:4
	scratch_store_b32 off, v49, off offset:88
	v_mad_u64_u32 v[1:2], null, 0x104, v3, v[17:18]
	v_mul_lo_u32 v2, v4, s4
	v_min_i32_e32 v9, s0, v43
	v_lshlrev_b32_e32 v113, 5, v43
	v_mov_b32_e32 v43, 0
	v_min_i32_e32 v6, s0, v40
	v_min_i32_e32 v7, s0, v41
	;; [unrolled: 1-line block ×3, first 2 shown]
	s_add_i32 s1, s6, -1
	s_clause 0x1
	scratch_store_b32 off, v2, off offset:8
	scratch_store_b32 off, v31, off offset:92
	v_mad_u64_u32 v[2:3], null, 0x104, v4, v[17:18]
	v_mul_lo_u32 v3, v5, s4
	v_add_nc_u32_e32 v10, 64, v49
	v_add_nc_u32_e32 v11, 0x48, v49
	v_cvt_f64_u32_e32 v[14:15], v31
	v_dual_mov_b32 v83, 0 :: v_dual_add_nc_u32 v12, 8, v31
	s_delay_alu instid0(VALU_DEP_4) | instskip(NEXT) | instid1(VALU_DEP_4)
	v_min_i32_e32 v10, s0, v10
	v_min_i32_e32 v11, s0, v11
	scratch_store_b32 off, v3, off offset:12 ; 4-byte Folded Spill
	v_mad_u64_u32 v[3:4], null, 0x104, v5, v[17:18]
	v_mul_lo_u32 v4, v6, s4
	v_cvt_f64_u32_e32 v[20:21], v12
	v_dual_mov_b32 v79, 0 :: v_dual_add_nc_u32 v12, 24, v31
	v_add_nc_u32_e32 v30, 0x60, v49
	scratch_store_b32 off, v16, off offset:40 ; 4-byte Folded Spill
	v_mov_b32_e32 v57, 0
	v_cvt_f64_u32_e32 v[24:25], v12
	scratch_store_b32 off, v4, off offset:16 ; 4-byte Folded Spill
	v_mad_u64_u32 v[4:5], null, 0x104, v6, v[17:18]
	v_mul_lo_u32 v5, v7, s4
	v_add_nc_u32_e32 v12, 40, v31
	v_min_i32_e32 v34, s0, v30
	v_lshlrev_b32_e32 v82, 5, v49
	v_dual_mov_b32 v37, 0 :: v_dual_lshlrev_b32 v94, 5, v37
	s_delay_alu instid0(VALU_DEP_4)
	v_cvt_f64_u32_e32 v[28:29], v12
	v_add_nc_u32_e32 v12, 48, v31
	scratch_store_b32 off, v5, off offset:20 ; 4-byte Folded Spill
	v_mad_u64_u32 v[5:6], null, 0x104, v7, v[17:18]
	v_mul_lo_u32 v6, v8, s4
	v_add_nc_u32_e32 v35, v82, v50
	v_add_nc_u32_e32 v47, 0x78, v49
	v_lshlrev_b32_e32 v103, 5, v40
	v_lshrrev_b32_e32 v53, 5, v50
	v_dual_mov_b32 v77, 0 :: v_dual_lshlrev_b32 v58, 2, v36
	v_and_b32_e32 v44, 0x7f, v35
	scratch_store_b32 off, v6, off offset:24 ; 4-byte Folded Spill
	v_mad_u64_u32 v[6:7], null, 0x104, v8, v[17:18]
	v_mul_lo_u32 v7, v9, s4
	v_min_i32_e32 v44, s0, v44
	v_mul_u32_u24_e32 v123, 0x104, v50
	v_mov_b32_e32 v40, 0
	s_mov_b32 s5, 0
	v_dual_mov_b32 v60, 0 :: v_dual_mov_b32 v73, 0
	scratch_store_b32 off, v7, off offset:28 ; 4-byte Folded Spill
	v_mad_u64_u32 v[7:8], null, 0x104, v9, v[17:18]
	v_cvt_f64_i32_e32 v[18:19], s1
	v_mul_lo_u32 v8, v10, s4
	scratch_store_b32 off, v8, off offset:32 ; 4-byte Folded Spill
	v_mad_u64_u32 v[8:9], null, 0x104, v10, v[17:18]
	v_mul_lo_u32 v9, v11, s4
	v_min_f64 v[20:21], v[20:21], v[18:19]
	v_min_f64 v[22:23], v[22:23], v[18:19]
	;; [unrolled: 1-line block ×4, first 2 shown]
	scratch_store_b32 off, v9, off offset:36 ; 4-byte Folded Spill
	v_mad_u64_u32 v[9:10], null, 0x104, v11, v[17:18]
	v_add_nc_u32_e32 v10, 0x58, v49
	v_add_nc_u32_e32 v11, 32, v31
	s_delay_alu instid0(VALU_DEP_2) | instskip(NEXT) | instid1(VALU_DEP_2)
	v_min_i32_e32 v16, s0, v10
	v_cvt_f64_u32_e32 v[26:27], v11
	v_mad_u64_u32 v[10:11], null, 0x104, v13, v[17:18]
	v_add_nc_u32_e32 v11, 56, v31
	v_cvt_f64_u32_e32 v[30:31], v12
	v_mul_lo_u32 v13, v16, s4
	s_delay_alu instid0(VALU_DEP_3)
	v_cvt_f64_u32_e32 v[32:33], v11
	v_mad_u64_u32 v[11:12], null, 0x104, v16, v[17:18]
	v_mul_lo_u32 v12, v34, s4
	v_add_nc_u32_e32 v16, 0x68, v49
	scratch_store_b32 off, v13, off offset:44 ; 4-byte Folded Spill
	v_min_i32_e32 v16, s0, v16
	scratch_store_b32 off, v12, off offset:48 ; 4-byte Folded Spill
	v_mad_u64_u32 v[12:13], null, 0x104, v34, v[17:18]
	v_min_f64 v[34:35], v[14:15], v[18:19]
	v_add_nc_u32_e32 v13, 0x70, v49
	v_mul_lo_u32 v15, v16, s4
	v_lshrrev_b32_e32 v14, 2, v50
	v_cvt_i32_f64_e32 v20, v[20:21]
	v_cvt_i32_f64_e32 v21, v[22:23]
	v_min_i32_e32 v45, s0, v13
	v_cvt_i32_f64_e32 v23, v[24:25]
	v_lshl_add_u32 v46, v49, 3, v14
	v_mad_u64_u32 v[13:14], null, 0x104, v16, v[17:18]
	scratch_store_b32 off, v15, off offset:52 ; 4-byte Folded Spill
	v_mul_lo_u32 v15, v45, s4
	v_ashrrev_i32_e32 v14, 31, v44
	v_and_b32_e32 v16, 0x7f, v46
	v_and_b32_e32 v25, 63, v46
	v_min_f64 v[26:27], v[26:27], v[18:19]
	v_cvt_i32_f64_e32 v28, v[28:29]
	v_lshrrev_b32_e32 v48, 27, v14
	v_min_i32_e32 v52, s0, v16
	scratch_store_b32 off, v15, off offset:56 ; 4-byte Folded Spill
	v_mad_u64_u32 v[14:15], null, 0x104, v45, v[17:18]
	v_min_f64 v[30:31], v[30:31], v[18:19]
	v_min_f64 v[18:19], v[32:33], v[18:19]
	v_add_nc_u32_e32 v15, v44, v48
	v_xor_b32_e32 v16, 64, v16
	v_lshlrev_b32_e32 v24, 4, v52
	v_mov_b32_e32 v46, 0
	s_delay_alu instid0(VALU_DEP_4)
	v_ashrrev_i32_e32 v32, 5, v15
	v_cvt_i32_f64_e32 v34, v[34:35]
	v_lshlrev_b32_e32 v35, 2, v44
	v_mul_lo_u32 v99, s14, v20
	v_mul_lo_u32 v102, s14, v21
	;; [unrolled: 1-line block ×3, first 2 shown]
	v_add_nc_u32_e32 v23, 64, v50
	v_cvt_i32_f64_e32 v26, v[26:27]
	v_lshlrev_b32_e32 v27, 2, v50
	v_mul_lo_u32 v111, s14, v28
	v_lshrrev_b32_e32 v28, 1, v50
	v_cvt_i32_f64_e32 v30, v[30:31]
	s_delay_alu instid0(VALU_DEP_2) | instskip(SKIP_4) | instid1(VALU_DEP_2)
	v_and_b32_e32 v28, 0x7c, v28
	v_mul_lo_u32 v96, s14, v34
	v_mov_b32_e32 v34, 0
	v_min_i32_e32 v45, s0, v47
	v_ashrrev_i32_e32 v47, 31, v52
	v_mul_lo_u32 v48, v45, s4
	s_delay_alu instid0(VALU_DEP_2) | instskip(SKIP_4) | instid1(VALU_DEP_4)
	v_lshrrev_b32_e32 v33, 29, v47
	v_min_i32_e32 v47, s0, v16
	v_mad_u64_u32 v[15:16], null, 0x104, v45, v[17:18]
	v_mul_lo_u32 v16, v44, s4
	v_mov_b32_e32 v44, 0
	v_ashrrev_i32_e32 v17, 31, v47
	scratch_store_b32 off, v48, off offset:60 ; 4-byte Folded Spill
	v_mov_b32_e32 v48, 0
	v_lshlrev_b32_e32 v100, 5, v39
	v_lshlrev_b32_e32 v105, 5, v41
	v_lshrrev_b32_e32 v17, 29, v17
	scratch_store_b32 off, v16, off offset:64 ; 4-byte Folded Spill
	v_add_nc_u32_e32 v16, v52, v33
	v_lshlrev_b32_e32 v33, 2, v32
	v_and_b32_e32 v32, 3, v50
	v_add_nc_u32_e32 v17, v47, v17
	v_or_b32_e32 v20, v100, v36
	v_ashrrev_i32_e32 v16, 3, v16
	v_add3_u32 v22, v33, v35, 0xae40
	v_lshlrev_b32_e32 v90, 2, v32
	v_lshlrev_b32_e32 v33, 4, v47
	v_cvt_i32_f64_e32 v35, v[18:19]
	v_lshlrev_b32_e32 v16, 2, v16
	scratch_store_b32 off, v22, off offset:68 ; 4-byte Folded Spill
	v_mul_lo_u32 v22, v52, s4
	v_lshl_add_u32 v107, v20, 2, 0x8200
	v_or_b32_e32 v20, v105, v36
	v_dual_mov_b32 v39, 0 :: v_dual_lshlrev_b32 v108, 5, v42
	v_mul_lo_u32 v109, s14, v26
	v_add_nc_u32_e32 v26, 0x60, v50
	s_delay_alu instid0(VALU_DEP_4)
	v_lshl_add_u32 v112, v20, 2, 0x8200
	scratch_store_b32 off, v22, off offset:72 ; 4-byte Folded Spill
	v_add3_u32 v22, v16, v90, 0xa200
	v_ashrrev_i32_e32 v16, 3, v17
	v_mul_lo_u32 v17, v47, s4
	v_mov_b32_e32 v47, 0
	v_lshlrev_b32_e32 v97, 5, v38
	v_add_nc_u32_e32 v20, 32, v50
	v_lshlrev_b32_e32 v16, 2, v16
	v_mul_lo_u32 v114, s14, v30
	v_lshlrev_b32_e32 v30, 4, v50
	v_mov_b32_e32 v42, 0
	scratch_store_b32 off, v17, off offset:76 ; 4-byte Folded Spill
	v_or_b32_e32 v17, s11, v25
	v_lshrrev_b32_e32 v21, 3, v20
	v_lshl_or_b32 v25, v25, 4, v90
	v_add3_u32 v29, v16, v90, 0xa200
	v_and_b32_e32 v16, 28, v27
	v_min_i32_e32 v31, s1, v17
	v_add3_u32 v122, v30, v28, 0xa200
	v_add_nc_u32_e32 v95, 0xaa40, v25
	v_or_b32_e32 v25, v94, v36
	v_add_co_u32 v16, s0, s2, v16
	v_mad_u64_u32 v[18:19], null, v31, s14, v[32:33]
	v_or_b32_e32 v19, v82, v36
	s_delay_alu instid0(VALU_DEP_4) | instskip(SKIP_2) | instid1(VALU_DEP_4)
	v_lshl_add_u32 v101, v25, 2, 0x8200
	v_lshlrev_b32_e32 v25, 2, v53
	v_add_co_ci_u32_e64 v17, null, s3, 0, s0
	v_lshl_add_u32 v98, v19, 2, 0x8200
	v_or_b32_e32 v19, v97, v36
	s_delay_alu instid0(VALU_DEP_4)
	v_add3_u32 v118, v25, v27, 0xae40
	v_lshrrev_b32_e32 v25, 3, v26
	s_movk_i32 s0, 0x2080
	v_mul_lo_u32 v116, s14, v35
	v_lshl_add_u32 v104, v19, 2, 0x8200
	v_or_b32_e32 v19, v103, v36
	v_and_b32_e32 v25, 60, v25
	v_mad_u32_u24 v125, 0x104, v50, s0
	s_movk_i32 s0, 0x4100
	v_mov_b32_e32 v35, 0
	v_lshl_add_u32 v110, v19, 2, 0x8200
	v_or_b32_e32 v19, v108, v36
	v_mad_u32_u24 v127, 0x104, v50, s0
	s_movk_i32 s0, 0x6180
	v_add3_u32 v121, v27, v25, 0xae40
	v_mad_u32_u24 v129, 0x104, v50, s0
	v_lshl_add_u32 v115, v19, 2, 0x8200
	v_or_b32_e32 v19, v113, v36
	v_dual_mov_b32 v36, 0 :: v_dual_mov_b32 v53, 0
	v_mov_b32_e32 v38, 0
	v_mov_b32_e32 v52, 0
	s_delay_alu instid0(VALU_DEP_4) | instskip(SKIP_4) | instid1(VALU_DEP_4)
	v_lshl_add_u32 v117, v19, 2, 0x8200
	v_and_b32_e32 v19, 60, v21
	v_lshrrev_b32_e32 v21, 3, v23
	v_mov_b32_e32 v45, 0
	v_mov_b32_e32 v41, 0
	v_add3_u32 v119, v27, v19, 0xae40
	s_delay_alu instid0(VALU_DEP_4) | instskip(SKIP_2) | instid1(VALU_DEP_3)
	v_and_b32_e32 v19, 60, v21
	v_lshrrev_b32_e32 v21, 1, v20
	v_lshlrev_b32_e32 v20, 4, v20
	v_add3_u32 v120, v27, v19, 0xae40
	s_delay_alu instid0(VALU_DEP_3) | instskip(SKIP_1) | instid1(VALU_DEP_2)
	v_and_b32_e32 v19, 0xfc, v21
	v_lshrrev_b32_e32 v21, 1, v23
	v_add3_u32 v124, v20, v19, 0xa200
	v_lshrrev_b32_e32 v19, 1, v26
	s_delay_alu instid0(VALU_DEP_3) | instskip(SKIP_2) | instid1(VALU_DEP_4)
	v_and_b32_e32 v20, 0xfc, v21
	v_lshlrev_b32_e32 v21, 4, v23
	v_lshlrev_b32_e32 v23, 4, v26
	v_and_b32_e32 v19, 0xfc, v19
	s_delay_alu instid0(VALU_DEP_3) | instskip(NEXT) | instid1(VALU_DEP_2)
	v_add3_u32 v126, v21, v20, 0xa200
	v_add3_u32 v128, v23, v19, 0xa200
	v_add_nc_u32_e32 v19, v22, v24
	scratch_store_b32 off, v19, off offset:80 ; 4-byte Folded Spill
	v_add_nc_u32_e32 v19, v29, v33
	v_mov_b32_e32 v33, 0
	scratch_store_b32 off, v19, off offset:84 ; 4-byte Folded Spill
.LBB176_5:                              ; =>This Loop Header: Depth=1
                                        ;     Child Loop BB176_6 Depth 2
                                        ;       Child Loop BB176_7 Depth 3
	s_clause 0x3
	scratch_load_b32 v23, off, off
	scratch_load_b32 v25, off, off offset:4
	scratch_load_b32 v27, off, off offset:8
	;; [unrolled: 1-line block ×3, first 2 shown]
	s_mul_i32 s0, s5, 0xd2
	v_lshrrev_b32_e32 v21, 5, v50
	s_mul_hi_u32 s1, s5, 0xd2
	s_add_u32 s0, s7, s0
	s_addc_u32 s1, s13, s1
	s_mov_b32 s14, 0
	v_mad_u64_u32 v[19:20], null, 0xd2, v21, s[0:1]
	s_waitcnt vmcnt(3)
	s_delay_alu instid0(VALU_DEP_1)
	v_mad_i64_i32 v[21:22], null, 0xd2, v23, v[19:20]
	s_waitcnt vmcnt(2)
	v_mad_i64_i32 v[23:24], null, 0xd2, v25, v[19:20]
	s_waitcnt vmcnt(0)
	v_mad_i64_i32 v[132:133], null, 0xd2, v49, v[19:20]
	scratch_load_b32 v49, off, off offset:16 ; 4-byte Folded Reload
	v_mad_i64_i32 v[25:26], null, 0xd2, v27, v[19:20]
	v_add_co_u32 v27, vcc_lo, v21, v58
	v_add_co_ci_u32_e32 v28, vcc_lo, 0, v22, vcc_lo
	v_add_co_u32 v21, vcc_lo, v21, v61
	v_add_co_ci_u32_e32 v22, vcc_lo, 0, v22, vcc_lo
	;; [unrolled: 2-line block ×8, first 2 shown]
	s_waitcnt vmcnt(0)
	v_mad_i64_i32 v[139:140], null, 0xd2, v49, v[19:20]
	s_delay_alu instid0(VALU_DEP_1) | instskip(NEXT) | instid1(VALU_DEP_2)
	v_add_co_u32 v145, vcc_lo, v139, v58
	v_add_co_ci_u32_e32 v146, vcc_lo, 0, v140, vcc_lo
	s_clause 0x8
	global_load_b32 v137, v[27:28], off
	global_load_b32 v138, v[21:22], off offset:128
	global_load_b32 v135, v[29:30], off
	global_load_b32 v136, v[23:24], off offset:128
	global_load_b32 v132, v[31:32], off
	global_load_b32 v133, v[25:26], off offset:128
	global_load_b32 v31, v[141:142], off
	global_load_b32 v32, v[143:144], off offset:128
	global_load_b32 v134, v[145:146], off
	s_clause 0x1
	scratch_load_b32 v23, off, off offset:20
	scratch_load_b32 v27, off, off offset:24
	s_waitcnt vmcnt(9)
	v_ashrrev_i32_e32 v138, v62, v138
	s_waitcnt vmcnt(7)
	v_ashrrev_i32_e32 v136, v62, v136
	;; [unrolled: 2-line block ×4, first 2 shown]
	s_waitcnt vmcnt(1)
	v_mad_i64_i32 v[21:22], null, 0xd2, v23, v[19:20]
	v_add_co_u32 v23, vcc_lo, v139, v61
	s_waitcnt vmcnt(0)
	v_mad_i64_i32 v[25:26], null, 0xd2, v27, v[19:20]
	v_add_co_ci_u32_e32 v24, vcc_lo, 0, v140, vcc_lo
	s_delay_alu instid0(VALU_DEP_4)
	v_add_co_u32 v27, vcc_lo, v21, v58
	v_add_co_ci_u32_e32 v28, vcc_lo, 0, v22, vcc_lo
	v_add_co_u32 v21, vcc_lo, v21, v61
	v_add_co_ci_u32_e32 v22, vcc_lo, 0, v22, vcc_lo
	;; [unrolled: 2-line block ×3, first 2 shown]
	s_clause 0x3
	global_load_b32 v157, v[23:24], off offset:128
	global_load_b32 v158, v[27:28], off
	global_load_b32 v159, v[21:22], off offset:128
	global_load_b32 v160, v[29:30], off offset:128
	v_add_co_u32 v21, vcc_lo, v25, v58
	v_add_co_ci_u32_e32 v22, vcc_lo, 0, v26, vcc_lo
	global_load_b32 v22, v[21:22], off
	scratch_load_b32 v21, off, off offset:28 ; 4-byte Folded Reload
	s_waitcnt vmcnt(0)
	v_mad_i64_i32 v[23:24], null, 0xd2, v21, v[19:20]
	scratch_load_b32 v21, off, off offset:32 ; 4-byte Folded Reload
	v_add_co_u32 v145, vcc_lo, v23, v58
	v_add_co_ci_u32_e32 v146, vcc_lo, 0, v24, vcc_lo
	v_add_co_u32 v23, vcc_lo, v23, v61
	v_add_co_ci_u32_e32 v24, vcc_lo, 0, v24, vcc_lo
	s_waitcnt vmcnt(0)
	v_mad_i64_i32 v[25:26], null, 0xd2, v21, v[19:20]
	scratch_load_b32 v21, off, off offset:36 ; 4-byte Folded Reload
	v_add_co_u32 v147, vcc_lo, v25, v58
	v_add_co_ci_u32_e32 v148, vcc_lo, 0, v26, vcc_lo
	v_add_co_u32 v25, vcc_lo, v25, v61
	v_add_co_ci_u32_e32 v26, vcc_lo, 0, v26, vcc_lo
	;; [unrolled: 7-line block ×4, first 2 shown]
	s_waitcnt vmcnt(0)
	v_mad_i64_i32 v[139:140], null, 0xd2, v21, v[19:20]
	scratch_load_b32 v21, off, off offset:48 ; 4-byte Folded Reload
	s_waitcnt vmcnt(0)
	v_mad_i64_i32 v[141:142], null, 0xd2, v21, v[19:20]
	scratch_load_b32 v21, off, off offset:52 ; 4-byte Folded Reload
	s_clause 0x1
	global_load_b32 v161, v[145:146], off
	global_load_b32 v162, v[23:24], off offset:128
	v_add_co_u32 v23, vcc_lo, v139, v58
	v_add_co_ci_u32_e32 v24, vcc_lo, 0, v140, vcc_lo
	v_add_co_u32 v139, vcc_lo, v139, v61
	v_add_co_ci_u32_e32 v140, vcc_lo, 0, v140, vcc_lo
	;; [unrolled: 2-line block ×4, first 2 shown]
	s_waitcnt vmcnt(2)
	v_mad_i64_i32 v[143:144], null, 0xd2, v21, v[19:20]
	s_delay_alu instid0(VALU_DEP_1) | instskip(NEXT) | instid1(VALU_DEP_2)
	v_add_co_u32 v155, vcc_lo, v143, v58
	v_add_co_ci_u32_e32 v156, vcc_lo, 0, v144, vcc_lo
	v_add_co_u32 v143, vcc_lo, v143, v61
	v_add_co_ci_u32_e32 v144, vcc_lo, 0, v144, vcc_lo
	s_clause 0xb
	global_load_b32 v147, v[147:148], off
	global_load_b32 v148, v[25:26], off offset:128
	global_load_b32 v30, v[149:150], off
	global_load_b32 v149, v[27:28], off offset:128
	;; [unrolled: 2-line block ×6, first 2 shown]
	v_ashrrev_i32_e32 v144, v62, v157
	v_and_b32_e32 v139, 0xf0f0f0f, v137
	v_lshrrev_b32_e32 v137, 4, v137
	v_lshlrev_b32_e32 v152, 4, v138
	v_and_b32_e32 v138, 0x30303030, v138
	v_and_b32_e32 v140, 0xf0f0f0f, v135
	v_lshrrev_b32_e32 v135, 4, v135
	v_ashrrev_i32_e32 v150, v62, v159
	v_lshlrev_b32_e32 v153, 4, v136
	v_and_b32_e32 v136, 0x30303030, v136
	v_and_b32_e32 v141, 0xf0f0f0f, v132
	v_lshrrev_b32_e32 v132, 4, v132
	v_lshlrev_b32_e32 v154, 4, v133
	v_and_b32_e32 v133, 0x30303030, v133
	v_and_b32_e32 v142, 0xf0f0f0f, v31
	v_lshrrev_b32_e32 v31, 4, v31
	;; [unrolled: 4-line block ×3, first 2 shown]
	v_lshlrev_b32_e32 v156, 4, v144
	v_and_b32_e32 v144, 0x30303030, v144
	v_and_or_b32 v139, 0x30303030, v152, v139
	v_and_or_b32 v137, 0xf0f0f0f, v137, v138
	v_and_b32_e32 v145, 0xf0f0f0f, v158
	v_lshrrev_b32_e32 v146, 4, v158
	v_lshlrev_b32_e32 v157, 4, v150
	v_and_b32_e32 v150, 0x30303030, v150
	v_and_or_b32 v138, 0x30303030, v153, v140
	v_and_or_b32 v135, 0xf0f0f0f, v135, v136
	;; [unrolled: 1-line block ×8, first 2 shown]
	v_lshrrev_b32_e32 v142, 16, v139
	v_and_b32_e32 v143, 0x3f00, v139
	v_lshlrev_b16 v139, 8, v139
	v_lshrrev_b32_e32 v144, 16, v137
	v_and_or_b32 v140, 0x30303030, v157, v145
	v_and_or_b32 v141, 0xf0f0f0f, v146, v150
	v_and_b32_e32 v145, 0x3f00, v137
	v_lshlrev_b16 v137, 8, v137
	v_lshrrev_b32_e32 v146, 16, v138
	v_lshrrev_b32_e32 v152, 16, v135
	v_and_b32_e32 v150, 0x3f00, v138
	v_lshlrev_b16 v138, 8, v138
	v_lshrrev_b32_e32 v154, 16, v136
	v_lshrrev_b32_e32 v156, 16, v132
	v_ashrrev_i32_e32 v151, v62, v160
	v_and_b32_e32 v153, 0x3f00, v135
	v_lshlrev_b16 v135, 8, v135
	v_lshrrev_b32_e32 v158, 16, v133
	v_lshrrev_b32_e32 v160, 16, v31
	v_and_b32_e32 v155, 0x3f00, v136
	v_lshlrev_b16 v136, 8, v136
	v_lshrrev_b32_e32 v164, 16, v32
	v_lshrrev_b32_e32 v166, 16, v134
	v_add_nc_u16 v139, v139, 0xe000
	v_and_b32_e32 v172, 0x3f00, v142
	v_lshlrev_b16 v142, 8, v142
	v_and_b32_e32 v173, 0x3f00, v144
	v_lshlrev_b16 v144, 8, v144
	v_add_nc_u16 v137, v137, 0xe000
	v_and_b32_e32 v174, 0x3f00, v146
	v_lshlrev_b16 v146, 8, v146
	v_and_b32_e32 v175, 0x3f00, v152
	v_lshlrev_b16 v152, 8, v152
	v_and_b32_e32 v157, 0x3f00, v132
	v_lshlrev_b16 v132, 8, v132
	v_add_nc_u16 v138, v138, 0xe000
	v_and_b32_e32 v176, 0x3f00, v154
	v_lshlrev_b16 v154, 8, v154
	v_and_b32_e32 v177, 0x3f00, v156
	v_lshlrev_b16 v156, 8, v156
	v_and_b32_e32 v159, 0x3f00, v133
	v_lshlrev_b16 v133, 8, v133
	v_and_b32_e32 v163, 0x3f00, v31
	v_lshlrev_b16 v31, 8, v31
	v_add_nc_u16 v135, v135, 0xe000
	v_and_b32_e32 v178, 0x3f00, v158
	v_lshlrev_b16 v158, 8, v158
	;; [unrolled: 9-line block ×3, first 2 shown]
	v_and_b32_e32 v181, 0x3f00, v166
	v_lshlrev_b16 v166, 8, v166
	v_lshrrev_b16 v139, 8, v139
	v_add_nc_u16 v142, v142, 0xe000
	v_add_nc_u16 v144, v144, 0xe000
	v_lshrrev_b16 v137, 8, v137
	v_add_nc_u16 v146, v146, 0xe000
	v_add_nc_u16 v152, v152, 0xe000
	v_add_nc_u16 v132, v132, 0xe000
	v_lshrrev_b16 v138, 8, v138
	v_add_nc_u16 v154, v154, 0xe000
	v_add_nc_u16 v156, v156, 0xe000
	v_add_nc_u16 v133, v133, 0xe000
	v_add_nc_u16 v31, v31, 0xe000
	v_lshrrev_b16 v135, 8, v135
	v_add_nc_u16 v158, v158, 0xe000
	;; [unrolled: 5-line block ×3, first 2 shown]
	v_add_nc_u16 v166, v166, 0xe000
	v_or_b32_e32 v139, v143, v139
	v_lshrrev_b16 v142, 8, v142
	v_lshrrev_b16 v143, 8, v144
	v_or_b32_e32 v137, v145, v137
	v_lshrrev_b16 v144, 8, v146
	v_lshrrev_b16 v145, 8, v152
	v_lshrrev_b16 v132, 8, v132
	v_or_b32_e32 v138, v150, v138
	v_lshrrev_b16 v146, 8, v154
	v_lshrrev_b16 v150, 8, v156
	v_lshrrev_b16 v133, 8, v133
	v_lshrrev_b16 v31, 8, v31
	v_or_b32_e32 v135, v153, v135
	v_lshrrev_b16 v152, 8, v158
	;; [unrolled: 5-line block ×3, first 2 shown]
	v_lshrrev_b16 v155, 8, v166
	v_or_b32_e32 v142, v172, v142
	v_or_b32_e32 v143, v173, v143
	;; [unrolled: 1-line block ×15, first 2 shown]
	v_add_nc_u16 v139, v139, 0xe000
	v_add_nc_u16 v137, v137, 0xe000
	;; [unrolled: 1-line block ×20, first 2 shown]
	v_and_b32_e32 v139, 0xffff, v139
	v_and_b32_e32 v137, 0xffff, v137
	v_lshlrev_b32_e32 v142, 16, v142
	v_lshlrev_b32_e32 v143, 16, v143
	v_and_b32_e32 v138, 0xffff, v138
	v_and_b32_e32 v135, 0xffff, v135
	v_lshlrev_b32_e32 v144, 16, v144
	v_lshlrev_b32_e32 v145, 16, v145
	;; [unrolled: 4-line block ×5, first 2 shown]
	v_or_b32_e32 v139, v139, v142
	v_or_b32_e32 v137, v137, v143
	;; [unrolled: 1-line block ×10, first 2 shown]
	ds_store_2addr_b32 v0, v139, v137 offset1:16
	ds_store_2addr_b32 v1, v138, v135 offset1:16
	;; [unrolled: 1-line block ×5, first 2 shown]
	scratch_load_b32 v49, off, off offset:56 ; 4-byte Folded Reload
	v_lshrrev_b32_e32 v168, 16, v140
	v_and_b32_e32 v169, 0x3f00, v140
	v_lshlrev_b16 v140, 8, v140
	v_lshrrev_b32_e32 v170, 16, v141
	v_and_b32_e32 v171, 0x3f00, v141
	v_and_b32_e32 v182, 0x3f00, v168
	v_lshlrev_b16 v168, 8, v168
	v_lshlrev_b16 v141, 8, v141
	v_add_nc_u16 v140, v140, 0xe000
	v_lshlrev_b16 v183, 8, v170
	v_and_b32_e32 v32, 0x3f00, v170
	v_add_nc_u16 v168, v168, 0xe000
	v_add_nc_u16 v141, v141, 0xe000
	v_lshrrev_b16 v140, 8, v140
	v_add_nc_u16 v183, v183, 0xe000
	v_and_b32_e32 v133, 0xf0f0f0f, v22
	v_lshrrev_b16 v156, 8, v168
	v_lshrrev_b16 v141, 8, v141
	v_or_b32_e32 v140, v169, v140
	v_lshrrev_b16 v132, 8, v183
	v_lshlrev_b32_e32 v134, 4, v151
	v_or_b32_e32 v156, v182, v156
	v_or_b32_e32 v31, v171, v141
	v_add_nc_u16 v140, v140, 0xe000
	v_or_b32_e32 v132, v32, v132
	v_and_or_b32 v134, 0x30303030, v134, v133
	v_add_nc_u16 v156, v156, 0xe000
	v_add_nc_u16 v137, v31, 0xe000
	v_and_b32_e32 v135, 0xffff, v140
	v_lshrrev_b32_e32 v22, 4, v22
	v_lshrrev_b32_e32 v138, 16, v134
	v_lshlrev_b32_e32 v136, 16, v156
	v_and_b32_e32 v140, 0x30303030, v151
	v_lshlrev_b16 v139, 8, v134
	s_delay_alu instid0(VALU_DEP_4) | instskip(NEXT) | instid1(VALU_DEP_4)
	v_lshlrev_b16 v141, 8, v138
	v_or_b32_e32 v135, v135, v136
	v_and_b32_e32 v136, 0xffff, v137
	v_add_nc_u16 v137, v132, 0xe000
	v_and_or_b32 v22, 0xf0f0f0f, v22, v140
	v_add_nc_u16 v139, v139, 0xe000
	s_waitcnt vmcnt(7)
	v_ashrrev_i32_e32 v29, v62, v29
	s_waitcnt vmcnt(5)
	v_ashrrev_i32_e32 v27, v62, v27
	;; [unrolled: 2-line block ×4, first 2 shown]
	s_waitcnt vmcnt(0)
	v_mad_i64_i32 v[31:32], null, 0xd2, v49, v[19:20]
	s_delay_alu instid0(VALU_DEP_1) | instskip(NEXT) | instid1(VALU_DEP_2)
	v_add_co_u32 v132, vcc_lo, v31, v58
	v_add_co_ci_u32_e32 v133, vcc_lo, 0, v32, vcc_lo
	v_add_co_u32 v31, vcc_lo, v31, v61
	v_add_co_ci_u32_e32 v32, vcc_lo, 0, v32, vcc_lo
	s_clause 0x1
	global_load_b32 v142, v[132:133], off
	global_load_b32 v143, v[31:32], off offset:128
	scratch_load_b32 v49, off, off offset:60 ; 4-byte Folded Reload
	v_lshlrev_b32_e32 v31, 16, v137
	v_add_nc_u16 v32, v141, 0xe000
	v_and_b32_e32 v132, 0x3f00, v134
	v_and_b32_e32 v134, 0x3f00, v138
	v_lshrrev_b16 v133, 8, v139
	v_or_b32_e32 v31, v136, v31
	v_lshrrev_b16 v32, 8, v32
	v_lshlrev_b16 v136, 8, v22
	v_lshrrev_b32_e32 v137, 16, v22
	v_and_b32_e32 v22, 0x3f00, v22
	ds_store_2addr_b32 v5, v135, v31 offset1:16
	v_or_b32_e32 v32, v134, v32
	v_add_nc_u16 v31, v136, 0xe000
	v_ashrrev_i32_e32 v136, v62, v162
	v_or_b32_e32 v132, v132, v133
	v_lshlrev_b16 v133, 8, v137
	v_add_nc_u16 v134, v32, 0xe000
	v_lshrrev_b16 v135, 8, v31
	v_lshlrev_b32_e32 v138, 4, v136
	v_lshrrev_b32_e32 v139, 4, v161
	v_add_nc_u16 v133, v133, 0xe000
	v_add_nc_u16 v132, v132, 0xe000
	v_or_b32_e32 v22, v22, v135
	v_and_b32_e32 v135, 0x3f00, v137
	v_and_b32_e32 v137, 0xf0f0f0f, v161
	v_lshrrev_b16 v133, 8, v133
	v_and_b32_e32 v132, 0xffff, v132
	v_lshlrev_b32_e32 v134, 16, v134
	v_add_nc_u16 v22, v22, 0xe000
	s_delay_alu instid0(VALU_DEP_2) | instskip(NEXT) | instid1(VALU_DEP_2)
	v_or_b32_e32 v134, v132, v134
	v_and_b32_e32 v22, 0xffff, v22
	s_waitcnt vmcnt(0)
	v_mad_i64_i32 v[31:32], null, 0xd2, v49, v[19:20]
	s_delay_alu instid0(VALU_DEP_1) | instskip(NEXT) | instid1(VALU_DEP_2)
	v_add_co_u32 v19, vcc_lo, v31, v58
	v_add_co_ci_u32_e32 v20, vcc_lo, 0, v32, vcc_lo
	v_add_co_u32 v31, vcc_lo, v31, v61
	v_add_co_ci_u32_e32 v32, vcc_lo, 0, v32, vcc_lo
	s_clause 0x1
	global_load_b32 v140, v[19:20], off
	global_load_b32 v141, v[31:32], off offset:128
	v_and_or_b32 v20, 0x30303030, v138, v137
	v_and_b32_e32 v19, 0x30303030, v136
	v_or_b32_e32 v31, v135, v133
	scratch_load_b32 v49, off, off offset:72 ; 4-byte Folded Reload
	v_and_b32_e32 v138, 0xf0f0f0f, v147
	v_lshrrev_b32_e32 v32, 16, v20
	v_and_or_b32 v19, 0xf0f0f0f, v139, v19
	v_lshlrev_b16 v132, 8, v20
	v_add_nc_u16 v31, v31, 0xe000
	v_and_b32_e32 v20, 0x3f00, v20
	v_lshlrev_b16 v135, 8, v32
	v_lshrrev_b32_e32 v133, 16, v19
	v_and_b32_e32 v32, 0x3f00, v32
	v_add_nc_u16 v132, v132, 0xe000
	v_lshlrev_b32_e32 v31, 16, v31
	v_add_nc_u16 v135, v135, 0xe000
	v_lshlrev_b16 v137, 8, v133
	v_and_b32_e32 v133, 0x3f00, v133
	v_lshrrev_b16 v132, 8, v132
	v_or_b32_e32 v22, v22, v31
	v_lshrrev_b16 v135, 8, v135
	v_add_nc_u16 v137, v137, 0xe000
	v_lshlrev_b16 v136, 8, v19
	v_or_b32_e32 v20, v20, v132
	v_and_b32_e32 v19, 0x3f00, v19
	v_or_b32_e32 v32, v32, v135
	v_lshrrev_b16 v137, 8, v137
	v_add_nc_u16 v136, v136, 0xe000
	v_add_nc_u16 v20, v20, 0xe000
	v_ashrrev_i32_e32 v135, v62, v148
	v_add_nc_u16 v31, v32, 0xe000
	v_or_b32_e32 v132, v133, v137
	v_lshrrev_b16 v136, 8, v136
	s_delay_alu instid0(VALU_DEP_4) | instskip(NEXT) | instid1(VALU_DEP_4)
	v_lshlrev_b32_e32 v139, 4, v135
	v_lshlrev_b32_e32 v133, 16, v31
	scratch_load_b32 v31, off, off offset:64 ; 4-byte Folded Reload
	v_or_b32_e32 v19, v19, v136
	v_add_nc_u16 v32, v132, 0xe000
	v_and_b32_e32 v132, 0xffff, v20
	v_and_b32_e32 v135, 0x30303030, v135
	s_delay_alu instid0(VALU_DEP_4) | instskip(NEXT) | instid1(VALU_DEP_4)
	v_add_nc_u16 v19, v19, 0xe000
	v_lshlrev_b32_e32 v137, 16, v32
	s_delay_alu instid0(VALU_DEP_4) | instskip(NEXT) | instid1(VALU_DEP_3)
	v_or_b32_e32 v144, v132, v133
	v_and_b32_e32 v136, 0xffff, v19
	s_delay_alu instid0(VALU_DEP_1) | instskip(SKIP_2) | instid1(VALU_DEP_1)
	v_or_b32_e32 v136, v136, v137
	v_and_or_b32 v137, 0x30303030, v139, v138
	v_lshrrev_b32_e32 v139, 4, v147
	v_and_or_b32 v135, 0xf0f0f0f, v139, v135
	s_waitcnt vmcnt(0)
	v_mad_i64_i32 v[19:20], null, 0xd2, v31, s[0:1]
	v_add_co_u32 v31, s0, s0, v90
	s_delay_alu instid0(VALU_DEP_1) | instskip(SKIP_2) | instid1(VALU_DEP_1)
	v_add_co_ci_u32_e64 v32, null, s1, 0, s0
	s_lshl_b32 s0, s5, 3
	s_mov_b32 s1, -1
	v_mad_i64_i32 v[132:133], null, 0xd2, v49, v[31:32]
	global_load_u16 v138, v[19:20], off offset:208
	scratch_load_b32 v49, off, off offset:76 ; 4-byte Folded Reload
	ds_store_2addr_b32 v6, v134, v22 offset1:16
	ds_store_2addr_b32 v7, v144, v136 offset1:16
	v_ashrrev_i32_e32 v136, v62, v149
	global_load_b32 v133, v[132:133], off offset:192
	s_waitcnt vmcnt(1)
	v_mad_i64_i32 v[19:20], null, 0xd2, v49, v[31:32]
	v_lshlrev_b16 v31, 8, v137
	v_lshrrev_b32_e32 v32, 16, v137
	s_delay_alu instid0(VALU_DEP_2)
	v_add_nc_u16 v31, v31, 0xe000
	global_load_b32 v19, v[19:20], off offset:192
	v_lshlrev_b16 v132, 8, v32
	v_and_b32_e32 v20, 0x3f00, v137
	v_lshlrev_b32_e32 v137, 4, v136
	v_lshrrev_b16 v31, 8, v31
	v_and_b32_e32 v136, 0x30303030, v136
	v_add_nc_u16 v22, v132, 0xe000
	v_lshrrev_b32_e32 v132, 16, v135
	s_delay_alu instid0(VALU_DEP_4) | instskip(SKIP_1) | instid1(VALU_DEP_4)
	v_or_b32_e32 v20, v20, v31
	v_and_b32_e32 v31, 0x3f00, v32
	v_lshrrev_b16 v22, 8, v22
	v_lshlrev_b16 v32, 8, v135
	v_lshlrev_b16 v134, 8, v132
	v_and_b32_e32 v135, 0x3f00, v135
	v_and_b32_e32 v132, 0x3f00, v132
	v_or_b32_e32 v22, v31, v22
	v_add_nc_u16 v31, v32, 0xe000
	v_add_nc_u16 v32, v134, 0xe000
	v_and_b32_e32 v134, 0xf0f0f0f, v30
	v_add_nc_u16 v20, v20, 0xe000
	v_add_nc_u16 v22, v22, 0xe000
	v_lshrrev_b16 v31, 8, v31
	v_lshrrev_b16 v32, 8, v32
	v_and_or_b32 v134, 0x30303030, v137, v134
	v_lshrrev_b32_e32 v30, 4, v30
	v_and_b32_e32 v20, 0xffff, v20
	v_or_b32_e32 v31, v135, v31
	v_or_b32_e32 v32, v132, v32
	v_lshlrev_b16 v132, 8, v134
	v_lshrrev_b32_e32 v135, 16, v134
	v_and_b32_e32 v134, 0x3f00, v134
	v_add_nc_u16 v31, v31, 0xe000
	v_add_nc_u16 v32, v32, 0xe000
	;; [unrolled: 1-line block ×3, first 2 shown]
	v_lshlrev_b16 v137, 8, v135
	v_lshlrev_b32_e32 v22, 16, v22
	v_and_b32_e32 v31, 0xffff, v31
	v_lshlrev_b32_e32 v32, 16, v32
	v_lshrrev_b16 v132, 8, v132
	v_add_nc_u16 v137, v137, 0xe000
	v_and_or_b32 v30, 0xf0f0f0f, v30, v136
	v_or_b32_e32 v20, v20, v22
	v_or_b32_e32 v31, v31, v32
	;; [unrolled: 1-line block ×3, first 2 shown]
	v_and_b32_e32 v134, 0x3f00, v135
	v_lshrrev_b16 v135, 8, v137
	v_lshrrev_b32_e32 v22, 16, v30
	v_and_b32_e32 v136, 0xf0f0f0f, v28
	v_add_nc_u16 v132, v132, 0xe000
	v_lshlrev_b32_e32 v137, 4, v29
	v_or_b32_e32 v32, v134, v135
	v_lshlrev_b16 v134, 8, v30
	v_lshlrev_b16 v135, 8, v22
	v_and_b32_e32 v132, 0xffff, v132
	v_and_b32_e32 v30, 0x3f00, v30
	v_add_nc_u16 v32, v32, 0xe000
	v_add_nc_u16 v134, v134, 0xe000
	;; [unrolled: 1-line block ×3, first 2 shown]
	v_and_or_b32 v136, 0x30303030, v137, v136
	v_and_b32_e32 v22, 0x3f00, v22
	v_lshlrev_b32_e32 v32, 16, v32
	v_lshrrev_b16 v134, 8, v134
	v_lshrrev_b16 v135, 8, v135
	ds_store_2addr_b32 v8, v20, v31 offset1:16
	v_lshrrev_b32_e32 v28, 4, v28
	v_or_b32_e32 v31, v132, v32
	v_or_b32_e32 v20, v30, v134
	v_lshlrev_b16 v30, 8, v136
	v_lshrrev_b32_e32 v32, 16, v136
	v_or_b32_e32 v22, v22, v135
	v_and_b32_e32 v29, 0x30303030, v29
	v_add_nc_u16 v20, v20, 0xe000
	v_add_nc_u16 v30, v30, 0xe000
	v_lshlrev_b16 v132, 8, v32
	v_add_nc_u16 v22, v22, 0xe000
	v_and_b32_e32 v134, 0x3f00, v136
	v_and_or_b32 v28, 0xf0f0f0f, v28, v29
	v_lshrrev_b16 v30, 8, v30
	v_add_nc_u16 v132, v132, 0xe000
	v_and_b32_e32 v20, 0xffff, v20
	v_lshlrev_b32_e32 v22, 16, v22
	s_delay_alu instid0(VALU_DEP_4)
	v_or_b32_e32 v29, v134, v30
	v_and_b32_e32 v30, 0x3f00, v32
	v_lshrrev_b16 v32, 8, v132
	v_lshrrev_b32_e32 v132, 16, v28
	v_or_b32_e32 v20, v20, v22
	v_lshlrev_b16 v22, 8, v28
	v_add_nc_u16 v29, v29, 0xe000
	v_or_b32_e32 v30, v30, v32
	v_lshlrev_b16 v32, 8, v132
	ds_store_2addr_b32 v9, v31, v20 offset1:16
	v_add_nc_u16 v20, v22, 0xe000
	v_and_b32_e32 v22, 0xffff, v29
	v_add_nc_u16 v29, v30, 0xe000
	v_add_nc_u16 v30, v32, 0xe000
	v_and_b32_e32 v28, 0x3f00, v28
	v_lshrrev_b16 v20, 8, v20
	v_and_b32_e32 v31, 0x3f00, v132
	v_and_b32_e32 v32, 0xf0f0f0f, v26
	v_lshrrev_b16 v30, 8, v30
	v_lshlrev_b32_e32 v132, 4, v27
	v_lshrrev_b32_e32 v26, 4, v26
	v_and_b32_e32 v27, 0x30303030, v27
	v_or_b32_e32 v20, v28, v20
	v_or_b32_e32 v28, v31, v30
	v_and_or_b32 v30, 0x30303030, v132, v32
	v_lshlrev_b32_e32 v29, 16, v29
	v_and_or_b32 v26, 0xf0f0f0f, v26, v27
	v_add_nc_u16 v20, v20, 0xe000
	v_add_nc_u16 v28, v28, 0xe000
	v_lshrrev_b32_e32 v27, 16, v30
	v_or_b32_e32 v22, v22, v29
	v_lshrrev_b32_e32 v31, 16, v26
	v_lshlrev_b16 v29, 8, v30
	v_lshlrev_b16 v132, 8, v26
	v_lshlrev_b16 v32, 8, v27
	v_and_b32_e32 v30, 0x3f00, v30
	v_lshlrev_b16 v134, 8, v31
	v_add_nc_u16 v29, v29, 0xe000
	v_add_nc_u16 v132, v132, 0xe000
	;; [unrolled: 1-line block ×3, first 2 shown]
	v_and_b32_e32 v27, 0x3f00, v27
	v_add_nc_u16 v134, v134, 0xe000
	v_lshrrev_b16 v29, 8, v29
	v_and_b32_e32 v26, 0x3f00, v26
	v_lshrrev_b16 v32, 8, v32
	v_lshrrev_b16 v132, 8, v132
	v_and_b32_e32 v31, 0x3f00, v31
	v_lshrrev_b16 v134, 8, v134
	v_or_b32_e32 v29, v30, v29
	v_or_b32_e32 v27, v27, v32
	;; [unrolled: 1-line block ×3, first 2 shown]
	v_lshlrev_b32_e32 v32, 4, v25
	v_or_b32_e32 v30, v31, v134
	v_and_b32_e32 v31, 0xf0f0f0f, v24
	v_and_b32_e32 v20, 0xffff, v20
	v_lshlrev_b32_e32 v28, 16, v28
	v_add_nc_u16 v29, v29, 0xe000
	v_add_nc_u16 v27, v27, 0xe000
	;; [unrolled: 1-line block ×4, first 2 shown]
	v_and_or_b32 v31, 0x30303030, v32, v31
	v_and_b32_e32 v29, 0xffff, v29
	v_lshlrev_b32_e32 v27, 16, v27
	v_and_b32_e32 v26, 0xffff, v26
	v_lshlrev_b32_e32 v30, 16, v30
	v_or_b32_e32 v20, v20, v28
	v_lshrrev_b32_e32 v28, 16, v31
	v_lshrrev_b32_e32 v24, 4, v24
	v_and_b32_e32 v25, 0x30303030, v25
	v_lshlrev_b16 v32, 8, v31
	v_or_b32_e32 v27, v29, v27
	v_or_b32_e32 v26, v26, v30
	v_lshlrev_b16 v30, 8, v28
	ds_store_2addr_b32 v10, v22, v20 offset1:16
	v_and_or_b32 v20, 0xf0f0f0f, v24, v25
	v_add_nc_u16 v29, v32, 0xe000
	ds_store_2addr_b32 v11, v27, v26 offset1:16
	v_add_nc_u16 v22, v30, 0xe000
	v_and_b32_e32 v31, 0x3f00, v31
	v_lshrrev_b32_e32 v26, 16, v20
	v_lshrrev_b16 v29, 8, v29
	v_and_b32_e32 v25, 0x3f00, v28
	v_lshrrev_b16 v22, 8, v22
	v_lshlrev_b16 v27, 8, v20
	v_lshlrev_b16 v28, 8, v26
	v_or_b32_e32 v24, v31, v29
	v_lshlrev_b32_e32 v29, 4, v23
	v_or_b32_e32 v22, v25, v22
	v_add_nc_u16 v25, v27, 0xe000
	v_and_b32_e32 v27, 0xf0f0f0f, v21
	v_add_nc_u16 v28, v28, 0xe000
	v_and_b32_e32 v20, 0x3f00, v20
	v_and_b32_e32 v26, 0x3f00, v26
	v_lshrrev_b16 v25, 8, v25
	v_and_or_b32 v27, 0x30303030, v29, v27
	v_lshrrev_b16 v28, 8, v28
	v_lshrrev_b32_e32 v21, 4, v21
	v_and_b32_e32 v23, 0x30303030, v23
	v_or_b32_e32 v20, v20, v25
	v_lshrrev_b32_e32 v25, 16, v27
	v_or_b32_e32 v26, v26, v28
	v_lshlrev_b16 v28, 8, v27
	v_and_b32_e32 v27, 0x3f00, v27
	v_and_or_b32 v21, 0xf0f0f0f, v21, v23
	v_lshlrev_b16 v29, 8, v25
	v_add_nc_u16 v24, v24, 0xe000
	v_add_nc_u16 v28, v28, 0xe000
	;; [unrolled: 1-line block ×3, first 2 shown]
	v_and_b32_e32 v25, 0x3f00, v25
	v_add_nc_u16 v29, v29, 0xe000
	v_and_b32_e32 v24, 0xffff, v24
	v_lshrrev_b16 v28, 8, v28
	v_lshlrev_b32_e32 v22, 16, v22
	v_add_nc_u16 v20, v20, 0xe000
	v_lshrrev_b16 v23, 8, v29
	v_add_nc_u16 v26, v26, 0xe000
	v_or_b32_e32 v27, v27, v28
	v_lshlrev_b16 v28, 8, v21
	v_and_b32_e32 v20, 0xffff, v20
	v_or_b32_e32 v23, v25, v23
	v_lshlrev_b32_e32 v26, 16, v26
	v_or_b32_e32 v22, v24, v22
	v_add_nc_u16 v25, v28, 0xe000
	v_add_nc_u16 v24, v27, 0xe000
	v_lshrrev_b32_e32 v27, 16, v21
	v_and_b32_e32 v21, 0x3f00, v21
	v_or_b32_e32 v20, v20, v26
	v_lshrrev_b16 v25, 8, v25
	v_ashrrev_i32_e32 v26, v62, v143
	v_add_nc_u16 v23, v23, 0xe000
	v_and_b32_e32 v24, 0xffff, v24
	ds_store_2addr_b32 v12, v22, v20 offset1:16
	v_or_b32_e32 v21, v21, v25
	v_lshlrev_b16 v25, 8, v27
	v_lshlrev_b32_e32 v29, 4, v26
	v_lshlrev_b32_e32 v23, 16, v23
	v_and_b32_e32 v28, 0xf0f0f0f, v142
	v_add_nc_u16 v21, v21, 0xe000
	v_add_nc_u16 v22, v25, 0xe000
	v_and_b32_e32 v25, 0x30303030, v26
	v_and_b32_e32 v26, 0x3f00, v27
	v_or_b32_e32 v20, v24, v23
	v_and_b32_e32 v21, 0xffff, v21
	v_lshrrev_b16 v22, 8, v22
	v_and_or_b32 v28, 0x30303030, v29, v28
	v_lshrrev_b32_e32 v24, 4, v142
	v_lshrrev_b32_e32 v31, 4, v140
	s_delay_alu instid0(VALU_DEP_4) | instskip(NEXT) | instid1(VALU_DEP_4)
	v_or_b32_e32 v22, v26, v22
	v_lshlrev_b16 v23, 8, v28
	v_lshrrev_b32_e32 v27, 16, v28
	v_and_or_b32 v24, 0xf0f0f0f, v24, v25
	v_and_b32_e32 v25, 0x3f00, v28
	v_add_nc_u16 v22, v22, 0xe000
	v_add_nc_u16 v23, v23, 0xe000
	v_lshlrev_b16 v28, 8, v27
	v_lshlrev_b16 v26, 8, v24
	s_delay_alu instid0(VALU_DEP_4) | instskip(NEXT) | instid1(VALU_DEP_4)
	v_lshlrev_b32_e32 v22, 16, v22
	v_lshrrev_b16 v23, 8, v23
	s_delay_alu instid0(VALU_DEP_4) | instskip(NEXT) | instid1(VALU_DEP_3)
	v_add_nc_u16 v28, v28, 0xe000
	v_or_b32_e32 v21, v21, v22
	s_delay_alu instid0(VALU_DEP_3)
	v_or_b32_e32 v23, v25, v23
	v_add_nc_u16 v25, v26, 0xe000
	v_and_b32_e32 v26, 0x3f00, v27
	v_lshrrev_b16 v27, 8, v28
	ds_store_2addr_b32 v13, v20, v21 offset1:16
	scratch_load_b32 v21, off, off offset:68 ; 4-byte Folded Reload
	v_cvt_f32_f16_e64 v20, v138
	v_and_b32_e32 v28, 0x3f00, v24
	v_lshrrev_b16 v25, 8, v25
	v_or_b32_e32 v26, v26, v27
	v_ashrrev_i32_e32 v27, v62, v141
	v_lshrrev_b32_e32 v24, 16, v24
	v_add_nc_u16 v23, v23, 0xe000
	v_or_b32_e32 v25, v28, v25
	v_and_b32_e32 v28, 0xf0f0f0f, v140
	v_lshlrev_b32_e32 v29, 4, v27
	v_and_b32_e32 v27, 0x30303030, v27
	v_lshlrev_b16 v30, 8, v24
	v_and_b32_e32 v24, 0x3f00, v24
	v_add_nc_u16 v26, v26, 0xe000
	v_and_or_b32 v28, 0x30303030, v29, v28
	v_and_or_b32 v27, 0xf0f0f0f, v31, v27
	v_add_nc_u16 v29, v30, 0xe000
	v_add_nc_u16 v25, v25, 0xe000
	v_and_b32_e32 v23, 0xffff, v23
	v_lshrrev_b32_e32 v30, 16, v28
	v_lshrrev_b32_e32 v32, 16, v27
	v_lshlrev_b16 v31, 8, v28
	v_lshlrev_b16 v134, 8, v27
	v_lshrrev_b16 v29, 8, v29
	v_lshlrev_b16 v132, 8, v30
	v_lshlrev_b16 v135, 8, v32
	v_add_nc_u16 v31, v31, 0xe000
	v_add_nc_u16 v134, v134, 0xe000
	v_and_b32_e32 v28, 0x3f00, v28
	v_add_nc_u16 v132, v132, 0xe000
	v_add_nc_u16 v135, v135, 0xe000
	v_lshrrev_b16 v31, 8, v31
	v_and_b32_e32 v30, 0x3f00, v30
	v_and_b32_e32 v27, 0x3f00, v27
	v_lshrrev_b16 v132, 8, v132
	v_lshrrev_b16 v134, 8, v134
	v_and_b32_e32 v32, 0x3f00, v32
	v_lshrrev_b16 v135, 8, v135
	v_or_b32_e32 v24, v24, v29
	v_or_b32_e32 v28, v28, v31
	;; [unrolled: 1-line block ×5, first 2 shown]
	v_add_nc_u16 v24, v24, 0xe000
	v_add_nc_u16 v28, v28, 0xe000
	;; [unrolled: 1-line block ×5, first 2 shown]
	v_lshlrev_b32_e32 v26, 16, v26
	v_and_b32_e32 v25, 0xffff, v25
	v_lshlrev_b32_e32 v24, 16, v24
	v_and_b32_e32 v28, 0xffff, v28
	;; [unrolled: 2-line block ×3, first 2 shown]
	v_lshlrev_b32_e32 v30, 16, v30
	v_or_b32_e32 v22, v23, v26
	v_or_b32_e32 v23, v25, v24
	;; [unrolled: 1-line block ×3, first 2 shown]
	v_add_nc_u32_e32 v132, s0, v18
	v_or_b32_e32 v25, v27, v30
	ds_store_2addr_b32 v14, v22, v23 offset1:16
	ds_store_2addr_b32 v15, v24, v25 offset1:16
	s_waitcnt vmcnt(0)
	ds_store_b32 v21, v20
	scratch_load_b32 v20, off, off offset:80 ; 4-byte Folded Reload
	s_waitcnt vmcnt(0)
	ds_store_b32 v20, v133
	scratch_load_b32 v20, off, off offset:84 ; 4-byte Folded Reload
	s_waitcnt vmcnt(0)
	ds_store_b32 v20, v19
.LBB176_6:                              ;   Parent Loop BB176_5 Depth=1
                                        ; =>  This Loop Header: Depth=2
                                        ;       Child Loop BB176_7 Depth 3
	v_lshl_add_u32 v19, s14, 5, v50
	v_lshl_add_u32 v32, s14, 2, v132
	s_lshl_b32 s14, s14, 4
	s_xor_b32 s1, s1, -1
	s_add_i32 s15, s14, 16
	v_lshrrev_b32_e32 v19, 3, v19
	s_delay_alu instid0(VALU_DEP_1) | instskip(NEXT) | instid1(VALU_DEP_1)
	v_add_nc_u32_e32 v31, s0, v19
	v_add_nc_u32_e32 v21, v31, v96
	v_add_nc_u32_e32 v23, v31, v99
	v_add_nc_u32_e32 v25, v31, v102
	v_add_nc_u32_e32 v27, v31, v106
	v_add_nc_u32_e32 v29, v31, v109
	v_add_nc_u32_e32 v133, v31, v111
	v_mad_i64_i32 v[19:20], null, v21, 36, v[16:17]
	v_mad_i64_i32 v[21:22], null, v23, 36, v[16:17]
	;; [unrolled: 1-line block ×5, first 2 shown]
	v_mad_u64_u32 v[29:30], null, v32, 36, s[2:3]
	v_add_nc_u32_e32 v135, v31, v114
	v_add_nc_u32_e32 v137, v31, v116
	v_mad_i64_i32 v[31:32], null, v133, 36, v[16:17]
	s_delay_alu instid0(VALU_DEP_3) | instskip(NEXT) | instid1(VALU_DEP_3)
	v_mad_i64_i32 v[133:134], null, v135, 36, v[16:17]
	v_mad_i64_i32 v[135:136], null, v137, 36, v[16:17]
	s_clause 0x8
	global_load_b32 v29, v[29:30], off
	global_load_b32 v21, v[21:22], off offset:4
	global_load_b32 v22, v[23:24], off offset:4
	;; [unrolled: 1-line block ×8, first 2 shown]
	s_waitcnt vmcnt(8)
	v_cvt_f32_f16_e32 v20, v29
	s_waitcnt vmcnt(7)
	ds_store_b32 v101, v21
	s_waitcnt vmcnt(6)
	ds_store_b32 v104, v22
	;; [unrolled: 2-line block ×8, first 2 shown]
	ds_store_b32 v95, v20
	s_waitcnt lgkmcnt(0)
	s_waitcnt_vscnt null, 0x0
	s_barrier
	buffer_gl0_inv
	ds_load_b32 v133, v118
	ds_load_b32 v134, v119 offset:128
	ds_load_b32 v135, v120 offset:256
	;; [unrolled: 1-line block ×3, first 2 shown]
.LBB176_7:                              ;   Parent Loop BB176_5 Depth=1
                                        ;     Parent Loop BB176_6 Depth=2
                                        ; =>    This Inner Loop Header: Depth=3
	s_lshl_b32 s16, s14, 1
	s_lshl_b32 s17, s14, 3
	s_and_b32 s16, s16, 16
	v_add_nc_u32_e32 v138, s17, v123
	v_or_b32_e32 v137, s16, v82
	v_add_nc_u32_e32 v175, s17, v125
	v_add_nc_u32_e32 v176, s17, v127
	;; [unrolled: 1-line block ×3, first 2 shown]
	s_delay_alu instid0(VALU_DEP_4)
	v_lshlrev_b32_e32 v174, 2, v137
	v_lshrrev_b32_e32 v137, 1, v137
	ds_load_2addr_b32 v[19:20], v138 offset0:14 offset1:15
	ds_load_b128 v[139:142], v174 offset:33328
	ds_load_2addr_b32 v[187:188], v138 offset0:12 offset1:13
	ds_load_2addr_b32 v[31:32], v175 offset0:12 offset1:13
	ds_load_2addr_b32 v[29:30], v176 offset0:12 offset1:13
	ds_load_2addr_b32 v[27:28], v177 offset0:12 offset1:13
	s_waitcnt lgkmcnt(4)
	v_dot4_i32_iu8 v21, v19, v141, 0 neg_lo:[1,1,0]
	s_waitcnt lgkmcnt(3)
	s_delay_alu instid0(VALU_DEP_1) | instskip(SKIP_3) | instid1(VALU_DEP_1)
	v_dot4_i32_iu8 v143, v187, v139, v21 neg_lo:[1,1,0]
	ds_load_2addr_b32 v[21:22], v175 offset0:14 offset1:15
	s_waitcnt lgkmcnt(0)
	v_dot4_i32_iu8 v23, v21, v141, 0 neg_lo:[1,1,0]
	v_dot4_i32_iu8 v144, v31, v139, v23 neg_lo:[1,1,0]
	ds_load_2addr_b32 v[23:24], v176 offset0:14 offset1:15
	s_waitcnt lgkmcnt(0)
	v_dot4_i32_iu8 v25, v23, v141, 0 neg_lo:[1,1,0]
	s_delay_alu instid0(VALU_DEP_1) | instskip(SKIP_3) | instid1(VALU_DEP_1)
	v_dot4_i32_iu8 v145, v29, v139, v25 neg_lo:[1,1,0]
	ds_load_2addr_b32 v[25:26], v177 offset0:14 offset1:15
	s_waitcnt lgkmcnt(0)
	v_dot4_i32_iu8 v141, v25, v141, 0 neg_lo:[1,1,0]
	v_dot4_i32_iu8 v139, v27, v139, v141 neg_lo:[1,1,0]
	;; [unrolled: 1-line block ×5, first 2 shown]
	s_delay_alu instid0(VALU_DEP_4) | instskip(NEXT) | instid1(VALU_DEP_4)
	v_dot4_i32_iu8 v139, v28, v140, v139 neg_lo:[1,1,0]
	v_dot4_i32_iu8 v169, v20, v142, v141 neg_lo:[1,1,0]
	s_delay_alu instid0(VALU_DEP_4) | instskip(NEXT) | instid1(VALU_DEP_4)
	v_dot4_i32_iu8 v165, v22, v142, v143 neg_lo:[1,1,0]
	v_dot4_i32_iu8 v162, v24, v142, v144 neg_lo:[1,1,0]
	s_delay_alu instid0(VALU_DEP_4) | instskip(SKIP_1) | instid1(VALU_DEP_1)
	v_dot4_i32_iu8 v161, v26, v142, v139 neg_lo:[1,1,0]
	v_or_b32_e32 v139, s16, v94
	v_lshlrev_b32_e32 v178, 2, v139
	ds_load_b128 v[143:146], v178 offset:33328
	s_waitcnt lgkmcnt(0)
	v_dot4_i32_iu8 v140, v145, v19, 0 neg_lo:[1,1,0]
	v_dot4_i32_iu8 v141, v145, v21, 0 neg_lo:[1,1,0]
	v_dot4_i32_iu8 v142, v145, v23, 0 neg_lo:[1,1,0]
	v_dot4_i32_iu8 v145, v145, v25, 0 neg_lo:[1,1,0]
	s_delay_alu instid0(VALU_DEP_4) | instskip(NEXT) | instid1(VALU_DEP_4)
	v_dot4_i32_iu8 v140, v143, v187, v140 neg_lo:[1,1,0]
	v_dot4_i32_iu8 v141, v143, v31, v141 neg_lo:[1,1,0]
	s_delay_alu instid0(VALU_DEP_4) | instskip(NEXT) | instid1(VALU_DEP_4)
	v_dot4_i32_iu8 v142, v143, v29, v142 neg_lo:[1,1,0]
	v_dot4_i32_iu8 v143, v143, v27, v145 neg_lo:[1,1,0]
	s_delay_alu instid0(VALU_DEP_4) | instskip(NEXT) | instid1(VALU_DEP_4)
	v_dot4_i32_iu8 v140, v144, v188, v140 neg_lo:[1,1,0]
	v_dot4_i32_iu8 v141, v144, v32, v141 neg_lo:[1,1,0]
	s_delay_alu instid0(VALU_DEP_4) | instskip(NEXT) | instid1(VALU_DEP_4)
	v_dot4_i32_iu8 v142, v144, v30, v142 neg_lo:[1,1,0]
	v_dot4_i32_iu8 v147, v144, v28, v143 neg_lo:[1,1,0]
	s_delay_alu instid0(VALU_DEP_4) | instskip(SKIP_4) | instid1(VALU_DEP_4)
	v_dot4_i32_iu8 v145, v146, v20, v140 neg_lo:[1,1,0]
	v_or_b32_e32 v140, s16, v97
	v_dot4_i32_iu8 v144, v146, v22, v141 neg_lo:[1,1,0]
	v_dot4_i32_iu8 v143, v146, v24, v142 neg_lo:[1,1,0]
	v_dot4_i32_iu8 v142, v146, v26, v147 neg_lo:[1,1,0]
	v_lshlrev_b32_e32 v179, 2, v140
	ds_load_b128 v[148:151], v179 offset:33328
	s_waitcnt lgkmcnt(0)
	v_dot4_i32_iu8 v141, v150, v19, 0 neg_lo:[1,1,0]
	v_dot4_i32_iu8 v146, v150, v21, 0 neg_lo:[1,1,0]
	v_dot4_i32_iu8 v147, v150, v23, 0 neg_lo:[1,1,0]
	v_dot4_i32_iu8 v150, v150, v25, 0 neg_lo:[1,1,0]
	s_delay_alu instid0(VALU_DEP_4) | instskip(NEXT) | instid1(VALU_DEP_4)
	v_dot4_i32_iu8 v141, v148, v187, v141 neg_lo:[1,1,0]
	v_dot4_i32_iu8 v146, v148, v31, v146 neg_lo:[1,1,0]
	s_delay_alu instid0(VALU_DEP_4) | instskip(NEXT) | instid1(VALU_DEP_4)
	v_dot4_i32_iu8 v147, v148, v29, v147 neg_lo:[1,1,0]
	v_dot4_i32_iu8 v148, v148, v27, v150 neg_lo:[1,1,0]
	s_delay_alu instid0(VALU_DEP_4) | instskip(NEXT) | instid1(VALU_DEP_4)
	v_dot4_i32_iu8 v141, v149, v188, v141 neg_lo:[1,1,0]
	v_dot4_i32_iu8 v146, v149, v32, v146 neg_lo:[1,1,0]
	s_delay_alu instid0(VALU_DEP_4) | instskip(NEXT) | instid1(VALU_DEP_4)
	v_dot4_i32_iu8 v147, v149, v30, v147 neg_lo:[1,1,0]
	v_dot4_i32_iu8 v152, v149, v28, v148 neg_lo:[1,1,0]
	s_delay_alu instid0(VALU_DEP_4) | instskip(SKIP_4) | instid1(VALU_DEP_4)
	v_dot4_i32_iu8 v150, v151, v20, v141 neg_lo:[1,1,0]
	v_or_b32_e32 v141, s16, v100
	v_dot4_i32_iu8 v149, v151, v22, v146 neg_lo:[1,1,0]
	v_dot4_i32_iu8 v148, v151, v24, v147 neg_lo:[1,1,0]
	v_dot4_i32_iu8 v147, v151, v26, v152 neg_lo:[1,1,0]
	;; [unrolled: 25-line block ×5, first 2 shown]
	v_lshlrev_b32_e32 v192, 2, v156
	ds_load_b128 v[183:186], v192 offset:33328
	s_waitcnt lgkmcnt(0)
	v_dot4_i32_iu8 v163, v185, v19, 0 neg_lo:[1,1,0]
	v_dot4_i32_iu8 v170, v185, v21, 0 neg_lo:[1,1,0]
	;; [unrolled: 1-line block ×4, first 2 shown]
	s_delay_alu instid0(VALU_DEP_4) | instskip(NEXT) | instid1(VALU_DEP_4)
	v_dot4_i32_iu8 v163, v183, v187, v163 neg_lo:[1,1,0]
	v_dot4_i32_iu8 v170, v183, v31, v170 neg_lo:[1,1,0]
	s_delay_alu instid0(VALU_DEP_4) | instskip(NEXT) | instid1(VALU_DEP_4)
	v_dot4_i32_iu8 v171, v183, v29, v171 neg_lo:[1,1,0]
	v_dot4_i32_iu8 v172, v183, v27, v172 neg_lo:[1,1,0]
	;; [unrolled: 3-line block ×4, first 2 shown]
	s_delay_alu instid0(VALU_DEP_4)
	v_dot4_i32_iu8 v173, v186, v20, v163 neg_lo:[1,1,0]
	v_or_b32_e32 v163, s16, v113
	v_dot4_i32_iu8 v172, v186, v22, v170 neg_lo:[1,1,0]
	v_dot4_i32_iu8 v171, v186, v24, v171 neg_lo:[1,1,0]
	;; [unrolled: 1-line block ×3, first 2 shown]
	s_lshr_b32 s16, s14, 1
	v_lshlrev_b32_e32 v202, 2, v163
	s_add_i32 s14, s14, 8
	s_delay_alu instid0(SALU_CYCLE_1)
	s_cmp_lt_u32 s14, s15
	ds_load_b128 v[183:186], v202 offset:33328
	s_waitcnt lgkmcnt(0)
	v_dot4_i32_iu8 v19, v185, v19, 0 neg_lo:[1,1,0]
	v_dot4_i32_iu8 v21, v185, v21, 0 neg_lo:[1,1,0]
	;; [unrolled: 1-line block ×4, first 2 shown]
	s_delay_alu instid0(VALU_DEP_4) | instskip(NEXT) | instid1(VALU_DEP_4)
	v_dot4_i32_iu8 v19, v183, v187, v19 neg_lo:[1,1,0]
	v_dot4_i32_iu8 v21, v183, v31, v21 neg_lo:[1,1,0]
	s_delay_alu instid0(VALU_DEP_4) | instskip(NEXT) | instid1(VALU_DEP_4)
	v_dot4_i32_iu8 v23, v183, v29, v23 neg_lo:[1,1,0]
	v_dot4_i32_iu8 v25, v183, v27, v25 neg_lo:[1,1,0]
	;; [unrolled: 3-line block ×6, first 2 shown]
	ds_load_2addr_b32 v[207:208], v138 offset0:10 offset1:11
	ds_load_b128 v[23:26], v174 offset:33312
	ds_load_2addr_b32 v[211:212], v175 offset0:10 offset1:11
	ds_load_2addr_b32 v[217:218], v176 offset0:8 offset1:9
	;; [unrolled: 1-line block ×7, first 2 shown]
	ds_load_b128 v[203:206], v202 offset:33312
	s_waitcnt lgkmcnt(8)
	v_dot4_i32_iu8 v27, v207, v25, 0 neg_lo:[1,1,0]
	s_waitcnt lgkmcnt(7)
	v_dot4_i32_iu8 v28, v211, v25, 0 neg_lo:[1,1,0]
	;; [unrolled: 2-line block ×6, first 2 shown]
	v_dot4_i32_iu8 v29, v217, v23, v29 neg_lo:[1,1,0]
	v_dot4_i32_iu8 v23, v221, v23, v25 neg_lo:[1,1,0]
	;; [unrolled: 1-line block ×3, first 2 shown]
	s_delay_alu instid0(VALU_DEP_4) | instskip(NEXT) | instid1(VALU_DEP_4)
	v_dot4_i32_iu8 v27, v214, v24, v28 neg_lo:[1,1,0]
	v_dot4_i32_iu8 v28, v218, v24, v29 neg_lo:[1,1,0]
	s_delay_alu instid0(VALU_DEP_4) | instskip(NEXT) | instid1(VALU_DEP_4)
	v_dot4_i32_iu8 v23, v222, v24, v23 neg_lo:[1,1,0]
	v_dot4_i32_iu8 v251, v208, v26, v25 neg_lo:[1,1,0]
	;; [unrolled: 3-line block ×3, first 2 shown]
	s_delay_alu instid0(VALU_DEP_4)
	v_dot4_i32_iu8 v254, v220, v26, v23 neg_lo:[1,1,0]
	ds_load_b128 v[23:26], v178 offset:33312
	s_waitcnt lgkmcnt(0)
	v_dot4_i32_iu8 v27, v25, v207, 0 neg_lo:[1,1,0]
	v_dot4_i32_iu8 v28, v25, v211, 0 neg_lo:[1,1,0]
	v_dot4_i32_iu8 v29, v25, v215, 0 neg_lo:[1,1,0]
	v_dot4_i32_iu8 v25, v25, v219, 0 neg_lo:[1,1,0]
	s_delay_alu instid0(VALU_DEP_4) | instskip(NEXT) | instid1(VALU_DEP_4)
	v_dot4_i32_iu8 v27, v23, v209, v27 neg_lo:[1,1,0]
	v_dot4_i32_iu8 v28, v23, v213, v28 neg_lo:[1,1,0]
	s_delay_alu instid0(VALU_DEP_4) | instskip(NEXT) | instid1(VALU_DEP_4)
	v_dot4_i32_iu8 v29, v23, v217, v29 neg_lo:[1,1,0]
	v_dot4_i32_iu8 v23, v23, v221, v25 neg_lo:[1,1,0]
	s_delay_alu instid0(VALU_DEP_4) | instskip(NEXT) | instid1(VALU_DEP_4)
	v_dot4_i32_iu8 v25, v24, v210, v27 neg_lo:[1,1,0]
	v_dot4_i32_iu8 v27, v24, v214, v28 neg_lo:[1,1,0]
	s_delay_alu instid0(VALU_DEP_4) | instskip(NEXT) | instid1(VALU_DEP_4)
	v_dot4_i32_iu8 v28, v24, v218, v29 neg_lo:[1,1,0]
	v_dot4_i32_iu8 v23, v24, v222, v23 neg_lo:[1,1,0]
	s_delay_alu instid0(VALU_DEP_4) | instskip(NEXT) | instid1(VALU_DEP_4)
	v_dot4_i32_iu8 v201, v26, v208, v25 neg_lo:[1,1,0]
	v_dot4_i32_iu8 v200, v26, v212, v27 neg_lo:[1,1,0]
	s_delay_alu instid0(VALU_DEP_4) | instskip(NEXT) | instid1(VALU_DEP_4)
	v_dot4_i32_iu8 v199, v26, v216, v28 neg_lo:[1,1,0]
	v_dot4_i32_iu8 v198, v26, v220, v23 neg_lo:[1,1,0]
	ds_load_b128 v[23:26], v179 offset:33312
	s_waitcnt lgkmcnt(0)
	v_dot4_i32_iu8 v27, v25, v207, 0 neg_lo:[1,1,0]
	v_dot4_i32_iu8 v28, v25, v211, 0 neg_lo:[1,1,0]
	v_dot4_i32_iu8 v29, v25, v215, 0 neg_lo:[1,1,0]
	v_dot4_i32_iu8 v25, v25, v219, 0 neg_lo:[1,1,0]
	s_delay_alu instid0(VALU_DEP_4) | instskip(NEXT) | instid1(VALU_DEP_4)
	v_dot4_i32_iu8 v27, v23, v209, v27 neg_lo:[1,1,0]
	v_dot4_i32_iu8 v28, v23, v213, v28 neg_lo:[1,1,0]
	s_delay_alu instid0(VALU_DEP_4) | instskip(NEXT) | instid1(VALU_DEP_4)
	v_dot4_i32_iu8 v29, v23, v217, v29 neg_lo:[1,1,0]
	v_dot4_i32_iu8 v23, v23, v221, v25 neg_lo:[1,1,0]
	s_delay_alu instid0(VALU_DEP_4) | instskip(NEXT) | instid1(VALU_DEP_4)
	v_dot4_i32_iu8 v25, v24, v210, v27 neg_lo:[1,1,0]
	v_dot4_i32_iu8 v27, v24, v214, v28 neg_lo:[1,1,0]
	s_delay_alu instid0(VALU_DEP_4) | instskip(NEXT) | instid1(VALU_DEP_4)
	v_dot4_i32_iu8 v28, v24, v218, v29 neg_lo:[1,1,0]
	v_dot4_i32_iu8 v23, v24, v222, v23 neg_lo:[1,1,0]
	s_delay_alu instid0(VALU_DEP_4) | instskip(NEXT) | instid1(VALU_DEP_4)
	v_dot4_i32_iu8 v197, v26, v208, v25 neg_lo:[1,1,0]
	v_dot4_i32_iu8 v196, v26, v212, v27 neg_lo:[1,1,0]
	s_delay_alu instid0(VALU_DEP_4) | instskip(NEXT) | instid1(VALU_DEP_4)
	v_dot4_i32_iu8 v195, v26, v216, v28 neg_lo:[1,1,0]
	;; [unrolled: 24-line block ×5, first 2 shown]
	v_dot4_i32_iu8 v31, v26, v220, v23 neg_lo:[1,1,0]
	ds_load_b128 v[23:26], v192 offset:33312
	s_waitcnt lgkmcnt(0)
	v_dot4_i32_iu8 v27, v25, v207, 0 neg_lo:[1,1,0]
	v_dot4_i32_iu8 v28, v25, v211, 0 neg_lo:[1,1,0]
	;; [unrolled: 1-line block ×4, first 2 shown]
	s_delay_alu instid0(VALU_DEP_4) | instskip(NEXT) | instid1(VALU_DEP_4)
	v_dot4_i32_iu8 v27, v23, v209, v27 neg_lo:[1,1,0]
	v_dot4_i32_iu8 v28, v23, v213, v28 neg_lo:[1,1,0]
	s_delay_alu instid0(VALU_DEP_4) | instskip(NEXT) | instid1(VALU_DEP_4)
	v_dot4_i32_iu8 v29, v23, v217, v29 neg_lo:[1,1,0]
	v_dot4_i32_iu8 v23, v23, v221, v25 neg_lo:[1,1,0]
	;; [unrolled: 3-line block ×4, first 2 shown]
	v_dot4_i32_iu8 v24, v205, v211, 0 neg_lo:[1,1,0]
	v_dot4_i32_iu8 v30, v26, v208, v25 neg_lo:[1,1,0]
	v_dot4_i32_iu8 v25, v205, v215, 0 neg_lo:[1,1,0]
	v_dot4_i32_iu8 v29, v26, v212, v27 neg_lo:[1,1,0]
	v_dot4_i32_iu8 v27, v26, v220, v23 neg_lo:[1,1,0]
	v_dot4_i32_iu8 v23, v205, v207, 0 neg_lo:[1,1,0]
	v_dot4_i32_iu8 v24, v203, v213, v24 neg_lo:[1,1,0]
	v_dot4_i32_iu8 v25, v203, v217, v25 neg_lo:[1,1,0]
	v_dot4_i32_iu8 v28, v26, v216, v28 neg_lo:[1,1,0]
	s_delay_alu instid0(VALU_DEP_4) | instskip(NEXT) | instid1(VALU_DEP_4)
	v_dot4_i32_iu8 v23, v203, v209, v23 neg_lo:[1,1,0]
	v_dot4_i32_iu8 v24, v204, v214, v24 neg_lo:[1,1,0]
	s_delay_alu instid0(VALU_DEP_4) | instskip(SKIP_1) | instid1(VALU_DEP_4)
	v_dot4_i32_iu8 v207, v204, v218, v25 neg_lo:[1,1,0]
	v_dot4_i32_iu8 v25, v205, v219, 0 neg_lo:[1,1,0]
	;; [unrolled: 1-line block ×3, first 2 shown]
	s_delay_alu instid0(VALU_DEP_2) | instskip(NEXT) | instid1(VALU_DEP_2)
	v_dot4_i32_iu8 v25, v203, v221, v25 neg_lo:[1,1,0]
	v_dot4_i32_iu8 v26, v206, v208, v23 neg_lo:[1,1,0]
	s_delay_alu instid0(VALU_DEP_2) | instskip(SKIP_2) | instid1(VALU_DEP_3)
	v_dot4_i32_iu8 v203, v204, v222, v25 neg_lo:[1,1,0]
	v_dot4_i32_iu8 v25, v206, v212, v24 neg_lo:[1,1,0]
	;; [unrolled: 1-line block ×4, first 2 shown]
	ds_load_2addr_b32 v[235:236], v138 offset0:6 offset1:7
	ds_load_b128 v[203:206], v174 offset:33296
	ds_load_2addr_b32 v[239:240], v175 offset0:6 offset1:7
	ds_load_2addr_b32 v[245:246], v176 offset0:4 offset1:5
	;; [unrolled: 1-line block ×7, first 2 shown]
	ds_load_b128 v[231:234], v202 offset:33296
	s_waitcnt lgkmcnt(8)
	v_dot4_i32_iu8 v207, v235, v205, 0 neg_lo:[1,1,0]
	s_waitcnt lgkmcnt(7)
	v_dot4_i32_iu8 v208, v239, v205, 0 neg_lo:[1,1,0]
	;; [unrolled: 2-line block ×6, first 2 shown]
	v_dot4_i32_iu8 v209, v245, v203, v209 neg_lo:[1,1,0]
	v_dot4_i32_iu8 v203, v249, v203, v205 neg_lo:[1,1,0]
	;; [unrolled: 1-line block ×3, first 2 shown]
	s_delay_alu instid0(VALU_DEP_4) | instskip(NEXT) | instid1(VALU_DEP_4)
	v_dot4_i32_iu8 v207, v242, v204, v208 neg_lo:[1,1,0]
	v_dot4_i32_iu8 v208, v246, v204, v209 neg_lo:[1,1,0]
	s_delay_alu instid0(VALU_DEP_4) | instskip(NEXT) | instid1(VALU_DEP_4)
	v_dot4_i32_iu8 v203, v250, v204, v203 neg_lo:[1,1,0]
	v_dot4_i32_iu8 v255, v236, v206, v205 neg_lo:[1,1,0]
	;; [unrolled: 3-line block ×3, first 2 shown]
	s_delay_alu instid0(VALU_DEP_4)
	v_dot4_i32_iu8 v63, v248, v206, v203 neg_lo:[1,1,0]
	ds_load_b128 v[203:206], v178 offset:33296
	s_waitcnt lgkmcnt(0)
	v_dot4_i32_iu8 v207, v205, v235, 0 neg_lo:[1,1,0]
	v_dot4_i32_iu8 v208, v205, v239, 0 neg_lo:[1,1,0]
	v_dot4_i32_iu8 v209, v205, v243, 0 neg_lo:[1,1,0]
	v_dot4_i32_iu8 v205, v205, v247, 0 neg_lo:[1,1,0]
	s_delay_alu instid0(VALU_DEP_4) | instskip(NEXT) | instid1(VALU_DEP_4)
	v_dot4_i32_iu8 v207, v203, v237, v207 neg_lo:[1,1,0]
	v_dot4_i32_iu8 v208, v203, v241, v208 neg_lo:[1,1,0]
	s_delay_alu instid0(VALU_DEP_4) | instskip(NEXT) | instid1(VALU_DEP_4)
	v_dot4_i32_iu8 v209, v203, v245, v209 neg_lo:[1,1,0]
	v_dot4_i32_iu8 v203, v203, v249, v205 neg_lo:[1,1,0]
	s_delay_alu instid0(VALU_DEP_4) | instskip(NEXT) | instid1(VALU_DEP_4)
	v_dot4_i32_iu8 v205, v204, v238, v207 neg_lo:[1,1,0]
	v_dot4_i32_iu8 v207, v204, v242, v208 neg_lo:[1,1,0]
	s_delay_alu instid0(VALU_DEP_4) | instskip(NEXT) | instid1(VALU_DEP_4)
	v_dot4_i32_iu8 v208, v204, v246, v209 neg_lo:[1,1,0]
	v_dot4_i32_iu8 v203, v204, v250, v203 neg_lo:[1,1,0]
	s_delay_alu instid0(VALU_DEP_4) | instskip(NEXT) | instid1(VALU_DEP_4)
	v_dot4_i32_iu8 v230, v206, v236, v205 neg_lo:[1,1,0]
	v_dot4_i32_iu8 v229, v206, v240, v207 neg_lo:[1,1,0]
	s_delay_alu instid0(VALU_DEP_4) | instskip(NEXT) | instid1(VALU_DEP_4)
	v_dot4_i32_iu8 v228, v206, v244, v208 neg_lo:[1,1,0]
	v_dot4_i32_iu8 v227, v206, v248, v203 neg_lo:[1,1,0]
	ds_load_b128 v[203:206], v179 offset:33296
	s_waitcnt lgkmcnt(0)
	v_dot4_i32_iu8 v207, v205, v235, 0 neg_lo:[1,1,0]
	v_dot4_i32_iu8 v208, v205, v239, 0 neg_lo:[1,1,0]
	v_dot4_i32_iu8 v209, v205, v243, 0 neg_lo:[1,1,0]
	v_dot4_i32_iu8 v205, v205, v247, 0 neg_lo:[1,1,0]
	s_delay_alu instid0(VALU_DEP_4) | instskip(NEXT) | instid1(VALU_DEP_4)
	v_dot4_i32_iu8 v207, v203, v237, v207 neg_lo:[1,1,0]
	v_dot4_i32_iu8 v208, v203, v241, v208 neg_lo:[1,1,0]
	s_delay_alu instid0(VALU_DEP_4) | instskip(NEXT) | instid1(VALU_DEP_4)
	v_dot4_i32_iu8 v209, v203, v245, v209 neg_lo:[1,1,0]
	v_dot4_i32_iu8 v203, v203, v249, v205 neg_lo:[1,1,0]
	s_delay_alu instid0(VALU_DEP_4) | instskip(NEXT) | instid1(VALU_DEP_4)
	v_dot4_i32_iu8 v205, v204, v238, v207 neg_lo:[1,1,0]
	v_dot4_i32_iu8 v207, v204, v242, v208 neg_lo:[1,1,0]
	s_delay_alu instid0(VALU_DEP_4) | instskip(NEXT) | instid1(VALU_DEP_4)
	v_dot4_i32_iu8 v208, v204, v246, v209 neg_lo:[1,1,0]
	v_dot4_i32_iu8 v203, v204, v250, v203 neg_lo:[1,1,0]
	s_delay_alu instid0(VALU_DEP_4) | instskip(NEXT) | instid1(VALU_DEP_4)
	v_dot4_i32_iu8 v226, v206, v236, v205 neg_lo:[1,1,0]
	v_dot4_i32_iu8 v225, v206, v240, v207 neg_lo:[1,1,0]
	s_delay_alu instid0(VALU_DEP_4) | instskip(NEXT) | instid1(VALU_DEP_4)
	v_dot4_i32_iu8 v224, v206, v244, v208 neg_lo:[1,1,0]
	;; [unrolled: 24-line block ×5, first 2 shown]
	v_dot4_i32_iu8 v211, v206, v248, v203 neg_lo:[1,1,0]
	ds_load_b128 v[203:206], v192 offset:33296
	s_waitcnt lgkmcnt(0)
	v_dot4_i32_iu8 v207, v205, v235, 0 neg_lo:[1,1,0]
	v_dot4_i32_iu8 v208, v205, v239, 0 neg_lo:[1,1,0]
	v_dot4_i32_iu8 v209, v205, v243, 0 neg_lo:[1,1,0]
	v_dot4_i32_iu8 v205, v205, v247, 0 neg_lo:[1,1,0]
	s_delay_alu instid0(VALU_DEP_4) | instskip(NEXT) | instid1(VALU_DEP_4)
	v_dot4_i32_iu8 v207, v203, v237, v207 neg_lo:[1,1,0]
	v_dot4_i32_iu8 v208, v203, v241, v208 neg_lo:[1,1,0]
	s_delay_alu instid0(VALU_DEP_4) | instskip(NEXT) | instid1(VALU_DEP_4)
	v_dot4_i32_iu8 v209, v203, v245, v209 neg_lo:[1,1,0]
	v_dot4_i32_iu8 v203, v203, v249, v205 neg_lo:[1,1,0]
	;; [unrolled: 3-line block ×4, first 2 shown]
	v_dot4_i32_iu8 v204, v233, v239, 0 neg_lo:[1,1,0]
	v_dot4_i32_iu8 v210, v206, v236, v205 neg_lo:[1,1,0]
	;; [unrolled: 1-line block ×9, first 2 shown]
	s_delay_alu instid0(VALU_DEP_4) | instskip(NEXT) | instid1(VALU_DEP_4)
	v_dot4_i32_iu8 v203, v231, v237, v203 neg_lo:[1,1,0]
	v_dot4_i32_iu8 v204, v232, v242, v204 neg_lo:[1,1,0]
	s_delay_alu instid0(VALU_DEP_4) | instskip(SKIP_1) | instid1(VALU_DEP_4)
	v_dot4_i32_iu8 v235, v232, v246, v205 neg_lo:[1,1,0]
	v_dot4_i32_iu8 v205, v233, v247, 0 neg_lo:[1,1,0]
	;; [unrolled: 1-line block ×3, first 2 shown]
	s_delay_alu instid0(VALU_DEP_2) | instskip(NEXT) | instid1(VALU_DEP_2)
	v_dot4_i32_iu8 v205, v231, v249, v205 neg_lo:[1,1,0]
	v_dot4_i32_iu8 v206, v234, v236, v203 neg_lo:[1,1,0]
	s_delay_alu instid0(VALU_DEP_2) | instskip(SKIP_2) | instid1(VALU_DEP_3)
	v_dot4_i32_iu8 v231, v232, v250, v205 neg_lo:[1,1,0]
	v_dot4_i32_iu8 v205, v234, v240, v204 neg_lo:[1,1,0]
	;; [unrolled: 1-line block ×4, first 2 shown]
	ds_load_2addr_b32 v[235:236], v138 offset0:2 offset1:3
	ds_load_2addr_b32 v[237:238], v138 offset1:1
	ds_load_b128 v[231:234], v174 offset:33280
	ds_load_2addr_b32 v[239:240], v175 offset0:2 offset1:3
	ds_load_2addr_b32 v[241:242], v175 offset1:1
	ds_load_2addr_b32 v[243:244], v176 offset0:2 offset1:3
	ds_load_2addr_b32 v[245:246], v176 offset1:1
	;; [unrolled: 2-line block ×3, first 2 shown]
	s_waitcnt lgkmcnt(6)
	v_dot4_i32_iu8 v138, v235, v233, 0 neg_lo:[1,1,0]
	s_waitcnt lgkmcnt(5)
	v_dot4_i32_iu8 v174, v239, v233, 0 neg_lo:[1,1,0]
	;; [unrolled: 2-line block ×4, first 2 shown]
	v_dot4_i32_iu8 v138, v237, v231, v138 neg_lo:[1,1,0]
	v_dot4_i32_iu8 v174, v241, v231, v174 neg_lo:[1,1,0]
	;; [unrolled: 1-line block ×3, first 2 shown]
	s_waitcnt lgkmcnt(0)
	v_dot4_i32_iu8 v176, v249, v231, v176 neg_lo:[1,1,0]
	v_dot4_i32_iu8 v138, v238, v232, v138 neg_lo:[1,1,0]
	;; [unrolled: 1-line block ×4, first 2 shown]
	s_delay_alu instid0(VALU_DEP_4) | instskip(NEXT) | instid1(VALU_DEP_4)
	v_dot4_i32_iu8 v176, v250, v232, v176 neg_lo:[1,1,0]
	v_dot4_i32_iu8 v231, v236, v234, v138 neg_lo:[1,1,0]
	s_delay_alu instid0(VALU_DEP_4) | instskip(NEXT) | instid1(VALU_DEP_4)
	v_dot4_i32_iu8 v232, v240, v234, v174 neg_lo:[1,1,0]
	v_dot4_i32_iu8 v233, v244, v234, v175 neg_lo:[1,1,0]
	s_delay_alu instid0(VALU_DEP_4)
	v_dot4_i32_iu8 v234, v248, v234, v176 neg_lo:[1,1,0]
	ds_load_b128 v[174:177], v178 offset:33280
	s_waitcnt lgkmcnt(0)
	v_dot4_i32_iu8 v138, v176, v235, 0 neg_lo:[1,1,0]
	v_dot4_i32_iu8 v178, v176, v239, 0 neg_lo:[1,1,0]
	v_dot4_i32_iu8 v64, v176, v243, 0 neg_lo:[1,1,0]
	v_dot4_i32_iu8 v176, v176, v247, 0 neg_lo:[1,1,0]
	s_delay_alu instid0(VALU_DEP_4) | instskip(NEXT) | instid1(VALU_DEP_4)
	v_dot4_i32_iu8 v138, v174, v237, v138 neg_lo:[1,1,0]
	v_dot4_i32_iu8 v178, v174, v241, v178 neg_lo:[1,1,0]
	s_delay_alu instid0(VALU_DEP_4) | instskip(NEXT) | instid1(VALU_DEP_4)
	v_dot4_i32_iu8 v64, v174, v245, v64 neg_lo:[1,1,0]
	v_dot4_i32_iu8 v174, v174, v249, v176 neg_lo:[1,1,0]
	s_delay_alu instid0(VALU_DEP_4) | instskip(NEXT) | instid1(VALU_DEP_4)
	v_dot4_i32_iu8 v138, v175, v238, v138 neg_lo:[1,1,0]
	v_dot4_i32_iu8 v176, v175, v242, v178 neg_lo:[1,1,0]
	s_delay_alu instid0(VALU_DEP_4) | instskip(NEXT) | instid1(VALU_DEP_4)
	v_dot4_i32_iu8 v64, v175, v246, v64 neg_lo:[1,1,0]
	v_dot4_i32_iu8 v174, v175, v250, v174 neg_lo:[1,1,0]
	s_delay_alu instid0(VALU_DEP_4) | instskip(NEXT) | instid1(VALU_DEP_4)
	v_dot4_i32_iu8 v66, v177, v236, v138 neg_lo:[1,1,0]
	v_dot4_i32_iu8 v67, v177, v240, v176 neg_lo:[1,1,0]
	s_delay_alu instid0(VALU_DEP_4) | instskip(NEXT) | instid1(VALU_DEP_4)
	v_dot4_i32_iu8 v64, v177, v244, v64 neg_lo:[1,1,0]
	v_dot4_i32_iu8 v68, v177, v248, v174 neg_lo:[1,1,0]
	ds_load_b128 v[174:177], v179 offset:33280
	s_waitcnt lgkmcnt(0)
	v_dot4_i32_iu8 v138, v176, v235, 0 neg_lo:[1,1,0]
	v_dot4_i32_iu8 v178, v176, v239, 0 neg_lo:[1,1,0]
	v_dot4_i32_iu8 v179, v176, v243, 0 neg_lo:[1,1,0]
	v_dot4_i32_iu8 v176, v176, v247, 0 neg_lo:[1,1,0]
	s_delay_alu instid0(VALU_DEP_4) | instskip(NEXT) | instid1(VALU_DEP_4)
	v_dot4_i32_iu8 v138, v174, v237, v138 neg_lo:[1,1,0]
	v_dot4_i32_iu8 v178, v174, v241, v178 neg_lo:[1,1,0]
	s_delay_alu instid0(VALU_DEP_4) | instskip(NEXT) | instid1(VALU_DEP_4)
	v_dot4_i32_iu8 v179, v174, v245, v179 neg_lo:[1,1,0]
	v_dot4_i32_iu8 v174, v174, v249, v176 neg_lo:[1,1,0]
	s_delay_alu instid0(VALU_DEP_4) | instskip(NEXT) | instid1(VALU_DEP_4)
	v_dot4_i32_iu8 v138, v175, v238, v138 neg_lo:[1,1,0]
	v_dot4_i32_iu8 v176, v175, v242, v178 neg_lo:[1,1,0]
	s_delay_alu instid0(VALU_DEP_4) | instskip(NEXT) | instid1(VALU_DEP_4)
	v_dot4_i32_iu8 v178, v175, v246, v179 neg_lo:[1,1,0]
	v_dot4_i32_iu8 v174, v175, v250, v174 neg_lo:[1,1,0]
	s_delay_alu instid0(VALU_DEP_4) | instskip(NEXT) | instid1(VALU_DEP_4)
	v_dot4_i32_iu8 v69, v177, v236, v138 neg_lo:[1,1,0]
	v_dot4_i32_iu8 v71, v177, v240, v176 neg_lo:[1,1,0]
	s_delay_alu instid0(VALU_DEP_4) | instskip(NEXT) | instid1(VALU_DEP_4)
	v_dot4_i32_iu8 v72, v177, v244, v178 neg_lo:[1,1,0]
	;; [unrolled: 24-line block ×6, first 2 shown]
	v_dot4_i32_iu8 v131, v177, v248, v174 neg_lo:[1,1,0]
	ds_load_b128 v[174:177], v202 offset:33280
	s_waitcnt lgkmcnt(0)
	v_dot4_i32_iu8 v138, v176, v235, 0 neg_lo:[1,1,0]
	v_dot4_i32_iu8 v178, v176, v239, 0 neg_lo:[1,1,0]
	;; [unrolled: 1-line block ×4, first 2 shown]
	s_delay_alu instid0(VALU_DEP_4) | instskip(NEXT) | instid1(VALU_DEP_4)
	v_dot4_i32_iu8 v138, v174, v237, v138 neg_lo:[1,1,0]
	v_dot4_i32_iu8 v178, v174, v241, v178 neg_lo:[1,1,0]
	s_delay_alu instid0(VALU_DEP_4) | instskip(NEXT) | instid1(VALU_DEP_4)
	v_dot4_i32_iu8 v179, v174, v245, v179 neg_lo:[1,1,0]
	v_dot4_i32_iu8 v174, v174, v249, v176 neg_lo:[1,1,0]
	;; [unrolled: 3-line block ×4, first 2 shown]
	s_delay_alu instid0(VALU_DEP_4) | instskip(SKIP_2) | instid1(VALU_DEP_4)
	v_dot4_i32_iu8 v202, v177, v236, v138 neg_lo:[1,1,0]
	v_add_nc_u32_e32 v138, s16, v122
	v_dot4_i32_iu8 v235, v177, v240, v178 neg_lo:[1,1,0]
	v_dot4_i32_iu8 v237, v177, v248, v174 neg_lo:[1,1,0]
	;; [unrolled: 1-line block ×3, first 2 shown]
	ds_load_b32 v176, v138
	s_waitcnt lgkmcnt(0)
	v_bfe_i32 v238, v176, 8, 8
	v_bfe_i32 v239, v176, 0, 8
	;; [unrolled: 1-line block ×3, first 2 shown]
	s_delay_alu instid0(VALU_DEP_3) | instskip(NEXT) | instid1(VALU_DEP_1)
	v_mul_lo_u32 v138, v255, v238
	v_mad_u64_u32 v[174:175], null, v231, v239, v[138:139]
	v_ashrrev_i32_e32 v231, 24, v176
	s_delay_alu instid0(VALU_DEP_1) | instskip(SKIP_1) | instid1(VALU_DEP_2)
	v_mul_lo_u32 v138, v169, v231
	v_mul_lo_u32 v19, v19, v231
	v_mad_u64_u32 v[175:176], null, v251, v240, v[138:139]
	v_add_nc_u32_e32 v138, s16, v124
	ds_load_b32 v169, v138
	s_waitcnt lgkmcnt(0)
	v_bfe_i32 v241, v169, 8, 8
	v_bfe_i32 v242, v169, 0, 8
	s_delay_alu instid0(VALU_DEP_2) | instskip(SKIP_2) | instid1(VALU_DEP_3)
	v_mul_lo_u32 v138, v49, v241
	v_ashrrev_i32_e32 v49, 24, v169
	v_bfe_i32 v169, v169, 16, 8
	v_mad_u64_u32 v[176:177], null, v232, v242, v[138:139]
	s_delay_alu instid0(VALU_DEP_3) | instskip(NEXT) | instid1(VALU_DEP_1)
	v_mul_lo_u32 v138, v165, v49
	v_mad_u64_u32 v[177:178], null, v252, v169, v[138:139]
	v_add_nc_u32_e32 v138, s16, v126
	ds_load_b32 v165, v138
	s_waitcnt lgkmcnt(0)
	v_bfe_i32 v232, v165, 8, 8
	v_bfe_i32 v243, v165, 0, 8
	s_delay_alu instid0(VALU_DEP_2) | instskip(SKIP_2) | instid1(VALU_DEP_3)
	v_mul_lo_u32 v138, v59, v232
	v_ashrrev_i32_e32 v59, 24, v165
	v_bfe_i32 v165, v165, 16, 8
	v_mad_u64_u32 v[178:179], null, v233, v243, v[138:139]
	s_delay_alu instid0(VALU_DEP_3) | instskip(NEXT) | instid1(VALU_DEP_1)
	v_mul_lo_u32 v138, v162, v59
	v_mad_u64_u32 v[179:180], null, v253, v165, v[138:139]
	v_add_nc_u32_e32 v138, s16, v128
	ds_load_b32 v162, v138
	s_waitcnt lgkmcnt(0)
	v_bfe_i32 v233, v162, 8, 8
	v_bfe_i32 v244, v162, 0, 8
	s_delay_alu instid0(VALU_DEP_2) | instskip(SKIP_1) | instid1(VALU_DEP_2)
	v_mul_lo_u32 v138, v63, v233
	v_ashrrev_i32_e32 v63, 24, v162
	v_mad_u64_u32 v[180:181], null, v234, v244, v[138:139]
	s_delay_alu instid0(VALU_DEP_2) | instskip(SKIP_1) | instid1(VALU_DEP_1)
	v_mul_lo_u32 v138, v161, v63
	v_bfe_i32 v181, v162, 16, 8
	v_mad_u64_u32 v[161:162], null, v254, v181, v[138:139]
	ds_load_b64 v[137:138], v137 offset:43584
	v_cvt_f32_i32_e32 v162, v174
	v_cvt_f32_i32_e32 v174, v175
	;; [unrolled: 1-line block ×8, first 2 shown]
	s_waitcnt lgkmcnt(0)
	v_fma_f32 v180, v137, v162, 0
	v_fma_f32 v234, v137, v175, 0
	;; [unrolled: 1-line block ×4, first 2 shown]
	v_mul_lo_u32 v137, v230, v238
	v_fmac_f32_e32 v180, v138, v174
	v_fmac_f32_e32 v234, v138, v176
	;; [unrolled: 1-line block ×3, first 2 shown]
	s_delay_alu instid0(VALU_DEP_3) | instskip(NEXT) | instid1(VALU_DEP_3)
	v_dual_fmac_f32 v246, v138, v161 :: v_dual_fmac_f32 v51, v133, v180
	v_fmac_f32_e32 v87, v134, v234
	v_mad_u64_u32 v[161:162], null, v66, v239, v[137:138]
	v_mul_lo_u32 v137, v145, v231
	v_fmac_f32_e32 v83, v135, v245
	v_fmac_f32_e32 v79, v136, v246
	s_delay_alu instid0(VALU_DEP_3) | instskip(SKIP_1) | instid1(VALU_DEP_2)
	v_mad_u64_u32 v[174:175], null, v201, v240, v[137:138]
	v_mul_lo_u32 v137, v229, v241
	v_cvt_f32_i32_e32 v66, v174
	s_delay_alu instid0(VALU_DEP_2) | instskip(SKIP_1) | instid1(VALU_DEP_2)
	v_mad_u64_u32 v[175:176], null, v67, v242, v[137:138]
	v_mul_lo_u32 v137, v144, v49
	v_cvt_f32_i32_e32 v67, v175
	s_delay_alu instid0(VALU_DEP_2) | instskip(SKIP_1) | instid1(VALU_DEP_1)
	v_mad_u64_u32 v[144:145], null, v200, v169, v[137:138]
	v_mul_lo_u32 v137, v228, v232
	v_mad_u64_u32 v[176:177], null, v64, v243, v[137:138]
	v_mul_lo_u32 v137, v143, v59
	v_cvt_f32_i32_e32 v64, v161
	s_delay_alu instid0(VALU_DEP_2) | instskip(SKIP_1) | instid1(VALU_DEP_1)
	v_mad_u64_u32 v[177:178], null, v199, v165, v[137:138]
	v_mul_lo_u32 v137, v227, v233
	v_mad_u64_u32 v[178:179], null, v68, v244, v[137:138]
	v_mul_lo_u32 v137, v142, v63
	v_cvt_f32_i32_e32 v68, v144
	v_cvt_f32_i32_e32 v144, v177
	s_delay_alu instid0(VALU_DEP_4) | instskip(NEXT) | instid1(VALU_DEP_4)
	v_cvt_f32_i32_e32 v145, v178
	v_mad_u64_u32 v[142:143], null, v198, v181, v[137:138]
	v_lshrrev_b32_e32 v137, 1, v139
	v_cvt_f32_i32_e32 v143, v176
	ds_load_b64 v[137:138], v137 offset:43584
	v_cvt_f32_i32_e32 v142, v142
	s_waitcnt lgkmcnt(0)
	v_fma_f32 v64, v137, v64, 0
	s_delay_alu instid0(VALU_DEP_1) | instskip(SKIP_2) | instid1(VALU_DEP_2)
	v_fmac_f32_e32 v64, v138, v66
	v_fma_f32 v66, v137, v67, 0
	v_fma_f32 v67, v137, v143, 0
	v_fmac_f32_e32 v66, v138, v68
	v_fma_f32 v68, v137, v145, 0
	v_mul_lo_u32 v137, v226, v238
	s_delay_alu instid0(VALU_DEP_4) | instskip(NEXT) | instid1(VALU_DEP_4)
	v_fmac_f32_e32 v67, v138, v144
	v_fmac_f32_e32 v75, v134, v66
	s_delay_alu instid0(VALU_DEP_4) | instskip(NEXT) | instid1(VALU_DEP_4)
	v_fmac_f32_e32 v68, v138, v142
	v_mad_u64_u32 v[138:139], null, v69, v239, v[137:138]
	v_mul_lo_u32 v137, v150, v231
	s_delay_alu instid0(VALU_DEP_3) | instskip(NEXT) | instid1(VALU_DEP_2)
	v_fmac_f32_e32 v73, v136, v68
	v_mad_u64_u32 v[142:143], null, v197, v240, v[137:138]
	v_mul_lo_u32 v137, v225, v241
	s_delay_alu instid0(VALU_DEP_2) | instskip(NEXT) | instid1(VALU_DEP_2)
	v_cvt_f32_i32_e32 v69, v142
	v_mad_u64_u32 v[143:144], null, v71, v242, v[137:138]
	v_mul_lo_u32 v137, v149, v49
	s_delay_alu instid0(VALU_DEP_2) | instskip(NEXT) | instid1(VALU_DEP_2)
	v_cvt_f32_i32_e32 v71, v143
	v_mad_u64_u32 v[144:145], null, v196, v169, v[137:138]
	v_mul_lo_u32 v137, v224, v232
	s_delay_alu instid0(VALU_DEP_1) | instskip(SKIP_1) | instid1(VALU_DEP_4)
	v_mad_u64_u32 v[149:150], null, v72, v243, v[137:138]
	v_mul_lo_u32 v137, v148, v59
	v_cvt_f32_i32_e32 v72, v144
	s_delay_alu instid0(VALU_DEP_3) | instskip(NEXT) | instid1(VALU_DEP_3)
	v_cvt_f32_i32_e32 v139, v149
	v_mad_u64_u32 v[161:162], null, v195, v165, v[137:138]
	v_mul_lo_u32 v137, v223, v233
	s_delay_alu instid0(VALU_DEP_2) | instskip(NEXT) | instid1(VALU_DEP_2)
	v_cvt_f32_i32_e32 v142, v161
	v_mad_u64_u32 v[174:175], null, v56, v244, v[137:138]
	v_mul_lo_u32 v137, v147, v63
	v_cvt_f32_i32_e32 v56, v138
	s_delay_alu instid0(VALU_DEP_3) | instskip(NEXT) | instid1(VALU_DEP_3)
	v_cvt_f32_i32_e32 v143, v174
	v_mad_u64_u32 v[147:148], null, v194, v181, v[137:138]
	v_lshrrev_b32_e32 v137, 1, v140
	ds_load_b64 v[137:138], v137 offset:43584
	v_cvt_f32_i32_e32 v144, v147
	s_waitcnt lgkmcnt(0)
	v_fma_f32 v56, v137, v56, 0
	s_delay_alu instid0(VALU_DEP_1) | instskip(SKIP_2) | instid1(VALU_DEP_2)
	v_fmac_f32_e32 v56, v138, v69
	v_fma_f32 v69, v137, v71, 0
	v_fma_f32 v71, v137, v139, 0
	v_fmac_f32_e32 v69, v138, v72
	v_fma_f32 v72, v137, v143, 0
	v_mul_lo_u32 v137, v222, v238
	s_delay_alu instid0(VALU_DEP_4) | instskip(NEXT) | instid1(VALU_DEP_4)
	v_fmac_f32_e32 v71, v138, v142
	v_fmac_f32_e32 v65, v134, v69
	s_delay_alu instid0(VALU_DEP_4) | instskip(NEXT) | instid1(VALU_DEP_4)
	v_fmac_f32_e32 v72, v138, v144
	v_mad_u64_u32 v[138:139], null, v76, v239, v[137:138]
	v_mul_lo_u32 v137, v155, v231
	s_delay_alu instid0(VALU_DEP_3) | instskip(NEXT) | instid1(VALU_DEP_3)
	v_fmac_f32_e32 v57, v136, v72
	v_cvt_f32_i32_e32 v76, v138
	s_delay_alu instid0(VALU_DEP_3) | instskip(SKIP_1) | instid1(VALU_DEP_1)
	v_mad_u64_u32 v[139:140], null, v193, v240, v[137:138]
	v_mul_lo_u32 v137, v221, v241
	v_mad_u64_u32 v[142:143], null, v78, v242, v[137:138]
	v_mul_lo_u32 v137, v154, v49
	s_delay_alu instid0(VALU_DEP_4) | instskip(NEXT) | instid1(VALU_DEP_2)
	v_cvt_f32_i32_e32 v78, v139
	v_mad_u64_u32 v[143:144], null, v191, v169, v[137:138]
	v_mul_lo_u32 v137, v220, v232
	s_delay_alu instid0(VALU_DEP_1) | instskip(SKIP_2) | instid1(VALU_DEP_3)
	v_mad_u64_u32 v[144:145], null, v80, v243, v[137:138]
	v_mul_lo_u32 v137, v153, v59
	v_cvt_f32_i32_e32 v80, v142
	v_cvt_f32_i32_e32 v139, v144
	s_delay_alu instid0(VALU_DEP_3) | instskip(SKIP_1) | instid1(VALU_DEP_2)
	v_mad_u64_u32 v[147:148], null, v190, v165, v[137:138]
	v_mul_lo_u32 v137, v219, v233
	v_cvt_f32_i32_e32 v140, v147
	s_delay_alu instid0(VALU_DEP_2) | instskip(SKIP_2) | instid1(VALU_DEP_3)
	v_mad_u64_u32 v[148:149], null, v81, v244, v[137:138]
	v_mul_lo_u32 v137, v152, v63
	v_cvt_f32_i32_e32 v81, v143
	v_cvt_f32_i32_e32 v142, v148
	s_delay_alu instid0(VALU_DEP_3)
	v_mad_u64_u32 v[149:150], null, v189, v181, v[137:138]
	v_lshrrev_b32_e32 v137, 1, v141
	ds_load_b64 v[137:138], v137 offset:43584
	v_cvt_f32_i32_e32 v143, v149
	s_waitcnt lgkmcnt(0)
	v_fma_f32 v76, v137, v76, 0
	s_delay_alu instid0(VALU_DEP_1) | instskip(SKIP_2) | instid1(VALU_DEP_2)
	v_fmac_f32_e32 v76, v138, v78
	v_fma_f32 v78, v137, v80, 0
	v_fma_f32 v80, v137, v139, 0
	v_fmac_f32_e32 v78, v138, v81
	v_fma_f32 v81, v137, v142, 0
	v_mul_lo_u32 v137, v218, v238
	s_delay_alu instid0(VALU_DEP_4) | instskip(NEXT) | instid1(VALU_DEP_4)
	v_fmac_f32_e32 v80, v138, v140
	v_fmac_f32_e32 v54, v134, v78
	s_delay_alu instid0(VALU_DEP_4) | instskip(NEXT) | instid1(VALU_DEP_4)
	v_fmac_f32_e32 v81, v138, v143
	v_mad_u64_u32 v[138:139], null, v84, v239, v[137:138]
	v_mul_lo_u32 v137, v160, v231
	s_delay_alu instid0(VALU_DEP_2) | instskip(NEXT) | instid1(VALU_DEP_2)
	v_cvt_f32_i32_e32 v84, v138
	v_mad_u64_u32 v[139:140], null, v188, v240, v[137:138]
	v_mul_lo_u32 v137, v217, v241
	s_delay_alu instid0(VALU_DEP_1) | instskip(SKIP_1) | instid1(VALU_DEP_4)
	v_mad_u64_u32 v[140:141], null, v85, v242, v[137:138]
	v_mul_lo_u32 v137, v159, v49
	v_cvt_f32_i32_e32 v85, v139
	s_delay_alu instid0(VALU_DEP_2) | instskip(SKIP_1) | instid1(VALU_DEP_1)
	v_mad_u64_u32 v[141:142], null, v187, v169, v[137:138]
	v_mul_lo_u32 v137, v216, v232
	v_mad_u64_u32 v[142:143], null, v86, v243, v[137:138]
	v_mul_lo_u32 v137, v158, v59
	v_cvt_f32_i32_e32 v86, v140
	s_delay_alu instid0(VALU_DEP_3) | instskip(NEXT) | instid1(VALU_DEP_3)
	v_cvt_f32_i32_e32 v139, v142
	v_mad_u64_u32 v[143:144], null, v186, v165, v[137:138]
	v_mul_lo_u32 v137, v215, v233
	s_delay_alu instid0(VALU_DEP_2) | instskip(NEXT) | instid1(VALU_DEP_2)
	v_cvt_f32_i32_e32 v140, v143
	v_mad_u64_u32 v[144:145], null, v88, v244, v[137:138]
	v_mul_lo_u32 v137, v157, v63
	v_cvt_f32_i32_e32 v88, v141
	s_delay_alu instid0(VALU_DEP_3) | instskip(NEXT) | instid1(VALU_DEP_3)
	v_cvt_f32_i32_e32 v141, v144
	v_mad_u64_u32 v[147:148], null, v185, v181, v[137:138]
	v_lshrrev_b32_e32 v137, 1, v146
	ds_load_b64 v[137:138], v137 offset:43584
	v_cvt_f32_i32_e32 v142, v147
	s_waitcnt lgkmcnt(0)
	v_fma_f32 v84, v137, v84, 0
	s_delay_alu instid0(VALU_DEP_1) | instskip(SKIP_2) | instid1(VALU_DEP_2)
	v_fmac_f32_e32 v84, v138, v85
	v_fma_f32 v85, v137, v86, 0
	v_fma_f32 v86, v137, v139, 0
	v_fmac_f32_e32 v85, v138, v88
	v_fma_f32 v88, v137, v141, 0
	v_mul_lo_u32 v137, v214, v238
	s_delay_alu instid0(VALU_DEP_4) | instskip(NEXT) | instid1(VALU_DEP_4)
	v_fmac_f32_e32 v86, v138, v140
	v_fmac_f32_e32 v47, v134, v85
	s_delay_alu instid0(VALU_DEP_4) | instskip(NEXT) | instid1(VALU_DEP_4)
	v_fmac_f32_e32 v88, v138, v142
	v_mad_u64_u32 v[138:139], null, v182, v239, v[137:138]
	v_mul_lo_u32 v137, v168, v231
	s_delay_alu instid0(VALU_DEP_1) | instskip(SKIP_1) | instid1(VALU_DEP_1)
	v_mad_u64_u32 v[139:140], null, v184, v240, v[137:138]
	v_mul_lo_u32 v137, v213, v241
	v_mad_u64_u32 v[140:141], null, v89, v242, v[137:138]
	v_mul_lo_u32 v137, v167, v49
	v_cvt_f32_i32_e32 v89, v138
	s_delay_alu instid0(VALU_DEP_2) | instskip(SKIP_1) | instid1(VALU_DEP_1)
	v_mad_u64_u32 v[141:142], null, v183, v169, v[137:138]
	v_mul_lo_u32 v137, v212, v232
	v_mad_u64_u32 v[142:143], null, v91, v243, v[137:138]
	v_mul_lo_u32 v137, v166, v59
	v_cvt_f32_i32_e32 v91, v139
	s_delay_alu instid0(VALU_DEP_2) | instskip(SKIP_3) | instid1(VALU_DEP_4)
	v_mad_u64_u32 v[143:144], null, v32, v165, v[137:138]
	v_mul_lo_u32 v32, v211, v233
	v_cvt_f32_i32_e32 v138, v142
	v_cvt_f32_i32_e32 v137, v141
	;; [unrolled: 1-line block ×3, first 2 shown]
	s_delay_alu instid0(VALU_DEP_4) | instskip(SKIP_2) | instid1(VALU_DEP_3)
	v_mad_u64_u32 v[144:145], null, v92, v244, v[32:33]
	v_mul_lo_u32 v32, v164, v63
	v_cvt_f32_i32_e32 v92, v140
	v_cvt_f32_i32_e32 v140, v144
	s_delay_alu instid0(VALU_DEP_3)
	v_mad_u64_u32 v[145:146], null, v31, v181, v[32:33]
	v_lshrrev_b32_e32 v31, 1, v151
	ds_load_b64 v[31:32], v31 offset:43584
	v_cvt_f32_i32_e32 v141, v145
	s_waitcnt lgkmcnt(0)
	v_fma_f32 v89, v31, v89, 0
	v_fma_f32 v144, v31, v140, 0
	s_delay_alu instid0(VALU_DEP_2) | instskip(SKIP_4) | instid1(VALU_DEP_4)
	v_fmac_f32_e32 v89, v32, v91
	v_fma_f32 v91, v31, v92, 0
	v_fma_f32 v92, v31, v138, 0
	v_mul_lo_u32 v31, v210, v238
	v_fmac_f32_e32 v144, v32, v141
	v_dual_fmac_f32 v60, v135, v71 :: v_dual_fmac_f32 v91, v32, v137
	s_delay_alu instid0(VALU_DEP_4) | instskip(SKIP_1) | instid1(VALU_DEP_4)
	v_fmac_f32_e32 v92, v32, v139
	v_fmac_f32_e32 v70, v133, v56
	v_dual_fmac_f32 v44, v133, v89 :: v_dual_fmac_f32 v41, v136, v144
	s_delay_alu instid0(VALU_DEP_4) | instskip(SKIP_3) | instid1(VALU_DEP_2)
	v_fmac_f32_e32 v43, v134, v91
	v_mad_u64_u32 v[137:138], null, v192, v239, v[31:32]
	v_mul_lo_u32 v31, v173, v231
	v_fmac_f32_e32 v42, v135, v92
	v_mad_u64_u32 v[138:139], null, v30, v240, v[31:32]
	v_mul_lo_u32 v30, v209, v241
	s_delay_alu instid0(VALU_DEP_1) | instskip(SKIP_1) | instid1(VALU_DEP_4)
	v_mad_u64_u32 v[31:32], null, v93, v242, v[30:31]
	v_mul_lo_u32 v30, v172, v49
	v_cvt_f32_i32_e32 v32, v138
	s_delay_alu instid0(VALU_DEP_2) | instskip(SKIP_2) | instid1(VALU_DEP_3)
	v_mad_u64_u32 v[139:140], null, v29, v169, v[30:31]
	v_mul_lo_u32 v29, v208, v232
	v_cvt_f32_i32_e32 v31, v31
	v_cvt_f32_i32_e32 v93, v139
	s_delay_alu instid0(VALU_DEP_3) | instskip(SKIP_1) | instid1(VALU_DEP_2)
	v_mad_u64_u32 v[140:141], null, v130, v243, v[29:30]
	v_mul_lo_u32 v29, v171, v59
	v_cvt_f32_i32_e32 v130, v140
	s_delay_alu instid0(VALU_DEP_2) | instskip(SKIP_1) | instid1(VALU_DEP_1)
	v_mad_u64_u32 v[141:142], null, v28, v165, v[29:30]
	v_mul_lo_u32 v28, v207, v233
	v_mad_u64_u32 v[29:30], null, v131, v244, v[28:29]
	v_mul_lo_u32 v28, v170, v63
	v_cvt_f32_i32_e32 v30, v137
	v_cvt_f32_i32_e32 v131, v141
	s_delay_alu instid0(VALU_DEP_3)
	v_mad_u64_u32 v[142:143], null, v27, v181, v[28:29]
	v_lshrrev_b32_e32 v27, 1, v156
	v_cvt_f32_i32_e32 v29, v29
	ds_load_b64 v[27:28], v27 offset:43584
	v_cvt_f32_i32_e32 v137, v142
	s_waitcnt lgkmcnt(0)
	v_fma_f32 v139, v27, v31, 0
	v_fma_f32 v138, v27, v30, 0
	s_delay_alu instid0(VALU_DEP_2)
	v_fmac_f32_e32 v139, v28, v93
	v_fma_f32 v93, v27, v130, 0
	v_fma_f32 v130, v27, v29, 0
	v_mul_lo_u32 v27, v206, v238
	v_fmac_f32_e32 v138, v28, v32
	v_dual_fmac_f32 v52, v136, v81 :: v_dual_fmac_f32 v39, v134, v139
	v_fmac_f32_e32 v93, v28, v131
	v_fmac_f32_e32 v130, v28, v137
	s_delay_alu instid0(VALU_DEP_4)
	v_fmac_f32_e32 v40, v133, v138
	v_mad_u64_u32 v[28:29], null, v202, v239, v[27:28]
	v_mad_u64_u32 v[29:30], null, v26, v240, v[19:20]
	v_mul_lo_u32 v19, v205, v241
	v_dual_fmac_f32 v38, v135, v93 :: v_dual_fmac_f32 v37, v136, v130
	v_fmac_f32_e32 v53, v135, v80
	s_delay_alu instid0(VALU_DEP_3) | instskip(SKIP_1) | instid1(VALU_DEP_1)
	v_mad_u64_u32 v[26:27], null, v235, v242, v[19:20]
	v_mul_lo_u32 v19, v20, v49
	v_mad_u64_u32 v[30:31], null, v25, v169, v[19:20]
	v_mul_lo_u32 v19, v204, v232
	s_delay_alu instid0(VALU_DEP_1) | instskip(SKIP_1) | instid1(VALU_DEP_2)
	v_mad_u64_u32 v[31:32], null, v236, v243, v[19:20]
	v_mul_lo_u32 v19, v21, v59
	v_cvt_f32_i32_e32 v27, v31
	s_delay_alu instid0(VALU_DEP_2) | instskip(SKIP_1) | instid1(VALU_DEP_1)
	v_mad_u64_u32 v[20:21], null, v24, v165, v[19:20]
	v_mul_lo_u32 v19, v203, v233
	v_mad_u64_u32 v[24:25], null, v237, v244, v[19:20]
	v_mul_lo_u32 v19, v22, v63
	v_cvt_f32_i32_e32 v25, v26
	v_cvt_f32_i32_e32 v26, v30
	s_delay_alu instid0(VALU_DEP_4) | instskip(NEXT) | instid1(VALU_DEP_4)
	v_cvt_f32_i32_e32 v24, v24
	v_mad_u64_u32 v[21:22], null, v23, v181, v[19:20]
	v_lshrrev_b32_e32 v19, 1, v163
	v_cvt_f32_i32_e32 v22, v28
	v_cvt_f32_i32_e32 v28, v20
	;; [unrolled: 1-line block ×3, first 2 shown]
	ds_load_b64 v[19:20], v19 offset:43584
	v_cvt_f32_i32_e32 v21, v21
	s_waitcnt lgkmcnt(0)
	v_fma_f32 v22, v19, v22, 0
	s_delay_alu instid0(VALU_DEP_1) | instskip(SKIP_3) | instid1(VALU_DEP_4)
	v_fmac_f32_e32 v22, v20, v23
	v_fma_f32 v23, v19, v25, 0
	v_fma_f32 v25, v19, v27, 0
	;; [unrolled: 1-line block ×3, first 2 shown]
	v_fmac_f32_e32 v36, v133, v22
	s_delay_alu instid0(VALU_DEP_4) | instskip(NEXT) | instid1(VALU_DEP_4)
	v_fmac_f32_e32 v23, v20, v26
	v_fmac_f32_e32 v25, v20, v28
	s_delay_alu instid0(VALU_DEP_4)
	v_fmac_f32_e32 v19, v20, v21
	v_fmac_f32_e32 v77, v133, v64
	v_dual_fmac_f32 v55, v133, v76 :: v_dual_fmac_f32 v74, v135, v67
	v_fmac_f32_e32 v45, v136, v88
	v_dual_fmac_f32 v48, v133, v84 :: v_dual_fmac_f32 v35, v134, v23
	v_dual_fmac_f32 v34, v135, v25 :: v_dual_fmac_f32 v33, v136, v19
	v_fmac_f32_e32 v46, v135, v86
	s_cbranch_scc1 .LBB176_7
; %bb.8:                                ;   in Loop: Header=BB176_6 Depth=2
	s_mov_b32 s14, 1
	s_and_b32 vcc_lo, exec_lo, s1
	s_mov_b32 s1, 0
	s_barrier
	buffer_gl0_inv
	s_cbranch_vccz .LBB176_6
; %bb.9:                                ;   in Loop: Header=BB176_5 Depth=1
	s_add_i32 s5, s5, 1
	s_delay_alu instid0(SALU_CYCLE_1)
	s_cmp_eq_u32 s5, s4
	s_cbranch_scc0 .LBB176_5
; %bb.10:
	s_clause 0x1
	scratch_load_b32 v1, off, off offset:88
	scratch_load_b32 v2, off, off offset:92
	v_mov_b32_e32 v0, v50
.LBB176_11:
	s_mov_b32 s0, exec_lo
	s_waitcnt vmcnt(0)
	v_cmpx_gt_u32_e64 s6, v2
	s_cbranch_execz .LBB176_62
; %bb.12:
	v_add_nc_u32_e32 v0, s12, v0
	v_mul_lo_u32 v5, v2, s10
	s_delay_alu instid0(VALU_DEP_2)
	v_cmp_gt_u32_e32 vcc_lo, s10, v0
	s_and_saveexec_b32 s1, vcc_lo
	s_cbranch_execz .LBB176_14
; %bb.13:
	v_bfe_u32 v3, v51, 16, 1
	s_delay_alu instid0(VALU_DEP_3) | instskip(SKIP_1) | instid1(VALU_DEP_3)
	v_add_nc_u32_e32 v2, v0, v5
	v_cmp_o_f32_e64 s0, v51, v51
	v_add3_u32 v4, v51, v3, 0x7fff
	v_mov_b32_e32 v3, 0
	s_delay_alu instid0(VALU_DEP_2) | instskip(NEXT) | instid1(VALU_DEP_2)
	v_lshrrev_b32_e32 v4, 16, v4
	v_lshlrev_b64 v[2:3], 1, v[2:3]
	s_delay_alu instid0(VALU_DEP_2) | instskip(SKIP_1) | instid1(VALU_DEP_2)
	v_cndmask_b32_e64 v4, 0x7fc0, v4, s0
	s_waitcnt lgkmcnt(0)
	v_add_co_u32 v2, s0, s8, v2
	s_delay_alu instid0(VALU_DEP_1)
	v_add_co_ci_u32_e64 v3, s0, s9, v3, s0
	global_store_b16 v[2:3], v4, off
.LBB176_14:
	s_or_b32 exec_lo, exec_lo, s1
	v_add_nc_u32_e32 v2, 32, v0
	s_delay_alu instid0(VALU_DEP_1) | instskip(NEXT) | instid1(VALU_DEP_1)
	v_cmp_gt_u32_e64 s0, s10, v2
	s_and_saveexec_b32 s2, s0
	s_cbranch_execz .LBB176_16
; %bb.15:
	v_bfe_u32 v4, v87, 16, 1
	v_add_nc_u32_e32 v3, v2, v5
	v_cmp_o_f32_e64 s1, v87, v87
	s_delay_alu instid0(VALU_DEP_3) | instskip(SKIP_1) | instid1(VALU_DEP_2)
	v_add3_u32 v6, v87, v4, 0x7fff
	v_mov_b32_e32 v4, 0
	v_lshrrev_b32_e32 v6, 16, v6
	s_delay_alu instid0(VALU_DEP_2) | instskip(NEXT) | instid1(VALU_DEP_2)
	v_lshlrev_b64 v[3:4], 1, v[3:4]
	v_cndmask_b32_e64 v6, 0x7fc0, v6, s1
	s_waitcnt lgkmcnt(0)
	s_delay_alu instid0(VALU_DEP_2) | instskip(NEXT) | instid1(VALU_DEP_1)
	v_add_co_u32 v3, s1, s8, v3
	v_add_co_ci_u32_e64 v4, s1, s9, v4, s1
	global_store_b16 v[3:4], v6, off
.LBB176_16:
	s_or_b32 exec_lo, exec_lo, s2
	v_add_nc_u32_e32 v3, 64, v0
	s_delay_alu instid0(VALU_DEP_1) | instskip(NEXT) | instid1(VALU_DEP_1)
	v_cmp_gt_u32_e64 s1, s10, v3
	s_and_saveexec_b32 s3, s1
	s_cbranch_execz .LBB176_18
; %bb.17:
	v_bfe_u32 v4, v83, 16, 1
	v_dual_mov_b32 v7, 0 :: v_dual_add_nc_u32 v6, v3, v5
	v_cmp_o_f32_e64 s2, v83, v83
	s_delay_alu instid0(VALU_DEP_3) | instskip(NEXT) | instid1(VALU_DEP_3)
	v_add3_u32 v4, v83, v4, 0x7fff
	v_lshlrev_b64 v[6:7], 1, v[6:7]
	s_delay_alu instid0(VALU_DEP_2) | instskip(NEXT) | instid1(VALU_DEP_1)
	v_lshrrev_b32_e32 v4, 16, v4
	v_cndmask_b32_e64 v4, 0x7fc0, v4, s2
	s_waitcnt lgkmcnt(0)
	s_delay_alu instid0(VALU_DEP_3) | instskip(NEXT) | instid1(VALU_DEP_1)
	v_add_co_u32 v6, s2, s8, v6
	v_add_co_ci_u32_e64 v7, s2, s9, v7, s2
	global_store_b16 v[6:7], v4, off
.LBB176_18:
	s_or_b32 exec_lo, exec_lo, s3
	v_add_nc_u32_e32 v4, 0x60, v0
	s_delay_alu instid0(VALU_DEP_1) | instskip(NEXT) | instid1(VALU_DEP_1)
	v_cmp_gt_u32_e64 s2, s10, v4
	s_and_saveexec_b32 s4, s2
	s_cbranch_execz .LBB176_20
; %bb.19:
	v_bfe_u32 v6, v79, 16, 1
	v_add_nc_u32_e32 v5, v4, v5
	v_cmp_o_f32_e64 s3, v79, v79
	s_delay_alu instid0(VALU_DEP_3) | instskip(SKIP_1) | instid1(VALU_DEP_2)
	v_add3_u32 v7, v79, v6, 0x7fff
	v_mov_b32_e32 v6, 0
	v_lshrrev_b32_e32 v7, 16, v7
	s_delay_alu instid0(VALU_DEP_2) | instskip(NEXT) | instid1(VALU_DEP_2)
	v_lshlrev_b64 v[5:6], 1, v[5:6]
	v_cndmask_b32_e64 v7, 0x7fc0, v7, s3
	s_waitcnt lgkmcnt(0)
	s_delay_alu instid0(VALU_DEP_2) | instskip(NEXT) | instid1(VALU_DEP_1)
	v_add_co_u32 v5, s3, s8, v5
	v_add_co_ci_u32_e64 v6, s3, s9, v6, s3
	global_store_b16 v[5:6], v7, off
.LBB176_20:
	s_or_b32 exec_lo, exec_lo, s4
	v_add3_u32 v5, v1, s11, 8
	s_delay_alu instid0(VALU_DEP_1) | instskip(NEXT) | instid1(VALU_DEP_1)
	v_cmp_gt_u32_e64 s3, s6, v5
	s_and_b32 exec_lo, exec_lo, s3
	s_cbranch_execz .LBB176_62
; %bb.21:
	v_mul_lo_u32 v5, v5, s10
	s_and_saveexec_b32 s4, vcc_lo
	s_cbranch_execnz .LBB176_63
; %bb.22:
	s_or_b32 exec_lo, exec_lo, s4
	s_and_saveexec_b32 s4, s0
	s_cbranch_execnz .LBB176_64
.LBB176_23:
	s_or_b32 exec_lo, exec_lo, s4
	s_and_saveexec_b32 s4, s1
	s_cbranch_execnz .LBB176_65
.LBB176_24:
	s_or_b32 exec_lo, exec_lo, s4
	s_and_saveexec_b32 s4, s2
	s_cbranch_execz .LBB176_26
.LBB176_25:
	v_bfe_u32 v6, v73, 16, 1
	v_add_nc_u32_e32 v5, v5, v4
	v_cmp_o_f32_e64 s3, v73, v73
	s_delay_alu instid0(VALU_DEP_3) | instskip(SKIP_1) | instid1(VALU_DEP_2)
	v_add3_u32 v7, v73, v6, 0x7fff
	v_mov_b32_e32 v6, 0
	v_lshrrev_b32_e32 v7, 16, v7
	s_delay_alu instid0(VALU_DEP_2) | instskip(NEXT) | instid1(VALU_DEP_2)
	v_lshlrev_b64 v[5:6], 1, v[5:6]
	v_cndmask_b32_e64 v7, 0x7fc0, v7, s3
	s_waitcnt lgkmcnt(0)
	s_delay_alu instid0(VALU_DEP_2) | instskip(NEXT) | instid1(VALU_DEP_1)
	v_add_co_u32 v5, s3, s8, v5
	v_add_co_ci_u32_e64 v6, s3, s9, v6, s3
	global_store_b16 v[5:6], v7, off
.LBB176_26:
	s_or_b32 exec_lo, exec_lo, s4
	v_add3_u32 v5, v1, s11, 16
	s_delay_alu instid0(VALU_DEP_1) | instskip(NEXT) | instid1(VALU_DEP_1)
	v_cmp_gt_u32_e64 s3, s6, v5
	s_and_b32 exec_lo, exec_lo, s3
	s_cbranch_execz .LBB176_62
; %bb.27:
	v_mul_lo_u32 v5, v5, s10
	s_and_saveexec_b32 s4, vcc_lo
	s_cbranch_execnz .LBB176_66
; %bb.28:
	s_or_b32 exec_lo, exec_lo, s4
	s_and_saveexec_b32 s4, s0
	s_cbranch_execnz .LBB176_67
.LBB176_29:
	s_or_b32 exec_lo, exec_lo, s4
	s_and_saveexec_b32 s4, s1
	s_cbranch_execnz .LBB176_68
.LBB176_30:
	s_or_b32 exec_lo, exec_lo, s4
	s_and_saveexec_b32 s4, s2
	s_cbranch_execz .LBB176_32
.LBB176_31:
	v_bfe_u32 v6, v57, 16, 1
	v_add_nc_u32_e32 v5, v5, v4
	v_cmp_o_f32_e64 s3, v57, v57
	s_delay_alu instid0(VALU_DEP_3) | instskip(SKIP_1) | instid1(VALU_DEP_2)
	v_add3_u32 v7, v57, v6, 0x7fff
	v_mov_b32_e32 v6, 0
	v_lshrrev_b32_e32 v7, 16, v7
	s_delay_alu instid0(VALU_DEP_2) | instskip(NEXT) | instid1(VALU_DEP_2)
	v_lshlrev_b64 v[5:6], 1, v[5:6]
	v_cndmask_b32_e64 v7, 0x7fc0, v7, s3
	s_waitcnt lgkmcnt(0)
	s_delay_alu instid0(VALU_DEP_2) | instskip(NEXT) | instid1(VALU_DEP_1)
	v_add_co_u32 v5, s3, s8, v5
	v_add_co_ci_u32_e64 v6, s3, s9, v6, s3
	global_store_b16 v[5:6], v7, off
.LBB176_32:
	s_or_b32 exec_lo, exec_lo, s4
	v_add3_u32 v5, v1, s11, 24
	s_delay_alu instid0(VALU_DEP_1) | instskip(NEXT) | instid1(VALU_DEP_1)
	v_cmp_gt_u32_e64 s3, s6, v5
	s_and_b32 exec_lo, exec_lo, s3
	s_cbranch_execz .LBB176_62
; %bb.33:
	v_mul_lo_u32 v5, v5, s10
	s_and_saveexec_b32 s4, vcc_lo
	s_cbranch_execnz .LBB176_69
; %bb.34:
	s_or_b32 exec_lo, exec_lo, s4
	s_and_saveexec_b32 s4, s0
	s_cbranch_execnz .LBB176_70
.LBB176_35:
	s_or_b32 exec_lo, exec_lo, s4
	s_and_saveexec_b32 s4, s1
	s_cbranch_execnz .LBB176_71
.LBB176_36:
	s_or_b32 exec_lo, exec_lo, s4
	s_and_saveexec_b32 s4, s2
	s_cbranch_execz .LBB176_38
.LBB176_37:
	v_bfe_u32 v6, v52, 16, 1
	v_add_nc_u32_e32 v5, v5, v4
	v_cmp_o_f32_e64 s3, v52, v52
	s_delay_alu instid0(VALU_DEP_3) | instskip(SKIP_1) | instid1(VALU_DEP_2)
	v_add3_u32 v7, v52, v6, 0x7fff
	v_mov_b32_e32 v6, 0
	v_lshrrev_b32_e32 v7, 16, v7
	s_delay_alu instid0(VALU_DEP_2) | instskip(NEXT) | instid1(VALU_DEP_2)
	v_lshlrev_b64 v[5:6], 1, v[5:6]
	v_cndmask_b32_e64 v7, 0x7fc0, v7, s3
	s_waitcnt lgkmcnt(0)
	s_delay_alu instid0(VALU_DEP_2) | instskip(NEXT) | instid1(VALU_DEP_1)
	v_add_co_u32 v5, s3, s8, v5
	v_add_co_ci_u32_e64 v6, s3, s9, v6, s3
	global_store_b16 v[5:6], v7, off
.LBB176_38:
	s_or_b32 exec_lo, exec_lo, s4
	v_add3_u32 v5, v1, s11, 32
	s_delay_alu instid0(VALU_DEP_1) | instskip(NEXT) | instid1(VALU_DEP_1)
	v_cmp_gt_u32_e64 s3, s6, v5
	s_and_b32 exec_lo, exec_lo, s3
	s_cbranch_execz .LBB176_62
; %bb.39:
	v_mul_lo_u32 v5, v5, s10
	s_and_saveexec_b32 s4, vcc_lo
	s_cbranch_execnz .LBB176_72
; %bb.40:
	s_or_b32 exec_lo, exec_lo, s4
	s_and_saveexec_b32 s4, s0
	s_cbranch_execnz .LBB176_73
.LBB176_41:
	s_or_b32 exec_lo, exec_lo, s4
	s_and_saveexec_b32 s4, s1
	s_cbranch_execnz .LBB176_74
.LBB176_42:
	s_or_b32 exec_lo, exec_lo, s4
	s_and_saveexec_b32 s4, s2
	s_cbranch_execz .LBB176_44
.LBB176_43:
	v_bfe_u32 v6, v45, 16, 1
	v_add_nc_u32_e32 v5, v5, v4
	v_cmp_o_f32_e64 s3, v45, v45
	s_delay_alu instid0(VALU_DEP_3) | instskip(SKIP_1) | instid1(VALU_DEP_2)
	v_add3_u32 v7, v45, v6, 0x7fff
	v_mov_b32_e32 v6, 0
	v_lshrrev_b32_e32 v7, 16, v7
	s_delay_alu instid0(VALU_DEP_2) | instskip(NEXT) | instid1(VALU_DEP_2)
	v_lshlrev_b64 v[5:6], 1, v[5:6]
	v_cndmask_b32_e64 v7, 0x7fc0, v7, s3
	s_waitcnt lgkmcnt(0)
	s_delay_alu instid0(VALU_DEP_2) | instskip(NEXT) | instid1(VALU_DEP_1)
	v_add_co_u32 v5, s3, s8, v5
	v_add_co_ci_u32_e64 v6, s3, s9, v6, s3
	global_store_b16 v[5:6], v7, off
.LBB176_44:
	s_or_b32 exec_lo, exec_lo, s4
	v_add3_u32 v5, v1, s11, 40
	s_delay_alu instid0(VALU_DEP_1) | instskip(NEXT) | instid1(VALU_DEP_1)
	v_cmp_gt_u32_e64 s3, s6, v5
	s_and_b32 exec_lo, exec_lo, s3
	s_cbranch_execz .LBB176_62
; %bb.45:
	v_mul_lo_u32 v5, v5, s10
	s_and_saveexec_b32 s4, vcc_lo
	s_cbranch_execnz .LBB176_75
; %bb.46:
	s_or_b32 exec_lo, exec_lo, s4
	s_and_saveexec_b32 s4, s0
	s_cbranch_execnz .LBB176_76
.LBB176_47:
	s_or_b32 exec_lo, exec_lo, s4
	s_and_saveexec_b32 s4, s1
	s_cbranch_execnz .LBB176_77
.LBB176_48:
	s_or_b32 exec_lo, exec_lo, s4
	s_and_saveexec_b32 s4, s2
	s_cbranch_execz .LBB176_50
.LBB176_49:
	v_bfe_u32 v6, v41, 16, 1
	v_add_nc_u32_e32 v5, v5, v4
	v_cmp_o_f32_e64 s3, v41, v41
	s_delay_alu instid0(VALU_DEP_3) | instskip(SKIP_1) | instid1(VALU_DEP_2)
	v_add3_u32 v7, v41, v6, 0x7fff
	v_mov_b32_e32 v6, 0
	v_lshrrev_b32_e32 v7, 16, v7
	s_delay_alu instid0(VALU_DEP_2) | instskip(NEXT) | instid1(VALU_DEP_2)
	v_lshlrev_b64 v[5:6], 1, v[5:6]
	v_cndmask_b32_e64 v7, 0x7fc0, v7, s3
	s_waitcnt lgkmcnt(0)
	s_delay_alu instid0(VALU_DEP_2) | instskip(NEXT) | instid1(VALU_DEP_1)
	v_add_co_u32 v5, s3, s8, v5
	v_add_co_ci_u32_e64 v6, s3, s9, v6, s3
	global_store_b16 v[5:6], v7, off
.LBB176_50:
	s_or_b32 exec_lo, exec_lo, s4
	v_add3_u32 v5, v1, s11, 48
	s_delay_alu instid0(VALU_DEP_1) | instskip(NEXT) | instid1(VALU_DEP_1)
	v_cmp_gt_u32_e64 s3, s6, v5
	s_and_b32 exec_lo, exec_lo, s3
	s_cbranch_execz .LBB176_62
; %bb.51:
	v_mul_lo_u32 v5, v5, s10
	s_and_saveexec_b32 s4, vcc_lo
	s_cbranch_execnz .LBB176_78
; %bb.52:
	s_or_b32 exec_lo, exec_lo, s4
	s_and_saveexec_b32 s4, s0
	s_cbranch_execnz .LBB176_79
.LBB176_53:
	s_or_b32 exec_lo, exec_lo, s4
	s_and_saveexec_b32 s4, s1
	s_cbranch_execnz .LBB176_80
.LBB176_54:
	s_or_b32 exec_lo, exec_lo, s4
	s_and_saveexec_b32 s4, s2
	s_cbranch_execz .LBB176_56
.LBB176_55:
	v_bfe_u32 v6, v37, 16, 1
	v_add_nc_u32_e32 v5, v5, v4
	v_cmp_o_f32_e64 s3, v37, v37
	s_delay_alu instid0(VALU_DEP_3) | instskip(SKIP_1) | instid1(VALU_DEP_2)
	v_add3_u32 v7, v37, v6, 0x7fff
	v_mov_b32_e32 v6, 0
	v_lshrrev_b32_e32 v7, 16, v7
	s_delay_alu instid0(VALU_DEP_2) | instskip(NEXT) | instid1(VALU_DEP_2)
	v_lshlrev_b64 v[5:6], 1, v[5:6]
	v_cndmask_b32_e64 v7, 0x7fc0, v7, s3
	s_waitcnt lgkmcnt(0)
	s_delay_alu instid0(VALU_DEP_2) | instskip(NEXT) | instid1(VALU_DEP_1)
	v_add_co_u32 v5, s3, s8, v5
	v_add_co_ci_u32_e64 v6, s3, s9, v6, s3
	global_store_b16 v[5:6], v7, off
.LBB176_56:
	s_or_b32 exec_lo, exec_lo, s4
	v_add3_u32 v1, v1, s11, 56
	s_delay_alu instid0(VALU_DEP_1) | instskip(NEXT) | instid1(VALU_DEP_1)
	v_cmp_gt_u32_e64 s3, s6, v1
	s_and_b32 exec_lo, exec_lo, s3
	s_cbranch_execz .LBB176_62
; %bb.57:
	v_mul_lo_u32 v1, v1, s10
	s_and_saveexec_b32 s3, vcc_lo
	s_cbranch_execnz .LBB176_81
; %bb.58:
	s_or_b32 exec_lo, exec_lo, s3
	s_and_saveexec_b32 s3, s0
	s_cbranch_execnz .LBB176_82
.LBB176_59:
	s_or_b32 exec_lo, exec_lo, s3
	s_and_saveexec_b32 s0, s1
	s_cbranch_execnz .LBB176_83
.LBB176_60:
	s_or_b32 exec_lo, exec_lo, s0
	s_delay_alu instid0(SALU_CYCLE_1)
	s_and_b32 exec_lo, exec_lo, s2
	s_cbranch_execz .LBB176_62
.LBB176_61:
	v_bfe_u32 v2, v33, 16, 1
	v_dual_mov_b32 v1, 0 :: v_dual_add_nc_u32 v0, v1, v4
	v_cmp_o_f32_e32 vcc_lo, v33, v33
	s_delay_alu instid0(VALU_DEP_3) | instskip(NEXT) | instid1(VALU_DEP_3)
	v_add3_u32 v2, v33, v2, 0x7fff
	v_lshlrev_b64 v[0:1], 1, v[0:1]
	s_delay_alu instid0(VALU_DEP_2) | instskip(NEXT) | instid1(VALU_DEP_1)
	v_lshrrev_b32_e32 v2, 16, v2
	v_cndmask_b32_e32 v2, 0x7fc0, v2, vcc_lo
	s_waitcnt lgkmcnt(0)
	s_delay_alu instid0(VALU_DEP_3) | instskip(NEXT) | instid1(VALU_DEP_4)
	v_add_co_u32 v0, vcc_lo, s8, v0
	v_add_co_ci_u32_e32 v1, vcc_lo, s9, v1, vcc_lo
	global_store_b16 v[0:1], v2, off
.LBB176_62:
	s_nop 0
	s_sendmsg sendmsg(MSG_DEALLOC_VGPRS)
	s_endpgm
.LBB176_63:
	v_bfe_u32 v7, v77, 16, 1
	s_delay_alu instid0(VALU_DEP_2) | instskip(SKIP_1) | instid1(VALU_DEP_3)
	v_add_nc_u32_e32 v6, v5, v0
	v_cmp_o_f32_e64 s3, v77, v77
	v_add3_u32 v8, v77, v7, 0x7fff
	v_mov_b32_e32 v7, 0
	s_delay_alu instid0(VALU_DEP_2) | instskip(NEXT) | instid1(VALU_DEP_2)
	v_lshrrev_b32_e32 v8, 16, v8
	v_lshlrev_b64 v[6:7], 1, v[6:7]
	s_delay_alu instid0(VALU_DEP_2) | instskip(SKIP_1) | instid1(VALU_DEP_2)
	v_cndmask_b32_e64 v8, 0x7fc0, v8, s3
	s_waitcnt lgkmcnt(0)
	v_add_co_u32 v6, s3, s8, v6
	s_delay_alu instid0(VALU_DEP_1)
	v_add_co_ci_u32_e64 v7, s3, s9, v7, s3
	global_store_b16 v[6:7], v8, off
	s_or_b32 exec_lo, exec_lo, s4
	s_and_saveexec_b32 s4, s0
	s_cbranch_execz .LBB176_23
.LBB176_64:
	v_bfe_u32 v7, v75, 16, 1
	s_delay_alu instid0(VALU_DEP_2) | instskip(SKIP_1) | instid1(VALU_DEP_3)
	v_add_nc_u32_e32 v6, v5, v2
	v_cmp_o_f32_e64 s3, v75, v75
	v_add3_u32 v8, v75, v7, 0x7fff
	v_mov_b32_e32 v7, 0
	s_delay_alu instid0(VALU_DEP_2) | instskip(NEXT) | instid1(VALU_DEP_2)
	v_lshrrev_b32_e32 v8, 16, v8
	v_lshlrev_b64 v[6:7], 1, v[6:7]
	s_delay_alu instid0(VALU_DEP_2) | instskip(SKIP_1) | instid1(VALU_DEP_2)
	v_cndmask_b32_e64 v8, 0x7fc0, v8, s3
	s_waitcnt lgkmcnt(0)
	v_add_co_u32 v6, s3, s8, v6
	s_delay_alu instid0(VALU_DEP_1)
	v_add_co_ci_u32_e64 v7, s3, s9, v7, s3
	global_store_b16 v[6:7], v8, off
	s_or_b32 exec_lo, exec_lo, s4
	s_and_saveexec_b32 s4, s1
	s_cbranch_execz .LBB176_24
.LBB176_65:
	v_bfe_u32 v7, v74, 16, 1
	v_add_nc_u32_e32 v6, v5, v3
	v_cmp_o_f32_e64 s3, v74, v74
	s_delay_alu instid0(VALU_DEP_3) | instskip(SKIP_1) | instid1(VALU_DEP_2)
	v_add3_u32 v8, v74, v7, 0x7fff
	v_mov_b32_e32 v7, 0
	v_lshrrev_b32_e32 v8, 16, v8
	s_delay_alu instid0(VALU_DEP_2) | instskip(NEXT) | instid1(VALU_DEP_2)
	v_lshlrev_b64 v[6:7], 1, v[6:7]
	v_cndmask_b32_e64 v8, 0x7fc0, v8, s3
	s_waitcnt lgkmcnt(0)
	s_delay_alu instid0(VALU_DEP_2) | instskip(NEXT) | instid1(VALU_DEP_1)
	v_add_co_u32 v6, s3, s8, v6
	v_add_co_ci_u32_e64 v7, s3, s9, v7, s3
	global_store_b16 v[6:7], v8, off
	s_or_b32 exec_lo, exec_lo, s4
	s_and_saveexec_b32 s4, s2
	s_cbranch_execnz .LBB176_25
	s_branch .LBB176_26
.LBB176_66:
	v_bfe_u32 v7, v70, 16, 1
	s_delay_alu instid0(VALU_DEP_2) | instskip(SKIP_1) | instid1(VALU_DEP_3)
	v_add_nc_u32_e32 v6, v5, v0
	v_cmp_o_f32_e64 s3, v70, v70
	v_add3_u32 v8, v70, v7, 0x7fff
	v_mov_b32_e32 v7, 0
	s_delay_alu instid0(VALU_DEP_2) | instskip(NEXT) | instid1(VALU_DEP_2)
	v_lshrrev_b32_e32 v8, 16, v8
	v_lshlrev_b64 v[6:7], 1, v[6:7]
	s_delay_alu instid0(VALU_DEP_2) | instskip(SKIP_1) | instid1(VALU_DEP_2)
	v_cndmask_b32_e64 v8, 0x7fc0, v8, s3
	s_waitcnt lgkmcnt(0)
	v_add_co_u32 v6, s3, s8, v6
	s_delay_alu instid0(VALU_DEP_1)
	v_add_co_ci_u32_e64 v7, s3, s9, v7, s3
	global_store_b16 v[6:7], v8, off
	s_or_b32 exec_lo, exec_lo, s4
	s_and_saveexec_b32 s4, s0
	s_cbranch_execz .LBB176_29
.LBB176_67:
	v_bfe_u32 v7, v65, 16, 1
	s_delay_alu instid0(VALU_DEP_2) | instskip(SKIP_1) | instid1(VALU_DEP_3)
	v_add_nc_u32_e32 v6, v5, v2
	v_cmp_o_f32_e64 s3, v65, v65
	v_add3_u32 v8, v65, v7, 0x7fff
	v_mov_b32_e32 v7, 0
	s_delay_alu instid0(VALU_DEP_2) | instskip(NEXT) | instid1(VALU_DEP_2)
	v_lshrrev_b32_e32 v8, 16, v8
	v_lshlrev_b64 v[6:7], 1, v[6:7]
	s_delay_alu instid0(VALU_DEP_2) | instskip(SKIP_1) | instid1(VALU_DEP_2)
	v_cndmask_b32_e64 v8, 0x7fc0, v8, s3
	s_waitcnt lgkmcnt(0)
	v_add_co_u32 v6, s3, s8, v6
	s_delay_alu instid0(VALU_DEP_1)
	v_add_co_ci_u32_e64 v7, s3, s9, v7, s3
	global_store_b16 v[6:7], v8, off
	s_or_b32 exec_lo, exec_lo, s4
	s_and_saveexec_b32 s4, s1
	s_cbranch_execz .LBB176_30
.LBB176_68:
	v_bfe_u32 v7, v60, 16, 1
	v_add_nc_u32_e32 v6, v5, v3
	v_cmp_o_f32_e64 s3, v60, v60
	s_delay_alu instid0(VALU_DEP_3) | instskip(SKIP_1) | instid1(VALU_DEP_2)
	v_add3_u32 v8, v60, v7, 0x7fff
	v_mov_b32_e32 v7, 0
	v_lshrrev_b32_e32 v8, 16, v8
	s_delay_alu instid0(VALU_DEP_2) | instskip(NEXT) | instid1(VALU_DEP_2)
	v_lshlrev_b64 v[6:7], 1, v[6:7]
	v_cndmask_b32_e64 v8, 0x7fc0, v8, s3
	s_waitcnt lgkmcnt(0)
	s_delay_alu instid0(VALU_DEP_2) | instskip(NEXT) | instid1(VALU_DEP_1)
	v_add_co_u32 v6, s3, s8, v6
	v_add_co_ci_u32_e64 v7, s3, s9, v7, s3
	global_store_b16 v[6:7], v8, off
	s_or_b32 exec_lo, exec_lo, s4
	s_and_saveexec_b32 s4, s2
	s_cbranch_execnz .LBB176_31
	s_branch .LBB176_32
.LBB176_69:
	v_bfe_u32 v7, v55, 16, 1
	s_delay_alu instid0(VALU_DEP_2) | instskip(SKIP_1) | instid1(VALU_DEP_3)
	v_add_nc_u32_e32 v6, v5, v0
	v_cmp_o_f32_e64 s3, v55, v55
	v_add3_u32 v8, v55, v7, 0x7fff
	v_mov_b32_e32 v7, 0
	s_delay_alu instid0(VALU_DEP_2) | instskip(NEXT) | instid1(VALU_DEP_2)
	v_lshrrev_b32_e32 v8, 16, v8
	v_lshlrev_b64 v[6:7], 1, v[6:7]
	s_delay_alu instid0(VALU_DEP_2) | instskip(SKIP_1) | instid1(VALU_DEP_2)
	v_cndmask_b32_e64 v8, 0x7fc0, v8, s3
	s_waitcnt lgkmcnt(0)
	v_add_co_u32 v6, s3, s8, v6
	s_delay_alu instid0(VALU_DEP_1)
	v_add_co_ci_u32_e64 v7, s3, s9, v7, s3
	global_store_b16 v[6:7], v8, off
	s_or_b32 exec_lo, exec_lo, s4
	s_and_saveexec_b32 s4, s0
	s_cbranch_execz .LBB176_35
.LBB176_70:
	v_bfe_u32 v7, v54, 16, 1
	s_delay_alu instid0(VALU_DEP_2) | instskip(SKIP_1) | instid1(VALU_DEP_3)
	v_add_nc_u32_e32 v6, v5, v2
	v_cmp_o_f32_e64 s3, v54, v54
	v_add3_u32 v8, v54, v7, 0x7fff
	v_mov_b32_e32 v7, 0
	s_delay_alu instid0(VALU_DEP_2) | instskip(NEXT) | instid1(VALU_DEP_2)
	v_lshrrev_b32_e32 v8, 16, v8
	v_lshlrev_b64 v[6:7], 1, v[6:7]
	s_delay_alu instid0(VALU_DEP_2) | instskip(SKIP_1) | instid1(VALU_DEP_2)
	v_cndmask_b32_e64 v8, 0x7fc0, v8, s3
	s_waitcnt lgkmcnt(0)
	v_add_co_u32 v6, s3, s8, v6
	s_delay_alu instid0(VALU_DEP_1)
	v_add_co_ci_u32_e64 v7, s3, s9, v7, s3
	global_store_b16 v[6:7], v8, off
	s_or_b32 exec_lo, exec_lo, s4
	s_and_saveexec_b32 s4, s1
	s_cbranch_execz .LBB176_36
.LBB176_71:
	v_bfe_u32 v7, v53, 16, 1
	v_add_nc_u32_e32 v6, v5, v3
	v_cmp_o_f32_e64 s3, v53, v53
	s_delay_alu instid0(VALU_DEP_3) | instskip(SKIP_1) | instid1(VALU_DEP_2)
	v_add3_u32 v8, v53, v7, 0x7fff
	v_mov_b32_e32 v7, 0
	v_lshrrev_b32_e32 v8, 16, v8
	s_delay_alu instid0(VALU_DEP_2) | instskip(NEXT) | instid1(VALU_DEP_2)
	v_lshlrev_b64 v[6:7], 1, v[6:7]
	v_cndmask_b32_e64 v8, 0x7fc0, v8, s3
	s_waitcnt lgkmcnt(0)
	s_delay_alu instid0(VALU_DEP_2) | instskip(NEXT) | instid1(VALU_DEP_1)
	v_add_co_u32 v6, s3, s8, v6
	v_add_co_ci_u32_e64 v7, s3, s9, v7, s3
	global_store_b16 v[6:7], v8, off
	s_or_b32 exec_lo, exec_lo, s4
	s_and_saveexec_b32 s4, s2
	s_cbranch_execnz .LBB176_37
	s_branch .LBB176_38
.LBB176_72:
	v_bfe_u32 v7, v48, 16, 1
	s_delay_alu instid0(VALU_DEP_2) | instskip(SKIP_1) | instid1(VALU_DEP_3)
	v_add_nc_u32_e32 v6, v5, v0
	v_cmp_o_f32_e64 s3, v48, v48
	v_add3_u32 v8, v48, v7, 0x7fff
	v_mov_b32_e32 v7, 0
	s_delay_alu instid0(VALU_DEP_2) | instskip(NEXT) | instid1(VALU_DEP_2)
	v_lshrrev_b32_e32 v8, 16, v8
	v_lshlrev_b64 v[6:7], 1, v[6:7]
	s_delay_alu instid0(VALU_DEP_2) | instskip(SKIP_1) | instid1(VALU_DEP_2)
	v_cndmask_b32_e64 v8, 0x7fc0, v8, s3
	s_waitcnt lgkmcnt(0)
	v_add_co_u32 v6, s3, s8, v6
	s_delay_alu instid0(VALU_DEP_1)
	v_add_co_ci_u32_e64 v7, s3, s9, v7, s3
	global_store_b16 v[6:7], v8, off
	s_or_b32 exec_lo, exec_lo, s4
	s_and_saveexec_b32 s4, s0
	s_cbranch_execz .LBB176_41
.LBB176_73:
	v_bfe_u32 v7, v47, 16, 1
	s_delay_alu instid0(VALU_DEP_2) | instskip(SKIP_1) | instid1(VALU_DEP_3)
	v_add_nc_u32_e32 v6, v5, v2
	v_cmp_o_f32_e64 s3, v47, v47
	v_add3_u32 v8, v47, v7, 0x7fff
	v_mov_b32_e32 v7, 0
	s_delay_alu instid0(VALU_DEP_2) | instskip(NEXT) | instid1(VALU_DEP_2)
	v_lshrrev_b32_e32 v8, 16, v8
	v_lshlrev_b64 v[6:7], 1, v[6:7]
	s_delay_alu instid0(VALU_DEP_2) | instskip(SKIP_1) | instid1(VALU_DEP_2)
	v_cndmask_b32_e64 v8, 0x7fc0, v8, s3
	s_waitcnt lgkmcnt(0)
	v_add_co_u32 v6, s3, s8, v6
	s_delay_alu instid0(VALU_DEP_1)
	v_add_co_ci_u32_e64 v7, s3, s9, v7, s3
	global_store_b16 v[6:7], v8, off
	s_or_b32 exec_lo, exec_lo, s4
	s_and_saveexec_b32 s4, s1
	s_cbranch_execz .LBB176_42
.LBB176_74:
	v_bfe_u32 v7, v46, 16, 1
	v_add_nc_u32_e32 v6, v5, v3
	v_cmp_o_f32_e64 s3, v46, v46
	s_delay_alu instid0(VALU_DEP_3) | instskip(SKIP_1) | instid1(VALU_DEP_2)
	v_add3_u32 v8, v46, v7, 0x7fff
	v_mov_b32_e32 v7, 0
	v_lshrrev_b32_e32 v8, 16, v8
	s_delay_alu instid0(VALU_DEP_2) | instskip(NEXT) | instid1(VALU_DEP_2)
	v_lshlrev_b64 v[6:7], 1, v[6:7]
	v_cndmask_b32_e64 v8, 0x7fc0, v8, s3
	s_waitcnt lgkmcnt(0)
	s_delay_alu instid0(VALU_DEP_2) | instskip(NEXT) | instid1(VALU_DEP_1)
	v_add_co_u32 v6, s3, s8, v6
	v_add_co_ci_u32_e64 v7, s3, s9, v7, s3
	global_store_b16 v[6:7], v8, off
	s_or_b32 exec_lo, exec_lo, s4
	s_and_saveexec_b32 s4, s2
	s_cbranch_execnz .LBB176_43
	s_branch .LBB176_44
.LBB176_75:
	v_bfe_u32 v7, v44, 16, 1
	s_delay_alu instid0(VALU_DEP_2) | instskip(SKIP_1) | instid1(VALU_DEP_3)
	v_add_nc_u32_e32 v6, v5, v0
	v_cmp_o_f32_e64 s3, v44, v44
	v_add3_u32 v8, v44, v7, 0x7fff
	v_mov_b32_e32 v7, 0
	s_delay_alu instid0(VALU_DEP_2) | instskip(NEXT) | instid1(VALU_DEP_2)
	v_lshrrev_b32_e32 v8, 16, v8
	v_lshlrev_b64 v[6:7], 1, v[6:7]
	s_delay_alu instid0(VALU_DEP_2) | instskip(SKIP_1) | instid1(VALU_DEP_2)
	v_cndmask_b32_e64 v8, 0x7fc0, v8, s3
	s_waitcnt lgkmcnt(0)
	v_add_co_u32 v6, s3, s8, v6
	s_delay_alu instid0(VALU_DEP_1)
	v_add_co_ci_u32_e64 v7, s3, s9, v7, s3
	global_store_b16 v[6:7], v8, off
	s_or_b32 exec_lo, exec_lo, s4
	s_and_saveexec_b32 s4, s0
	s_cbranch_execz .LBB176_47
.LBB176_76:
	v_bfe_u32 v7, v43, 16, 1
	s_delay_alu instid0(VALU_DEP_2) | instskip(SKIP_1) | instid1(VALU_DEP_3)
	v_add_nc_u32_e32 v6, v5, v2
	v_cmp_o_f32_e64 s3, v43, v43
	v_add3_u32 v8, v43, v7, 0x7fff
	v_mov_b32_e32 v7, 0
	s_delay_alu instid0(VALU_DEP_2) | instskip(NEXT) | instid1(VALU_DEP_2)
	v_lshrrev_b32_e32 v8, 16, v8
	v_lshlrev_b64 v[6:7], 1, v[6:7]
	s_delay_alu instid0(VALU_DEP_2) | instskip(SKIP_1) | instid1(VALU_DEP_2)
	v_cndmask_b32_e64 v8, 0x7fc0, v8, s3
	s_waitcnt lgkmcnt(0)
	v_add_co_u32 v6, s3, s8, v6
	s_delay_alu instid0(VALU_DEP_1)
	v_add_co_ci_u32_e64 v7, s3, s9, v7, s3
	global_store_b16 v[6:7], v8, off
	s_or_b32 exec_lo, exec_lo, s4
	s_and_saveexec_b32 s4, s1
	s_cbranch_execz .LBB176_48
.LBB176_77:
	v_bfe_u32 v7, v42, 16, 1
	v_add_nc_u32_e32 v6, v5, v3
	v_cmp_o_f32_e64 s3, v42, v42
	s_delay_alu instid0(VALU_DEP_3) | instskip(SKIP_1) | instid1(VALU_DEP_2)
	v_add3_u32 v8, v42, v7, 0x7fff
	v_mov_b32_e32 v7, 0
	v_lshrrev_b32_e32 v8, 16, v8
	s_delay_alu instid0(VALU_DEP_2) | instskip(NEXT) | instid1(VALU_DEP_2)
	v_lshlrev_b64 v[6:7], 1, v[6:7]
	v_cndmask_b32_e64 v8, 0x7fc0, v8, s3
	s_waitcnt lgkmcnt(0)
	s_delay_alu instid0(VALU_DEP_2) | instskip(NEXT) | instid1(VALU_DEP_1)
	v_add_co_u32 v6, s3, s8, v6
	v_add_co_ci_u32_e64 v7, s3, s9, v7, s3
	global_store_b16 v[6:7], v8, off
	s_or_b32 exec_lo, exec_lo, s4
	s_and_saveexec_b32 s4, s2
	s_cbranch_execnz .LBB176_49
	s_branch .LBB176_50
.LBB176_78:
	v_bfe_u32 v7, v40, 16, 1
	s_delay_alu instid0(VALU_DEP_2) | instskip(SKIP_1) | instid1(VALU_DEP_3)
	v_add_nc_u32_e32 v6, v5, v0
	v_cmp_o_f32_e64 s3, v40, v40
	v_add3_u32 v8, v40, v7, 0x7fff
	v_mov_b32_e32 v7, 0
	s_delay_alu instid0(VALU_DEP_2) | instskip(NEXT) | instid1(VALU_DEP_2)
	v_lshrrev_b32_e32 v8, 16, v8
	v_lshlrev_b64 v[6:7], 1, v[6:7]
	s_delay_alu instid0(VALU_DEP_2) | instskip(SKIP_1) | instid1(VALU_DEP_2)
	v_cndmask_b32_e64 v8, 0x7fc0, v8, s3
	s_waitcnt lgkmcnt(0)
	v_add_co_u32 v6, s3, s8, v6
	s_delay_alu instid0(VALU_DEP_1)
	v_add_co_ci_u32_e64 v7, s3, s9, v7, s3
	global_store_b16 v[6:7], v8, off
	s_or_b32 exec_lo, exec_lo, s4
	s_and_saveexec_b32 s4, s0
	s_cbranch_execz .LBB176_53
.LBB176_79:
	v_bfe_u32 v7, v39, 16, 1
	s_delay_alu instid0(VALU_DEP_2) | instskip(SKIP_1) | instid1(VALU_DEP_3)
	v_add_nc_u32_e32 v6, v5, v2
	v_cmp_o_f32_e64 s3, v39, v39
	v_add3_u32 v8, v39, v7, 0x7fff
	v_mov_b32_e32 v7, 0
	s_delay_alu instid0(VALU_DEP_2) | instskip(NEXT) | instid1(VALU_DEP_2)
	v_lshrrev_b32_e32 v8, 16, v8
	v_lshlrev_b64 v[6:7], 1, v[6:7]
	s_delay_alu instid0(VALU_DEP_2) | instskip(SKIP_1) | instid1(VALU_DEP_2)
	v_cndmask_b32_e64 v8, 0x7fc0, v8, s3
	s_waitcnt lgkmcnt(0)
	v_add_co_u32 v6, s3, s8, v6
	s_delay_alu instid0(VALU_DEP_1)
	v_add_co_ci_u32_e64 v7, s3, s9, v7, s3
	global_store_b16 v[6:7], v8, off
	s_or_b32 exec_lo, exec_lo, s4
	s_and_saveexec_b32 s4, s1
	s_cbranch_execz .LBB176_54
.LBB176_80:
	v_bfe_u32 v7, v38, 16, 1
	v_add_nc_u32_e32 v6, v5, v3
	v_cmp_o_f32_e64 s3, v38, v38
	s_delay_alu instid0(VALU_DEP_3) | instskip(SKIP_1) | instid1(VALU_DEP_2)
	v_add3_u32 v8, v38, v7, 0x7fff
	v_mov_b32_e32 v7, 0
	v_lshrrev_b32_e32 v8, 16, v8
	s_delay_alu instid0(VALU_DEP_2) | instskip(NEXT) | instid1(VALU_DEP_2)
	v_lshlrev_b64 v[6:7], 1, v[6:7]
	v_cndmask_b32_e64 v8, 0x7fc0, v8, s3
	s_waitcnt lgkmcnt(0)
	s_delay_alu instid0(VALU_DEP_2) | instskip(NEXT) | instid1(VALU_DEP_1)
	v_add_co_u32 v6, s3, s8, v6
	v_add_co_ci_u32_e64 v7, s3, s9, v7, s3
	global_store_b16 v[6:7], v8, off
	s_or_b32 exec_lo, exec_lo, s4
	s_and_saveexec_b32 s4, s2
	s_cbranch_execnz .LBB176_55
	s_branch .LBB176_56
.LBB176_81:
	v_bfe_u32 v6, v36, 16, 1
	s_delay_alu instid0(VALU_DEP_2) | instskip(SKIP_1) | instid1(VALU_DEP_3)
	v_add_nc_u32_e32 v5, v1, v0
	v_cmp_o_f32_e32 vcc_lo, v36, v36
	v_add3_u32 v0, v36, v6, 0x7fff
	v_mov_b32_e32 v6, 0
	s_delay_alu instid0(VALU_DEP_2) | instskip(NEXT) | instid1(VALU_DEP_2)
	v_lshrrev_b32_e32 v0, 16, v0
	v_lshlrev_b64 v[5:6], 1, v[5:6]
	s_delay_alu instid0(VALU_DEP_2) | instskip(SKIP_1) | instid1(VALU_DEP_2)
	v_cndmask_b32_e32 v0, 0x7fc0, v0, vcc_lo
	s_waitcnt lgkmcnt(0)
	v_add_co_u32 v5, vcc_lo, s8, v5
	s_delay_alu instid0(VALU_DEP_3)
	v_add_co_ci_u32_e32 v6, vcc_lo, s9, v6, vcc_lo
	global_store_b16 v[5:6], v0, off
	s_or_b32 exec_lo, exec_lo, s3
	s_and_saveexec_b32 s3, s0
	s_cbranch_execz .LBB176_59
.LBB176_82:
	v_bfe_u32 v0, v35, 16, 1
	s_delay_alu instid0(VALU_DEP_2) | instskip(SKIP_1) | instid1(VALU_DEP_3)
	v_dual_mov_b32 v6, 0 :: v_dual_add_nc_u32 v5, v1, v2
	v_cmp_o_f32_e32 vcc_lo, v35, v35
	v_add3_u32 v0, v35, v0, 0x7fff
	s_delay_alu instid0(VALU_DEP_3) | instskip(NEXT) | instid1(VALU_DEP_2)
	v_lshlrev_b64 v[5:6], 1, v[5:6]
	v_lshrrev_b32_e32 v0, 16, v0
	s_delay_alu instid0(VALU_DEP_1) | instskip(SKIP_1) | instid1(VALU_DEP_3)
	v_cndmask_b32_e32 v0, 0x7fc0, v0, vcc_lo
	s_waitcnt lgkmcnt(0)
	v_add_co_u32 v5, vcc_lo, s8, v5
	s_delay_alu instid0(VALU_DEP_4)
	v_add_co_ci_u32_e32 v6, vcc_lo, s9, v6, vcc_lo
	global_store_b16 v[5:6], v0, off
	s_or_b32 exec_lo, exec_lo, s3
	s_and_saveexec_b32 s0, s1
	s_cbranch_execz .LBB176_60
.LBB176_83:
	v_bfe_u32 v0, v34, 16, 1
	v_dual_mov_b32 v3, 0 :: v_dual_add_nc_u32 v2, v1, v3
	v_cmp_o_f32_e32 vcc_lo, v34, v34
	s_delay_alu instid0(VALU_DEP_3) | instskip(NEXT) | instid1(VALU_DEP_3)
	v_add3_u32 v0, v34, v0, 0x7fff
	v_lshlrev_b64 v[2:3], 1, v[2:3]
	s_delay_alu instid0(VALU_DEP_2) | instskip(NEXT) | instid1(VALU_DEP_1)
	v_lshrrev_b32_e32 v0, 16, v0
	v_cndmask_b32_e32 v0, 0x7fc0, v0, vcc_lo
	s_waitcnt lgkmcnt(0)
	s_delay_alu instid0(VALU_DEP_3) | instskip(NEXT) | instid1(VALU_DEP_4)
	v_add_co_u32 v2, vcc_lo, s8, v2
	v_add_co_ci_u32_e32 v3, vcc_lo, s9, v3, vcc_lo
	global_store_b16 v[2:3], v0, off
	s_or_b32 exec_lo, exec_lo, s0
	s_delay_alu instid0(SALU_CYCLE_1)
	s_and_b32 exec_lo, exec_lo, s2
	s_cbranch_execnz .LBB176_61
	s_branch .LBB176_62
	.section	.rodata,"a",@progbits
	.p2align	6, 0x0
	.amdhsa_kernel _ZL12mul_mat_q6_KIN3c108BFloat16ELb1EEvPKvS3_PT_iiiii
		.amdhsa_group_segment_fixed_size 45136
		.amdhsa_private_segment_fixed_size 100
		.amdhsa_kernarg_size 44
		.amdhsa_user_sgpr_count 14
		.amdhsa_user_sgpr_dispatch_ptr 0
		.amdhsa_user_sgpr_queue_ptr 0
		.amdhsa_user_sgpr_kernarg_segment_ptr 1
		.amdhsa_user_sgpr_dispatch_id 0
		.amdhsa_user_sgpr_private_segment_size 0
		.amdhsa_wavefront_size32 1
		.amdhsa_uses_dynamic_stack 0
		.amdhsa_enable_private_segment 1
		.amdhsa_system_sgpr_workgroup_id_x 1
		.amdhsa_system_sgpr_workgroup_id_y 1
		.amdhsa_system_sgpr_workgroup_id_z 0
		.amdhsa_system_sgpr_workgroup_info 0
		.amdhsa_system_vgpr_workitem_id 1
		.amdhsa_next_free_vgpr 256
		.amdhsa_next_free_sgpr 18
		.amdhsa_reserve_vcc 1
		.amdhsa_float_round_mode_32 0
		.amdhsa_float_round_mode_16_64 0
		.amdhsa_float_denorm_mode_32 3
		.amdhsa_float_denorm_mode_16_64 3
		.amdhsa_dx10_clamp 1
		.amdhsa_ieee_mode 1
		.amdhsa_fp16_overflow 0
		.amdhsa_workgroup_processor_mode 1
		.amdhsa_memory_ordered 1
		.amdhsa_forward_progress 0
		.amdhsa_shared_vgpr_count 0
		.amdhsa_exception_fp_ieee_invalid_op 0
		.amdhsa_exception_fp_denorm_src 0
		.amdhsa_exception_fp_ieee_div_zero 0
		.amdhsa_exception_fp_ieee_overflow 0
		.amdhsa_exception_fp_ieee_underflow 0
		.amdhsa_exception_fp_ieee_inexact 0
		.amdhsa_exception_int_div_zero 0
	.end_amdhsa_kernel
	.section	.text._ZL12mul_mat_q6_KIN3c108BFloat16ELb1EEvPKvS3_PT_iiiii,"axG",@progbits,_ZL12mul_mat_q6_KIN3c108BFloat16ELb1EEvPKvS3_PT_iiiii,comdat
.Lfunc_end176:
	.size	_ZL12mul_mat_q6_KIN3c108BFloat16ELb1EEvPKvS3_PT_iiiii, .Lfunc_end176-_ZL12mul_mat_q6_KIN3c108BFloat16ELb1EEvPKvS3_PT_iiiii
                                        ; -- End function
	.section	.AMDGPU.csdata,"",@progbits
; Kernel info:
; codeLenInByte = 21160
; NumSgprs: 20
; NumVgprs: 256
; ScratchSize: 100
; MemoryBound: 0
; FloatMode: 240
; IeeeMode: 1
; LDSByteSize: 45136 bytes/workgroup (compile time only)
; SGPRBlocks: 2
; VGPRBlocks: 31
; NumSGPRsForWavesPerEU: 20
; NumVGPRsForWavesPerEU: 256
; Occupancy: 4
; WaveLimiterHint : 0
; COMPUTE_PGM_RSRC2:SCRATCH_EN: 1
; COMPUTE_PGM_RSRC2:USER_SGPR: 14
; COMPUTE_PGM_RSRC2:TRAP_HANDLER: 0
; COMPUTE_PGM_RSRC2:TGID_X_EN: 1
; COMPUTE_PGM_RSRC2:TGID_Y_EN: 1
; COMPUTE_PGM_RSRC2:TGID_Z_EN: 0
; COMPUTE_PGM_RSRC2:TIDIG_COMP_CNT: 1
	.section	.text._ZL8moe_q4_0IfLb0EEvPKvS1_PT_PKiS5_S5_iiiiiii,"axG",@progbits,_ZL8moe_q4_0IfLb0EEvPKvS1_PT_PKiS5_S5_iiiiiii,comdat
	.globl	_ZL8moe_q4_0IfLb0EEvPKvS1_PT_PKiS5_S5_iiiiiii ; -- Begin function _ZL8moe_q4_0IfLb0EEvPKvS1_PT_PKiS5_S5_iiiiiii
	.p2align	8
	.type	_ZL8moe_q4_0IfLb0EEvPKvS1_PT_PKiS5_S5_iiiiiii,@function
_ZL8moe_q4_0IfLb0EEvPKvS1_PT_PKiS5_S5_iiiiiii: ; @_ZL8moe_q4_0IfLb0EEvPKvS1_PT_PKiS5_S5_iiiiiii
; %bb.0:
	s_load_b128 s[4:7], s[0:1], 0x18
	s_mov_b32 s2, s15
	s_mov_b32 s3, 0
	s_delay_alu instid0(SALU_CYCLE_1)
	s_lshl_b64 s[8:9], s[2:3], 2
	s_waitcnt lgkmcnt(0)
	s_add_u32 s6, s6, s8
	s_addc_u32 s7, s7, s9
	s_load_b32 s12, s[6:7], 0x0
	s_waitcnt lgkmcnt(0)
	s_cmpk_gt_u32 s12, 0xff
	s_cbranch_scc1 .LBB177_31
; %bb.1:
	s_load_b64 s[6:7], s[0:1], 0x28
	s_lshl_b32 s2, s2, 3
	s_waitcnt lgkmcnt(0)
	s_load_b32 s3, s[6:7], 0x0
	s_waitcnt lgkmcnt(0)
	s_cmp_gt_u32 s2, s3
	s_cbranch_scc1 .LBB177_31
; %bb.2:
	v_bfe_u32 v1, v0, 10, 10
	v_mov_b32_e32 v8, 0
	s_lshl_b32 s14, s14, 7
	s_delay_alu instid0(VALU_DEP_2) | instskip(NEXT) | instid1(VALU_DEP_2)
	v_add_nc_u32_e32 v7, s2, v1
	v_dual_mov_b32 v51, v8 :: v_dual_and_b32 v16, 0x3ff, v0
	v_mov_b32_e32 v59, v8
	v_mov_b32_e32 v17, v8
	s_delay_alu instid0(VALU_DEP_4) | instskip(NEXT) | instid1(VALU_DEP_1)
	v_lshlrev_b64 v[2:3], 2, v[7:8]
	v_add_co_u32 v2, vcc_lo, s4, v2
	s_delay_alu instid0(VALU_DEP_2)
	v_add_co_ci_u32_e32 v3, vcc_lo, s5, v3, vcc_lo
	global_load_b32 v15, v[2:3], off
	s_clause 0x2
	s_load_b64 s[10:11], s[0:1], 0x30
	s_load_b64 s[8:9], s[0:1], 0x10
	s_load_b128 s[4:7], s[0:1], 0x3c
	s_waitcnt lgkmcnt(0)
	s_cmp_lt_i32 s11, 32
	s_cbranch_scc1 .LBB177_22
; %bb.3:
	s_load_b128 s[0:3], s[0:1], 0x0
	s_ashr_i32 s13, s11, 31
	s_ashr_i32 s15, s5, 31
	s_mul_i32 s12, s12, s10
	s_lshr_b32 s10, s13, 27
	s_lshr_b32 s13, s15, 27
	s_add_i32 s17, s11, s10
	s_add_i32 s10, s5, s13
	s_ashr_i32 s5, s17, 5
	s_ashr_i32 s15, s12, 31
	s_mul_i32 s13, s5, s14
	s_ashr_i32 s10, s10, 5
	s_mul_hi_i32 s16, s13, 18
	s_mul_i32 s13, s13, 18
	v_lshrrev_b32_e32 v22, 3, v16
	s_waitcnt vmcnt(0)
	v_sub_nc_u32_e32 v5, 0, v15
	v_and_b32_e32 v19, 7, v16
	v_mul_lo_u32 v20, s5, v1
	v_dual_mov_b32 v17, 0 :: v_dual_lshlrev_b32 v0, 2, v16
	s_waitcnt lgkmcnt(0)
	s_add_u32 s0, s0, s12
	s_addc_u32 s1, s1, s15
	s_add_u32 s15, s0, s13
	s_addc_u32 s16, s1, s16
	s_abs_i32 s1, s7
	v_max_i32_e32 v5, v15, v5
	v_cvt_f32_u32_e32 v3, s1
	s_sub_i32 s12, 0, s1
	v_lshlrev_b32_e32 v7, 2, v19
	s_lshl_b32 s0, s5, 3
	v_mad_u32_u24 v25, 0x84, v1, v0
	v_rcp_iflag_f32_e32 v3, v3
	v_lshlrev_b32_e32 v2, 2, v1
	v_add_nc_u32_e32 v21, s0, v20
	s_and_not1_b32 s17, s17, 31
	v_lshrrev_b32_e32 v18, 2, v16
	v_add_nc_u32_e32 v27, 0x420, v25
	v_add_nc_u32_e32 v29, 0x840, v25
	;; [unrolled: 1-line block ×5, first 2 shown]
	v_dual_mul_f32 v3, 0x4f7ffffe, v3 :: v_dual_add_nc_u32 v6, v22, v2
	v_or_b32_e32 v2, v2, v16
	v_add_nc_u32_e32 v33, 0x14a0, v25
	v_add_nc_u32_e32 v34, 0x18c0, v25
	s_delay_alu instid0(VALU_DEP_4)
	v_cvt_u32_f32_e32 v3, v3
	v_and_b32_e32 v9, 0x1ffc, v6
	v_add_nc_u32_e32 v10, 32, v6
	v_lshl_add_u32 v61, v2, 2, 0x5680
	v_add_nc_u32_e32 v2, 32, v16
	v_mul_lo_u32 v8, s12, v3
	v_add3_u32 v12, v9, v7, 0x4200
	v_and_b32_e32 v9, 0x3ffc, v10
	v_lshlrev_b32_e32 v13, 5, v10
	v_lshrrev_b32_e32 v63, 3, v2
	v_and_b32_e32 v2, 0x1fc, v2
	v_add_nc_u32_e32 v35, 0x1ce0, v25
	v_add3_u32 v59, v9, v7, 0x4200
	v_mul_hi_u32 v8, v3, v8
	v_add_nc_u32_e32 v37, 0x2100, v25
	v_add_nc_u32_e32 v38, 0x2520, v25
	;; [unrolled: 1-line block ×3, first 2 shown]
	v_dual_mov_b32 v59, 0 :: v_dual_add_nc_u32 v78, v59, v13
	v_mul_lo_u32 v47, s5, v6
	v_lshlrev_b32_e32 v11, 5, v6
	v_add_nc_u32_e32 v3, v3, v8
	v_add_nc_u32_e32 v8, 64, v6
	;; [unrolled: 1-line block ×5, first 2 shown]
	v_mul_hi_u32 v3, v5, v3
	v_and_b32_e32 v10, 0x3ffc, v8
	v_and_b32_e32 v14, 0x3ffc, v6
	v_add_nc_u32_e32 v53, s17, v47
	v_lshlrev_b32_e32 v8, 5, v8
	v_lshlrev_b32_e32 v6, 5, v6
	v_add3_u32 v79, v10, v7, 0x4200
	v_add3_u32 v7, v14, v7, 0x4200
	v_mul_lo_u32 v51, v3, s1
	v_add_nc_u32_e32 v9, 1, v3
	v_lshlrev_b32_e32 v14, 7, v1
	v_add_nc_u32_e32 v55, s17, v53
	v_add_nc_u32_e32 v43, 0x35a0, v25
	;; [unrolled: 1-line block ×4, first 2 shown]
	v_mul_u32_u24_e32 v62, 0x84, v16
	v_sub_nc_u32_e32 v5, v5, v51
	v_add_nc_u32_e32 v57, s17, v55
	v_add_nc_u32_e32 v70, 0x5280, v14
	v_lshl_add_u32 v71, v1, 4, 0x5680
	v_mad_u32_u24 v76, 0x84, v16, 64
	v_subrev_nc_u32_e32 v10, s1, v5
	v_cmp_le_u32_e32 vcc_lo, s1, v5
	v_and_b32_e32 v4, 31, v16
	v_and_b32_e32 v24, 12, v0
	;; [unrolled: 1-line block ×3, first 2 shown]
	v_add_nc_u32_e32 v77, v12, v11
	v_cndmask_b32_e32 v5, v5, v10, vcc_lo
	v_cndmask_b32_e32 v3, v3, v9, vcc_lo
	v_xor_b32_e32 v9, s7, v15
	v_lshl_or_b32 v4, v4, 2, v14
	v_add_nc_u32_e32 v79, v79, v8
	v_cmp_le_u32_e32 vcc_lo, s1, v5
	v_add_nc_u32_e32 v10, 1, v3
	v_add_nc_u32_e32 v26, s0, v23
	v_ashrrev_i32_e32 v51, 31, v9
	v_add_nc_u32_e32 v60, 0x5280, v4
	s_delay_alu instid0(VALU_DEP_4) | instskip(NEXT) | instid1(VALU_DEP_4)
	v_dual_cndmask_b32 v3, v3, v10 :: v_dual_add_nc_u32 v4, 0x60, v16
	v_add_nc_u32_e32 v28, s0, v26
	v_lshlrev_b32_e32 v5, 5, v16
	v_cmp_gt_u32_e32 vcc_lo, 4, v16
	s_delay_alu instid0(VALU_DEP_4)
	v_and_b32_e32 v4, 0x1fc, v4
	v_add_nc_u32_e32 v80, v7, v6
	v_add_nc_u32_e32 v32, s0, v28
	;; [unrolled: 1-line block ×3, first 2 shown]
	v_mov_b32_e32 v8, 0
	s_add_u32 s12, s2, 0x90
	s_mov_b32 s17, 0
	v_add_nc_u32_e32 v36, s0, v32
	v_add_nc_u32_e32 v68, 0x4600, v2
	;; [unrolled: 1-line block ×3, first 2 shown]
	s_addc_u32 s13, s3, 0
	s_delay_alu instid0(VALU_DEP_3) | instskip(NEXT) | instid1(VALU_DEP_1)
	v_add_nc_u32_e32 v39, s0, v36
	v_add_nc_u32_e32 v44, s0, v39
	s_delay_alu instid0(VALU_DEP_1) | instskip(NEXT) | instid1(VALU_DEP_1)
	v_add_nc_u32_e32 v48, s0, v44
	v_add_nc_u32_e32 v49, s0, v48
	s_delay_alu instid0(VALU_DEP_1) | instskip(NEXT) | instid1(VALU_DEP_1)
	;; [unrolled: 3-line block ×3, first 2 shown]
	v_add_nc_u32_e32 v54, s0, v52
	v_add_nc_u32_e32 v56, s0, v54
	s_delay_alu instid0(VALU_DEP_1) | instskip(SKIP_4) | instid1(VALU_DEP_3)
	v_add_nc_u32_e32 v58, s0, v56
	v_add_co_u32 v9, s0, s2, v0
	v_xor_b32_e32 v0, v3, v51
	v_add_nc_u32_e32 v3, 64, v16
	v_add_co_ci_u32_e64 v10, null, s3, 0, s0
	v_sub_nc_u32_e32 v0, v0, v51
	s_delay_alu instid0(VALU_DEP_3) | instskip(SKIP_1) | instid1(VALU_DEP_3)
	v_and_b32_e32 v3, 0x1fc, v3
	v_and_b32_e32 v51, 0xfc, v16
	v_mul_lo_u32 v64, v0, s10
	v_cmp_gt_i32_e64 s0, s4, v0
	v_add_nc_u32_e32 v0, v5, v4
	v_add_nc_u32_e32 v3, v5, v3
	v_dual_mov_b32 v51, 0 :: v_dual_add_nc_u32 v4, v5, v51
	s_delay_alu instid0(VALU_DEP_3) | instskip(SKIP_1) | instid1(VALU_DEP_4)
	v_add_nc_u32_e32 v66, 0x4e00, v0
	v_ashrrev_i32_e32 v65, 31, v64
	v_add_nc_u32_e32 v67, 0x4a00, v3
	s_delay_alu instid0(VALU_DEP_4)
	v_add_nc_u32_e32 v69, 0x4200, v4
	v_add_nc_u32_e32 v72, 0x4e10, v0
	;; [unrolled: 1-line block ×4, first 2 shown]
	s_branch .LBB177_5
.LBB177_4:                              ;   in Loop: Header=BB177_5 Depth=1
	s_add_i32 s17, s17, 8
	s_delay_alu instid0(SALU_CYCLE_1)
	s_cmp_ge_i32 s17, s5
	s_cbranch_scc1 .LBB177_22
.LBB177_5:                              ; =>This Loop Header: Depth=1
                                        ;     Child Loop BB177_12 Depth 2
                                        ;     Child Loop BB177_20 Depth 2
	s_mul_i32 s1, s17, 18
	s_mul_hi_u32 s19, s17, 18
	s_add_u32 s18, s15, s1
	s_addc_u32 s19, s16, s19
	s_delay_alu instid0(SALU_CYCLE_1) | instskip(SKIP_2) | instid1(SALU_CYCLE_1)
	v_mad_u64_u32 v[0:1], null, v18, 18, s[18:19]
	v_mad_u64_u32 v[87:88], null, v19, 18, s[18:19]
	s_lshl_b32 s18, s17, 5
	s_cmp_lt_i32 s18, s11
	s_delay_alu instid0(VALU_DEP_2) | instskip(NEXT) | instid1(VALU_DEP_1)
	v_add_co_u32 v0, s1, v0, v24
	v_add_co_ci_u32_e64 v1, s1, 0, v1, s1
	s_delay_alu instid0(VALU_DEP_2) | instskip(NEXT) | instid1(VALU_DEP_1)
	v_add_co_u32 v0, s1, v0, 2
	v_add_co_ci_u32_e64 v1, s1, 0, v1, s1
	s_delay_alu instid0(VALU_DEP_1)
	v_mad_u64_u32 v[2:3], null, v20, 18, v[0:1]
	v_mad_u64_u32 v[4:5], null, v21, 18, v[0:1]
	;; [unrolled: 1-line block ×8, first 2 shown]
	s_clause 0x7
	global_load_b32 v89, v[2:3], off
	global_load_b32 v90, v[4:5], off
	;; [unrolled: 1-line block ×8, first 2 shown]
	v_mad_u64_u32 v[6:7], null, v47, 18, v[87:88]
	v_mad_u64_u32 v[11:12], null, v53, 18, v[87:88]
	;; [unrolled: 1-line block ×8, first 2 shown]
	s_clause 0x3
	global_load_u16 v87, v[6:7], off
	global_load_u16 v88, v[11:12], off
	;; [unrolled: 1-line block ×4, first 2 shown]
	v_mad_u64_u32 v[6:7], null, v52, 18, v[0:1]
	v_mad_u64_u32 v[11:12], null, v54, 18, v[0:1]
	;; [unrolled: 1-line block ×4, first 2 shown]
	s_clause 0x7
	global_load_b32 v0, v[2:3], off
	global_load_b32 v1, v[4:5], off
	;; [unrolled: 1-line block ×8, first 2 shown]
	s_waitcnt vmcnt(11)
	v_cvt_f32_f16_e32 v11, v87
	s_waitcnt vmcnt(10)
	v_cvt_f32_f16_e32 v12, v88
	;; [unrolled: 2-line block ×4, first 2 shown]
	ds_store_b32 v25, v89
	ds_store_b32 v27, v90
	;; [unrolled: 1-line block ×8, first 2 shown]
	s_waitcnt vmcnt(7)
	ds_store_b32 v37, v0
	s_waitcnt vmcnt(6)
	ds_store_b32 v38, v1
	;; [unrolled: 2-line block ×8, first 2 shown]
	ds_store_b32 v77, v11
	ds_store_b32 v78, v12
	;; [unrolled: 1-line block ×4, first 2 shown]
	s_cbranch_scc0 .LBB177_4
; %bb.6:                                ;   in Loop: Header=BB177_5 Depth=1
	v_add_nc_u32_e32 v0, s17, v22
	s_delay_alu instid0(VALU_DEP_1) | instskip(NEXT) | instid1(VALU_DEP_1)
	v_cmp_gt_i32_e64 s1, s10, v0
	s_and_b32 s19, s0, s1
	s_delay_alu instid0(SALU_CYCLE_1)
	s_and_saveexec_b32 s1, s19
	s_cbranch_execz .LBB177_8
; %bb.7:                                ;   in Loop: Header=BB177_5 Depth=1
	v_add_nc_u32_e32 v2, v64, v0
	s_delay_alu instid0(VALU_DEP_1)
	v_mad_i64_i32 v[0:1], null, v2, 36, v[9:10]
	global_load_b32 v0, v[0:1], off offset:4
	s_waitcnt vmcnt(0)
	ds_store_b32 v60, v0
.LBB177_8:                              ;   in Loop: Header=BB177_5 Depth=1
	s_or_b32 exec_lo, exec_lo, s1
	s_and_saveexec_b32 s19, vcc_lo
	s_cbranch_execz .LBB177_11
; %bb.9:                                ;   in Loop: Header=BB177_5 Depth=1
	v_or_b32_e32 v0, s17, v16
	s_delay_alu instid0(VALU_DEP_1) | instskip(NEXT) | instid1(VALU_DEP_1)
	v_cmp_gt_i32_e64 s1, s10, v0
	s_and_b32 s1, s0, s1
	s_delay_alu instid0(SALU_CYCLE_1)
	s_and_b32 exec_lo, exec_lo, s1
	s_cbranch_execz .LBB177_11
; %bb.10:                               ;   in Loop: Header=BB177_5 Depth=1
	v_add_nc_u32_e32 v2, v64, v0
	s_delay_alu instid0(VALU_DEP_1)
	v_mad_i64_i32 v[0:1], null, v2, 36, s[2:3]
	global_load_b32 v0, v[0:1], off
	s_waitcnt vmcnt(0)
	ds_store_b32 v61, v0
.LBB177_11:                             ;   in Loop: Header=BB177_5 Depth=1
	s_or_b32 exec_lo, exec_lo, s19
	v_dual_mov_b32 v81, v71 :: v_dual_mov_b32 v82, v70
	v_dual_mov_b32 v83, v62 :: v_dual_mov_b32 v84, v69
	;; [unrolled: 1-line block ×3, first 2 shown]
	v_mov_b32_e32 v87, v66
	s_mov_b32 s1, -4
	s_waitcnt lgkmcnt(0)
	s_barrier
	buffer_gl0_inv
.LBB177_12:                             ;   Parent Loop BB177_5 Depth=1
                                        ; =>  This Inner Loop Header: Depth=2
	ds_load_b128 v[4:7], v82
	ds_load_b128 v[0:3], v82 offset:16
	ds_load_2addr_b32 v[11:12], v83 offset1:1
	ds_load_2addr_b32 v[13:14], v83 offset0:2 offset1:3
	ds_load_b32 v88, v85
	ds_load_b32 v101, v84
	;; [unrolled: 1-line block ×4, first 2 shown]
	v_add_nc_u32_e32 v89, 0x1080, v83
	v_add_nc_u32_e32 v91, 0x1088, v83
	v_add_nc_u32_e32 v93, 0x2100, v83
	v_add_nc_u32_e32 v95, 0x2108, v83
	v_add_nc_u32_e32 v97, 0x3180, v83
	v_add_nc_u32_e32 v99, 0x3188, v83
	ds_load_2addr_b32 v[89:90], v89 offset1:1
	ds_load_2addr_b32 v[91:92], v91 offset1:1
	;; [unrolled: 1-line block ×6, first 2 shown]
	ds_load_b32 v104, v81
	v_add_nc_u32_e32 v87, 4, v87
	v_add_nc_u32_e32 v85, 4, v85
	;; [unrolled: 1-line block ×5, first 2 shown]
	s_add_i32 s1, s1, 4
	s_delay_alu instid0(SALU_CYCLE_1)
	s_cmp_lt_u32 s1, 12
	s_waitcnt lgkmcnt(14)
	v_bfe_i32 v105, v4, 0, 8
	s_waitcnt lgkmcnt(13)
	v_bfe_i32 v108, v0, 0, 8
	s_waitcnt lgkmcnt(12)
	v_and_b32_e32 v130, 15, v11
	v_bfe_u32 v134, v11, 4, 4
	v_bfe_i32 v111, v5, 0, 8
	s_waitcnt lgkmcnt(6)
	v_and_b32_e32 v158, 15, v89
	v_bfe_i32 v114, v1, 0, 8
	v_mul_i32_i24_e32 v130, v130, v105
	s_waitcnt lgkmcnt(4)
	v_and_b32_e32 v186, 15, v93
	s_waitcnt lgkmcnt(2)
	v_and_b32_e32 v208, 15, v97
	v_and_b32_e32 v137, 15, v12
	v_bfe_u32 v141, v12, 4, 4
	v_bfe_u32 v162, v89, 4, 4
	v_and_b32_e32 v165, 15, v90
	v_bfe_u32 v169, v90, 4, 4
	v_bfe_u32 v190, v93, 4, 4
	;; [unrolled: 3-line block ×3, first 2 shown]
	v_and_b32_e32 v218, 15, v98
	v_bfe_u32 v219, v98, 4, 4
	v_mad_i32_i24 v130, v134, v108, v130
	v_mul_i32_i24_e32 v134, v158, v105
	v_mul_i32_i24_e32 v158, v186, v105
	;; [unrolled: 1-line block ×3, first 2 shown]
	v_bfe_i32 v106, v4, 8, 8
	v_bfe_i32 v115, v1, 8, 8
	;; [unrolled: 1-line block ×3, first 2 shown]
	v_ashrrev_i32_e32 v1, 24, v1
	v_bfe_i32 v117, v6, 0, 8
	v_bfe_u32 v131, v11, 8, 4
	v_bfe_u32 v136, v12, 20, 4
	;; [unrolled: 1-line block ×6, first 2 shown]
	v_lshrrev_b32_e32 v12, 28, v12
	v_and_b32_e32 v144, 15, v13
	v_mul_i32_i24_e32 v137, v137, v111
	v_mul_i32_i24_e32 v141, v141, v114
	v_bfe_u32 v159, v89, 8, 4
	v_bfe_u32 v164, v90, 20, 4
	;; [unrolled: 1-line block ×6, first 2 shown]
	v_lshrrev_b32_e32 v90, 28, v90
	v_and_b32_e32 v172, 15, v91
	v_bfe_u32 v187, v93, 8, 4
	v_bfe_u32 v192, v94, 20, 4
	;; [unrolled: 1-line block ×6, first 2 shown]
	v_lshrrev_b32_e32 v94, 28, v94
	v_and_b32_e32 v200, 15, v95
	v_bfe_u32 v216, v97, 8, 4
	v_bfe_u32 v222, v98, 20, 4
	;; [unrolled: 1-line block ×6, first 2 shown]
	v_lshrrev_b32_e32 v98, 28, v98
	s_waitcnt lgkmcnt(1)
	v_and_b32_e32 v228, 15, v99
	v_mul_i32_i24_e32 v165, v165, v111
	v_mul_i32_i24_e32 v169, v169, v114
	v_mul_i32_i24_e32 v186, v193, v111
	v_mul_i32_i24_e32 v193, v197, v114
	v_mul_i32_i24_e32 v111, v218, v111
	v_mul_i32_i24_e32 v114, v219, v114
	v_mad_i32_i24 v134, v162, v108, v134
	v_mad_i32_i24 v158, v190, v108, v158
	;; [unrolled: 1-line block ×3, first 2 shown]
	v_bfe_i32 v107, v4, 16, 8
	v_ashrrev_i32_e32 v4, 24, v4
	v_bfe_u32 v132, v11, 16, 4
	v_bfe_u32 v133, v11, 24, 4
	v_mul_i32_i24_e32 v131, v131, v106
	v_mul_i32_i24_e32 v144, v144, v117
	v_bfe_u32 v160, v89, 16, 4
	v_bfe_u32 v161, v89, 24, 4
	;; [unrolled: 1-line block ×6, first 2 shown]
	v_mul_i32_i24_e32 v12, v12, v1
	v_mul_i32_i24_e32 v159, v159, v106
	v_mul_i32_i24_e32 v172, v172, v117
	v_mul_i32_i24_e32 v187, v187, v106
	v_mul_i32_i24_e32 v197, v200, v117
	v_mul_i32_i24_e32 v106, v216, v106
	v_mul_i32_i24_e32 v90, v90, v1
	v_mul_i32_i24_e32 v94, v94, v1
	v_mul_i32_i24_e32 v1, v98, v1
	v_mul_i32_i24_e32 v98, v228, v117
	v_add3_u32 v130, v130, v137, v141
	v_add3_u32 v134, v134, v165, v169
	;; [unrolled: 1-line block ×4, first 2 shown]
	v_bfe_i32 v118, v6, 8, 8
	v_bfe_i32 v119, v6, 16, 8
	v_ashrrev_i32_e32 v6, 24, v6
	v_bfe_i32 v120, v2, 0, 8
	v_bfe_i32 v123, v7, 0, 8
	v_bfe_u32 v148, v13, 4, 4
	v_and_b32_e32 v151, 15, v14
	v_bfe_u32 v173, v91, 8, 4
	v_bfe_u32 v176, v91, 4, 4
	v_and_b32_e32 v179, 15, v92
	v_bfe_u32 v201, v95, 8, 4
	v_bfe_u32 v203, v95, 24, 4
	;; [unrolled: 1-line block ×3, first 2 shown]
	v_and_b32_e32 v207, 15, v96
	v_bfe_u32 v232, v99, 4, 4
	v_and_b32_e32 v235, 15, v100
	v_mul_i32_i24_e32 v132, v132, v107
	v_mul_i32_i24_e32 v133, v133, v4
	;; [unrolled: 1-line block ×8, first 2 shown]
	v_add3_u32 v111, v130, v144, v131
	v_add3_u32 v114, v134, v172, v159
	;; [unrolled: 1-line block ×4, first 2 shown]
	v_bfe_i32 v109, v0, 8, 8
	v_bfe_i32 v110, v0, 16, 8
	v_bfe_u32 v129, v11, 20, 4
	v_bfe_u32 v135, v11, 12, 4
	;; [unrolled: 1-line block ×8, first 2 shown]
	v_mul_i32_i24_e32 v148, v148, v120
	v_mul_i32_i24_e32 v151, v151, v123
	;; [unrolled: 1-line block ×11, first 2 shown]
	v_add3_u32 v106, v111, v132, v133
	v_add3_u32 v111, v114, v160, v161
	;; [unrolled: 1-line block ×4, first 2 shown]
	v_ashrrev_i32_e32 v0, 24, v0
	v_bfe_i32 v112, v5, 8, 8
	v_lshrrev_b32_e32 v11, 28, v11
	v_lshrrev_b32_e32 v89, 28, v89
	;; [unrolled: 1-line block ×4, first 2 shown]
	v_mul_i32_i24_e32 v135, v135, v109
	v_mul_i32_i24_e32 v129, v129, v110
	;; [unrolled: 1-line block ×8, first 2 shown]
	v_add3_u32 v98, v106, v148, v151
	v_add3_u32 v106, v111, v176, v179
	;; [unrolled: 1-line block ×4, first 2 shown]
	v_bfe_i32 v113, v5, 16, 8
	v_ashrrev_i32_e32 v5, 24, v5
	v_mul_i32_i24_e32 v11, v11, v0
	v_mul_i32_i24_e32 v138, v138, v112
	;; [unrolled: 1-line block ×8, first 2 shown]
	v_add3_u32 v98, v98, v135, v129
	v_add3_u32 v106, v106, v163, v157
	;; [unrolled: 1-line block ×4, first 2 shown]
	v_bfe_i32 v126, v3, 0, 8
	v_bfe_u32 v155, v14, 4, 4
	v_bfe_u32 v183, v92, 4, 4
	v_bfe_u32 v213, v96, 4, 4
	v_bfe_u32 v239, v100, 4, 4
	v_mul_i32_i24_e32 v139, v139, v113
	v_mul_i32_i24_e32 v140, v140, v5
	;; [unrolled: 1-line block ×8, first 2 shown]
	v_add3_u32 v11, v98, v11, v138
	v_add3_u32 v89, v106, v89, v97
	;; [unrolled: 1-line block ×4, first 2 shown]
	v_mul_i32_i24_e32 v142, v142, v115
	v_mul_i32_i24_e32 v155, v155, v126
	;; [unrolled: 1-line block ×8, first 2 shown]
	v_add3_u32 v11, v11, v139, v140
	v_add3_u32 v89, v89, v167, v168
	;; [unrolled: 1-line block ×4, first 2 shown]
	v_bfe_u32 v145, v13, 8, 4
	v_bfe_u32 v146, v13, 16, 4
	;; [unrolled: 1-line block ×6, first 2 shown]
	v_mul_i32_i24_e32 v136, v136, v116
	v_mul_i32_i24_e32 v164, v164, v116
	;; [unrolled: 1-line block ×4, first 2 shown]
	v_add3_u32 v5, v11, v155, v142
	v_add3_u32 v11, v89, v183, v170
	;; [unrolled: 1-line block ×4, first 2 shown]
	v_bfe_i32 v121, v2, 8, 8
	v_bfe_u32 v147, v13, 24, 4
	v_bfe_u32 v149, v13, 12, 4
	;; [unrolled: 1-line block ×7, first 2 shown]
	v_mul_i32_i24_e32 v145, v145, v118
	v_mul_i32_i24_e32 v146, v146, v119
	;; [unrolled: 1-line block ×6, first 2 shown]
	v_add3_u32 v5, v5, v136, v12
	v_add3_u32 v11, v11, v164, v90
	;; [unrolled: 1-line block ×4, first 2 shown]
	v_bfe_i32 v122, v2, 16, 8
	v_ashrrev_i32_e32 v2, 24, v2
	v_bfe_u32 v143, v13, 20, 4
	v_lshrrev_b32_e32 v13, 28, v13
	v_bfe_u32 v171, v91, 20, 4
	v_lshrrev_b32_e32 v91, 28, v91
	;; [unrolled: 2-line block ×4, first 2 shown]
	v_mul_i32_i24_e32 v147, v147, v6
	v_mul_i32_i24_e32 v149, v149, v121
	;; [unrolled: 1-line block ×7, first 2 shown]
	v_add3_u32 v5, v5, v145, v146
	v_add3_u32 v11, v11, v117, v174
	;; [unrolled: 1-line block ×4, first 2 shown]
	v_bfe_i32 v124, v7, 8, 8
	v_bfe_i32 v125, v7, 16, 8
	v_bfe_u32 v152, v14, 8, 4
	v_bfe_u32 v153, v14, 16, 4
	;; [unrolled: 1-line block ×8, first 2 shown]
	v_mul_i32_i24_e32 v143, v143, v122
	v_mul_i32_i24_e32 v13, v13, v2
	;; [unrolled: 1-line block ×8, first 2 shown]
	v_add3_u32 v5, v5, v147, v149
	v_add3_u32 v11, v11, v175, v177
	;; [unrolled: 1-line block ×4, first 2 shown]
	v_ashrrev_i32_e32 v7, 24, v7
	v_bfe_i32 v127, v3, 8, 8
	v_bfe_u32 v154, v14, 24, 4
	v_bfe_u32 v156, v14, 12, 4
	;; [unrolled: 1-line block ×8, first 2 shown]
	v_mul_i32_i24_e32 v152, v152, v124
	v_mul_i32_i24_e32 v153, v153, v125
	;; [unrolled: 1-line block ×8, first 2 shown]
	v_add3_u32 v5, v5, v143, v13
	v_add3_u32 v11, v11, v171, v91
	;; [unrolled: 1-line block ×4, first 2 shown]
	v_bfe_i32 v128, v3, 16, 8
	v_ashrrev_i32_e32 v3, 24, v3
	v_bfe_u32 v150, v14, 20, 4
	v_lshrrev_b32_e32 v14, 28, v14
	v_bfe_u32 v178, v92, 20, 4
	v_lshrrev_b32_e32 v92, 28, v92
	;; [unrolled: 2-line block ×4, first 2 shown]
	v_mul_i32_i24_e32 v154, v154, v7
	v_mul_i32_i24_e32 v156, v156, v127
	;; [unrolled: 1-line block ×8, first 2 shown]
	v_add3_u32 v5, v5, v152, v153
	v_add3_u32 v11, v11, v180, v181
	;; [unrolled: 1-line block ×4, first 2 shown]
	s_waitcnt lgkmcnt(0)
	v_lshrrev_b32_e32 v241, 16, v104
	v_mul_i32_i24_e32 v150, v150, v128
	v_mul_i32_i24_e32 v14, v14, v3
	;; [unrolled: 1-line block ×8, first 2 shown]
	v_add3_u32 v3, v5, v154, v156
	v_add3_u32 v4, v11, v182, v184
	;; [unrolled: 1-line block ×4, first 2 shown]
	v_cvt_f32_f16_e64 v6, v241
	v_add3_u32 v3, v3, v150, v14
	v_add3_u32 v4, v4, v178, v92
	;; [unrolled: 1-line block ×4, first 2 shown]
	v_dual_mul_f32 v1, 0xc1000000, v6 :: v_dual_add_nc_u32 v84, 4, v84
	v_cvt_f32_i32_e32 v2, v3
	v_cvt_f32_i32_e32 v3, v4
	;; [unrolled: 1-line block ×4, first 2 shown]
	s_delay_alu instid0(VALU_DEP_4) | instskip(NEXT) | instid1(VALU_DEP_4)
	v_fma_mix_f32 v2, v104, v2, v1 op_sel_hi:[1,0,0]
	v_fma_mix_f32 v3, v104, v3, v1 op_sel_hi:[1,0,0]
	s_delay_alu instid0(VALU_DEP_4) | instskip(NEXT) | instid1(VALU_DEP_4)
	v_fma_mix_f32 v4, v104, v4, v1 op_sel_hi:[1,0,0]
	v_fma_mix_f32 v0, v104, v0, v1 op_sel_hi:[1,0,0]
	v_add_nc_u32_e32 v86, 4, v86
	v_fmac_f32_e32 v17, v101, v2
	v_fmac_f32_e32 v59, v88, v3
	v_fmac_f32_e32 v51, v102, v4
	v_fmac_f32_e32 v8, v103, v0
	s_cbranch_scc1 .LBB177_12
; %bb.13:                               ;   in Loop: Header=BB177_5 Depth=1
	s_bitset1_b32 s18, 7
	s_delay_alu instid0(SALU_CYCLE_1)
	s_cmp_ge_i32 s18, s11
	s_barrier
	buffer_gl0_inv
	s_cbranch_scc1 .LBB177_4
; %bb.14:                               ;   in Loop: Header=BB177_5 Depth=1
	v_add_nc_u32_e32 v0, s17, v63
	s_delay_alu instid0(VALU_DEP_1) | instskip(NEXT) | instid1(VALU_DEP_1)
	v_cmp_gt_i32_e64 s1, s10, v0
	s_and_b32 s18, s0, s1
	s_delay_alu instid0(SALU_CYCLE_1)
	s_and_saveexec_b32 s1, s18
	s_cbranch_execz .LBB177_16
; %bb.15:                               ;   in Loop: Header=BB177_5 Depth=1
	v_add_nc_u32_e32 v2, v64, v0
	s_delay_alu instid0(VALU_DEP_1)
	v_mad_i64_i32 v[0:1], null, v2, 36, v[9:10]
	global_load_b32 v0, v[0:1], off offset:4
	s_waitcnt vmcnt(0)
	ds_store_b32 v60, v0
.LBB177_16:                             ;   in Loop: Header=BB177_5 Depth=1
	s_or_b32 exec_lo, exec_lo, s1
	s_and_saveexec_b32 s18, vcc_lo
	s_cbranch_execz .LBB177_19
; %bb.17:                               ;   in Loop: Header=BB177_5 Depth=1
	v_or_b32_e32 v0, s17, v16
	s_delay_alu instid0(VALU_DEP_1) | instskip(NEXT) | instid1(VALU_DEP_1)
	v_or_b32_e32 v1, 4, v0
	v_cmp_gt_i32_e64 s1, s10, v1
	s_delay_alu instid0(VALU_DEP_1) | instskip(NEXT) | instid1(SALU_CYCLE_1)
	s_and_b32 s1, s0, s1
	s_and_b32 exec_lo, exec_lo, s1
	s_cbranch_execz .LBB177_19
; %bb.18:                               ;   in Loop: Header=BB177_5 Depth=1
	v_ashrrev_i32_e32 v1, 31, v0
	v_add_co_u32 v2, s1, v64, v0
	s_delay_alu instid0(VALU_DEP_1) | instskip(NEXT) | instid1(VALU_DEP_2)
	v_add_co_ci_u32_e64 v3, s1, v65, v1, s1
	v_mad_u64_u32 v[0:1], null, v2, 36, s[12:13]
	s_delay_alu instid0(VALU_DEP_1)
	v_mad_i32_i24 v1, v3, 36, v1
	global_load_b32 v0, v[0:1], off
	s_waitcnt vmcnt(0)
	ds_store_b32 v61, v0
.LBB177_19:                             ;   in Loop: Header=BB177_5 Depth=1
	s_or_b32 exec_lo, exec_lo, s18
	v_dual_mov_b32 v0, v71 :: v_dual_mov_b32 v1, v70
	v_dual_mov_b32 v2, v76 :: v_dual_mov_b32 v3, v75
	;; [unrolled: 1-line block ×3, first 2 shown]
	v_mov_b32_e32 v6, v72
	s_mov_b32 s1, 12
	s_waitcnt lgkmcnt(0)
	s_barrier
	buffer_gl0_inv
.LBB177_20:                             ;   Parent Loop BB177_5 Depth=1
                                        ; =>  This Inner Loop Header: Depth=2
	ds_load_b128 v[81:84], v1
	ds_load_b128 v[85:88], v1 offset:16
	ds_load_b32 v7, v0
	ds_load_2addr_b32 v[13:14], v2 offset1:1
	ds_load_b32 v11, v4
	ds_load_b32 v12, v3
	ds_load_2addr_b32 v[89:90], v2 offset0:2 offset1:3
	ds_load_b32 v103, v5
	ds_load_b32 v104, v6
	v_add_nc_u32_e32 v91, 0x1080, v2
	v_add_nc_u32_e32 v93, 0x1088, v2
	;; [unrolled: 1-line block ×6, first 2 shown]
	ds_load_2addr_b32 v[91:92], v91 offset1:1
	ds_load_2addr_b32 v[93:94], v93 offset1:1
	;; [unrolled: 1-line block ×6, first 2 shown]
	v_add_nc_u32_e32 v3, 4, v3
	v_add_nc_u32_e32 v1, 32, v1
	;; [unrolled: 1-line block ×3, first 2 shown]
	s_add_i32 s1, s1, 4
	s_delay_alu instid0(SALU_CYCLE_1)
	s_cmp_lt_u32 s1, 28
	s_waitcnt lgkmcnt(14)
	v_bfe_i32 v105, v81, 0, 8
	v_bfe_i32 v106, v81, 8, 8
	s_waitcnt lgkmcnt(11)
	v_and_b32_e32 v131, 15, v13
	v_bfe_i32 v107, v81, 16, 8
	v_ashrrev_i32_e32 v81, 24, v81
	v_bfe_i32 v108, v85, 0, 8
	v_bfe_i32 v109, v85, 8, 8
	v_bfe_i32 v111, v82, 0, 8
	v_bfe_i32 v112, v82, 8, 8
	v_bfe_i32 v113, v82, 16, 8
	v_ashrrev_i32_e32 v82, 24, v82
	v_bfe_i32 v114, v86, 0, 8
	v_bfe_i32 v115, v86, 8, 8
	v_bfe_i32 v117, v83, 0, 8
	v_bfe_i32 v118, v83, 8, 8
	;; [unrolled: 6-line block ×3, first 2 shown]
	v_bfe_i32 v125, v84, 16, 8
	v_ashrrev_i32_e32 v84, 24, v84
	v_bfe_i32 v126, v88, 0, 8
	v_bfe_i32 v127, v88, 8, 8
	v_bfe_u32 v135, v13, 4, 4
	v_mul_i32_i24_e32 v131, v131, v105
	s_waitcnt lgkmcnt(5)
	v_and_b32_e32 v159, 15, v91
	v_bfe_u32 v160, v91, 8, 4
	v_bfe_u32 v161, v91, 16, 4
	v_bfe_u32 v162, v91, 24, 4
	v_bfe_u32 v164, v91, 12, 4
	v_and_b32_e32 v166, 15, v92
	v_bfe_u32 v167, v92, 8, 4
	v_bfe_u32 v168, v92, 16, 4
	;; [unrolled: 1-line block ×5, first 2 shown]
	s_waitcnt lgkmcnt(4)
	v_and_b32_e32 v173, 15, v93
	v_bfe_u32 v174, v93, 8, 4
	v_bfe_u32 v175, v93, 16, 4
	;; [unrolled: 1-line block ×5, first 2 shown]
	v_and_b32_e32 v180, 15, v94
	v_bfe_u32 v181, v94, 8, 4
	v_bfe_u32 v182, v94, 16, 4
	;; [unrolled: 1-line block ×5, first 2 shown]
	s_waitcnt lgkmcnt(3)
	v_and_b32_e32 v187, 15, v95
	s_waitcnt lgkmcnt(1)
	v_and_b32_e32 v215, 15, v99
	v_bfe_i32 v110, v85, 16, 8
	v_ashrrev_i32_e32 v85, 24, v85
	v_bfe_i32 v116, v86, 16, 8
	v_ashrrev_i32_e32 v86, 24, v86
	v_bfe_u32 v130, v13, 20, 4
	v_bfe_u32 v132, v13, 8, 4
	v_bfe_u32 v133, v13, 16, 4
	v_bfe_u32 v134, v13, 24, 4
	v_bfe_u32 v136, v13, 12, 4
	v_lshrrev_b32_e32 v13, 28, v13
	v_bfe_u32 v137, v14, 20, 4
	v_and_b32_e32 v138, 15, v14
	v_bfe_u32 v139, v14, 8, 4
	v_bfe_u32 v140, v14, 16, 4
	;; [unrolled: 1-line block ×5, first 2 shown]
	v_lshrrev_b32_e32 v14, 28, v14
	v_and_b32_e32 v145, 15, v89
	v_bfe_u32 v146, v89, 8, 4
	v_bfe_u32 v158, v91, 20, 4
	;; [unrolled: 1-line block ×3, first 2 shown]
	v_lshrrev_b32_e32 v91, 28, v91
	v_bfe_u32 v165, v92, 20, 4
	v_lshrrev_b32_e32 v92, 28, v92
	v_bfe_u32 v186, v95, 20, 4
	v_bfe_u32 v188, v95, 8, 4
	;; [unrolled: 1-line block ×6, first 2 shown]
	v_lshrrev_b32_e32 v95, 28, v95
	v_bfe_u32 v193, v96, 20, 4
	v_and_b32_e32 v194, 15, v96
	v_bfe_u32 v195, v96, 8, 4
	v_bfe_u32 v196, v96, 16, 4
	;; [unrolled: 1-line block ×5, first 2 shown]
	v_lshrrev_b32_e32 v96, 28, v96
	v_and_b32_e32 v201, 15, v97
	v_bfe_u32 v202, v97, 8, 4
	v_bfe_u32 v214, v99, 20, 4
	;; [unrolled: 1-line block ×7, first 2 shown]
	v_lshrrev_b32_e32 v99, 28, v99
	v_bfe_u32 v221, v100, 20, 4
	v_and_b32_e32 v222, 15, v100
	v_bfe_u32 v223, v100, 8, 4
	v_bfe_u32 v224, v100, 16, 4
	;; [unrolled: 1-line block ×5, first 2 shown]
	v_lshrrev_b32_e32 v100, 28, v100
	s_waitcnt lgkmcnt(0)
	v_and_b32_e32 v229, 15, v101
	v_bfe_u32 v230, v101, 8, 4
	v_mad_i32_i24 v131, v135, v108, v131
	v_mul_i32_i24_e32 v135, v159, v105
	v_mul_i32_i24_e32 v159, v160, v106
	;; [unrolled: 1-line block ×25, first 2 shown]
	v_bfe_u32 v147, v89, 16, 4
	v_mul_i32_i24_e32 v13, v13, v85
	v_mul_i32_i24_e32 v138, v138, v111
	;; [unrolled: 1-line block ×10, first 2 shown]
	v_bfe_u32 v203, v97, 16, 4
	v_bfe_u32 v231, v101, 16, 4
	v_mul_i32_i24_e32 v91, v91, v85
	v_mul_i32_i24_e32 v165, v165, v116
	;; [unrolled: 1-line block ×28, first 2 shown]
	v_mad_i32_i24 v117, v163, v108, v135
	v_mad_i32_i24 v118, v191, v108, v185
	;; [unrolled: 1-line block ×3, first 2 shown]
	v_mul_i32_i24_e32 v132, v132, v106
	v_mul_i32_i24_e32 v147, v147, v119
	;; [unrolled: 1-line block ×5, first 2 shown]
	v_add3_u32 v119, v131, v138, v142
	v_add3_u32 v117, v117, v164, v169
	;; [unrolled: 1-line block ×4, first 2 shown]
	v_bfe_u32 v149, v89, 4, 4
	v_and_b32_e32 v152, 15, v90
	v_mul_i32_i24_e32 v133, v133, v107
	v_mul_i32_i24_e32 v134, v134, v81
	v_bfe_u32 v204, v97, 24, 4
	v_bfe_u32 v205, v97, 4, 4
	;; [unrolled: 1-line block ×3, first 2 shown]
	v_and_b32_e32 v208, 15, v98
	v_bfe_u32 v233, v101, 4, 4
	v_and_b32_e32 v236, 15, v102
	v_mul_i32_i24_e32 v107, v217, v107
	v_mul_i32_i24_e32 v81, v218, v81
	v_add3_u32 v113, v119, v145, v132
	v_add3_u32 v117, v117, v171, v159
	;; [unrolled: 1-line block ×4, first 2 shown]
	v_mul_i32_i24_e32 v149, v149, v120
	v_mul_i32_i24_e32 v152, v152, v123
	;; [unrolled: 1-line block ×8, first 2 shown]
	v_add3_u32 v106, v113, v133, v134
	v_add3_u32 v113, v117, v160, v161
	;; [unrolled: 1-line block ×4, first 2 shown]
	v_mul_i32_i24_e32 v136, v136, v109
	v_mul_i32_i24_e32 v130, v130, v110
	;; [unrolled: 1-line block ×6, first 2 shown]
	v_add3_u32 v99, v106, v149, v152
	v_add3_u32 v106, v113, v176, v178
	;; [unrolled: 1-line block ×4, first 2 shown]
	v_bfe_u32 v156, v90, 4, 4
	v_add3_u32 v99, v99, v136, v130
	v_add3_u32 v105, v106, v162, v158
	;; [unrolled: 1-line block ×4, first 2 shown]
	v_mul_i32_i24_e32 v141, v141, v82
	v_bfe_u32 v209, v98, 8, 4
	v_bfe_u32 v210, v98, 16, 4
	;; [unrolled: 1-line block ×5, first 2 shown]
	v_mul_i32_i24_e32 v82, v225, v82
	v_add3_u32 v13, v99, v13, v139
	v_add3_u32 v91, v105, v91, v166
	;; [unrolled: 1-line block ×4, first 2 shown]
	v_bfe_i32 v122, v87, 16, 8
	v_ashrrev_i32_e32 v87, 24, v87
	v_bfe_u32 v144, v89, 20, 4
	v_bfe_u32 v148, v89, 24, 4
	v_bfe_u32 v150, v89, 12, 4
	v_lshrrev_b32_e32 v89, 28, v89
	v_mul_i32_i24_e32 v156, v156, v126
	v_bfe_u32 v172, v93, 20, 4
	v_lshrrev_b32_e32 v93, 28, v93
	v_bfe_u32 v200, v97, 20, 4
	v_lshrrev_b32_e32 v97, 28, v97
	v_bfe_u32 v228, v101, 20, 4
	v_bfe_u32 v232, v101, 24, 4
	;; [unrolled: 1-line block ×3, first 2 shown]
	v_lshrrev_b32_e32 v101, 28, v101
	v_mul_i32_i24_e32 v208, v209, v124
	v_mul_i32_i24_e32 v209, v210, v125
	;; [unrolled: 1-line block ×5, first 2 shown]
	v_add3_u32 v13, v13, v140, v141
	v_add3_u32 v91, v91, v167, v168
	;; [unrolled: 1-line block ×4, first 2 shown]
	v_mul_i32_i24_e32 v89, v89, v87
	v_mul_i32_i24_e32 v93, v93, v87
	;; [unrolled: 1-line block ×4, first 2 shown]
	v_add3_u32 v13, v13, v156, v143
	v_add3_u32 v87, v91, v183, v170
	v_add3_u32 v91, v95, v211, v198
	v_add3_u32 v81, v81, v85, v114
	v_mul_i32_i24_e32 v148, v148, v83
	v_add3_u32 v13, v13, v137, v14
	v_add3_u32 v14, v87, v165, v92
	;; [unrolled: 1-line block ×4, first 2 shown]
	v_mul_i32_i24_e32 v150, v150, v121
	v_mul_i32_i24_e32 v83, v232, v83
	;; [unrolled: 1-line block ×3, first 2 shown]
	v_add3_u32 v13, v13, v146, v147
	v_add3_u32 v14, v14, v173, v174
	;; [unrolled: 1-line block ×4, first 2 shown]
	v_bfe_u32 v153, v90, 8, 4
	v_bfe_u32 v154, v90, 16, 4
	v_mul_i32_i24_e32 v144, v144, v122
	v_bfe_u32 v237, v102, 8, 4
	v_bfe_u32 v238, v102, 16, 4
	v_mul_i32_i24_e32 v172, v172, v122
	v_mul_i32_i24_e32 v200, v200, v122
	v_mul_i32_i24_e32 v107, v228, v122
	v_add3_u32 v13, v13, v148, v150
	v_add3_u32 v14, v14, v175, v177
	;; [unrolled: 1-line block ×4, first 2 shown]
	v_bfe_u32 v155, v90, 24, 4
	v_bfe_u32 v157, v90, 12, 4
	v_mul_i32_i24_e32 v153, v153, v124
	v_mul_i32_i24_e32 v154, v154, v125
	v_bfe_u32 v213, v98, 12, 4
	v_bfe_u32 v239, v102, 24, 4
	;; [unrolled: 1-line block ×3, first 2 shown]
	v_mul_i32_i24_e32 v85, v237, v124
	v_mul_i32_i24_e32 v86, v238, v125
	v_add3_u32 v13, v13, v144, v89
	v_add3_u32 v14, v14, v172, v93
	;; [unrolled: 1-line block ×4, first 2 shown]
	v_bfe_i32 v128, v88, 16, 8
	v_ashrrev_i32_e32 v88, 24, v88
	v_bfe_u32 v151, v90, 20, 4
	v_lshrrev_b32_e32 v90, 28, v90
	v_mul_i32_i24_e32 v155, v155, v84
	v_mul_i32_i24_e32 v157, v157, v127
	v_bfe_u32 v179, v94, 20, 4
	v_lshrrev_b32_e32 v94, 28, v94
	v_bfe_u32 v207, v98, 20, 4
	v_lshrrev_b32_e32 v98, 28, v98
	;; [unrolled: 2-line block ×3, first 2 shown]
	v_mul_i32_i24_e32 v212, v213, v127
	v_mul_i32_i24_e32 v84, v239, v84
	;; [unrolled: 1-line block ×3, first 2 shown]
	v_add3_u32 v13, v13, v153, v154
	v_add3_u32 v14, v14, v180, v181
	;; [unrolled: 1-line block ×4, first 2 shown]
	v_lshrrev_b32_e32 v129, 16, v7
	v_mul_i32_i24_e32 v151, v151, v128
	v_mul_i32_i24_e32 v90, v90, v88
	v_mul_i32_i24_e32 v179, v179, v128
	v_mul_i32_i24_e32 v94, v94, v88
	v_mul_i32_i24_e32 v207, v207, v128
	v_mul_i32_i24_e32 v98, v98, v88
	v_mul_i32_i24_e32 v82, v235, v128
	v_mul_i32_i24_e32 v85, v102, v88
	v_add3_u32 v13, v13, v155, v157
	v_add3_u32 v14, v14, v182, v184
	;; [unrolled: 1-line block ×4, first 2 shown]
	v_cvt_f32_f16_e64 v83, v129
	v_add3_u32 v13, v13, v151, v90
	v_add3_u32 v14, v14, v179, v94
	;; [unrolled: 1-line block ×4, first 2 shown]
	v_dual_mul_f32 v82, 0xc1000000, v83 :: v_dual_add_nc_u32 v5, 4, v5
	v_cvt_f32_i32_e32 v13, v13
	v_cvt_f32_i32_e32 v14, v14
	;; [unrolled: 1-line block ×4, first 2 shown]
	s_delay_alu instid0(VALU_DEP_4) | instskip(NEXT) | instid1(VALU_DEP_4)
	v_fma_mix_f32 v13, v7, v13, v82 op_sel_hi:[1,0,0]
	v_fma_mix_f32 v14, v7, v14, v82 op_sel_hi:[1,0,0]
	s_delay_alu instid0(VALU_DEP_4) | instskip(NEXT) | instid1(VALU_DEP_4)
	v_fma_mix_f32 v83, v7, v83, v82 op_sel_hi:[1,0,0]
	v_fma_mix_f32 v7, v7, v81, v82 op_sel_hi:[1,0,0]
	s_delay_alu instid0(VALU_DEP_4) | instskip(NEXT) | instid1(VALU_DEP_4)
	v_dual_fmac_f32 v17, v12, v13 :: v_dual_add_nc_u32 v6, 4, v6
	v_dual_fmac_f32 v59, v11, v14 :: v_dual_add_nc_u32 v4, 4, v4
	s_delay_alu instid0(VALU_DEP_4) | instskip(NEXT) | instid1(VALU_DEP_4)
	v_dual_fmac_f32 v51, v103, v83 :: v_dual_add_nc_u32 v2, 16, v2
	v_fmac_f32_e32 v8, v104, v7
	s_cbranch_scc1 .LBB177_20
; %bb.21:                               ;   in Loop: Header=BB177_5 Depth=1
	s_barrier
	buffer_gl0_inv
	s_branch .LBB177_4
.LBB177_22:
	s_mul_i32 s0, s7, s4
	s_waitcnt vmcnt(0)
	v_cmp_gt_i32_e32 vcc_lo, s0, v15
	s_and_saveexec_b32 s0, vcc_lo
	s_cbranch_execz .LBB177_31
; %bb.23:
	v_mul_lo_u32 v0, v15, s6
	v_add_nc_u32_e32 v1, s14, v16
	s_mov_b32 s0, exec_lo
	s_delay_alu instid0(VALU_DEP_1)
	v_cmpx_gt_u32_e64 s6, v1
	s_cbranch_execz .LBB177_25
; %bb.24:
	s_delay_alu instid0(VALU_DEP_3) | instskip(NEXT) | instid1(VALU_DEP_1)
	v_dual_mov_b32 v3, 0 :: v_dual_add_nc_u32 v2, v0, v1
	v_lshlrev_b64 v[2:3], 2, v[2:3]
	s_delay_alu instid0(VALU_DEP_1) | instskip(NEXT) | instid1(VALU_DEP_2)
	v_add_co_u32 v2, vcc_lo, s8, v2
	v_add_co_ci_u32_e32 v3, vcc_lo, s9, v3, vcc_lo
	global_store_b32 v[2:3], v17, off
.LBB177_25:
	s_or_b32 exec_lo, exec_lo, s0
	v_add_nc_u32_e32 v2, 32, v1
	s_mov_b32 s0, exec_lo
	s_delay_alu instid0(VALU_DEP_1)
	v_cmpx_gt_u32_e64 s6, v2
	s_cbranch_execz .LBB177_27
; %bb.26:
	v_dual_mov_b32 v3, 0 :: v_dual_add_nc_u32 v2, v0, v2
	s_delay_alu instid0(VALU_DEP_1) | instskip(NEXT) | instid1(VALU_DEP_1)
	v_lshlrev_b64 v[2:3], 2, v[2:3]
	v_add_co_u32 v2, vcc_lo, s8, v2
	s_delay_alu instid0(VALU_DEP_2)
	v_add_co_ci_u32_e32 v3, vcc_lo, s9, v3, vcc_lo
	global_store_b32 v[2:3], v59, off
.LBB177_27:
	s_or_b32 exec_lo, exec_lo, s0
	v_add_nc_u32_e32 v2, 64, v1
	s_mov_b32 s0, exec_lo
	s_delay_alu instid0(VALU_DEP_1)
	v_cmpx_gt_u32_e64 s6, v2
	s_cbranch_execz .LBB177_29
; %bb.28:
	v_dual_mov_b32 v3, 0 :: v_dual_add_nc_u32 v2, v0, v2
	s_delay_alu instid0(VALU_DEP_1) | instskip(NEXT) | instid1(VALU_DEP_1)
	v_lshlrev_b64 v[2:3], 2, v[2:3]
	v_add_co_u32 v2, vcc_lo, s8, v2
	s_delay_alu instid0(VALU_DEP_2)
	v_add_co_ci_u32_e32 v3, vcc_lo, s9, v3, vcc_lo
	global_store_b32 v[2:3], v51, off
.LBB177_29:
	s_or_b32 exec_lo, exec_lo, s0
	v_add_nc_u32_e32 v1, 0x60, v1
	s_delay_alu instid0(VALU_DEP_1)
	v_cmp_gt_u32_e32 vcc_lo, s6, v1
	s_and_b32 exec_lo, exec_lo, vcc_lo
	s_cbranch_execz .LBB177_31
; %bb.30:
	v_dual_mov_b32 v1, 0 :: v_dual_add_nc_u32 v0, v0, v1
	s_delay_alu instid0(VALU_DEP_1) | instskip(NEXT) | instid1(VALU_DEP_1)
	v_lshlrev_b64 v[0:1], 2, v[0:1]
	v_add_co_u32 v0, vcc_lo, s8, v0
	s_delay_alu instid0(VALU_DEP_2)
	v_add_co_ci_u32_e32 v1, vcc_lo, s9, v1, vcc_lo
	global_store_b32 v[0:1], v8, off
.LBB177_31:
	s_nop 0
	s_sendmsg sendmsg(MSG_DEALLOC_VGPRS)
	s_endpgm
	.section	.rodata,"a",@progbits
	.p2align	6, 0x0
	.amdhsa_kernel _ZL8moe_q4_0IfLb0EEvPKvS1_PT_PKiS5_S5_iiiiiii
		.amdhsa_group_segment_fixed_size 22272
		.amdhsa_private_segment_fixed_size 0
		.amdhsa_kernarg_size 76
		.amdhsa_user_sgpr_count 14
		.amdhsa_user_sgpr_dispatch_ptr 0
		.amdhsa_user_sgpr_queue_ptr 0
		.amdhsa_user_sgpr_kernarg_segment_ptr 1
		.amdhsa_user_sgpr_dispatch_id 0
		.amdhsa_user_sgpr_private_segment_size 0
		.amdhsa_wavefront_size32 1
		.amdhsa_uses_dynamic_stack 0
		.amdhsa_enable_private_segment 0
		.amdhsa_system_sgpr_workgroup_id_x 1
		.amdhsa_system_sgpr_workgroup_id_y 1
		.amdhsa_system_sgpr_workgroup_id_z 0
		.amdhsa_system_sgpr_workgroup_info 0
		.amdhsa_system_vgpr_workitem_id 1
		.amdhsa_next_free_vgpr 242
		.amdhsa_next_free_sgpr 20
		.amdhsa_reserve_vcc 1
		.amdhsa_float_round_mode_32 0
		.amdhsa_float_round_mode_16_64 0
		.amdhsa_float_denorm_mode_32 3
		.amdhsa_float_denorm_mode_16_64 3
		.amdhsa_dx10_clamp 1
		.amdhsa_ieee_mode 1
		.amdhsa_fp16_overflow 0
		.amdhsa_workgroup_processor_mode 1
		.amdhsa_memory_ordered 1
		.amdhsa_forward_progress 0
		.amdhsa_shared_vgpr_count 0
		.amdhsa_exception_fp_ieee_invalid_op 0
		.amdhsa_exception_fp_denorm_src 0
		.amdhsa_exception_fp_ieee_div_zero 0
		.amdhsa_exception_fp_ieee_overflow 0
		.amdhsa_exception_fp_ieee_underflow 0
		.amdhsa_exception_fp_ieee_inexact 0
		.amdhsa_exception_int_div_zero 0
	.end_amdhsa_kernel
	.section	.text._ZL8moe_q4_0IfLb0EEvPKvS1_PT_PKiS5_S5_iiiiiii,"axG",@progbits,_ZL8moe_q4_0IfLb0EEvPKvS1_PT_PKiS5_S5_iiiiiii,comdat
.Lfunc_end177:
	.size	_ZL8moe_q4_0IfLb0EEvPKvS1_PT_PKiS5_S5_iiiiiii, .Lfunc_end177-_ZL8moe_q4_0IfLb0EEvPKvS1_PT_PKiS5_S5_iiiiiii
                                        ; -- End function
	.section	.AMDGPU.csdata,"",@progbits
; Kernel info:
; codeLenInByte = 7544
; NumSgprs: 22
; NumVgprs: 242
; ScratchSize: 0
; MemoryBound: 0
; FloatMode: 240
; IeeeMode: 1
; LDSByteSize: 22272 bytes/workgroup (compile time only)
; SGPRBlocks: 2
; VGPRBlocks: 30
; NumSGPRsForWavesPerEU: 22
; NumVGPRsForWavesPerEU: 242
; Occupancy: 5
; WaveLimiterHint : 1
; COMPUTE_PGM_RSRC2:SCRATCH_EN: 0
; COMPUTE_PGM_RSRC2:USER_SGPR: 14
; COMPUTE_PGM_RSRC2:TRAP_HANDLER: 0
; COMPUTE_PGM_RSRC2:TGID_X_EN: 1
; COMPUTE_PGM_RSRC2:TGID_Y_EN: 1
; COMPUTE_PGM_RSRC2:TGID_Z_EN: 0
; COMPUTE_PGM_RSRC2:TIDIG_COMP_CNT: 1
	.section	.text._ZL8moe_q4_0IfLb1EEvPKvS1_PT_PKiS5_S5_iiiiiii,"axG",@progbits,_ZL8moe_q4_0IfLb1EEvPKvS1_PT_PKiS5_S5_iiiiiii,comdat
	.globl	_ZL8moe_q4_0IfLb1EEvPKvS1_PT_PKiS5_S5_iiiiiii ; -- Begin function _ZL8moe_q4_0IfLb1EEvPKvS1_PT_PKiS5_S5_iiiiiii
	.p2align	8
	.type	_ZL8moe_q4_0IfLb1EEvPKvS1_PT_PKiS5_S5_iiiiiii,@function
_ZL8moe_q4_0IfLb1EEvPKvS1_PT_PKiS5_S5_iiiiiii: ; @_ZL8moe_q4_0IfLb1EEvPKvS1_PT_PKiS5_S5_iiiiiii
; %bb.0:
	s_load_b128 s[4:7], s[0:1], 0x18
	s_mov_b32 s2, s15
	s_mov_b32 s3, 0
	s_delay_alu instid0(SALU_CYCLE_1)
	s_lshl_b64 s[8:9], s[2:3], 2
	s_waitcnt lgkmcnt(0)
	s_add_u32 s6, s6, s8
	s_addc_u32 s7, s7, s9
	s_load_b32 s15, s[6:7], 0x0
	s_waitcnt lgkmcnt(0)
	s_cmpk_gt_u32 s15, 0xff
	s_cbranch_scc1 .LBB178_31
; %bb.1:
	s_load_b64 s[6:7], s[0:1], 0x28
	s_lshl_b32 s2, s2, 3
	s_waitcnt lgkmcnt(0)
	s_load_b32 s3, s[6:7], 0x0
	s_waitcnt lgkmcnt(0)
	s_cmp_gt_u32 s2, s3
	s_cbranch_scc1 .LBB178_31
; %bb.2:
	v_bfe_u32 v1, v0, 10, 10
	s_delay_alu instid0(VALU_DEP_1) | instskip(NEXT) | instid1(VALU_DEP_1)
	v_dual_mov_b32 v22, 0 :: v_dual_add_nc_u32 v21, s2, v1
	v_dual_mov_b32 v55, v22 :: v_dual_and_b32 v32, 0x3ff, v0
	v_mov_b32_e32 v59, v22
	v_mov_b32_e32 v33, v22
	s_delay_alu instid0(VALU_DEP_4) | instskip(NEXT) | instid1(VALU_DEP_1)
	v_lshlrev_b64 v[2:3], 2, v[21:22]
	v_add_co_u32 v2, vcc_lo, s4, v2
	s_delay_alu instid0(VALU_DEP_2)
	v_add_co_ci_u32_e32 v3, vcc_lo, s5, v3, vcc_lo
	global_load_b32 v31, v[2:3], off
	s_clause 0x1
	s_load_b256 s[4:11], s[0:1], 0x30
	s_load_b64 s[12:13], s[0:1], 0x10
	s_waitcnt lgkmcnt(0)
	s_lshl_b32 s11, s14, 7
	s_cmp_lt_i32 s5, 32
	s_cbranch_scc1 .LBB178_22
; %bb.3:
	s_load_b128 s[0:3], s[0:1], 0x0
	s_ashr_i32 s14, s5, 31
	s_mul_i32 s15, s15, s4
	s_lshr_b32 s4, s14, 27
	s_ashr_i32 s16, s8, 31
	s_add_i32 s4, s5, s4
	s_lshr_b32 s14, s16, 27
	s_ashr_i32 s4, s4, 5
	s_add_i32 s8, s8, s14
	s_mul_i32 s14, s4, s11
	s_ashr_i32 s16, s15, 31
	s_ashr_i32 s8, s8, 5
	s_mul_hi_i32 s17, s14, 18
	s_mul_i32 s14, s14, 18
	v_dual_mov_b32 v33, 0 :: v_dual_add_nc_u32 v2, 8, v1
	v_lshlrev_b32_e32 v0, 2, v32
	v_add_nc_u32_e32 v3, 16, v1
	v_add_nc_u32_e32 v5, 24, v1
	;; [unrolled: 1-line block ×3, first 2 shown]
	s_waitcnt lgkmcnt(0)
	s_add_u32 s0, s0, s15
	s_addc_u32 s1, s1, s16
	s_add_u32 s16, s0, s14
	s_addc_u32 s17, s1, s17
	s_not_b32 s0, s11
	s_abs_i32 s1, s10
	s_add_i32 s0, s0, s6
	v_add_nc_u32_e32 v23, 0x78, v1
	v_min_i32_e32 v4, s0, v1
	v_min_i32_e32 v2, s0, v2
	;; [unrolled: 1-line block ×3, first 2 shown]
	v_lshrrev_b32_e32 v49, 3, v32
	s_sub_i32 s6, 0, s1
	v_mad_u64_u32 v[8:9], null, 0x84, v4, v[0:1]
	v_mul_lo_u32 v37, v2, s4
	v_mad_u64_u32 v[9:10], null, 0x84, v2, v[0:1]
	v_min_i32_e32 v2, s0, v5
	v_mul_lo_u32 v36, v4, s4
	v_add_nc_u32_e32 v4, 32, v1
	v_mul_lo_u32 v38, v3, s4
	v_mad_u64_u32 v[10:11], null, 0x84, v3, v[0:1]
	v_add_nc_u32_e32 v3, 40, v1
	v_mul_lo_u32 v39, v2, s4
	v_mad_u64_u32 v[11:12], null, 0x84, v2, v[0:1]
	v_add_nc_u32_e32 v2, 48, v1
	v_min_i32_e32 v4, s0, v4
	v_min_i32_e32 v3, s0, v3
	v_cvt_f32_u32_e32 v5, s1
	s_waitcnt vmcnt(0)
	v_sub_nc_u32_e32 v27, 0, v31
	v_min_i32_e32 v2, s0, v2
	v_mul_lo_u32 v40, v4, s4
	v_mad_u64_u32 v[12:13], null, 0x84, v4, v[0:1]
	v_add_nc_u32_e32 v4, 56, v1
	v_mul_lo_u32 v41, v3, s4
	v_mad_u64_u32 v[13:14], null, 0x84, v3, v[0:1]
	v_add_nc_u32_e32 v3, 64, v1
	;; [unrolled: 3-line block ×3, first 2 shown]
	v_min_i32_e32 v4, s0, v4
	v_min_i32_e32 v3, s0, v3
	v_max_i32_e32 v27, v31, v27
	v_and_b32_e32 v53, 7, v32
	v_min_i32_e32 v2, s0, v2
	v_mul_lo_u32 v43, v4, s4
	v_mad_u64_u32 v[15:16], null, 0x84, v4, v[0:1]
	v_add_nc_u32_e32 v4, 0x50, v1
	v_mul_lo_u32 v44, v3, s4
	v_mad_u64_u32 v[16:17], null, 0x84, v3, v[0:1]
	v_add_nc_u32_e32 v3, 0x58, v1
	;; [unrolled: 3-line block ×3, first 2 shown]
	v_min_i32_e32 v4, s0, v4
	v_min_i32_e32 v3, s0, v3
	v_lshlrev_b32_e32 v28, 2, v53
	v_lshlrev_b32_e32 v59, 7, v1
	v_min_i32_e32 v2, s0, v2
	v_mad_u64_u32 v[18:19], null, 0x84, v4, v[0:1]
	v_mad_u64_u32 v[19:20], null, 0x84, v3, v[0:1]
	s_delay_alu instid0(VALU_DEP_3)
	v_mul_lo_u32 v48, v2, s4
	v_mad_u64_u32 v[20:21], null, 0x84, v2, v[0:1]
	v_rcp_iflag_f32_e32 v2, v5
	v_mul_lo_u32 v47, v3, s4
	v_add_nc_u32_e32 v3, 0x68, v1
	v_min_i32_e32 v5, s0, v6
	v_mul_lo_u32 v46, v4, s4
	v_lshlrev_b32_e32 v4, 2, v1
	v_and_b32_e32 v65, 0xfc, v32
	v_min_i32_e32 v3, s0, v3
	v_mul_lo_u32 v51, v5, s4
	v_lshrrev_b32_e32 v34, 2, v32
	v_dual_mul_f32 v2, 0x4f7ffffe, v2 :: v_dual_add_nc_u32 v7, v49, v4
	s_delay_alu instid0(VALU_DEP_4) | instskip(SKIP_1) | instid1(VALU_DEP_3)
	v_mad_u64_u32 v[21:22], null, 0x84, v3, v[0:1]
	v_min_i32_e32 v22, s0, v23
	v_cvt_u32_f32_e32 v2, v2
	v_mad_u64_u32 v[23:24], null, 0x84, v5, v[0:1]
	v_add_nc_u32_e32 v5, 32, v7
	s_delay_alu instid0(VALU_DEP_4)
	v_mul_lo_u32 v52, v22, s4
	v_mad_u64_u32 v[24:25], null, 0x84, v22, v[0:1]
	v_mul_lo_u32 v22, s6, v2
	v_add_nc_u32_e32 v25, 64, v7
	v_min_i32_e32 v6, s0, v7
	v_min_i32_e32 v5, s0, v5
	v_add_nc_u32_e32 v7, 0x60, v7
	v_mul_lo_u32 v50, v3, s4
	v_min_i32_e32 v25, s0, v25
	v_ashrrev_i32_e32 v3, 31, v6
	v_mul_hi_u32 v22, v2, v22
	v_ashrrev_i32_e32 v26, 31, v5
	v_min_i32_e32 v7, s0, v7
	v_ashrrev_i32_e32 v29, 31, v25
	v_mul_lo_u32 v57, v25, s4
	v_lshrrev_b32_e32 v3, 30, v3
	v_lshrrev_b32_e32 v26, 30, v26
	v_or_b32_e32 v4, v4, v32
	v_add_nc_u32_e32 v2, v2, v22
	v_lshrrev_b32_e32 v22, 30, v29
	v_ashrrev_i32_e32 v29, 31, v7
	v_add_nc_u32_e32 v26, v5, v26
	v_add_nc_u32_e32 v3, v6, v3
	v_mul_hi_u32 v2, v27, v2
	v_add_nc_u32_e32 v22, v25, v22
	v_lshrrev_b32_e32 v29, 30, v29
	v_and_b32_e32 v26, -4, v26
	v_and_b32_e32 v3, -4, v3
	v_lshl_add_u32 v61, v4, 2, 0x5680
	v_and_b32_e32 v22, -4, v22
	v_add_nc_u32_e32 v29, v7, v29
	v_mul_lo_u32 v30, v2, s1
	v_add3_u32 v55, v26, v28, 0x4200
	v_add3_u32 v3, v3, v28, 0x4200
	;; [unrolled: 1-line block ×3, first 2 shown]
	v_and_b32_e32 v26, -4, v29
	v_lshlrev_b32_e32 v29, 5, v25
	v_add_nc_u32_e32 v4, 64, v32
	v_mul_lo_u32 v54, v6, s4
	v_sub_nc_u32_e32 v25, v27, v30
	v_add3_u32 v27, v26, v28, 0x4200
	v_add_nc_u32_e32 v26, 1, v2
	v_and_b32_e32 v28, 31, v32
	v_and_b32_e32 v4, 0x1fc, v4
	v_subrev_nc_u32_e32 v30, s1, v25
	v_cmp_le_u32_e32 vcc_lo, s1, v25
	v_lshlrev_b32_e32 v6, 5, v6
	v_lshl_or_b32 v28, v28, 2, v59
	v_mul_lo_u32 v56, v5, s4
	v_dual_cndmask_b32 v2, v2, v26 :: v_dual_lshlrev_b32 v5, 5, v5
	v_cndmask_b32_e32 v25, v25, v30, vcc_lo
	v_xor_b32_e32 v26, s10, v31
	v_add_nc_u32_e32 v60, 0x5280, v28
	v_add_nc_u32_e32 v28, 0x60, v32
	;; [unrolled: 1-line block ×3, first 2 shown]
	v_cmp_le_u32_e32 vcc_lo, s1, v25
	v_and_b32_e32 v35, 12, v0
	v_and_b32_e32 v0, 28, v0
	v_ashrrev_i32_e32 v62, 31, v26
	v_and_b32_e32 v28, 0x1fc, v28
	v_cndmask_b32_e32 v2, v2, v30, vcc_lo
	v_lshlrev_b32_e32 v30, 5, v32
	v_add_co_u32 v25, s0, s2, v0
	v_mul_lo_u32 v58, v7, s4
	s_delay_alu instid0(VALU_DEP_4) | instskip(SKIP_3) | instid1(VALU_DEP_4)
	v_xor_b32_e32 v0, v2, v62
	v_add_nc_u32_e32 v2, 32, v32
	v_lshlrev_b32_e32 v7, 5, v7
	v_add_co_ci_u32_e64 v26, null, s3, 0, s0
	v_sub_nc_u32_e32 v0, v0, v62
	s_delay_alu instid0(VALU_DEP_4)
	v_lshrrev_b32_e32 v63, 3, v2
	v_and_b32_e32 v2, 0x1fc, v2
	v_add_nc_u32_e32 v4, v30, v4
	v_cmp_gt_u32_e32 vcc_lo, 4, v32
	v_mul_lo_u32 v64, v0, s8
	v_cmp_gt_i32_e64 s0, s7, v0
	v_add_nc_u32_e32 v0, v30, v28
	v_add_nc_u32_e32 v2, v30, v2
	;; [unrolled: 1-line block ×3, first 2 shown]
	v_mul_u32_u24_e32 v62, 0x84, v32
	v_add_nc_u32_e32 v67, 0x4a00, v4
	v_add_nc_u32_e32 v66, 0x4e00, v0
	v_ashrrev_i32_e32 v65, 31, v64
	v_add_nc_u32_e32 v68, 0x4600, v2
	v_add_nc_u32_e32 v69, 0x4200, v28
	;; [unrolled: 1-line block ×3, first 2 shown]
	v_lshl_add_u32 v71, v1, 4, 0x5680
	v_add_nc_u32_e32 v72, 0x4e10, v0
	v_add_nc_u32_e32 v73, 0x4a10, v4
	;; [unrolled: 1-line block ×4, first 2 shown]
	v_mad_u32_u24 v76, 0x84, v32, 64
	v_add_nc_u32_e32 v77, v3, v6
	v_add_nc_u32_e32 v78, v55, v5
	;; [unrolled: 1-line block ×3, first 2 shown]
	v_dual_mov_b32 v59, 0 :: v_dual_add_nc_u32 v80, v27, v7
	v_dual_mov_b32 v55, 0 :: v_dual_mov_b32 v22, 0
	s_add_u32 s14, s2, 0x90
	s_mov_b32 s6, 0
	s_addc_u32 s15, s3, 0
	s_branch .LBB178_5
.LBB178_4:                              ;   in Loop: Header=BB178_5 Depth=1
	s_add_i32 s6, s6, 8
	s_delay_alu instid0(SALU_CYCLE_1)
	s_cmp_ge_i32 s6, s4
	s_cbranch_scc1 .LBB178_22
.LBB178_5:                              ; =>This Loop Header: Depth=1
                                        ;     Child Loop BB178_12 Depth 2
                                        ;     Child Loop BB178_20 Depth 2
	s_mul_i32 s1, s6, 18
	s_mul_hi_u32 s19, s6, 18
	s_add_u32 s18, s16, s1
	s_addc_u32 s19, s17, s19
	s_delay_alu instid0(SALU_CYCLE_1) | instskip(SKIP_2) | instid1(SALU_CYCLE_1)
	v_mad_u64_u32 v[0:1], null, v34, 18, s[18:19]
	v_mad_u64_u32 v[87:88], null, v53, 18, s[18:19]
	s_lshl_b32 s18, s6, 5
	s_cmp_lt_i32 s18, s5
	s_delay_alu instid0(VALU_DEP_2) | instskip(NEXT) | instid1(VALU_DEP_1)
	v_add_co_u32 v0, s1, v0, v35
	v_add_co_ci_u32_e64 v1, s1, 0, v1, s1
	s_delay_alu instid0(VALU_DEP_2) | instskip(NEXT) | instid1(VALU_DEP_1)
	v_add_co_u32 v0, s1, v0, 2
	v_add_co_ci_u32_e64 v1, s1, 0, v1, s1
	s_delay_alu instid0(VALU_DEP_1)
	v_mad_i64_i32 v[2:3], null, v36, 18, v[0:1]
	v_mad_i64_i32 v[4:5], null, v37, 18, v[0:1]
	;; [unrolled: 1-line block ×8, first 2 shown]
	s_clause 0x7
	global_load_b32 v89, v[2:3], off
	global_load_b32 v90, v[4:5], off
	;; [unrolled: 1-line block ×8, first 2 shown]
	v_mad_i64_i32 v[2:3], null, v54, 18, v[87:88]
	v_mad_i64_i32 v[4:5], null, v56, 18, v[87:88]
	;; [unrolled: 1-line block ×6, first 2 shown]
	s_clause 0x3
	global_load_u16 v87, v[2:3], off
	global_load_u16 v88, v[4:5], off
	;; [unrolled: 1-line block ×4, first 2 shown]
	v_mad_i64_i32 v[2:3], null, v46, 18, v[0:1]
	v_mad_i64_i32 v[4:5], null, v47, 18, v[0:1]
	;; [unrolled: 1-line block ×6, first 2 shown]
	s_clause 0x7
	global_load_b32 v0, v[29:30], off
	global_load_b32 v1, v[81:82], off
	;; [unrolled: 1-line block ×8, first 2 shown]
	s_waitcnt vmcnt(11)
	v_cvt_f32_f16_e32 v27, v87
	s_waitcnt vmcnt(10)
	v_cvt_f32_f16_e32 v28, v88
	;; [unrolled: 2-line block ×4, first 2 shown]
	ds_store_b32 v8, v89
	ds_store_b32 v77, v27
	;; [unrolled: 1-line block ×11, first 2 shown]
	s_waitcnt vmcnt(7)
	ds_store_b32 v16, v0
	s_waitcnt vmcnt(6)
	ds_store_b32 v17, v1
	;; [unrolled: 2-line block ×8, first 2 shown]
	ds_store_b32 v80, v30
	s_cbranch_scc0 .LBB178_4
; %bb.6:                                ;   in Loop: Header=BB178_5 Depth=1
	v_add_nc_u32_e32 v0, s6, v49
	s_delay_alu instid0(VALU_DEP_1) | instskip(NEXT) | instid1(VALU_DEP_1)
	v_cmp_gt_i32_e64 s1, s8, v0
	s_and_b32 s19, s0, s1
	s_delay_alu instid0(SALU_CYCLE_1)
	s_and_saveexec_b32 s1, s19
	s_cbranch_execz .LBB178_8
; %bb.7:                                ;   in Loop: Header=BB178_5 Depth=1
	v_add_nc_u32_e32 v2, v64, v0
	s_delay_alu instid0(VALU_DEP_1)
	v_mad_i64_i32 v[0:1], null, v2, 36, v[25:26]
	global_load_b32 v0, v[0:1], off offset:4
	s_waitcnt vmcnt(0)
	ds_store_b32 v60, v0
.LBB178_8:                              ;   in Loop: Header=BB178_5 Depth=1
	s_or_b32 exec_lo, exec_lo, s1
	s_and_saveexec_b32 s19, vcc_lo
	s_cbranch_execz .LBB178_11
; %bb.9:                                ;   in Loop: Header=BB178_5 Depth=1
	v_or_b32_e32 v0, s6, v32
	s_delay_alu instid0(VALU_DEP_1) | instskip(NEXT) | instid1(VALU_DEP_1)
	v_cmp_gt_i32_e64 s1, s8, v0
	s_and_b32 s1, s0, s1
	s_delay_alu instid0(SALU_CYCLE_1)
	s_and_b32 exec_lo, exec_lo, s1
	s_cbranch_execz .LBB178_11
; %bb.10:                               ;   in Loop: Header=BB178_5 Depth=1
	v_add_nc_u32_e32 v2, v64, v0
	s_delay_alu instid0(VALU_DEP_1)
	v_mad_i64_i32 v[0:1], null, v2, 36, s[2:3]
	global_load_b32 v0, v[0:1], off
	s_waitcnt vmcnt(0)
	ds_store_b32 v61, v0
.LBB178_11:                             ;   in Loop: Header=BB178_5 Depth=1
	s_or_b32 exec_lo, exec_lo, s19
	v_dual_mov_b32 v81, v71 :: v_dual_mov_b32 v82, v70
	v_dual_mov_b32 v83, v62 :: v_dual_mov_b32 v84, v69
	;; [unrolled: 1-line block ×3, first 2 shown]
	v_mov_b32_e32 v87, v66
	s_mov_b32 s1, -4
	s_waitcnt lgkmcnt(0)
	s_barrier
	buffer_gl0_inv
.LBB178_12:                             ;   Parent Loop BB178_5 Depth=1
                                        ; =>  This Inner Loop Header: Depth=2
	ds_load_b128 v[4:7], v82
	ds_load_b128 v[0:3], v82 offset:16
	ds_load_2addr_b32 v[27:28], v83 offset1:1
	ds_load_2addr_b32 v[29:30], v83 offset0:2 offset1:3
	ds_load_b32 v88, v85
	ds_load_b32 v101, v84
	;; [unrolled: 1-line block ×4, first 2 shown]
	v_add_nc_u32_e32 v89, 0x1080, v83
	v_add_nc_u32_e32 v91, 0x1088, v83
	;; [unrolled: 1-line block ×6, first 2 shown]
	ds_load_2addr_b32 v[89:90], v89 offset1:1
	ds_load_2addr_b32 v[91:92], v91 offset1:1
	;; [unrolled: 1-line block ×6, first 2 shown]
	ds_load_b32 v104, v81
	v_add_nc_u32_e32 v87, 4, v87
	v_add_nc_u32_e32 v85, 4, v85
	;; [unrolled: 1-line block ×5, first 2 shown]
	s_add_i32 s1, s1, 4
	s_delay_alu instid0(SALU_CYCLE_1)
	s_cmp_lt_u32 s1, 12
	s_waitcnt lgkmcnt(14)
	v_bfe_i32 v105, v4, 0, 8
	s_waitcnt lgkmcnt(13)
	v_bfe_i32 v108, v0, 0, 8
	s_waitcnt lgkmcnt(12)
	v_and_b32_e32 v130, 15, v27
	v_bfe_u32 v134, v27, 4, 4
	v_bfe_i32 v111, v5, 0, 8
	s_waitcnt lgkmcnt(6)
	v_and_b32_e32 v158, 15, v89
	v_bfe_i32 v114, v1, 0, 8
	v_mul_i32_i24_e32 v130, v130, v105
	s_waitcnt lgkmcnt(4)
	v_and_b32_e32 v186, 15, v93
	s_waitcnt lgkmcnt(2)
	v_and_b32_e32 v208, 15, v97
	v_and_b32_e32 v137, 15, v28
	v_bfe_u32 v141, v28, 4, 4
	v_bfe_u32 v162, v89, 4, 4
	v_and_b32_e32 v165, 15, v90
	v_bfe_u32 v169, v90, 4, 4
	v_bfe_u32 v190, v93, 4, 4
	v_and_b32_e32 v193, 15, v94
	v_bfe_u32 v197, v94, 4, 4
	v_bfe_u32 v210, v97, 4, 4
	v_and_b32_e32 v218, 15, v98
	v_bfe_u32 v219, v98, 4, 4
	v_mad_i32_i24 v130, v134, v108, v130
	v_mul_i32_i24_e32 v134, v158, v105
	v_mul_i32_i24_e32 v158, v186, v105
	;; [unrolled: 1-line block ×3, first 2 shown]
	v_bfe_i32 v106, v4, 8, 8
	v_bfe_i32 v115, v1, 8, 8
	;; [unrolled: 1-line block ×3, first 2 shown]
	v_ashrrev_i32_e32 v1, 24, v1
	v_bfe_i32 v117, v6, 0, 8
	v_bfe_u32 v131, v27, 8, 4
	v_bfe_u32 v136, v28, 20, 4
	;; [unrolled: 1-line block ×6, first 2 shown]
	v_lshrrev_b32_e32 v28, 28, v28
	v_and_b32_e32 v144, 15, v29
	v_mul_i32_i24_e32 v137, v137, v111
	v_mul_i32_i24_e32 v141, v141, v114
	v_bfe_u32 v159, v89, 8, 4
	v_bfe_u32 v164, v90, 20, 4
	;; [unrolled: 1-line block ×6, first 2 shown]
	v_lshrrev_b32_e32 v90, 28, v90
	v_and_b32_e32 v172, 15, v91
	v_bfe_u32 v187, v93, 8, 4
	v_bfe_u32 v192, v94, 20, 4
	;; [unrolled: 1-line block ×6, first 2 shown]
	v_lshrrev_b32_e32 v94, 28, v94
	v_and_b32_e32 v200, 15, v95
	v_bfe_u32 v216, v97, 8, 4
	v_bfe_u32 v222, v98, 20, 4
	;; [unrolled: 1-line block ×6, first 2 shown]
	v_lshrrev_b32_e32 v98, 28, v98
	s_waitcnt lgkmcnt(1)
	v_and_b32_e32 v228, 15, v99
	v_mul_i32_i24_e32 v165, v165, v111
	v_mul_i32_i24_e32 v169, v169, v114
	;; [unrolled: 1-line block ×6, first 2 shown]
	v_mad_i32_i24 v134, v162, v108, v134
	v_mad_i32_i24 v158, v190, v108, v158
	;; [unrolled: 1-line block ×3, first 2 shown]
	v_bfe_i32 v107, v4, 16, 8
	v_ashrrev_i32_e32 v4, 24, v4
	v_bfe_u32 v132, v27, 16, 4
	v_bfe_u32 v133, v27, 24, 4
	v_mul_i32_i24_e32 v131, v131, v106
	v_mul_i32_i24_e32 v144, v144, v117
	v_bfe_u32 v160, v89, 16, 4
	v_bfe_u32 v161, v89, 24, 4
	;; [unrolled: 1-line block ×6, first 2 shown]
	v_mul_i32_i24_e32 v28, v28, v1
	v_mul_i32_i24_e32 v159, v159, v106
	;; [unrolled: 1-line block ×10, first 2 shown]
	v_add3_u32 v130, v130, v137, v141
	v_add3_u32 v134, v134, v165, v169
	;; [unrolled: 1-line block ×4, first 2 shown]
	v_bfe_i32 v118, v6, 8, 8
	v_bfe_i32 v119, v6, 16, 8
	v_ashrrev_i32_e32 v6, 24, v6
	v_bfe_i32 v120, v2, 0, 8
	v_bfe_i32 v123, v7, 0, 8
	v_bfe_u32 v148, v29, 4, 4
	v_and_b32_e32 v151, 15, v30
	v_bfe_u32 v173, v91, 8, 4
	v_bfe_u32 v176, v91, 4, 4
	v_and_b32_e32 v179, 15, v92
	v_bfe_u32 v201, v95, 8, 4
	v_bfe_u32 v203, v95, 24, 4
	;; [unrolled: 1-line block ×3, first 2 shown]
	v_and_b32_e32 v207, 15, v96
	v_bfe_u32 v232, v99, 4, 4
	v_and_b32_e32 v235, 15, v100
	v_mul_i32_i24_e32 v132, v132, v107
	v_mul_i32_i24_e32 v133, v133, v4
	;; [unrolled: 1-line block ×8, first 2 shown]
	v_add3_u32 v111, v130, v144, v131
	v_add3_u32 v114, v134, v172, v159
	v_add3_u32 v130, v137, v197, v187
	v_add3_u32 v98, v105, v98, v106
	v_bfe_i32 v109, v0, 8, 8
	v_bfe_i32 v110, v0, 16, 8
	v_bfe_u32 v129, v27, 20, 4
	v_bfe_u32 v135, v27, 12, 4
	;; [unrolled: 1-line block ×8, first 2 shown]
	v_mul_i32_i24_e32 v148, v148, v120
	v_mul_i32_i24_e32 v151, v151, v123
	;; [unrolled: 1-line block ×11, first 2 shown]
	v_add3_u32 v106, v111, v132, v133
	v_add3_u32 v111, v114, v160, v161
	;; [unrolled: 1-line block ×4, first 2 shown]
	v_ashrrev_i32_e32 v0, 24, v0
	v_bfe_i32 v112, v5, 8, 8
	v_lshrrev_b32_e32 v27, 28, v27
	v_lshrrev_b32_e32 v89, 28, v89
	;; [unrolled: 1-line block ×4, first 2 shown]
	v_mul_i32_i24_e32 v135, v135, v109
	v_mul_i32_i24_e32 v129, v129, v110
	;; [unrolled: 1-line block ×8, first 2 shown]
	v_add3_u32 v98, v106, v148, v151
	v_add3_u32 v106, v111, v176, v179
	v_add3_u32 v107, v114, v200, v203
	v_add3_u32 v4, v4, v120, v105
	v_bfe_i32 v113, v5, 16, 8
	v_ashrrev_i32_e32 v5, 24, v5
	v_mul_i32_i24_e32 v27, v27, v0
	v_mul_i32_i24_e32 v138, v138, v112
	;; [unrolled: 1-line block ×8, first 2 shown]
	v_add3_u32 v98, v98, v135, v129
	v_add3_u32 v106, v106, v163, v157
	;; [unrolled: 1-line block ×4, first 2 shown]
	v_bfe_i32 v126, v3, 0, 8
	v_bfe_u32 v155, v30, 4, 4
	v_bfe_u32 v183, v92, 4, 4
	;; [unrolled: 1-line block ×4, first 2 shown]
	v_mul_i32_i24_e32 v139, v139, v113
	v_mul_i32_i24_e32 v140, v140, v5
	;; [unrolled: 1-line block ×8, first 2 shown]
	v_add3_u32 v27, v98, v27, v138
	v_add3_u32 v89, v106, v89, v97
	;; [unrolled: 1-line block ×4, first 2 shown]
	v_mul_i32_i24_e32 v142, v142, v115
	v_mul_i32_i24_e32 v155, v155, v126
	;; [unrolled: 1-line block ×8, first 2 shown]
	v_add3_u32 v27, v27, v139, v140
	v_add3_u32 v89, v89, v167, v168
	;; [unrolled: 1-line block ×4, first 2 shown]
	v_bfe_u32 v145, v29, 8, 4
	v_bfe_u32 v146, v29, 16, 4
	;; [unrolled: 1-line block ×6, first 2 shown]
	v_mul_i32_i24_e32 v136, v136, v116
	v_mul_i32_i24_e32 v164, v164, v116
	;; [unrolled: 1-line block ×4, first 2 shown]
	v_add3_u32 v5, v27, v155, v142
	v_add3_u32 v27, v89, v183, v170
	;; [unrolled: 1-line block ×4, first 2 shown]
	v_bfe_i32 v121, v2, 8, 8
	v_bfe_u32 v147, v29, 24, 4
	v_bfe_u32 v149, v29, 12, 4
	;; [unrolled: 1-line block ×7, first 2 shown]
	v_mul_i32_i24_e32 v145, v145, v118
	v_mul_i32_i24_e32 v146, v146, v119
	;; [unrolled: 1-line block ×6, first 2 shown]
	v_add3_u32 v5, v5, v136, v28
	v_add3_u32 v27, v27, v164, v90
	v_add3_u32 v28, v89, v192, v94
	v_add3_u32 v0, v0, v116, v1
	v_bfe_i32 v122, v2, 16, 8
	v_ashrrev_i32_e32 v2, 24, v2
	v_bfe_u32 v143, v29, 20, 4
	v_lshrrev_b32_e32 v29, 28, v29
	v_bfe_u32 v171, v91, 20, 4
	v_lshrrev_b32_e32 v91, 28, v91
	;; [unrolled: 2-line block ×4, first 2 shown]
	v_mul_i32_i24_e32 v147, v147, v6
	v_mul_i32_i24_e32 v149, v149, v121
	;; [unrolled: 1-line block ×7, first 2 shown]
	v_add3_u32 v5, v5, v145, v146
	v_add3_u32 v27, v27, v117, v174
	;; [unrolled: 1-line block ×4, first 2 shown]
	v_bfe_i32 v124, v7, 8, 8
	v_bfe_i32 v125, v7, 16, 8
	v_bfe_u32 v152, v30, 8, 4
	v_bfe_u32 v153, v30, 16, 4
	;; [unrolled: 1-line block ×8, first 2 shown]
	v_mul_i32_i24_e32 v143, v143, v122
	v_mul_i32_i24_e32 v29, v29, v2
	;; [unrolled: 1-line block ×8, first 2 shown]
	v_add3_u32 v5, v5, v147, v149
	v_add3_u32 v27, v27, v175, v177
	;; [unrolled: 1-line block ×4, first 2 shown]
	v_ashrrev_i32_e32 v7, 24, v7
	v_bfe_i32 v127, v3, 8, 8
	v_bfe_u32 v154, v30, 24, 4
	v_bfe_u32 v156, v30, 12, 4
	;; [unrolled: 1-line block ×8, first 2 shown]
	v_mul_i32_i24_e32 v152, v152, v124
	v_mul_i32_i24_e32 v153, v153, v125
	v_mul_i32_i24_e32 v180, v180, v124
	v_mul_i32_i24_e32 v181, v181, v125
	v_mul_i32_i24_e32 v204, v209, v124
	v_mul_i32_i24_e32 v205, v211, v125
	v_mul_i32_i24_e32 v4, v236, v124
	v_mul_i32_i24_e32 v1, v237, v125
	v_add3_u32 v5, v5, v143, v29
	v_add3_u32 v27, v27, v171, v91
	;; [unrolled: 1-line block ×4, first 2 shown]
	v_bfe_i32 v128, v3, 16, 8
	v_ashrrev_i32_e32 v3, 24, v3
	v_bfe_u32 v150, v30, 20, 4
	v_lshrrev_b32_e32 v30, 28, v30
	v_bfe_u32 v178, v92, 20, 4
	v_lshrrev_b32_e32 v92, 28, v92
	;; [unrolled: 2-line block ×4, first 2 shown]
	v_mul_i32_i24_e32 v154, v154, v7
	v_mul_i32_i24_e32 v156, v156, v127
	;; [unrolled: 1-line block ×8, first 2 shown]
	v_add3_u32 v5, v5, v152, v153
	v_add3_u32 v27, v27, v180, v181
	;; [unrolled: 1-line block ×4, first 2 shown]
	s_waitcnt lgkmcnt(0)
	v_lshrrev_b32_e32 v241, 16, v104
	v_mul_i32_i24_e32 v150, v150, v128
	v_mul_i32_i24_e32 v30, v30, v3
	;; [unrolled: 1-line block ×8, first 2 shown]
	v_add3_u32 v3, v5, v154, v156
	v_add3_u32 v4, v27, v182, v184
	;; [unrolled: 1-line block ×4, first 2 shown]
	v_cvt_f32_f16_e64 v6, v241
	v_add3_u32 v3, v3, v150, v30
	v_add3_u32 v4, v4, v178, v92
	;; [unrolled: 1-line block ×4, first 2 shown]
	v_dual_mul_f32 v1, 0xc1000000, v6 :: v_dual_add_nc_u32 v84, 4, v84
	v_cvt_f32_i32_e32 v2, v3
	v_cvt_f32_i32_e32 v3, v4
	;; [unrolled: 1-line block ×4, first 2 shown]
	s_delay_alu instid0(VALU_DEP_4) | instskip(NEXT) | instid1(VALU_DEP_4)
	v_fma_mix_f32 v2, v104, v2, v1 op_sel_hi:[1,0,0]
	v_fma_mix_f32 v3, v104, v3, v1 op_sel_hi:[1,0,0]
	s_delay_alu instid0(VALU_DEP_4) | instskip(NEXT) | instid1(VALU_DEP_4)
	v_fma_mix_f32 v4, v104, v4, v1 op_sel_hi:[1,0,0]
	v_fma_mix_f32 v0, v104, v0, v1 op_sel_hi:[1,0,0]
	v_add_nc_u32_e32 v86, 4, v86
	v_fmac_f32_e32 v33, v101, v2
	v_fmac_f32_e32 v59, v88, v3
	;; [unrolled: 1-line block ×4, first 2 shown]
	s_cbranch_scc1 .LBB178_12
; %bb.13:                               ;   in Loop: Header=BB178_5 Depth=1
	s_bitset1_b32 s18, 7
	s_delay_alu instid0(SALU_CYCLE_1)
	s_cmp_ge_i32 s18, s5
	s_barrier
	buffer_gl0_inv
	s_cbranch_scc1 .LBB178_4
; %bb.14:                               ;   in Loop: Header=BB178_5 Depth=1
	v_add_nc_u32_e32 v0, s6, v63
	s_delay_alu instid0(VALU_DEP_1) | instskip(NEXT) | instid1(VALU_DEP_1)
	v_cmp_gt_i32_e64 s1, s8, v0
	s_and_b32 s18, s0, s1
	s_delay_alu instid0(SALU_CYCLE_1)
	s_and_saveexec_b32 s1, s18
	s_cbranch_execz .LBB178_16
; %bb.15:                               ;   in Loop: Header=BB178_5 Depth=1
	v_add_nc_u32_e32 v2, v64, v0
	s_delay_alu instid0(VALU_DEP_1)
	v_mad_i64_i32 v[0:1], null, v2, 36, v[25:26]
	global_load_b32 v0, v[0:1], off offset:4
	s_waitcnt vmcnt(0)
	ds_store_b32 v60, v0
.LBB178_16:                             ;   in Loop: Header=BB178_5 Depth=1
	s_or_b32 exec_lo, exec_lo, s1
	s_and_saveexec_b32 s18, vcc_lo
	s_cbranch_execz .LBB178_19
; %bb.17:                               ;   in Loop: Header=BB178_5 Depth=1
	v_or_b32_e32 v0, s6, v32
	s_delay_alu instid0(VALU_DEP_1) | instskip(NEXT) | instid1(VALU_DEP_1)
	v_or_b32_e32 v1, 4, v0
	v_cmp_gt_i32_e64 s1, s8, v1
	s_delay_alu instid0(VALU_DEP_1) | instskip(NEXT) | instid1(SALU_CYCLE_1)
	s_and_b32 s1, s0, s1
	s_and_b32 exec_lo, exec_lo, s1
	s_cbranch_execz .LBB178_19
; %bb.18:                               ;   in Loop: Header=BB178_5 Depth=1
	v_ashrrev_i32_e32 v1, 31, v0
	v_add_co_u32 v2, s1, v64, v0
	s_delay_alu instid0(VALU_DEP_1) | instskip(NEXT) | instid1(VALU_DEP_2)
	v_add_co_ci_u32_e64 v3, s1, v65, v1, s1
	v_mad_u64_u32 v[0:1], null, v2, 36, s[14:15]
	s_delay_alu instid0(VALU_DEP_1)
	v_mad_i32_i24 v1, v3, 36, v1
	global_load_b32 v0, v[0:1], off
	s_waitcnt vmcnt(0)
	ds_store_b32 v61, v0
.LBB178_19:                             ;   in Loop: Header=BB178_5 Depth=1
	s_or_b32 exec_lo, exec_lo, s18
	v_dual_mov_b32 v0, v71 :: v_dual_mov_b32 v1, v70
	v_dual_mov_b32 v2, v76 :: v_dual_mov_b32 v3, v75
	;; [unrolled: 1-line block ×3, first 2 shown]
	v_mov_b32_e32 v6, v72
	s_mov_b32 s1, 12
	s_waitcnt lgkmcnt(0)
	s_barrier
	buffer_gl0_inv
.LBB178_20:                             ;   Parent Loop BB178_5 Depth=1
                                        ; =>  This Inner Loop Header: Depth=2
	ds_load_b128 v[81:84], v1
	ds_load_b128 v[85:88], v1 offset:16
	ds_load_b32 v7, v0
	ds_load_2addr_b32 v[29:30], v2 offset1:1
	ds_load_b32 v27, v4
	ds_load_b32 v28, v3
	ds_load_2addr_b32 v[89:90], v2 offset0:2 offset1:3
	ds_load_b32 v103, v5
	ds_load_b32 v104, v6
	v_add_nc_u32_e32 v91, 0x1080, v2
	v_add_nc_u32_e32 v93, 0x1088, v2
	;; [unrolled: 1-line block ×6, first 2 shown]
	ds_load_2addr_b32 v[91:92], v91 offset1:1
	ds_load_2addr_b32 v[93:94], v93 offset1:1
	;; [unrolled: 1-line block ×6, first 2 shown]
	v_add_nc_u32_e32 v3, 4, v3
	v_add_nc_u32_e32 v1, 32, v1
	;; [unrolled: 1-line block ×3, first 2 shown]
	s_add_i32 s1, s1, 4
	s_delay_alu instid0(SALU_CYCLE_1)
	s_cmp_lt_u32 s1, 28
	s_waitcnt lgkmcnt(14)
	v_bfe_i32 v105, v81, 0, 8
	v_bfe_i32 v106, v81, 8, 8
	s_waitcnt lgkmcnt(11)
	v_and_b32_e32 v131, 15, v29
	v_bfe_i32 v107, v81, 16, 8
	v_ashrrev_i32_e32 v81, 24, v81
	v_bfe_i32 v108, v85, 0, 8
	v_bfe_i32 v109, v85, 8, 8
	v_bfe_i32 v111, v82, 0, 8
	v_bfe_i32 v112, v82, 8, 8
	v_bfe_i32 v113, v82, 16, 8
	v_ashrrev_i32_e32 v82, 24, v82
	v_bfe_i32 v114, v86, 0, 8
	v_bfe_i32 v115, v86, 8, 8
	v_bfe_i32 v117, v83, 0, 8
	v_bfe_i32 v118, v83, 8, 8
	v_bfe_i32 v119, v83, 16, 8
	v_ashrrev_i32_e32 v83, 24, v83
	v_bfe_i32 v120, v87, 0, 8
	v_bfe_i32 v121, v87, 8, 8
	v_bfe_i32 v123, v84, 0, 8
	v_bfe_i32 v124, v84, 8, 8
	v_bfe_i32 v125, v84, 16, 8
	v_ashrrev_i32_e32 v84, 24, v84
	v_bfe_i32 v126, v88, 0, 8
	v_bfe_i32 v127, v88, 8, 8
	v_bfe_u32 v135, v29, 4, 4
	v_mul_i32_i24_e32 v131, v131, v105
	s_waitcnt lgkmcnt(5)
	v_and_b32_e32 v159, 15, v91
	v_bfe_u32 v160, v91, 8, 4
	v_bfe_u32 v161, v91, 16, 4
	;; [unrolled: 1-line block ×4, first 2 shown]
	v_and_b32_e32 v166, 15, v92
	v_bfe_u32 v167, v92, 8, 4
	v_bfe_u32 v168, v92, 16, 4
	;; [unrolled: 1-line block ×5, first 2 shown]
	s_waitcnt lgkmcnt(4)
	v_and_b32_e32 v173, 15, v93
	v_bfe_u32 v174, v93, 8, 4
	v_bfe_u32 v175, v93, 16, 4
	;; [unrolled: 1-line block ×5, first 2 shown]
	v_and_b32_e32 v180, 15, v94
	v_bfe_u32 v181, v94, 8, 4
	v_bfe_u32 v182, v94, 16, 4
	;; [unrolled: 1-line block ×5, first 2 shown]
	s_waitcnt lgkmcnt(3)
	v_and_b32_e32 v187, 15, v95
	s_waitcnt lgkmcnt(1)
	v_and_b32_e32 v215, 15, v99
	v_bfe_i32 v110, v85, 16, 8
	v_ashrrev_i32_e32 v85, 24, v85
	v_bfe_i32 v116, v86, 16, 8
	v_ashrrev_i32_e32 v86, 24, v86
	v_bfe_u32 v130, v29, 20, 4
	v_bfe_u32 v132, v29, 8, 4
	;; [unrolled: 1-line block ×5, first 2 shown]
	v_lshrrev_b32_e32 v29, 28, v29
	v_bfe_u32 v137, v30, 20, 4
	v_and_b32_e32 v138, 15, v30
	v_bfe_u32 v139, v30, 8, 4
	v_bfe_u32 v140, v30, 16, 4
	;; [unrolled: 1-line block ×5, first 2 shown]
	v_lshrrev_b32_e32 v30, 28, v30
	v_and_b32_e32 v145, 15, v89
	v_bfe_u32 v146, v89, 8, 4
	v_bfe_u32 v158, v91, 20, 4
	;; [unrolled: 1-line block ×3, first 2 shown]
	v_lshrrev_b32_e32 v91, 28, v91
	v_bfe_u32 v165, v92, 20, 4
	v_lshrrev_b32_e32 v92, 28, v92
	v_bfe_u32 v186, v95, 20, 4
	v_bfe_u32 v188, v95, 8, 4
	;; [unrolled: 1-line block ×6, first 2 shown]
	v_lshrrev_b32_e32 v95, 28, v95
	v_bfe_u32 v193, v96, 20, 4
	v_and_b32_e32 v194, 15, v96
	v_bfe_u32 v195, v96, 8, 4
	v_bfe_u32 v196, v96, 16, 4
	;; [unrolled: 1-line block ×5, first 2 shown]
	v_lshrrev_b32_e32 v96, 28, v96
	v_and_b32_e32 v201, 15, v97
	v_bfe_u32 v202, v97, 8, 4
	v_bfe_u32 v214, v99, 20, 4
	;; [unrolled: 1-line block ×7, first 2 shown]
	v_lshrrev_b32_e32 v99, 28, v99
	v_bfe_u32 v221, v100, 20, 4
	v_and_b32_e32 v222, 15, v100
	v_bfe_u32 v223, v100, 8, 4
	v_bfe_u32 v224, v100, 16, 4
	v_bfe_u32 v225, v100, 24, 4
	v_bfe_u32 v226, v100, 4, 4
	v_bfe_u32 v227, v100, 12, 4
	v_lshrrev_b32_e32 v100, 28, v100
	s_waitcnt lgkmcnt(0)
	v_and_b32_e32 v229, 15, v101
	v_bfe_u32 v230, v101, 8, 4
	v_mad_i32_i24 v131, v135, v108, v131
	v_mul_i32_i24_e32 v135, v159, v105
	v_mul_i32_i24_e32 v159, v160, v106
	;; [unrolled: 1-line block ×25, first 2 shown]
	v_bfe_u32 v147, v89, 16, 4
	v_mul_i32_i24_e32 v29, v29, v85
	v_mul_i32_i24_e32 v138, v138, v111
	;; [unrolled: 1-line block ×10, first 2 shown]
	v_bfe_u32 v203, v97, 16, 4
	v_bfe_u32 v231, v101, 16, 4
	v_mul_i32_i24_e32 v91, v91, v85
	v_mul_i32_i24_e32 v165, v165, v116
	;; [unrolled: 1-line block ×28, first 2 shown]
	v_mad_i32_i24 v117, v163, v108, v135
	v_mad_i32_i24 v118, v191, v108, v185
	;; [unrolled: 1-line block ×3, first 2 shown]
	v_mul_i32_i24_e32 v132, v132, v106
	v_mul_i32_i24_e32 v147, v147, v119
	;; [unrolled: 1-line block ×5, first 2 shown]
	v_add3_u32 v119, v131, v138, v142
	v_add3_u32 v117, v117, v164, v169
	;; [unrolled: 1-line block ×4, first 2 shown]
	v_bfe_u32 v149, v89, 4, 4
	v_and_b32_e32 v152, 15, v90
	v_mul_i32_i24_e32 v133, v133, v107
	v_mul_i32_i24_e32 v134, v134, v81
	v_bfe_u32 v204, v97, 24, 4
	v_bfe_u32 v205, v97, 4, 4
	;; [unrolled: 1-line block ×3, first 2 shown]
	v_and_b32_e32 v208, 15, v98
	v_bfe_u32 v233, v101, 4, 4
	v_and_b32_e32 v236, 15, v102
	v_mul_i32_i24_e32 v107, v217, v107
	v_mul_i32_i24_e32 v81, v218, v81
	v_add3_u32 v113, v119, v145, v132
	v_add3_u32 v117, v117, v171, v159
	;; [unrolled: 1-line block ×4, first 2 shown]
	v_mul_i32_i24_e32 v149, v149, v120
	v_mul_i32_i24_e32 v152, v152, v123
	;; [unrolled: 1-line block ×8, first 2 shown]
	v_add3_u32 v106, v113, v133, v134
	v_add3_u32 v113, v117, v160, v161
	v_add3_u32 v117, v118, v188, v189
	v_add3_u32 v81, v99, v107, v81
	v_mul_i32_i24_e32 v136, v136, v109
	v_mul_i32_i24_e32 v130, v130, v110
	;; [unrolled: 1-line block ×6, first 2 shown]
	v_add3_u32 v99, v106, v149, v152
	v_add3_u32 v106, v113, v176, v178
	;; [unrolled: 1-line block ×4, first 2 shown]
	v_bfe_u32 v156, v90, 4, 4
	v_add3_u32 v99, v99, v136, v130
	v_add3_u32 v105, v106, v162, v158
	;; [unrolled: 1-line block ×4, first 2 shown]
	v_mul_i32_i24_e32 v141, v141, v82
	v_bfe_u32 v209, v98, 8, 4
	v_bfe_u32 v210, v98, 16, 4
	;; [unrolled: 1-line block ×5, first 2 shown]
	v_mul_i32_i24_e32 v82, v225, v82
	v_add3_u32 v29, v99, v29, v139
	v_add3_u32 v91, v105, v91, v166
	;; [unrolled: 1-line block ×4, first 2 shown]
	v_bfe_i32 v122, v87, 16, 8
	v_ashrrev_i32_e32 v87, 24, v87
	v_bfe_u32 v144, v89, 20, 4
	v_bfe_u32 v148, v89, 24, 4
	;; [unrolled: 1-line block ×3, first 2 shown]
	v_lshrrev_b32_e32 v89, 28, v89
	v_mul_i32_i24_e32 v156, v156, v126
	v_bfe_u32 v172, v93, 20, 4
	v_lshrrev_b32_e32 v93, 28, v93
	v_bfe_u32 v200, v97, 20, 4
	v_lshrrev_b32_e32 v97, 28, v97
	v_bfe_u32 v228, v101, 20, 4
	v_bfe_u32 v232, v101, 24, 4
	;; [unrolled: 1-line block ×3, first 2 shown]
	v_lshrrev_b32_e32 v101, 28, v101
	v_mul_i32_i24_e32 v208, v209, v124
	v_mul_i32_i24_e32 v209, v210, v125
	;; [unrolled: 1-line block ×5, first 2 shown]
	v_add3_u32 v29, v29, v140, v141
	v_add3_u32 v91, v91, v167, v168
	;; [unrolled: 1-line block ×4, first 2 shown]
	v_mul_i32_i24_e32 v89, v89, v87
	v_mul_i32_i24_e32 v93, v93, v87
	;; [unrolled: 1-line block ×4, first 2 shown]
	v_add3_u32 v29, v29, v156, v143
	v_add3_u32 v87, v91, v183, v170
	;; [unrolled: 1-line block ×4, first 2 shown]
	v_mul_i32_i24_e32 v148, v148, v83
	v_add3_u32 v29, v29, v137, v30
	v_add3_u32 v30, v87, v165, v92
	;; [unrolled: 1-line block ×4, first 2 shown]
	v_mul_i32_i24_e32 v150, v150, v121
	v_mul_i32_i24_e32 v83, v232, v83
	;; [unrolled: 1-line block ×3, first 2 shown]
	v_add3_u32 v29, v29, v146, v147
	v_add3_u32 v30, v30, v173, v174
	;; [unrolled: 1-line block ×4, first 2 shown]
	v_bfe_u32 v153, v90, 8, 4
	v_bfe_u32 v154, v90, 16, 4
	v_mul_i32_i24_e32 v144, v144, v122
	v_bfe_u32 v237, v102, 8, 4
	v_bfe_u32 v238, v102, 16, 4
	v_mul_i32_i24_e32 v172, v172, v122
	v_mul_i32_i24_e32 v200, v200, v122
	;; [unrolled: 1-line block ×3, first 2 shown]
	v_add3_u32 v29, v29, v148, v150
	v_add3_u32 v30, v30, v175, v177
	;; [unrolled: 1-line block ×4, first 2 shown]
	v_bfe_u32 v155, v90, 24, 4
	v_bfe_u32 v157, v90, 12, 4
	v_mul_i32_i24_e32 v153, v153, v124
	v_mul_i32_i24_e32 v154, v154, v125
	v_bfe_u32 v213, v98, 12, 4
	v_bfe_u32 v239, v102, 24, 4
	;; [unrolled: 1-line block ×3, first 2 shown]
	v_mul_i32_i24_e32 v85, v237, v124
	v_mul_i32_i24_e32 v86, v238, v125
	v_add3_u32 v29, v29, v144, v89
	v_add3_u32 v30, v30, v172, v93
	;; [unrolled: 1-line block ×4, first 2 shown]
	v_bfe_i32 v128, v88, 16, 8
	v_ashrrev_i32_e32 v88, 24, v88
	v_bfe_u32 v151, v90, 20, 4
	v_lshrrev_b32_e32 v90, 28, v90
	v_mul_i32_i24_e32 v155, v155, v84
	v_mul_i32_i24_e32 v157, v157, v127
	v_bfe_u32 v179, v94, 20, 4
	v_lshrrev_b32_e32 v94, 28, v94
	v_bfe_u32 v207, v98, 20, 4
	v_lshrrev_b32_e32 v98, 28, v98
	v_bfe_u32 v235, v102, 20, 4
	v_lshrrev_b32_e32 v102, 28, v102
	v_mul_i32_i24_e32 v212, v213, v127
	v_mul_i32_i24_e32 v84, v239, v84
	;; [unrolled: 1-line block ×3, first 2 shown]
	v_add3_u32 v29, v29, v153, v154
	v_add3_u32 v30, v30, v180, v181
	;; [unrolled: 1-line block ×4, first 2 shown]
	v_lshrrev_b32_e32 v129, 16, v7
	v_mul_i32_i24_e32 v151, v151, v128
	v_mul_i32_i24_e32 v90, v90, v88
	;; [unrolled: 1-line block ×8, first 2 shown]
	v_add3_u32 v29, v29, v155, v157
	v_add3_u32 v30, v30, v182, v184
	;; [unrolled: 1-line block ×4, first 2 shown]
	v_cvt_f32_f16_e64 v83, v129
	v_add3_u32 v29, v29, v151, v90
	v_add3_u32 v30, v30, v179, v94
	;; [unrolled: 1-line block ×4, first 2 shown]
	v_dual_mul_f32 v82, 0xc1000000, v83 :: v_dual_add_nc_u32 v5, 4, v5
	v_cvt_f32_i32_e32 v29, v29
	v_cvt_f32_i32_e32 v30, v30
	;; [unrolled: 1-line block ×4, first 2 shown]
	s_delay_alu instid0(VALU_DEP_4) | instskip(NEXT) | instid1(VALU_DEP_4)
	v_fma_mix_f32 v29, v7, v29, v82 op_sel_hi:[1,0,0]
	v_fma_mix_f32 v30, v7, v30, v82 op_sel_hi:[1,0,0]
	s_delay_alu instid0(VALU_DEP_4) | instskip(NEXT) | instid1(VALU_DEP_4)
	v_fma_mix_f32 v83, v7, v83, v82 op_sel_hi:[1,0,0]
	v_fma_mix_f32 v7, v7, v81, v82 op_sel_hi:[1,0,0]
	s_delay_alu instid0(VALU_DEP_4) | instskip(NEXT) | instid1(VALU_DEP_4)
	v_dual_fmac_f32 v33, v28, v29 :: v_dual_add_nc_u32 v6, 4, v6
	v_dual_fmac_f32 v59, v27, v30 :: v_dual_add_nc_u32 v4, 4, v4
	s_delay_alu instid0(VALU_DEP_4) | instskip(NEXT) | instid1(VALU_DEP_4)
	v_dual_fmac_f32 v55, v103, v83 :: v_dual_add_nc_u32 v2, 16, v2
	v_fmac_f32_e32 v22, v104, v7
	s_cbranch_scc1 .LBB178_20
; %bb.21:                               ;   in Loop: Header=BB178_5 Depth=1
	s_barrier
	buffer_gl0_inv
	s_branch .LBB178_4
.LBB178_22:
	s_mul_i32 s0, s10, s7
	s_waitcnt vmcnt(0)
	v_cmp_gt_i32_e32 vcc_lo, s0, v31
	s_and_saveexec_b32 s0, vcc_lo
	s_cbranch_execz .LBB178_31
; %bb.23:
	v_mul_lo_u32 v0, v31, s9
	v_add_nc_u32_e32 v1, s11, v32
	s_mov_b32 s0, exec_lo
	s_delay_alu instid0(VALU_DEP_1)
	v_cmpx_gt_u32_e64 s9, v1
	s_cbranch_execz .LBB178_25
; %bb.24:
	s_delay_alu instid0(VALU_DEP_3) | instskip(NEXT) | instid1(VALU_DEP_1)
	v_dual_mov_b32 v3, 0 :: v_dual_add_nc_u32 v2, v0, v1
	v_lshlrev_b64 v[2:3], 2, v[2:3]
	s_delay_alu instid0(VALU_DEP_1) | instskip(NEXT) | instid1(VALU_DEP_2)
	v_add_co_u32 v2, vcc_lo, s12, v2
	v_add_co_ci_u32_e32 v3, vcc_lo, s13, v3, vcc_lo
	global_store_b32 v[2:3], v33, off
.LBB178_25:
	s_or_b32 exec_lo, exec_lo, s0
	v_add_nc_u32_e32 v2, 32, v1
	s_mov_b32 s0, exec_lo
	s_delay_alu instid0(VALU_DEP_1)
	v_cmpx_gt_u32_e64 s9, v2
	s_cbranch_execz .LBB178_27
; %bb.26:
	v_dual_mov_b32 v3, 0 :: v_dual_add_nc_u32 v2, v0, v2
	s_delay_alu instid0(VALU_DEP_1) | instskip(NEXT) | instid1(VALU_DEP_1)
	v_lshlrev_b64 v[2:3], 2, v[2:3]
	v_add_co_u32 v2, vcc_lo, s12, v2
	s_delay_alu instid0(VALU_DEP_2)
	v_add_co_ci_u32_e32 v3, vcc_lo, s13, v3, vcc_lo
	global_store_b32 v[2:3], v59, off
.LBB178_27:
	s_or_b32 exec_lo, exec_lo, s0
	v_add_nc_u32_e32 v2, 64, v1
	s_mov_b32 s0, exec_lo
	s_delay_alu instid0(VALU_DEP_1)
	v_cmpx_gt_u32_e64 s9, v2
	s_cbranch_execz .LBB178_29
; %bb.28:
	v_dual_mov_b32 v3, 0 :: v_dual_add_nc_u32 v2, v0, v2
	s_delay_alu instid0(VALU_DEP_1) | instskip(NEXT) | instid1(VALU_DEP_1)
	v_lshlrev_b64 v[2:3], 2, v[2:3]
	v_add_co_u32 v2, vcc_lo, s12, v2
	s_delay_alu instid0(VALU_DEP_2)
	v_add_co_ci_u32_e32 v3, vcc_lo, s13, v3, vcc_lo
	global_store_b32 v[2:3], v55, off
.LBB178_29:
	s_or_b32 exec_lo, exec_lo, s0
	v_add_nc_u32_e32 v1, 0x60, v1
	s_delay_alu instid0(VALU_DEP_1)
	v_cmp_gt_u32_e32 vcc_lo, s9, v1
	s_and_b32 exec_lo, exec_lo, vcc_lo
	s_cbranch_execz .LBB178_31
; %bb.30:
	v_dual_mov_b32 v1, 0 :: v_dual_add_nc_u32 v0, v0, v1
	s_delay_alu instid0(VALU_DEP_1) | instskip(NEXT) | instid1(VALU_DEP_1)
	v_lshlrev_b64 v[0:1], 2, v[0:1]
	v_add_co_u32 v0, vcc_lo, s12, v0
	s_delay_alu instid0(VALU_DEP_2)
	v_add_co_ci_u32_e32 v1, vcc_lo, s13, v1, vcc_lo
	global_store_b32 v[0:1], v22, off
.LBB178_31:
	s_nop 0
	s_sendmsg sendmsg(MSG_DEALLOC_VGPRS)
	s_endpgm
	.section	.rodata,"a",@progbits
	.p2align	6, 0x0
	.amdhsa_kernel _ZL8moe_q4_0IfLb1EEvPKvS1_PT_PKiS5_S5_iiiiiii
		.amdhsa_group_segment_fixed_size 22272
		.amdhsa_private_segment_fixed_size 0
		.amdhsa_kernarg_size 76
		.amdhsa_user_sgpr_count 14
		.amdhsa_user_sgpr_dispatch_ptr 0
		.amdhsa_user_sgpr_queue_ptr 0
		.amdhsa_user_sgpr_kernarg_segment_ptr 1
		.amdhsa_user_sgpr_dispatch_id 0
		.amdhsa_user_sgpr_private_segment_size 0
		.amdhsa_wavefront_size32 1
		.amdhsa_uses_dynamic_stack 0
		.amdhsa_enable_private_segment 0
		.amdhsa_system_sgpr_workgroup_id_x 1
		.amdhsa_system_sgpr_workgroup_id_y 1
		.amdhsa_system_sgpr_workgroup_id_z 0
		.amdhsa_system_sgpr_workgroup_info 0
		.amdhsa_system_vgpr_workitem_id 1
		.amdhsa_next_free_vgpr 242
		.amdhsa_next_free_sgpr 20
		.amdhsa_reserve_vcc 1
		.amdhsa_float_round_mode_32 0
		.amdhsa_float_round_mode_16_64 0
		.amdhsa_float_denorm_mode_32 3
		.amdhsa_float_denorm_mode_16_64 3
		.amdhsa_dx10_clamp 1
		.amdhsa_ieee_mode 1
		.amdhsa_fp16_overflow 0
		.amdhsa_workgroup_processor_mode 1
		.amdhsa_memory_ordered 1
		.amdhsa_forward_progress 0
		.amdhsa_shared_vgpr_count 0
		.amdhsa_exception_fp_ieee_invalid_op 0
		.amdhsa_exception_fp_denorm_src 0
		.amdhsa_exception_fp_ieee_div_zero 0
		.amdhsa_exception_fp_ieee_overflow 0
		.amdhsa_exception_fp_ieee_underflow 0
		.amdhsa_exception_fp_ieee_inexact 0
		.amdhsa_exception_int_div_zero 0
	.end_amdhsa_kernel
	.section	.text._ZL8moe_q4_0IfLb1EEvPKvS1_PT_PKiS5_S5_iiiiiii,"axG",@progbits,_ZL8moe_q4_0IfLb1EEvPKvS1_PT_PKiS5_S5_iiiiiii,comdat
.Lfunc_end178:
	.size	_ZL8moe_q4_0IfLb1EEvPKvS1_PT_PKiS5_S5_iiiiiii, .Lfunc_end178-_ZL8moe_q4_0IfLb1EEvPKvS1_PT_PKiS5_S5_iiiiiii
                                        ; -- End function
	.section	.AMDGPU.csdata,"",@progbits
; Kernel info:
; codeLenInByte = 7844
; NumSgprs: 22
; NumVgprs: 242
; ScratchSize: 0
; MemoryBound: 0
; FloatMode: 240
; IeeeMode: 1
; LDSByteSize: 22272 bytes/workgroup (compile time only)
; SGPRBlocks: 2
; VGPRBlocks: 30
; NumSGPRsForWavesPerEU: 22
; NumVGPRsForWavesPerEU: 242
; Occupancy: 5
; WaveLimiterHint : 1
; COMPUTE_PGM_RSRC2:SCRATCH_EN: 0
; COMPUTE_PGM_RSRC2:USER_SGPR: 14
; COMPUTE_PGM_RSRC2:TRAP_HANDLER: 0
; COMPUTE_PGM_RSRC2:TGID_X_EN: 1
; COMPUTE_PGM_RSRC2:TGID_Y_EN: 1
; COMPUTE_PGM_RSRC2:TGID_Z_EN: 0
; COMPUTE_PGM_RSRC2:TIDIG_COMP_CNT: 1
	.section	.text._ZL8moe_q4_1IfLb0EEvPKvS1_PT_PKiS5_S5_iiiiiii,"axG",@progbits,_ZL8moe_q4_1IfLb0EEvPKvS1_PT_PKiS5_S5_iiiiiii,comdat
	.globl	_ZL8moe_q4_1IfLb0EEvPKvS1_PT_PKiS5_S5_iiiiiii ; -- Begin function _ZL8moe_q4_1IfLb0EEvPKvS1_PT_PKiS5_S5_iiiiiii
	.p2align	8
	.type	_ZL8moe_q4_1IfLb0EEvPKvS1_PT_PKiS5_S5_iiiiiii,@function
_ZL8moe_q4_1IfLb0EEvPKvS1_PT_PKiS5_S5_iiiiiii: ; @_ZL8moe_q4_1IfLb0EEvPKvS1_PT_PKiS5_S5_iiiiiii
; %bb.0:
	s_load_b128 s[4:7], s[0:1], 0x18
	s_mov_b32 s2, s15
	s_mov_b32 s3, 0
	s_delay_alu instid0(SALU_CYCLE_1)
	s_lshl_b64 s[8:9], s[2:3], 2
	s_waitcnt lgkmcnt(0)
	s_add_u32 s6, s6, s8
	s_addc_u32 s7, s7, s9
	s_load_b32 s12, s[6:7], 0x0
	s_waitcnt lgkmcnt(0)
	s_cmpk_gt_u32 s12, 0xff
	s_cbranch_scc1 .LBB179_31
; %bb.1:
	s_load_b64 s[6:7], s[0:1], 0x28
	s_lshl_b32 s2, s2, 3
	s_waitcnt lgkmcnt(0)
	s_load_b32 s3, s[6:7], 0x0
	s_waitcnt lgkmcnt(0)
	s_cmp_gt_u32 s2, s3
	s_cbranch_scc1 .LBB179_31
; %bb.2:
	v_bfe_u32 v1, v0, 10, 10
	v_mov_b32_e32 v8, 0
	s_lshl_b32 s14, s14, 7
	s_delay_alu instid0(VALU_DEP_2) | instskip(NEXT) | instid1(VALU_DEP_2)
	v_add_nc_u32_e32 v7, s2, v1
	v_dual_mov_b32 v51, v8 :: v_dual_and_b32 v16, 0x3ff, v0
	v_mov_b32_e32 v59, v8
	v_mov_b32_e32 v17, v8
	s_delay_alu instid0(VALU_DEP_4) | instskip(NEXT) | instid1(VALU_DEP_1)
	v_lshlrev_b64 v[2:3], 2, v[7:8]
	v_add_co_u32 v2, vcc_lo, s4, v2
	s_delay_alu instid0(VALU_DEP_2)
	v_add_co_ci_u32_e32 v3, vcc_lo, s5, v3, vcc_lo
	global_load_b32 v15, v[2:3], off
	s_clause 0x2
	s_load_b64 s[10:11], s[0:1], 0x30
	s_load_b64 s[8:9], s[0:1], 0x10
	s_load_b128 s[4:7], s[0:1], 0x3c
	s_waitcnt lgkmcnt(0)
	s_cmp_lt_i32 s11, 32
	s_cbranch_scc1 .LBB179_22
; %bb.3:
	s_load_b128 s[0:3], s[0:1], 0x0
	s_ashr_i32 s13, s11, 31
	s_ashr_i32 s15, s5, 31
	s_mul_i32 s12, s12, s10
	s_lshr_b32 s10, s13, 27
	s_lshr_b32 s13, s15, 27
	s_add_i32 s17, s11, s10
	s_add_i32 s10, s5, s13
	s_ashr_i32 s5, s17, 5
	s_ashr_i32 s15, s12, 31
	s_mul_i32 s13, s5, s14
	s_ashr_i32 s10, s10, 5
	s_mul_hi_i32 s16, s13, 20
	s_mul_i32 s13, s13, 20
	v_lshrrev_b32_e32 v22, 3, v16
	s_waitcnt vmcnt(0)
	v_sub_nc_u32_e32 v5, 0, v15
	v_and_b32_e32 v19, 7, v16
	v_mul_lo_u32 v20, s5, v1
	v_dual_mov_b32 v17, 0 :: v_dual_lshlrev_b32 v0, 2, v16
	s_waitcnt lgkmcnt(0)
	s_add_u32 s0, s0, s12
	s_addc_u32 s1, s1, s15
	s_add_u32 s15, s0, s13
	s_addc_u32 s16, s1, s16
	s_abs_i32 s1, s7
	v_max_i32_e32 v5, v15, v5
	v_cvt_f32_u32_e32 v3, s1
	s_sub_i32 s12, 0, s1
	v_lshlrev_b32_e32 v7, 2, v19
	s_lshl_b32 s0, s5, 3
	v_mad_u32_u24 v25, 0x84, v1, v0
	v_rcp_iflag_f32_e32 v3, v3
	v_lshlrev_b32_e32 v2, 2, v1
	v_add_nc_u32_e32 v21, s0, v20
	s_and_not1_b32 s17, s17, 31
	v_lshrrev_b32_e32 v18, 2, v16
	v_add_nc_u32_e32 v27, 0x420, v25
	v_add_nc_u32_e32 v29, 0x840, v25
	;; [unrolled: 1-line block ×5, first 2 shown]
	v_dual_mul_f32 v3, 0x4f7ffffe, v3 :: v_dual_add_nc_u32 v6, v22, v2
	v_or_b32_e32 v2, v2, v16
	v_add_nc_u32_e32 v33, 0x14a0, v25
	v_add_nc_u32_e32 v34, 0x18c0, v25
	s_delay_alu instid0(VALU_DEP_4)
	v_cvt_u32_f32_e32 v3, v3
	v_and_b32_e32 v9, 0x1ffc, v6
	v_add_nc_u32_e32 v10, 32, v6
	v_lshl_add_u32 v61, v2, 2, 0x5680
	v_add_nc_u32_e32 v2, 32, v16
	v_mul_lo_u32 v8, s12, v3
	v_add3_u32 v12, v9, v7, 0x4200
	v_and_b32_e32 v9, 0x3ffc, v10
	v_lshlrev_b32_e32 v13, 5, v10
	v_lshrrev_b32_e32 v63, 3, v2
	v_and_b32_e32 v2, 0x1fc, v2
	v_add_nc_u32_e32 v35, 0x1ce0, v25
	v_add3_u32 v59, v9, v7, 0x4200
	v_mul_hi_u32 v8, v3, v8
	v_add_nc_u32_e32 v37, 0x2100, v25
	v_add_nc_u32_e32 v38, 0x2520, v25
	;; [unrolled: 1-line block ×3, first 2 shown]
	v_dual_mov_b32 v59, 0 :: v_dual_add_nc_u32 v78, v59, v13
	v_mul_lo_u32 v47, s5, v6
	v_lshlrev_b32_e32 v11, 5, v6
	v_add_nc_u32_e32 v3, v3, v8
	v_add_nc_u32_e32 v8, 64, v6
	;; [unrolled: 1-line block ×5, first 2 shown]
	v_mul_hi_u32 v3, v5, v3
	v_and_b32_e32 v10, 0x3ffc, v8
	v_and_b32_e32 v14, 0x3ffc, v6
	v_add_nc_u32_e32 v53, s17, v47
	v_lshlrev_b32_e32 v8, 5, v8
	v_lshlrev_b32_e32 v6, 5, v6
	v_add3_u32 v79, v10, v7, 0x4200
	v_add3_u32 v7, v14, v7, 0x4200
	v_mul_lo_u32 v51, v3, s1
	v_add_nc_u32_e32 v9, 1, v3
	v_lshlrev_b32_e32 v14, 7, v1
	v_add_nc_u32_e32 v55, s17, v53
	v_add_nc_u32_e32 v43, 0x35a0, v25
	;; [unrolled: 1-line block ×4, first 2 shown]
	v_mul_u32_u24_e32 v62, 0x84, v16
	v_sub_nc_u32_e32 v5, v5, v51
	v_add_nc_u32_e32 v57, s17, v55
	v_add_nc_u32_e32 v70, 0x5280, v14
	v_lshl_add_u32 v71, v1, 4, 0x5680
	v_mad_u32_u24 v76, 0x84, v16, 64
	v_subrev_nc_u32_e32 v10, s1, v5
	v_cmp_le_u32_e32 vcc_lo, s1, v5
	v_and_b32_e32 v4, 31, v16
	v_and_b32_e32 v24, 12, v0
	;; [unrolled: 1-line block ×3, first 2 shown]
	v_add_nc_u32_e32 v77, v12, v11
	v_cndmask_b32_e32 v5, v5, v10, vcc_lo
	v_cndmask_b32_e32 v3, v3, v9, vcc_lo
	v_xor_b32_e32 v9, s7, v15
	v_lshl_or_b32 v4, v4, 2, v14
	v_add_nc_u32_e32 v79, v79, v8
	v_cmp_le_u32_e32 vcc_lo, s1, v5
	v_add_nc_u32_e32 v10, 1, v3
	v_add_nc_u32_e32 v26, s0, v23
	v_ashrrev_i32_e32 v51, 31, v9
	v_add_nc_u32_e32 v60, 0x5280, v4
	s_delay_alu instid0(VALU_DEP_4) | instskip(NEXT) | instid1(VALU_DEP_4)
	v_dual_cndmask_b32 v3, v3, v10 :: v_dual_add_nc_u32 v4, 0x60, v16
	v_add_nc_u32_e32 v28, s0, v26
	v_lshlrev_b32_e32 v5, 5, v16
	v_cmp_gt_u32_e32 vcc_lo, 4, v16
	s_delay_alu instid0(VALU_DEP_4)
	v_and_b32_e32 v4, 0x1fc, v4
	v_add_nc_u32_e32 v80, v7, v6
	v_add_nc_u32_e32 v32, s0, v28
	;; [unrolled: 1-line block ×3, first 2 shown]
	v_mov_b32_e32 v8, 0
	s_add_u32 s12, s2, 0x90
	s_mov_b32 s17, 0
	v_add_nc_u32_e32 v36, s0, v32
	v_add_nc_u32_e32 v68, 0x4600, v2
	;; [unrolled: 1-line block ×3, first 2 shown]
	s_addc_u32 s13, s3, 0
	s_delay_alu instid0(VALU_DEP_3) | instskip(NEXT) | instid1(VALU_DEP_1)
	v_add_nc_u32_e32 v39, s0, v36
	v_add_nc_u32_e32 v44, s0, v39
	s_delay_alu instid0(VALU_DEP_1) | instskip(NEXT) | instid1(VALU_DEP_1)
	v_add_nc_u32_e32 v48, s0, v44
	v_add_nc_u32_e32 v49, s0, v48
	s_delay_alu instid0(VALU_DEP_1) | instskip(NEXT) | instid1(VALU_DEP_1)
	;; [unrolled: 3-line block ×3, first 2 shown]
	v_add_nc_u32_e32 v54, s0, v52
	v_add_nc_u32_e32 v56, s0, v54
	s_delay_alu instid0(VALU_DEP_1) | instskip(SKIP_4) | instid1(VALU_DEP_3)
	v_add_nc_u32_e32 v58, s0, v56
	v_add_co_u32 v9, s0, s2, v0
	v_xor_b32_e32 v0, v3, v51
	v_add_nc_u32_e32 v3, 64, v16
	v_add_co_ci_u32_e64 v10, null, s3, 0, s0
	v_sub_nc_u32_e32 v0, v0, v51
	s_delay_alu instid0(VALU_DEP_3) | instskip(SKIP_1) | instid1(VALU_DEP_3)
	v_and_b32_e32 v3, 0x1fc, v3
	v_and_b32_e32 v51, 0xfc, v16
	v_mul_lo_u32 v64, v0, s10
	v_cmp_gt_i32_e64 s0, s4, v0
	v_add_nc_u32_e32 v0, v5, v4
	v_add_nc_u32_e32 v3, v5, v3
	v_dual_mov_b32 v51, 0 :: v_dual_add_nc_u32 v4, v5, v51
	s_delay_alu instid0(VALU_DEP_3) | instskip(SKIP_1) | instid1(VALU_DEP_4)
	v_add_nc_u32_e32 v66, 0x4e00, v0
	v_ashrrev_i32_e32 v65, 31, v64
	v_add_nc_u32_e32 v67, 0x4a00, v3
	s_delay_alu instid0(VALU_DEP_4)
	v_add_nc_u32_e32 v69, 0x4200, v4
	v_add_nc_u32_e32 v72, 0x4e10, v0
	;; [unrolled: 1-line block ×4, first 2 shown]
	s_branch .LBB179_5
.LBB179_4:                              ;   in Loop: Header=BB179_5 Depth=1
	s_add_i32 s17, s17, 8
	s_delay_alu instid0(SALU_CYCLE_1)
	s_cmp_ge_i32 s17, s5
	s_cbranch_scc1 .LBB179_22
.LBB179_5:                              ; =>This Loop Header: Depth=1
                                        ;     Child Loop BB179_12 Depth 2
                                        ;     Child Loop BB179_20 Depth 2
	s_mul_i32 s1, s17, 20
	s_mul_hi_u32 s19, s17, 20
	s_add_u32 s18, s15, s1
	s_addc_u32 s19, s16, s19
	s_delay_alu instid0(SALU_CYCLE_1) | instskip(NEXT) | instid1(VALU_DEP_1)
	v_mad_u64_u32 v[0:1], null, v18, 20, s[18:19]
	v_add_co_u32 v0, s1, v0, v24
	s_delay_alu instid0(VALU_DEP_1) | instskip(NEXT) | instid1(VALU_DEP_2)
	v_add_co_ci_u32_e64 v1, s1, 0, v1, s1
	v_add_co_u32 v0, s1, v0, 4
	s_delay_alu instid0(VALU_DEP_1) | instskip(NEXT) | instid1(VALU_DEP_1)
	v_add_co_ci_u32_e64 v1, s1, 0, v1, s1
	v_mad_u64_u32 v[2:3], null, v20, 20, v[0:1]
	v_mad_u64_u32 v[4:5], null, v21, 20, v[0:1]
	;; [unrolled: 1-line block ×8, first 2 shown]
	s_clause 0x7
	global_load_b32 v95, v[2:3], off
	global_load_b32 v96, v[4:5], off
	;; [unrolled: 1-line block ×8, first 2 shown]
	v_mad_u64_u32 v[81:82], null, v19, 20, s[18:19]
	v_mad_u64_u32 v[2:3], null, v44, 20, v[0:1]
	;; [unrolled: 1-line block ×13, first 2 shown]
	s_clause 0xb
	global_load_b32 v2, v[2:3], off
	global_load_b32 v3, v[4:5], off
	;; [unrolled: 1-line block ×12, first 2 shown]
	s_lshl_b32 s18, s17, 5
	s_waitcnt vmcnt(19)
	ds_store_b32 v25, v95
	s_waitcnt vmcnt(18)
	ds_store_b32 v27, v96
	;; [unrolled: 2-line block ×20, first 2 shown]
	s_cmp_lt_i32 s18, s11
	s_cbranch_scc0 .LBB179_4
; %bb.6:                                ;   in Loop: Header=BB179_5 Depth=1
	v_add_nc_u32_e32 v0, s17, v22
	s_delay_alu instid0(VALU_DEP_1) | instskip(NEXT) | instid1(VALU_DEP_1)
	v_cmp_gt_i32_e64 s1, s10, v0
	s_and_b32 s19, s0, s1
	s_delay_alu instid0(SALU_CYCLE_1)
	s_and_saveexec_b32 s1, s19
	s_cbranch_execz .LBB179_8
; %bb.7:                                ;   in Loop: Header=BB179_5 Depth=1
	v_add_nc_u32_e32 v2, v64, v0
	s_delay_alu instid0(VALU_DEP_1)
	v_mad_i64_i32 v[0:1], null, v2, 36, v[9:10]
	global_load_b32 v0, v[0:1], off offset:4
	s_waitcnt vmcnt(0)
	ds_store_b32 v60, v0
.LBB179_8:                              ;   in Loop: Header=BB179_5 Depth=1
	s_or_b32 exec_lo, exec_lo, s1
	s_and_saveexec_b32 s19, vcc_lo
	s_cbranch_execz .LBB179_11
; %bb.9:                                ;   in Loop: Header=BB179_5 Depth=1
	v_or_b32_e32 v0, s17, v16
	s_delay_alu instid0(VALU_DEP_1) | instskip(NEXT) | instid1(VALU_DEP_1)
	v_cmp_gt_i32_e64 s1, s10, v0
	s_and_b32 s1, s0, s1
	s_delay_alu instid0(SALU_CYCLE_1)
	s_and_b32 exec_lo, exec_lo, s1
	s_cbranch_execz .LBB179_11
; %bb.10:                               ;   in Loop: Header=BB179_5 Depth=1
	v_add_nc_u32_e32 v2, v64, v0
	s_delay_alu instid0(VALU_DEP_1)
	v_mad_i64_i32 v[0:1], null, v2, 36, s[2:3]
	global_load_b32 v0, v[0:1], off
	s_waitcnt vmcnt(0)
	ds_store_b32 v61, v0
.LBB179_11:                             ;   in Loop: Header=BB179_5 Depth=1
	s_or_b32 exec_lo, exec_lo, s19
	v_dual_mov_b32 v81, v71 :: v_dual_mov_b32 v82, v70
	v_dual_mov_b32 v83, v62 :: v_dual_mov_b32 v84, v69
	v_dual_mov_b32 v85, v68 :: v_dual_mov_b32 v86, v67
	v_mov_b32_e32 v87, v66
	s_mov_b32 s1, -4
	s_waitcnt lgkmcnt(0)
	s_barrier
	buffer_gl0_inv
.LBB179_12:                             ;   Parent Loop BB179_5 Depth=1
                                        ; =>  This Inner Loop Header: Depth=2
	ds_load_b128 v[4:7], v82
	ds_load_b128 v[0:3], v82 offset:16
	ds_load_2addr_b32 v[11:12], v83 offset1:1
	ds_load_2addr_b32 v[13:14], v83 offset0:2 offset1:3
	v_add_nc_u32_e32 v88, 0x1080, v83
	v_add_nc_u32_e32 v90, 0x1088, v83
	;; [unrolled: 1-line block ×6, first 2 shown]
	ds_load_b32 v100, v85
	ds_load_b32 v101, v84
	;; [unrolled: 1-line block ×4, first 2 shown]
	ds_load_2addr_b32 v[88:89], v88 offset1:1
	ds_load_2addr_b32 v[90:91], v90 offset1:1
	;; [unrolled: 1-line block ×6, first 2 shown]
	ds_load_b32 v104, v81
	v_add_nc_u32_e32 v85, 4, v85
	v_add_nc_u32_e32 v84, 4, v84
	;; [unrolled: 1-line block ×5, first 2 shown]
	s_add_i32 s1, s1, 4
	s_delay_alu instid0(SALU_CYCLE_1)
	s_cmp_lt_u32 s1, 12
	s_waitcnt lgkmcnt(14)
	v_bfe_i32 v105, v4, 0, 8
	s_waitcnt lgkmcnt(13)
	v_bfe_i32 v108, v0, 0, 8
	s_waitcnt lgkmcnt(12)
	v_and_b32_e32 v130, 15, v11
	v_bfe_u32 v134, v11, 4, 4
	v_bfe_i32 v111, v5, 0, 8
	s_waitcnt lgkmcnt(6)
	v_and_b32_e32 v158, 15, v88
	v_bfe_i32 v114, v1, 0, 8
	v_mul_i32_i24_e32 v130, v130, v105
	s_waitcnt lgkmcnt(4)
	v_and_b32_e32 v186, 15, v92
	s_waitcnt lgkmcnt(2)
	v_and_b32_e32 v208, 15, v96
	v_and_b32_e32 v137, 15, v12
	v_bfe_u32 v141, v12, 4, 4
	v_bfe_u32 v162, v88, 4, 4
	v_and_b32_e32 v165, 15, v89
	v_bfe_u32 v169, v89, 4, 4
	v_bfe_u32 v190, v92, 4, 4
	;; [unrolled: 3-line block ×3, first 2 shown]
	v_and_b32_e32 v218, 15, v97
	v_bfe_u32 v219, v97, 4, 4
	v_mad_i32_i24 v130, v134, v108, v130
	v_mul_i32_i24_e32 v134, v158, v105
	v_mul_i32_i24_e32 v158, v186, v105
	;; [unrolled: 1-line block ×3, first 2 shown]
	v_bfe_i32 v106, v4, 8, 8
	v_bfe_i32 v115, v1, 8, 8
	;; [unrolled: 1-line block ×3, first 2 shown]
	v_ashrrev_i32_e32 v1, 24, v1
	v_bfe_i32 v117, v6, 0, 8
	v_bfe_u32 v131, v11, 8, 4
	v_bfe_u32 v136, v12, 20, 4
	v_bfe_u32 v138, v12, 8, 4
	v_bfe_u32 v139, v12, 16, 4
	v_bfe_u32 v140, v12, 24, 4
	v_bfe_u32 v142, v12, 12, 4
	v_lshrrev_b32_e32 v12, 28, v12
	v_and_b32_e32 v144, 15, v13
	v_mul_i32_i24_e32 v137, v137, v111
	v_mul_i32_i24_e32 v141, v141, v114
	v_bfe_u32 v159, v88, 8, 4
	v_bfe_u32 v164, v89, 20, 4
	;; [unrolled: 1-line block ×6, first 2 shown]
	v_lshrrev_b32_e32 v89, 28, v89
	v_and_b32_e32 v172, 15, v90
	v_bfe_u32 v187, v92, 8, 4
	v_bfe_u32 v192, v93, 20, 4
	;; [unrolled: 1-line block ×6, first 2 shown]
	v_lshrrev_b32_e32 v93, 28, v93
	v_and_b32_e32 v200, 15, v94
	v_bfe_u32 v216, v96, 8, 4
	v_bfe_u32 v222, v97, 20, 4
	;; [unrolled: 1-line block ×6, first 2 shown]
	v_lshrrev_b32_e32 v97, 28, v97
	s_waitcnt lgkmcnt(1)
	v_and_b32_e32 v228, 15, v98
	v_mul_i32_i24_e32 v165, v165, v111
	v_mul_i32_i24_e32 v169, v169, v114
	;; [unrolled: 1-line block ×6, first 2 shown]
	v_mad_i32_i24 v134, v162, v108, v134
	v_mad_i32_i24 v158, v190, v108, v158
	;; [unrolled: 1-line block ×3, first 2 shown]
	v_bfe_i32 v107, v4, 16, 8
	v_ashrrev_i32_e32 v4, 24, v4
	v_bfe_i32 v118, v6, 8, 8
	v_bfe_i32 v120, v2, 0, 8
	v_bfe_u32 v132, v11, 16, 4
	v_bfe_u32 v133, v11, 24, 4
	v_bfe_u32 v148, v13, 4, 4
	v_mul_i32_i24_e32 v131, v131, v106
	v_mul_i32_i24_e32 v144, v144, v117
	v_bfe_u32 v160, v88, 16, 4
	v_bfe_u32 v161, v88, 24, 4
	;; [unrolled: 1-line block ×11, first 2 shown]
	v_mul_i32_i24_e32 v12, v12, v1
	v_mul_i32_i24_e32 v159, v159, v106
	;; [unrolled: 1-line block ×10, first 2 shown]
	v_add3_u32 v108, v130, v137, v141
	v_add3_u32 v130, v134, v165, v169
	;; [unrolled: 1-line block ×4, first 2 shown]
	v_bfe_i32 v119, v6, 16, 8
	v_ashrrev_i32_e32 v6, 24, v6
	v_bfe_i32 v123, v7, 0, 8
	v_and_b32_e32 v151, 15, v14
	v_and_b32_e32 v179, 15, v91
	v_bfe_u32 v203, v94, 24, 4
	v_and_b32_e32 v207, 15, v95
	v_and_b32_e32 v235, 15, v99
	v_mul_i32_i24_e32 v132, v132, v107
	v_mul_i32_i24_e32 v133, v133, v4
	v_mul_i32_i24_e32 v148, v148, v120
	v_mul_i32_i24_e32 v160, v160, v107
	v_mul_i32_i24_e32 v188, v188, v107
	v_mul_i32_i24_e32 v107, v217, v107
	v_mul_i32_i24_e32 v161, v161, v4
	v_mul_i32_i24_e32 v189, v189, v4
	v_mul_i32_i24_e32 v4, v220, v4
	v_mul_i32_i24_e32 v117, v173, v118
	v_mul_i32_i24_e32 v173, v201, v118
	v_mul_i32_i24_e32 v176, v176, v120
	v_mul_i32_i24_e32 v201, v204, v120
	v_mul_i32_i24_e32 v111, v232, v120
	v_add3_u32 v108, v108, v144, v131
	v_add3_u32 v114, v130, v172, v159
	;; [unrolled: 1-line block ×4, first 2 shown]
	v_bfe_i32 v109, v0, 8, 8
	v_bfe_i32 v110, v0, 16, 8
	v_bfe_u32 v129, v11, 20, 4
	v_bfe_u32 v135, v11, 12, 4
	;; [unrolled: 1-line block ×8, first 2 shown]
	v_mul_i32_i24_e32 v151, v151, v123
	v_mul_i32_i24_e32 v179, v179, v123
	;; [unrolled: 1-line block ×5, first 2 shown]
	v_add3_u32 v106, v108, v132, v133
	v_add3_u32 v108, v114, v160, v161
	v_add3_u32 v114, v120, v188, v189
	v_add3_u32 v4, v97, v107, v4
	v_ashrrev_i32_e32 v0, 24, v0
	v_bfe_i32 v112, v5, 8, 8
	v_lshrrev_b32_e32 v11, 28, v11
	v_lshrrev_b32_e32 v88, 28, v88
	;; [unrolled: 1-line block ×4, first 2 shown]
	v_mul_i32_i24_e32 v135, v135, v109
	v_mul_i32_i24_e32 v129, v129, v110
	;; [unrolled: 1-line block ×8, first 2 shown]
	v_add3_u32 v97, v106, v148, v151
	v_add3_u32 v106, v108, v176, v179
	;; [unrolled: 1-line block ×4, first 2 shown]
	v_bfe_i32 v113, v5, 16, 8
	v_ashrrev_i32_e32 v5, 24, v5
	v_mul_i32_i24_e32 v11, v11, v0
	v_mul_i32_i24_e32 v138, v138, v112
	;; [unrolled: 1-line block ×8, first 2 shown]
	v_add3_u32 v97, v97, v135, v129
	v_add3_u32 v106, v106, v163, v157
	;; [unrolled: 1-line block ×4, first 2 shown]
	v_bfe_i32 v126, v3, 0, 8
	v_bfe_u32 v155, v14, 4, 4
	v_bfe_u32 v183, v91, 4, 4
	;; [unrolled: 1-line block ×4, first 2 shown]
	v_mul_i32_i24_e32 v139, v139, v113
	v_mul_i32_i24_e32 v140, v140, v5
	;; [unrolled: 1-line block ×8, first 2 shown]
	v_add3_u32 v11, v97, v11, v138
	v_add3_u32 v88, v106, v88, v96
	;; [unrolled: 1-line block ×4, first 2 shown]
	v_mul_i32_i24_e32 v142, v142, v115
	v_mul_i32_i24_e32 v155, v155, v126
	;; [unrolled: 1-line block ×8, first 2 shown]
	v_add3_u32 v11, v11, v139, v140
	v_add3_u32 v88, v88, v167, v168
	;; [unrolled: 1-line block ×4, first 2 shown]
	v_bfe_u32 v145, v13, 8, 4
	v_bfe_u32 v146, v13, 16, 4
	;; [unrolled: 1-line block ×6, first 2 shown]
	v_mul_i32_i24_e32 v136, v136, v116
	v_mul_i32_i24_e32 v164, v164, v116
	;; [unrolled: 1-line block ×4, first 2 shown]
	v_add3_u32 v5, v11, v155, v142
	v_add3_u32 v11, v88, v183, v170
	;; [unrolled: 1-line block ×4, first 2 shown]
	v_bfe_i32 v121, v2, 8, 8
	v_bfe_u32 v147, v13, 24, 4
	v_bfe_u32 v149, v13, 12, 4
	v_bfe_u32 v175, v90, 24, 4
	v_bfe_u32 v177, v90, 12, 4
	v_bfe_u32 v205, v94, 12, 4
	v_bfe_u32 v231, v98, 24, 4
	v_bfe_u32 v233, v98, 12, 4
	v_mul_i32_i24_e32 v145, v145, v118
	v_mul_i32_i24_e32 v146, v146, v119
	;; [unrolled: 1-line block ×6, first 2 shown]
	v_add3_u32 v5, v5, v136, v12
	v_add3_u32 v11, v11, v164, v89
	;; [unrolled: 1-line block ×4, first 2 shown]
	v_bfe_i32 v122, v2, 16, 8
	v_ashrrev_i32_e32 v2, 24, v2
	v_bfe_u32 v143, v13, 20, 4
	v_lshrrev_b32_e32 v13, 28, v13
	v_bfe_u32 v171, v90, 20, 4
	v_lshrrev_b32_e32 v90, 28, v90
	;; [unrolled: 2-line block ×4, first 2 shown]
	v_mul_i32_i24_e32 v147, v147, v6
	v_mul_i32_i24_e32 v149, v149, v121
	;; [unrolled: 1-line block ×7, first 2 shown]
	v_add3_u32 v5, v5, v145, v146
	v_add3_u32 v11, v11, v117, v174
	;; [unrolled: 1-line block ×4, first 2 shown]
	v_bfe_i32 v124, v7, 8, 8
	v_bfe_i32 v125, v7, 16, 8
	v_bfe_u32 v152, v14, 8, 4
	v_bfe_u32 v153, v14, 16, 4
	;; [unrolled: 1-line block ×8, first 2 shown]
	v_mul_i32_i24_e32 v143, v143, v122
	v_mul_i32_i24_e32 v13, v13, v2
	;; [unrolled: 1-line block ×8, first 2 shown]
	v_add3_u32 v5, v5, v147, v149
	v_add3_u32 v11, v11, v175, v177
	;; [unrolled: 1-line block ×4, first 2 shown]
	v_ashrrev_i32_e32 v7, 24, v7
	v_bfe_i32 v127, v3, 8, 8
	v_bfe_u32 v154, v14, 24, 4
	v_bfe_u32 v156, v14, 12, 4
	;; [unrolled: 1-line block ×8, first 2 shown]
	v_mul_i32_i24_e32 v152, v152, v124
	v_mul_i32_i24_e32 v153, v153, v125
	;; [unrolled: 1-line block ×8, first 2 shown]
	v_add3_u32 v5, v5, v143, v13
	v_add3_u32 v11, v11, v171, v90
	;; [unrolled: 1-line block ×4, first 2 shown]
	v_bfe_i32 v128, v3, 16, 8
	v_ashrrev_i32_e32 v3, 24, v3
	v_bfe_u32 v150, v14, 20, 4
	v_lshrrev_b32_e32 v14, 28, v14
	v_bfe_u32 v178, v91, 20, 4
	v_lshrrev_b32_e32 v91, 28, v91
	;; [unrolled: 2-line block ×4, first 2 shown]
	v_mul_i32_i24_e32 v154, v154, v7
	v_mul_i32_i24_e32 v156, v156, v127
	;; [unrolled: 1-line block ×8, first 2 shown]
	v_add3_u32 v5, v5, v152, v153
	v_add3_u32 v11, v11, v180, v181
	;; [unrolled: 1-line block ×4, first 2 shown]
	v_mul_i32_i24_e32 v150, v150, v128
	v_mul_i32_i24_e32 v14, v14, v3
	;; [unrolled: 1-line block ×8, first 2 shown]
	v_add3_u32 v3, v5, v154, v156
	v_add3_u32 v4, v11, v182, v184
	v_add3_u32 v5, v12, v207, v209
	v_add3_u32 v0, v0, v7, v6
	s_waitcnt lgkmcnt(0)
	v_pk_mul_f16 v101, v104, v101
	v_add3_u32 v3, v3, v150, v14
	v_add3_u32 v4, v4, v178, v91
	;; [unrolled: 1-line block ×4, first 2 shown]
	v_pk_mul_f16 v100, v104, v100
	v_pk_mul_f16 v6, v104, v102
	;; [unrolled: 1-line block ×3, first 2 shown]
	v_cvt_f32_i32_e32 v2, v3
	v_cvt_f32_i32_e32 v3, v4
	v_cvt_f32_i32_e32 v4, v5
	v_cvt_f32_i32_e32 v0, v0
	s_delay_alu instid0(VALU_DEP_4) | instskip(NEXT) | instid1(VALU_DEP_4)
	v_fma_mix_f32 v2, v101, v2, v101 op_sel:[0,0,1] op_sel_hi:[1,0,1]
	v_fma_mix_f32 v3, v100, v3, v100 op_sel:[0,0,1] op_sel_hi:[1,0,1]
	s_delay_alu instid0(VALU_DEP_4) | instskip(NEXT) | instid1(VALU_DEP_4)
	v_fma_mix_f32 v4, v6, v4, v6 op_sel:[0,0,1] op_sel_hi:[1,0,1]
	v_fma_mix_f32 v0, v1, v0, v1 op_sel:[0,0,1] op_sel_hi:[1,0,1]
	v_add_nc_u32_e32 v87, 4, v87
	s_delay_alu instid0(VALU_DEP_4)
	v_dual_add_f32 v59, v59, v3 :: v_dual_add_nc_u32 v86, 4, v86
	v_add_f32_e32 v17, v17, v2
	v_add_f32_e32 v51, v51, v4
	;; [unrolled: 1-line block ×3, first 2 shown]
	s_cbranch_scc1 .LBB179_12
; %bb.13:                               ;   in Loop: Header=BB179_5 Depth=1
	s_bitset1_b32 s18, 7
	s_delay_alu instid0(SALU_CYCLE_1)
	s_cmp_ge_i32 s18, s11
	s_barrier
	buffer_gl0_inv
	s_cbranch_scc1 .LBB179_4
; %bb.14:                               ;   in Loop: Header=BB179_5 Depth=1
	v_add_nc_u32_e32 v0, s17, v63
	s_delay_alu instid0(VALU_DEP_1) | instskip(NEXT) | instid1(VALU_DEP_1)
	v_cmp_gt_i32_e64 s1, s10, v0
	s_and_b32 s18, s0, s1
	s_delay_alu instid0(SALU_CYCLE_1)
	s_and_saveexec_b32 s1, s18
	s_cbranch_execz .LBB179_16
; %bb.15:                               ;   in Loop: Header=BB179_5 Depth=1
	v_add_nc_u32_e32 v2, v64, v0
	s_delay_alu instid0(VALU_DEP_1)
	v_mad_i64_i32 v[0:1], null, v2, 36, v[9:10]
	global_load_b32 v0, v[0:1], off offset:4
	s_waitcnt vmcnt(0)
	ds_store_b32 v60, v0
.LBB179_16:                             ;   in Loop: Header=BB179_5 Depth=1
	s_or_b32 exec_lo, exec_lo, s1
	s_and_saveexec_b32 s18, vcc_lo
	s_cbranch_execz .LBB179_19
; %bb.17:                               ;   in Loop: Header=BB179_5 Depth=1
	v_or_b32_e32 v0, s17, v16
	s_delay_alu instid0(VALU_DEP_1) | instskip(NEXT) | instid1(VALU_DEP_1)
	v_or_b32_e32 v1, 4, v0
	v_cmp_gt_i32_e64 s1, s10, v1
	s_delay_alu instid0(VALU_DEP_1) | instskip(NEXT) | instid1(SALU_CYCLE_1)
	s_and_b32 s1, s0, s1
	s_and_b32 exec_lo, exec_lo, s1
	s_cbranch_execz .LBB179_19
; %bb.18:                               ;   in Loop: Header=BB179_5 Depth=1
	v_ashrrev_i32_e32 v1, 31, v0
	v_add_co_u32 v2, s1, v64, v0
	s_delay_alu instid0(VALU_DEP_1) | instskip(NEXT) | instid1(VALU_DEP_2)
	v_add_co_ci_u32_e64 v3, s1, v65, v1, s1
	v_mad_u64_u32 v[0:1], null, v2, 36, s[12:13]
	s_delay_alu instid0(VALU_DEP_1)
	v_mad_i32_i24 v1, v3, 36, v1
	global_load_b32 v0, v[0:1], off
	s_waitcnt vmcnt(0)
	ds_store_b32 v61, v0
.LBB179_19:                             ;   in Loop: Header=BB179_5 Depth=1
	s_or_b32 exec_lo, exec_lo, s18
	v_dual_mov_b32 v0, v71 :: v_dual_mov_b32 v1, v70
	v_dual_mov_b32 v2, v76 :: v_dual_mov_b32 v3, v75
	v_dual_mov_b32 v4, v74 :: v_dual_mov_b32 v5, v73
	v_mov_b32_e32 v6, v72
	s_mov_b32 s1, 12
	s_waitcnt lgkmcnt(0)
	s_barrier
	buffer_gl0_inv
.LBB179_20:                             ;   Parent Loop BB179_5 Depth=1
                                        ; =>  This Inner Loop Header: Depth=2
	s_delay_alu instid0(VALU_DEP_2)
	v_add_nc_u32_e32 v89, 0x1080, v2
	v_add_nc_u32_e32 v91, 0x1088, v2
	ds_load_b128 v[11:14], v1
	ds_load_b128 v[81:84], v1 offset:16
	ds_load_b32 v7, v0
	ds_load_2addr_b32 v[85:86], v2 offset1:1
	ds_load_b32 v101, v4
	ds_load_b32 v102, v3
	ds_load_2addr_b32 v[87:88], v2 offset0:2 offset1:3
	v_add_nc_u32_e32 v93, 0x2100, v2
	v_add_nc_u32_e32 v95, 0x2108, v2
	;; [unrolled: 1-line block ×4, first 2 shown]
	ds_load_b32 v103, v5
	ds_load_b32 v104, v6
	ds_load_2addr_b32 v[89:90], v89 offset1:1
	ds_load_2addr_b32 v[91:92], v91 offset1:1
	;; [unrolled: 1-line block ×6, first 2 shown]
	v_add_nc_u32_e32 v5, 4, v5
	v_add_nc_u32_e32 v3, 4, v3
	;; [unrolled: 1-line block ×4, first 2 shown]
	s_add_i32 s1, s1, 4
	s_delay_alu instid0(SALU_CYCLE_1)
	s_cmp_lt_u32 s1, 28
	s_waitcnt lgkmcnt(14)
	v_bfe_i32 v105, v11, 0, 8
	v_bfe_i32 v106, v11, 8, 8
	;; [unrolled: 1-line block ×3, first 2 shown]
	s_waitcnt lgkmcnt(11)
	v_and_b32_e32 v130, 15, v85
	v_ashrrev_i32_e32 v11, 24, v11
	v_bfe_i32 v108, v81, 0, 8
	v_bfe_i32 v109, v81, 8, 8
	v_bfe_i32 v111, v12, 0, 8
	v_bfe_i32 v112, v12, 8, 8
	v_bfe_i32 v113, v12, 16, 8
	v_ashrrev_i32_e32 v12, 24, v12
	v_bfe_i32 v114, v82, 0, 8
	v_bfe_i32 v115, v82, 8, 8
	v_bfe_i32 v117, v13, 0, 8
	v_bfe_i32 v118, v13, 8, 8
	v_bfe_i32 v119, v13, 16, 8
	;; [unrolled: 6-line block ×3, first 2 shown]
	v_ashrrev_i32_e32 v14, 24, v14
	v_bfe_i32 v126, v84, 0, 8
	v_bfe_i32 v127, v84, 8, 8
	v_bfe_u32 v134, v85, 4, 4
	v_mul_i32_i24_e32 v130, v130, v105
	s_waitcnt lgkmcnt(5)
	v_and_b32_e32 v158, 15, v89
	v_bfe_u32 v159, v89, 8, 4
	v_bfe_u32 v160, v89, 16, 4
	;; [unrolled: 1-line block ×4, first 2 shown]
	v_and_b32_e32 v165, 15, v90
	v_bfe_u32 v166, v90, 8, 4
	v_bfe_u32 v167, v90, 16, 4
	;; [unrolled: 1-line block ×5, first 2 shown]
	s_waitcnt lgkmcnt(4)
	v_and_b32_e32 v172, 15, v91
	v_bfe_u32 v173, v91, 8, 4
	v_bfe_u32 v174, v91, 16, 4
	;; [unrolled: 1-line block ×5, first 2 shown]
	v_and_b32_e32 v179, 15, v92
	v_bfe_u32 v180, v92, 8, 4
	v_bfe_u32 v181, v92, 16, 4
	;; [unrolled: 1-line block ×5, first 2 shown]
	s_waitcnt lgkmcnt(3)
	v_and_b32_e32 v186, 15, v93
	s_waitcnt lgkmcnt(1)
	v_and_b32_e32 v214, 15, v97
	v_bfe_i32 v110, v81, 16, 8
	v_ashrrev_i32_e32 v81, 24, v81
	v_bfe_i32 v116, v82, 16, 8
	v_ashrrev_i32_e32 v82, 24, v82
	v_bfe_u32 v129, v85, 20, 4
	v_bfe_u32 v131, v85, 8, 4
	;; [unrolled: 1-line block ×5, first 2 shown]
	v_lshrrev_b32_e32 v85, 28, v85
	v_bfe_u32 v136, v86, 20, 4
	v_and_b32_e32 v137, 15, v86
	v_bfe_u32 v138, v86, 8, 4
	v_bfe_u32 v139, v86, 16, 4
	;; [unrolled: 1-line block ×5, first 2 shown]
	v_lshrrev_b32_e32 v86, 28, v86
	v_and_b32_e32 v144, 15, v87
	v_bfe_u32 v145, v87, 8, 4
	v_bfe_u32 v157, v89, 20, 4
	;; [unrolled: 1-line block ×3, first 2 shown]
	v_lshrrev_b32_e32 v89, 28, v89
	v_bfe_u32 v164, v90, 20, 4
	v_lshrrev_b32_e32 v90, 28, v90
	v_bfe_u32 v185, v93, 20, 4
	v_bfe_u32 v187, v93, 8, 4
	;; [unrolled: 1-line block ×6, first 2 shown]
	v_lshrrev_b32_e32 v93, 28, v93
	v_bfe_u32 v192, v94, 20, 4
	v_and_b32_e32 v193, 15, v94
	v_bfe_u32 v194, v94, 8, 4
	v_bfe_u32 v195, v94, 16, 4
	;; [unrolled: 1-line block ×5, first 2 shown]
	v_lshrrev_b32_e32 v94, 28, v94
	v_and_b32_e32 v200, 15, v95
	v_bfe_u32 v201, v95, 8, 4
	v_bfe_u32 v213, v97, 20, 4
	;; [unrolled: 1-line block ×7, first 2 shown]
	v_lshrrev_b32_e32 v97, 28, v97
	v_bfe_u32 v220, v98, 20, 4
	v_and_b32_e32 v221, 15, v98
	v_bfe_u32 v222, v98, 8, 4
	v_bfe_u32 v223, v98, 16, 4
	;; [unrolled: 1-line block ×5, first 2 shown]
	v_lshrrev_b32_e32 v98, 28, v98
	s_waitcnt lgkmcnt(0)
	v_and_b32_e32 v228, 15, v99
	v_bfe_u32 v229, v99, 8, 4
	v_mad_i32_i24 v130, v134, v108, v130
	v_mul_i32_i24_e32 v134, v158, v105
	v_mul_i32_i24_e32 v158, v159, v106
	;; [unrolled: 1-line block ×25, first 2 shown]
	v_bfe_u32 v146, v87, 16, 4
	v_mul_i32_i24_e32 v85, v85, v81
	v_mul_i32_i24_e32 v137, v137, v111
	;; [unrolled: 1-line block ×10, first 2 shown]
	v_bfe_u32 v202, v95, 16, 4
	v_bfe_u32 v230, v99, 16, 4
	v_mul_i32_i24_e32 v89, v89, v81
	v_mul_i32_i24_e32 v164, v164, v116
	;; [unrolled: 1-line block ×28, first 2 shown]
	v_mad_i32_i24 v117, v162, v108, v134
	v_mad_i32_i24 v118, v190, v108, v184
	;; [unrolled: 1-line block ×3, first 2 shown]
	v_mul_i32_i24_e32 v131, v131, v106
	v_mul_i32_i24_e32 v146, v146, v119
	;; [unrolled: 1-line block ×5, first 2 shown]
	v_add3_u32 v119, v130, v137, v141
	v_add3_u32 v117, v117, v163, v168
	;; [unrolled: 1-line block ×4, first 2 shown]
	v_bfe_u32 v148, v87, 4, 4
	v_and_b32_e32 v151, 15, v88
	v_mul_i32_i24_e32 v132, v132, v107
	v_mul_i32_i24_e32 v133, v133, v11
	v_bfe_u32 v203, v95, 24, 4
	v_bfe_u32 v204, v95, 4, 4
	;; [unrolled: 1-line block ×3, first 2 shown]
	v_and_b32_e32 v207, 15, v96
	v_bfe_u32 v232, v99, 4, 4
	v_and_b32_e32 v235, 15, v100
	v_mul_i32_i24_e32 v107, v216, v107
	v_mul_i32_i24_e32 v11, v217, v11
	v_add3_u32 v113, v119, v144, v131
	v_add3_u32 v117, v117, v170, v158
	;; [unrolled: 1-line block ×4, first 2 shown]
	v_mul_i32_i24_e32 v148, v148, v120
	v_mul_i32_i24_e32 v151, v151, v123
	;; [unrolled: 1-line block ×8, first 2 shown]
	v_add3_u32 v106, v113, v132, v133
	v_add3_u32 v113, v117, v159, v160
	;; [unrolled: 1-line block ×4, first 2 shown]
	v_mul_i32_i24_e32 v135, v135, v109
	v_mul_i32_i24_e32 v129, v129, v110
	;; [unrolled: 1-line block ×6, first 2 shown]
	v_add3_u32 v97, v106, v148, v151
	v_add3_u32 v106, v113, v175, v177
	;; [unrolled: 1-line block ×4, first 2 shown]
	v_bfe_u32 v155, v88, 4, 4
	v_add3_u32 v97, v97, v135, v129
	v_add3_u32 v105, v106, v161, v157
	;; [unrolled: 1-line block ×4, first 2 shown]
	v_mul_i32_i24_e32 v140, v140, v12
	v_bfe_u32 v208, v96, 8, 4
	v_bfe_u32 v209, v96, 16, 4
	;; [unrolled: 1-line block ×5, first 2 shown]
	v_mul_i32_i24_e32 v12, v224, v12
	v_add3_u32 v85, v97, v85, v138
	v_add3_u32 v89, v105, v89, v165
	;; [unrolled: 1-line block ×4, first 2 shown]
	v_bfe_i32 v122, v83, 16, 8
	v_ashrrev_i32_e32 v83, 24, v83
	v_bfe_u32 v143, v87, 20, 4
	v_bfe_u32 v147, v87, 24, 4
	;; [unrolled: 1-line block ×3, first 2 shown]
	v_lshrrev_b32_e32 v87, 28, v87
	v_mul_i32_i24_e32 v155, v155, v126
	v_bfe_u32 v171, v91, 20, 4
	v_lshrrev_b32_e32 v91, 28, v91
	v_bfe_u32 v199, v95, 20, 4
	v_lshrrev_b32_e32 v95, 28, v95
	v_bfe_u32 v227, v99, 20, 4
	v_bfe_u32 v231, v99, 24, 4
	;; [unrolled: 1-line block ×3, first 2 shown]
	v_lshrrev_b32_e32 v99, 28, v99
	v_mul_i32_i24_e32 v207, v208, v124
	v_mul_i32_i24_e32 v208, v209, v125
	;; [unrolled: 1-line block ×5, first 2 shown]
	v_add3_u32 v85, v85, v139, v140
	v_add3_u32 v89, v89, v166, v167
	;; [unrolled: 1-line block ×4, first 2 shown]
	v_mul_i32_i24_e32 v87, v87, v83
	v_mul_i32_i24_e32 v91, v91, v83
	;; [unrolled: 1-line block ×4, first 2 shown]
	v_add3_u32 v83, v85, v155, v142
	v_add3_u32 v85, v89, v182, v169
	;; [unrolled: 1-line block ×4, first 2 shown]
	v_mul_i32_i24_e32 v147, v147, v13
	v_add3_u32 v83, v83, v136, v86
	v_add3_u32 v85, v85, v164, v90
	;; [unrolled: 1-line block ×4, first 2 shown]
	v_mul_i32_i24_e32 v149, v149, v121
	v_mul_i32_i24_e32 v13, v231, v13
	;; [unrolled: 1-line block ×3, first 2 shown]
	v_add3_u32 v83, v83, v145, v146
	v_add3_u32 v85, v85, v172, v173
	;; [unrolled: 1-line block ×4, first 2 shown]
	v_bfe_u32 v152, v88, 8, 4
	v_bfe_u32 v153, v88, 16, 4
	v_mul_i32_i24_e32 v143, v143, v122
	v_bfe_u32 v236, v100, 8, 4
	v_bfe_u32 v237, v100, 16, 4
	v_mul_i32_i24_e32 v171, v171, v122
	v_mul_i32_i24_e32 v199, v199, v122
	;; [unrolled: 1-line block ×3, first 2 shown]
	v_add3_u32 v83, v83, v147, v149
	v_add3_u32 v85, v85, v174, v176
	;; [unrolled: 1-line block ×4, first 2 shown]
	v_bfe_u32 v154, v88, 24, 4
	v_bfe_u32 v156, v88, 12, 4
	v_mul_i32_i24_e32 v152, v152, v124
	v_mul_i32_i24_e32 v153, v153, v125
	v_bfe_u32 v212, v96, 12, 4
	v_bfe_u32 v238, v100, 24, 4
	;; [unrolled: 1-line block ×3, first 2 shown]
	v_mul_i32_i24_e32 v81, v236, v124
	v_mul_i32_i24_e32 v82, v237, v125
	v_add3_u32 v83, v83, v143, v87
	v_add3_u32 v85, v85, v171, v91
	;; [unrolled: 1-line block ×4, first 2 shown]
	v_bfe_i32 v128, v84, 16, 8
	v_ashrrev_i32_e32 v84, 24, v84
	v_bfe_u32 v150, v88, 20, 4
	v_lshrrev_b32_e32 v88, 28, v88
	v_mul_i32_i24_e32 v154, v154, v14
	v_mul_i32_i24_e32 v156, v156, v127
	v_bfe_u32 v178, v92, 20, 4
	v_lshrrev_b32_e32 v92, 28, v92
	v_bfe_u32 v206, v96, 20, 4
	v_lshrrev_b32_e32 v96, 28, v96
	;; [unrolled: 2-line block ×3, first 2 shown]
	v_mul_i32_i24_e32 v211, v212, v127
	v_mul_i32_i24_e32 v14, v238, v14
	;; [unrolled: 1-line block ×3, first 2 shown]
	v_add3_u32 v83, v83, v152, v153
	v_add3_u32 v85, v85, v179, v180
	;; [unrolled: 1-line block ×4, first 2 shown]
	v_mul_i32_i24_e32 v150, v150, v128
	v_mul_i32_i24_e32 v88, v88, v84
	;; [unrolled: 1-line block ×8, first 2 shown]
	v_add3_u32 v82, v83, v154, v156
	v_add3_u32 v83, v85, v181, v183
	;; [unrolled: 1-line block ×4, first 2 shown]
	v_pk_mul_f16 v102, v7, v102
	v_add3_u32 v14, v82, v150, v88
	v_add3_u32 v82, v83, v178, v92
	;; [unrolled: 1-line block ×4, first 2 shown]
	v_pk_mul_f16 v101, v7, v101
	v_pk_mul_f16 v13, v7, v103
	;; [unrolled: 1-line block ×3, first 2 shown]
	v_cvt_f32_i32_e32 v12, v14
	v_cvt_f32_i32_e32 v14, v82
	v_cvt_f32_i32_e32 v81, v83
	v_cvt_f32_i32_e32 v11, v11
	s_delay_alu instid0(VALU_DEP_4) | instskip(NEXT) | instid1(VALU_DEP_4)
	v_fma_mix_f32 v12, v102, v12, v102 op_sel:[0,0,1] op_sel_hi:[1,0,1]
	v_fma_mix_f32 v14, v101, v14, v101 op_sel:[0,0,1] op_sel_hi:[1,0,1]
	s_delay_alu instid0(VALU_DEP_4) | instskip(NEXT) | instid1(VALU_DEP_4)
	v_fma_mix_f32 v13, v13, v81, v13 op_sel:[0,0,1] op_sel_hi:[1,0,1]
	v_fma_mix_f32 v7, v7, v11, v7 op_sel:[0,0,1] op_sel_hi:[1,0,1]
	s_delay_alu instid0(VALU_DEP_4) | instskip(NEXT) | instid1(VALU_DEP_4)
	v_dual_add_f32 v17, v17, v12 :: v_dual_add_nc_u32 v6, 4, v6
	v_dual_add_f32 v59, v59, v14 :: v_dual_add_nc_u32 v4, 4, v4
	s_delay_alu instid0(VALU_DEP_4) | instskip(NEXT) | instid1(VALU_DEP_4)
	v_dual_add_f32 v51, v51, v13 :: v_dual_add_nc_u32 v2, 16, v2
	v_add_f32_e32 v8, v8, v7
	s_cbranch_scc1 .LBB179_20
; %bb.21:                               ;   in Loop: Header=BB179_5 Depth=1
	s_barrier
	buffer_gl0_inv
	s_branch .LBB179_4
.LBB179_22:
	s_mul_i32 s0, s7, s4
	s_waitcnt vmcnt(0)
	v_cmp_gt_i32_e32 vcc_lo, s0, v15
	s_and_saveexec_b32 s0, vcc_lo
	s_cbranch_execz .LBB179_31
; %bb.23:
	v_mul_lo_u32 v0, v15, s6
	v_add_nc_u32_e32 v1, s14, v16
	s_mov_b32 s0, exec_lo
	s_delay_alu instid0(VALU_DEP_1)
	v_cmpx_gt_u32_e64 s6, v1
	s_cbranch_execz .LBB179_25
; %bb.24:
	s_delay_alu instid0(VALU_DEP_3) | instskip(NEXT) | instid1(VALU_DEP_1)
	v_dual_mov_b32 v3, 0 :: v_dual_add_nc_u32 v2, v0, v1
	v_lshlrev_b64 v[2:3], 2, v[2:3]
	s_delay_alu instid0(VALU_DEP_1) | instskip(NEXT) | instid1(VALU_DEP_2)
	v_add_co_u32 v2, vcc_lo, s8, v2
	v_add_co_ci_u32_e32 v3, vcc_lo, s9, v3, vcc_lo
	global_store_b32 v[2:3], v17, off
.LBB179_25:
	s_or_b32 exec_lo, exec_lo, s0
	v_add_nc_u32_e32 v2, 32, v1
	s_mov_b32 s0, exec_lo
	s_delay_alu instid0(VALU_DEP_1)
	v_cmpx_gt_u32_e64 s6, v2
	s_cbranch_execz .LBB179_27
; %bb.26:
	v_dual_mov_b32 v3, 0 :: v_dual_add_nc_u32 v2, v0, v2
	s_delay_alu instid0(VALU_DEP_1) | instskip(NEXT) | instid1(VALU_DEP_1)
	v_lshlrev_b64 v[2:3], 2, v[2:3]
	v_add_co_u32 v2, vcc_lo, s8, v2
	s_delay_alu instid0(VALU_DEP_2)
	v_add_co_ci_u32_e32 v3, vcc_lo, s9, v3, vcc_lo
	global_store_b32 v[2:3], v59, off
.LBB179_27:
	s_or_b32 exec_lo, exec_lo, s0
	v_add_nc_u32_e32 v2, 64, v1
	s_mov_b32 s0, exec_lo
	s_delay_alu instid0(VALU_DEP_1)
	v_cmpx_gt_u32_e64 s6, v2
	s_cbranch_execz .LBB179_29
; %bb.28:
	v_dual_mov_b32 v3, 0 :: v_dual_add_nc_u32 v2, v0, v2
	s_delay_alu instid0(VALU_DEP_1) | instskip(NEXT) | instid1(VALU_DEP_1)
	v_lshlrev_b64 v[2:3], 2, v[2:3]
	v_add_co_u32 v2, vcc_lo, s8, v2
	s_delay_alu instid0(VALU_DEP_2)
	v_add_co_ci_u32_e32 v3, vcc_lo, s9, v3, vcc_lo
	global_store_b32 v[2:3], v51, off
.LBB179_29:
	s_or_b32 exec_lo, exec_lo, s0
	v_add_nc_u32_e32 v1, 0x60, v1
	s_delay_alu instid0(VALU_DEP_1)
	v_cmp_gt_u32_e32 vcc_lo, s6, v1
	s_and_b32 exec_lo, exec_lo, vcc_lo
	s_cbranch_execz .LBB179_31
; %bb.30:
	v_dual_mov_b32 v1, 0 :: v_dual_add_nc_u32 v0, v0, v1
	s_delay_alu instid0(VALU_DEP_1) | instskip(NEXT) | instid1(VALU_DEP_1)
	v_lshlrev_b64 v[0:1], 2, v[0:1]
	v_add_co_u32 v0, vcc_lo, s8, v0
	s_delay_alu instid0(VALU_DEP_2)
	v_add_co_ci_u32_e32 v1, vcc_lo, s9, v1, vcc_lo
	global_store_b32 v[0:1], v8, off
.LBB179_31:
	s_nop 0
	s_sendmsg sendmsg(MSG_DEALLOC_VGPRS)
	s_endpgm
	.section	.rodata,"a",@progbits
	.p2align	6, 0x0
	.amdhsa_kernel _ZL8moe_q4_1IfLb0EEvPKvS1_PT_PKiS5_S5_iiiiiii
		.amdhsa_group_segment_fixed_size 22272
		.amdhsa_private_segment_fixed_size 0
		.amdhsa_kernarg_size 76
		.amdhsa_user_sgpr_count 14
		.amdhsa_user_sgpr_dispatch_ptr 0
		.amdhsa_user_sgpr_queue_ptr 0
		.amdhsa_user_sgpr_kernarg_segment_ptr 1
		.amdhsa_user_sgpr_dispatch_id 0
		.amdhsa_user_sgpr_private_segment_size 0
		.amdhsa_wavefront_size32 1
		.amdhsa_uses_dynamic_stack 0
		.amdhsa_enable_private_segment 0
		.amdhsa_system_sgpr_workgroup_id_x 1
		.amdhsa_system_sgpr_workgroup_id_y 1
		.amdhsa_system_sgpr_workgroup_id_z 0
		.amdhsa_system_sgpr_workgroup_info 0
		.amdhsa_system_vgpr_workitem_id 1
		.amdhsa_next_free_vgpr 241
		.amdhsa_next_free_sgpr 20
		.amdhsa_reserve_vcc 1
		.amdhsa_float_round_mode_32 0
		.amdhsa_float_round_mode_16_64 0
		.amdhsa_float_denorm_mode_32 3
		.amdhsa_float_denorm_mode_16_64 3
		.amdhsa_dx10_clamp 1
		.amdhsa_ieee_mode 1
		.amdhsa_fp16_overflow 0
		.amdhsa_workgroup_processor_mode 1
		.amdhsa_memory_ordered 1
		.amdhsa_forward_progress 0
		.amdhsa_shared_vgpr_count 0
		.amdhsa_exception_fp_ieee_invalid_op 0
		.amdhsa_exception_fp_denorm_src 0
		.amdhsa_exception_fp_ieee_div_zero 0
		.amdhsa_exception_fp_ieee_overflow 0
		.amdhsa_exception_fp_ieee_underflow 0
		.amdhsa_exception_fp_ieee_inexact 0
		.amdhsa_exception_int_div_zero 0
	.end_amdhsa_kernel
	.section	.text._ZL8moe_q4_1IfLb0EEvPKvS1_PT_PKiS5_S5_iiiiiii,"axG",@progbits,_ZL8moe_q4_1IfLb0EEvPKvS1_PT_PKiS5_S5_iiiiiii,comdat
.Lfunc_end179:
	.size	_ZL8moe_q4_1IfLb0EEvPKvS1_PT_PKiS5_S5_iiiiiii, .Lfunc_end179-_ZL8moe_q4_1IfLb0EEvPKvS1_PT_PKiS5_S5_iiiiiii
                                        ; -- End function
	.section	.AMDGPU.csdata,"",@progbits
; Kernel info:
; codeLenInByte = 7584
; NumSgprs: 22
; NumVgprs: 241
; ScratchSize: 0
; MemoryBound: 0
; FloatMode: 240
; IeeeMode: 1
; LDSByteSize: 22272 bytes/workgroup (compile time only)
; SGPRBlocks: 2
; VGPRBlocks: 30
; NumSGPRsForWavesPerEU: 22
; NumVGPRsForWavesPerEU: 241
; Occupancy: 5
; WaveLimiterHint : 1
; COMPUTE_PGM_RSRC2:SCRATCH_EN: 0
; COMPUTE_PGM_RSRC2:USER_SGPR: 14
; COMPUTE_PGM_RSRC2:TRAP_HANDLER: 0
; COMPUTE_PGM_RSRC2:TGID_X_EN: 1
; COMPUTE_PGM_RSRC2:TGID_Y_EN: 1
; COMPUTE_PGM_RSRC2:TGID_Z_EN: 0
; COMPUTE_PGM_RSRC2:TIDIG_COMP_CNT: 1
	.section	.text._ZL8moe_q4_1IfLb1EEvPKvS1_PT_PKiS5_S5_iiiiiii,"axG",@progbits,_ZL8moe_q4_1IfLb1EEvPKvS1_PT_PKiS5_S5_iiiiiii,comdat
	.globl	_ZL8moe_q4_1IfLb1EEvPKvS1_PT_PKiS5_S5_iiiiiii ; -- Begin function _ZL8moe_q4_1IfLb1EEvPKvS1_PT_PKiS5_S5_iiiiiii
	.p2align	8
	.type	_ZL8moe_q4_1IfLb1EEvPKvS1_PT_PKiS5_S5_iiiiiii,@function
_ZL8moe_q4_1IfLb1EEvPKvS1_PT_PKiS5_S5_iiiiiii: ; @_ZL8moe_q4_1IfLb1EEvPKvS1_PT_PKiS5_S5_iiiiiii
; %bb.0:
	s_load_b128 s[4:7], s[0:1], 0x18
	s_mov_b32 s2, s15
	s_mov_b32 s3, 0
	s_delay_alu instid0(SALU_CYCLE_1)
	s_lshl_b64 s[8:9], s[2:3], 2
	s_waitcnt lgkmcnt(0)
	s_add_u32 s6, s6, s8
	s_addc_u32 s7, s7, s9
	s_load_b32 s15, s[6:7], 0x0
	s_waitcnt lgkmcnt(0)
	s_cmpk_gt_u32 s15, 0xff
	s_cbranch_scc1 .LBB180_31
; %bb.1:
	s_load_b64 s[6:7], s[0:1], 0x28
	s_lshl_b32 s2, s2, 3
	s_waitcnt lgkmcnt(0)
	s_load_b32 s3, s[6:7], 0x0
	s_waitcnt lgkmcnt(0)
	s_cmp_gt_u32 s2, s3
	s_cbranch_scc1 .LBB180_31
; %bb.2:
	v_bfe_u32 v1, v0, 10, 10
	s_delay_alu instid0(VALU_DEP_1) | instskip(NEXT) | instid1(VALU_DEP_1)
	v_dual_mov_b32 v22, 0 :: v_dual_add_nc_u32 v21, s2, v1
	v_dual_mov_b32 v55, v22 :: v_dual_and_b32 v32, 0x3ff, v0
	v_mov_b32_e32 v59, v22
	v_mov_b32_e32 v33, v22
	s_delay_alu instid0(VALU_DEP_4) | instskip(NEXT) | instid1(VALU_DEP_1)
	v_lshlrev_b64 v[2:3], 2, v[21:22]
	v_add_co_u32 v2, vcc_lo, s4, v2
	s_delay_alu instid0(VALU_DEP_2)
	v_add_co_ci_u32_e32 v3, vcc_lo, s5, v3, vcc_lo
	global_load_b32 v31, v[2:3], off
	s_clause 0x1
	s_load_b256 s[4:11], s[0:1], 0x30
	s_load_b64 s[12:13], s[0:1], 0x10
	s_waitcnt lgkmcnt(0)
	s_lshl_b32 s11, s14, 7
	s_cmp_lt_i32 s5, 32
	s_cbranch_scc1 .LBB180_22
; %bb.3:
	s_load_b128 s[0:3], s[0:1], 0x0
	s_ashr_i32 s14, s5, 31
	s_mul_i32 s15, s15, s4
	s_lshr_b32 s4, s14, 27
	s_ashr_i32 s16, s8, 31
	s_add_i32 s4, s5, s4
	s_lshr_b32 s14, s16, 27
	s_ashr_i32 s4, s4, 5
	s_add_i32 s8, s8, s14
	s_mul_i32 s14, s4, s11
	s_ashr_i32 s16, s15, 31
	s_ashr_i32 s8, s8, 5
	s_mul_hi_i32 s17, s14, 20
	s_mul_i32 s14, s14, 20
	v_dual_mov_b32 v33, 0 :: v_dual_add_nc_u32 v2, 8, v1
	v_lshlrev_b32_e32 v0, 2, v32
	v_add_nc_u32_e32 v3, 16, v1
	v_add_nc_u32_e32 v5, 24, v1
	;; [unrolled: 1-line block ×3, first 2 shown]
	s_waitcnt lgkmcnt(0)
	s_add_u32 s0, s0, s15
	s_addc_u32 s1, s1, s16
	s_add_u32 s16, s0, s14
	s_addc_u32 s17, s1, s17
	s_not_b32 s0, s11
	s_abs_i32 s1, s10
	s_add_i32 s0, s0, s6
	v_add_nc_u32_e32 v23, 0x78, v1
	v_min_i32_e32 v4, s0, v1
	v_min_i32_e32 v2, s0, v2
	;; [unrolled: 1-line block ×3, first 2 shown]
	v_lshrrev_b32_e32 v49, 3, v32
	s_sub_i32 s6, 0, s1
	v_mad_u64_u32 v[8:9], null, 0x84, v4, v[0:1]
	v_mul_lo_u32 v37, v2, s4
	v_mad_u64_u32 v[9:10], null, 0x84, v2, v[0:1]
	v_min_i32_e32 v2, s0, v5
	v_mul_lo_u32 v36, v4, s4
	v_add_nc_u32_e32 v4, 32, v1
	v_mul_lo_u32 v38, v3, s4
	v_mad_u64_u32 v[10:11], null, 0x84, v3, v[0:1]
	v_add_nc_u32_e32 v3, 40, v1
	v_mul_lo_u32 v39, v2, s4
	v_mad_u64_u32 v[11:12], null, 0x84, v2, v[0:1]
	v_add_nc_u32_e32 v2, 48, v1
	v_min_i32_e32 v4, s0, v4
	v_min_i32_e32 v3, s0, v3
	v_cvt_f32_u32_e32 v5, s1
	s_waitcnt vmcnt(0)
	v_sub_nc_u32_e32 v27, 0, v31
	v_min_i32_e32 v2, s0, v2
	v_mul_lo_u32 v40, v4, s4
	v_mad_u64_u32 v[12:13], null, 0x84, v4, v[0:1]
	v_add_nc_u32_e32 v4, 56, v1
	v_mul_lo_u32 v41, v3, s4
	v_mad_u64_u32 v[13:14], null, 0x84, v3, v[0:1]
	v_add_nc_u32_e32 v3, 64, v1
	;; [unrolled: 3-line block ×3, first 2 shown]
	v_min_i32_e32 v4, s0, v4
	v_min_i32_e32 v3, s0, v3
	v_max_i32_e32 v27, v31, v27
	v_and_b32_e32 v53, 7, v32
	v_min_i32_e32 v2, s0, v2
	v_mul_lo_u32 v43, v4, s4
	v_mad_u64_u32 v[15:16], null, 0x84, v4, v[0:1]
	v_add_nc_u32_e32 v4, 0x50, v1
	v_mul_lo_u32 v44, v3, s4
	v_mad_u64_u32 v[16:17], null, 0x84, v3, v[0:1]
	v_add_nc_u32_e32 v3, 0x58, v1
	;; [unrolled: 3-line block ×3, first 2 shown]
	v_min_i32_e32 v4, s0, v4
	v_min_i32_e32 v3, s0, v3
	v_lshlrev_b32_e32 v28, 2, v53
	v_lshlrev_b32_e32 v59, 7, v1
	v_min_i32_e32 v2, s0, v2
	v_mad_u64_u32 v[18:19], null, 0x84, v4, v[0:1]
	v_mad_u64_u32 v[19:20], null, 0x84, v3, v[0:1]
	s_delay_alu instid0(VALU_DEP_3)
	v_mul_lo_u32 v48, v2, s4
	v_mad_u64_u32 v[20:21], null, 0x84, v2, v[0:1]
	v_rcp_iflag_f32_e32 v2, v5
	v_mul_lo_u32 v47, v3, s4
	v_add_nc_u32_e32 v3, 0x68, v1
	v_min_i32_e32 v5, s0, v6
	v_mul_lo_u32 v46, v4, s4
	v_lshlrev_b32_e32 v4, 2, v1
	v_and_b32_e32 v65, 0xfc, v32
	v_min_i32_e32 v3, s0, v3
	v_mul_lo_u32 v51, v5, s4
	v_lshrrev_b32_e32 v34, 2, v32
	v_dual_mul_f32 v2, 0x4f7ffffe, v2 :: v_dual_add_nc_u32 v7, v49, v4
	s_delay_alu instid0(VALU_DEP_4) | instskip(SKIP_1) | instid1(VALU_DEP_3)
	v_mad_u64_u32 v[21:22], null, 0x84, v3, v[0:1]
	v_min_i32_e32 v22, s0, v23
	v_cvt_u32_f32_e32 v2, v2
	v_mad_u64_u32 v[23:24], null, 0x84, v5, v[0:1]
	v_add_nc_u32_e32 v5, 32, v7
	s_delay_alu instid0(VALU_DEP_4)
	v_mul_lo_u32 v52, v22, s4
	v_mad_u64_u32 v[24:25], null, 0x84, v22, v[0:1]
	v_mul_lo_u32 v22, s6, v2
	v_add_nc_u32_e32 v25, 64, v7
	v_min_i32_e32 v6, s0, v7
	v_min_i32_e32 v5, s0, v5
	v_add_nc_u32_e32 v7, 0x60, v7
	v_mul_lo_u32 v50, v3, s4
	v_min_i32_e32 v25, s0, v25
	v_ashrrev_i32_e32 v3, 31, v6
	v_mul_hi_u32 v22, v2, v22
	v_ashrrev_i32_e32 v26, 31, v5
	v_min_i32_e32 v7, s0, v7
	v_ashrrev_i32_e32 v29, 31, v25
	v_mul_lo_u32 v57, v25, s4
	v_lshrrev_b32_e32 v3, 30, v3
	v_lshrrev_b32_e32 v26, 30, v26
	v_or_b32_e32 v4, v4, v32
	v_add_nc_u32_e32 v2, v2, v22
	v_lshrrev_b32_e32 v22, 30, v29
	v_ashrrev_i32_e32 v29, 31, v7
	v_add_nc_u32_e32 v26, v5, v26
	v_add_nc_u32_e32 v3, v6, v3
	v_mul_hi_u32 v2, v27, v2
	v_add_nc_u32_e32 v22, v25, v22
	v_lshrrev_b32_e32 v29, 30, v29
	v_and_b32_e32 v26, -4, v26
	v_and_b32_e32 v3, -4, v3
	v_lshl_add_u32 v61, v4, 2, 0x5680
	v_and_b32_e32 v22, -4, v22
	v_add_nc_u32_e32 v29, v7, v29
	v_mul_lo_u32 v30, v2, s1
	v_add3_u32 v55, v26, v28, 0x4200
	v_add3_u32 v3, v3, v28, 0x4200
	;; [unrolled: 1-line block ×3, first 2 shown]
	v_and_b32_e32 v26, -4, v29
	v_lshlrev_b32_e32 v29, 5, v25
	v_add_nc_u32_e32 v4, 64, v32
	v_mul_lo_u32 v54, v6, s4
	v_sub_nc_u32_e32 v25, v27, v30
	v_add3_u32 v27, v26, v28, 0x4200
	v_add_nc_u32_e32 v26, 1, v2
	v_and_b32_e32 v28, 31, v32
	v_and_b32_e32 v4, 0x1fc, v4
	v_subrev_nc_u32_e32 v30, s1, v25
	v_cmp_le_u32_e32 vcc_lo, s1, v25
	v_lshlrev_b32_e32 v6, 5, v6
	v_lshl_or_b32 v28, v28, 2, v59
	v_mul_lo_u32 v56, v5, s4
	v_dual_cndmask_b32 v2, v2, v26 :: v_dual_lshlrev_b32 v5, 5, v5
	v_cndmask_b32_e32 v25, v25, v30, vcc_lo
	v_xor_b32_e32 v26, s10, v31
	v_add_nc_u32_e32 v60, 0x5280, v28
	v_add_nc_u32_e32 v28, 0x60, v32
	v_add_nc_u32_e32 v30, 1, v2
	v_cmp_le_u32_e32 vcc_lo, s1, v25
	v_and_b32_e32 v35, 12, v0
	v_and_b32_e32 v0, 28, v0
	v_ashrrev_i32_e32 v62, 31, v26
	v_and_b32_e32 v28, 0x1fc, v28
	v_cndmask_b32_e32 v2, v2, v30, vcc_lo
	v_lshlrev_b32_e32 v30, 5, v32
	v_add_co_u32 v25, s0, s2, v0
	v_mul_lo_u32 v58, v7, s4
	s_delay_alu instid0(VALU_DEP_4) | instskip(SKIP_3) | instid1(VALU_DEP_4)
	v_xor_b32_e32 v0, v2, v62
	v_add_nc_u32_e32 v2, 32, v32
	v_lshlrev_b32_e32 v7, 5, v7
	v_add_co_ci_u32_e64 v26, null, s3, 0, s0
	v_sub_nc_u32_e32 v0, v0, v62
	s_delay_alu instid0(VALU_DEP_4)
	v_lshrrev_b32_e32 v63, 3, v2
	v_and_b32_e32 v2, 0x1fc, v2
	v_add_nc_u32_e32 v4, v30, v4
	v_cmp_gt_u32_e32 vcc_lo, 4, v32
	v_mul_lo_u32 v64, v0, s8
	v_cmp_gt_i32_e64 s0, s7, v0
	v_add_nc_u32_e32 v0, v30, v28
	v_add_nc_u32_e32 v2, v30, v2
	;; [unrolled: 1-line block ×3, first 2 shown]
	v_mul_u32_u24_e32 v62, 0x84, v32
	v_add_nc_u32_e32 v67, 0x4a00, v4
	v_add_nc_u32_e32 v66, 0x4e00, v0
	v_ashrrev_i32_e32 v65, 31, v64
	v_add_nc_u32_e32 v68, 0x4600, v2
	v_add_nc_u32_e32 v69, 0x4200, v28
	v_add_nc_u32_e32 v70, 0x5280, v59
	v_lshl_add_u32 v71, v1, 4, 0x5680
	v_add_nc_u32_e32 v72, 0x4e10, v0
	v_add_nc_u32_e32 v73, 0x4a10, v4
	;; [unrolled: 1-line block ×4, first 2 shown]
	v_mad_u32_u24 v76, 0x84, v32, 64
	v_add_nc_u32_e32 v77, v3, v6
	v_add_nc_u32_e32 v78, v55, v5
	v_add_nc_u32_e32 v79, v22, v29
	v_dual_mov_b32 v59, 0 :: v_dual_add_nc_u32 v80, v27, v7
	v_dual_mov_b32 v55, 0 :: v_dual_mov_b32 v22, 0
	s_add_u32 s14, s2, 0x90
	s_mov_b32 s6, 0
	s_addc_u32 s15, s3, 0
	s_branch .LBB180_5
.LBB180_4:                              ;   in Loop: Header=BB180_5 Depth=1
	s_add_i32 s6, s6, 8
	s_delay_alu instid0(SALU_CYCLE_1)
	s_cmp_ge_i32 s6, s4
	s_cbranch_scc1 .LBB180_22
.LBB180_5:                              ; =>This Loop Header: Depth=1
                                        ;     Child Loop BB180_12 Depth 2
                                        ;     Child Loop BB180_20 Depth 2
	s_mul_i32 s1, s6, 20
	s_mul_hi_u32 s19, s6, 20
	s_add_u32 s18, s16, s1
	s_addc_u32 s19, s17, s19
	s_delay_alu instid0(SALU_CYCLE_1) | instskip(NEXT) | instid1(VALU_DEP_1)
	v_mad_u64_u32 v[0:1], null, v34, 20, s[18:19]
	v_add_co_u32 v0, s1, v0, v35
	s_delay_alu instid0(VALU_DEP_1) | instskip(NEXT) | instid1(VALU_DEP_2)
	v_add_co_ci_u32_e64 v1, s1, 0, v1, s1
	v_add_co_u32 v0, s1, v0, 4
	s_delay_alu instid0(VALU_DEP_1) | instskip(NEXT) | instid1(VALU_DEP_1)
	v_add_co_ci_u32_e64 v1, s1, 0, v1, s1
	v_mad_i64_i32 v[2:3], null, v36, 20, v[0:1]
	v_mad_i64_i32 v[4:5], null, v37, 20, v[0:1]
	;; [unrolled: 1-line block ×8, first 2 shown]
	s_clause 0x7
	global_load_b32 v95, v[2:3], off
	global_load_b32 v96, v[4:5], off
	;; [unrolled: 1-line block ×8, first 2 shown]
	v_mad_u64_u32 v[81:82], null, v53, 20, s[18:19]
	v_mad_i64_i32 v[2:3], null, v44, 20, v[0:1]
	v_mad_i64_i32 v[4:5], null, v45, 20, v[0:1]
	;; [unrolled: 1-line block ×12, first 2 shown]
	s_clause 0xb
	global_load_b32 v2, v[2:3], off
	global_load_b32 v3, v[4:5], off
	;; [unrolled: 1-line block ×12, first 2 shown]
	s_lshl_b32 s18, s6, 5
	s_waitcnt vmcnt(19)
	ds_store_b32 v8, v95
	s_waitcnt vmcnt(18)
	ds_store_b32 v9, v96
	;; [unrolled: 2-line block ×20, first 2 shown]
	s_cmp_lt_i32 s18, s5
	s_cbranch_scc0 .LBB180_4
; %bb.6:                                ;   in Loop: Header=BB180_5 Depth=1
	v_add_nc_u32_e32 v0, s6, v49
	s_delay_alu instid0(VALU_DEP_1) | instskip(NEXT) | instid1(VALU_DEP_1)
	v_cmp_gt_i32_e64 s1, s8, v0
	s_and_b32 s19, s0, s1
	s_delay_alu instid0(SALU_CYCLE_1)
	s_and_saveexec_b32 s1, s19
	s_cbranch_execz .LBB180_8
; %bb.7:                                ;   in Loop: Header=BB180_5 Depth=1
	v_add_nc_u32_e32 v2, v64, v0
	s_delay_alu instid0(VALU_DEP_1)
	v_mad_i64_i32 v[0:1], null, v2, 36, v[25:26]
	global_load_b32 v0, v[0:1], off offset:4
	s_waitcnt vmcnt(0)
	ds_store_b32 v60, v0
.LBB180_8:                              ;   in Loop: Header=BB180_5 Depth=1
	s_or_b32 exec_lo, exec_lo, s1
	s_and_saveexec_b32 s19, vcc_lo
	s_cbranch_execz .LBB180_11
; %bb.9:                                ;   in Loop: Header=BB180_5 Depth=1
	v_or_b32_e32 v0, s6, v32
	s_delay_alu instid0(VALU_DEP_1) | instskip(NEXT) | instid1(VALU_DEP_1)
	v_cmp_gt_i32_e64 s1, s8, v0
	s_and_b32 s1, s0, s1
	s_delay_alu instid0(SALU_CYCLE_1)
	s_and_b32 exec_lo, exec_lo, s1
	s_cbranch_execz .LBB180_11
; %bb.10:                               ;   in Loop: Header=BB180_5 Depth=1
	v_add_nc_u32_e32 v2, v64, v0
	s_delay_alu instid0(VALU_DEP_1)
	v_mad_i64_i32 v[0:1], null, v2, 36, s[2:3]
	global_load_b32 v0, v[0:1], off
	s_waitcnt vmcnt(0)
	ds_store_b32 v61, v0
.LBB180_11:                             ;   in Loop: Header=BB180_5 Depth=1
	s_or_b32 exec_lo, exec_lo, s19
	v_dual_mov_b32 v81, v71 :: v_dual_mov_b32 v82, v70
	v_dual_mov_b32 v83, v62 :: v_dual_mov_b32 v84, v69
	v_dual_mov_b32 v85, v68 :: v_dual_mov_b32 v86, v67
	v_mov_b32_e32 v87, v66
	s_mov_b32 s1, -4
	s_waitcnt lgkmcnt(0)
	s_barrier
	buffer_gl0_inv
.LBB180_12:                             ;   Parent Loop BB180_5 Depth=1
                                        ; =>  This Inner Loop Header: Depth=2
	ds_load_b128 v[4:7], v82
	ds_load_b128 v[0:3], v82 offset:16
	ds_load_2addr_b32 v[27:28], v83 offset1:1
	ds_load_2addr_b32 v[29:30], v83 offset0:2 offset1:3
	v_add_nc_u32_e32 v88, 0x1080, v83
	v_add_nc_u32_e32 v90, 0x1088, v83
	;; [unrolled: 1-line block ×6, first 2 shown]
	ds_load_b32 v100, v85
	ds_load_b32 v101, v84
	;; [unrolled: 1-line block ×4, first 2 shown]
	ds_load_2addr_b32 v[88:89], v88 offset1:1
	ds_load_2addr_b32 v[90:91], v90 offset1:1
	;; [unrolled: 1-line block ×6, first 2 shown]
	ds_load_b32 v104, v81
	v_add_nc_u32_e32 v85, 4, v85
	v_add_nc_u32_e32 v84, 4, v84
	;; [unrolled: 1-line block ×5, first 2 shown]
	s_add_i32 s1, s1, 4
	s_delay_alu instid0(SALU_CYCLE_1)
	s_cmp_lt_u32 s1, 12
	s_waitcnt lgkmcnt(14)
	v_bfe_i32 v105, v4, 0, 8
	s_waitcnt lgkmcnt(13)
	v_bfe_i32 v108, v0, 0, 8
	s_waitcnt lgkmcnt(12)
	v_and_b32_e32 v130, 15, v27
	v_bfe_u32 v134, v27, 4, 4
	v_bfe_i32 v111, v5, 0, 8
	s_waitcnt lgkmcnt(6)
	v_and_b32_e32 v158, 15, v88
	v_bfe_i32 v114, v1, 0, 8
	v_mul_i32_i24_e32 v130, v130, v105
	s_waitcnt lgkmcnt(4)
	v_and_b32_e32 v186, 15, v92
	s_waitcnt lgkmcnt(2)
	v_and_b32_e32 v208, 15, v96
	v_and_b32_e32 v137, 15, v28
	v_bfe_u32 v141, v28, 4, 4
	v_bfe_u32 v162, v88, 4, 4
	v_and_b32_e32 v165, 15, v89
	v_bfe_u32 v169, v89, 4, 4
	v_bfe_u32 v190, v92, 4, 4
	;; [unrolled: 3-line block ×3, first 2 shown]
	v_and_b32_e32 v218, 15, v97
	v_bfe_u32 v219, v97, 4, 4
	v_mad_i32_i24 v130, v134, v108, v130
	v_mul_i32_i24_e32 v134, v158, v105
	v_mul_i32_i24_e32 v158, v186, v105
	;; [unrolled: 1-line block ×3, first 2 shown]
	v_bfe_i32 v106, v4, 8, 8
	v_bfe_i32 v115, v1, 8, 8
	v_bfe_i32 v116, v1, 16, 8
	v_ashrrev_i32_e32 v1, 24, v1
	v_bfe_i32 v117, v6, 0, 8
	v_bfe_u32 v131, v27, 8, 4
	v_bfe_u32 v136, v28, 20, 4
	;; [unrolled: 1-line block ×6, first 2 shown]
	v_lshrrev_b32_e32 v28, 28, v28
	v_and_b32_e32 v144, 15, v29
	v_mul_i32_i24_e32 v137, v137, v111
	v_mul_i32_i24_e32 v141, v141, v114
	v_bfe_u32 v159, v88, 8, 4
	v_bfe_u32 v164, v89, 20, 4
	;; [unrolled: 1-line block ×6, first 2 shown]
	v_lshrrev_b32_e32 v89, 28, v89
	v_and_b32_e32 v172, 15, v90
	v_bfe_u32 v187, v92, 8, 4
	v_bfe_u32 v192, v93, 20, 4
	;; [unrolled: 1-line block ×6, first 2 shown]
	v_lshrrev_b32_e32 v93, 28, v93
	v_and_b32_e32 v200, 15, v94
	v_bfe_u32 v216, v96, 8, 4
	v_bfe_u32 v222, v97, 20, 4
	;; [unrolled: 1-line block ×6, first 2 shown]
	v_lshrrev_b32_e32 v97, 28, v97
	s_waitcnt lgkmcnt(1)
	v_and_b32_e32 v228, 15, v98
	v_mul_i32_i24_e32 v165, v165, v111
	v_mul_i32_i24_e32 v169, v169, v114
	;; [unrolled: 1-line block ×6, first 2 shown]
	v_mad_i32_i24 v134, v162, v108, v134
	v_mad_i32_i24 v158, v190, v108, v158
	;; [unrolled: 1-line block ×3, first 2 shown]
	v_bfe_i32 v107, v4, 16, 8
	v_ashrrev_i32_e32 v4, 24, v4
	v_bfe_i32 v118, v6, 8, 8
	v_bfe_i32 v120, v2, 0, 8
	v_bfe_u32 v132, v27, 16, 4
	v_bfe_u32 v133, v27, 24, 4
	;; [unrolled: 1-line block ×3, first 2 shown]
	v_mul_i32_i24_e32 v131, v131, v106
	v_mul_i32_i24_e32 v144, v144, v117
	v_bfe_u32 v160, v88, 16, 4
	v_bfe_u32 v161, v88, 24, 4
	v_bfe_u32 v173, v90, 8, 4
	v_bfe_u32 v176, v90, 4, 4
	v_bfe_u32 v188, v92, 16, 4
	v_bfe_u32 v189, v92, 24, 4
	v_bfe_u32 v201, v94, 8, 4
	v_bfe_u32 v204, v94, 4, 4
	v_bfe_u32 v217, v96, 16, 4
	v_bfe_u32 v220, v96, 24, 4
	v_bfe_u32 v232, v98, 4, 4
	v_mul_i32_i24_e32 v28, v28, v1
	v_mul_i32_i24_e32 v159, v159, v106
	;; [unrolled: 1-line block ×10, first 2 shown]
	v_add3_u32 v108, v130, v137, v141
	v_add3_u32 v130, v134, v165, v169
	;; [unrolled: 1-line block ×4, first 2 shown]
	v_bfe_i32 v119, v6, 16, 8
	v_ashrrev_i32_e32 v6, 24, v6
	v_bfe_i32 v123, v7, 0, 8
	v_and_b32_e32 v151, 15, v30
	v_and_b32_e32 v179, 15, v91
	v_bfe_u32 v203, v94, 24, 4
	v_and_b32_e32 v207, 15, v95
	v_and_b32_e32 v235, 15, v99
	v_mul_i32_i24_e32 v132, v132, v107
	v_mul_i32_i24_e32 v133, v133, v4
	;; [unrolled: 1-line block ×14, first 2 shown]
	v_add3_u32 v108, v108, v144, v131
	v_add3_u32 v114, v130, v172, v159
	;; [unrolled: 1-line block ×4, first 2 shown]
	v_bfe_i32 v109, v0, 8, 8
	v_bfe_i32 v110, v0, 16, 8
	v_bfe_u32 v129, v27, 20, 4
	v_bfe_u32 v135, v27, 12, 4
	v_bfe_u32 v157, v88, 20, 4
	v_bfe_u32 v163, v88, 12, 4
	v_bfe_u32 v185, v92, 20, 4
	v_bfe_u32 v191, v92, 12, 4
	v_bfe_u32 v215, v96, 20, 4
	v_bfe_u32 v221, v96, 12, 4
	v_mul_i32_i24_e32 v151, v151, v123
	v_mul_i32_i24_e32 v179, v179, v123
	;; [unrolled: 1-line block ×5, first 2 shown]
	v_add3_u32 v106, v108, v132, v133
	v_add3_u32 v108, v114, v160, v161
	;; [unrolled: 1-line block ×4, first 2 shown]
	v_ashrrev_i32_e32 v0, 24, v0
	v_bfe_i32 v112, v5, 8, 8
	v_lshrrev_b32_e32 v27, 28, v27
	v_lshrrev_b32_e32 v88, 28, v88
	;; [unrolled: 1-line block ×4, first 2 shown]
	v_mul_i32_i24_e32 v135, v135, v109
	v_mul_i32_i24_e32 v129, v129, v110
	;; [unrolled: 1-line block ×8, first 2 shown]
	v_add3_u32 v97, v106, v148, v151
	v_add3_u32 v106, v108, v176, v179
	v_add3_u32 v107, v114, v201, v203
	v_add3_u32 v4, v4, v111, v105
	v_bfe_i32 v113, v5, 16, 8
	v_ashrrev_i32_e32 v5, 24, v5
	v_mul_i32_i24_e32 v27, v27, v0
	v_mul_i32_i24_e32 v138, v138, v112
	;; [unrolled: 1-line block ×8, first 2 shown]
	v_add3_u32 v97, v97, v135, v129
	v_add3_u32 v106, v106, v163, v157
	;; [unrolled: 1-line block ×4, first 2 shown]
	v_bfe_i32 v126, v3, 0, 8
	v_bfe_u32 v155, v30, 4, 4
	v_bfe_u32 v183, v91, 4, 4
	;; [unrolled: 1-line block ×4, first 2 shown]
	v_mul_i32_i24_e32 v139, v139, v113
	v_mul_i32_i24_e32 v140, v140, v5
	;; [unrolled: 1-line block ×8, first 2 shown]
	v_add3_u32 v27, v97, v27, v138
	v_add3_u32 v88, v106, v88, v96
	v_add3_u32 v92, v107, v92, v166
	v_add3_u32 v0, v4, v0, v112
	v_mul_i32_i24_e32 v142, v142, v115
	v_mul_i32_i24_e32 v155, v155, v126
	;; [unrolled: 1-line block ×8, first 2 shown]
	v_add3_u32 v27, v27, v139, v140
	v_add3_u32 v88, v88, v167, v168
	;; [unrolled: 1-line block ×4, first 2 shown]
	v_bfe_u32 v145, v29, 8, 4
	v_bfe_u32 v146, v29, 16, 4
	;; [unrolled: 1-line block ×6, first 2 shown]
	v_mul_i32_i24_e32 v136, v136, v116
	v_mul_i32_i24_e32 v164, v164, v116
	;; [unrolled: 1-line block ×4, first 2 shown]
	v_add3_u32 v5, v27, v155, v142
	v_add3_u32 v27, v88, v183, v170
	;; [unrolled: 1-line block ×4, first 2 shown]
	v_bfe_i32 v121, v2, 8, 8
	v_bfe_u32 v147, v29, 24, 4
	v_bfe_u32 v149, v29, 12, 4
	;; [unrolled: 1-line block ×7, first 2 shown]
	v_mul_i32_i24_e32 v145, v145, v118
	v_mul_i32_i24_e32 v146, v146, v119
	;; [unrolled: 1-line block ×6, first 2 shown]
	v_add3_u32 v5, v5, v136, v28
	v_add3_u32 v27, v27, v164, v89
	;; [unrolled: 1-line block ×4, first 2 shown]
	v_bfe_i32 v122, v2, 16, 8
	v_ashrrev_i32_e32 v2, 24, v2
	v_bfe_u32 v143, v29, 20, 4
	v_lshrrev_b32_e32 v29, 28, v29
	v_bfe_u32 v171, v90, 20, 4
	v_lshrrev_b32_e32 v90, 28, v90
	;; [unrolled: 2-line block ×4, first 2 shown]
	v_mul_i32_i24_e32 v147, v147, v6
	v_mul_i32_i24_e32 v149, v149, v121
	;; [unrolled: 1-line block ×7, first 2 shown]
	v_add3_u32 v5, v5, v145, v146
	v_add3_u32 v27, v27, v117, v174
	;; [unrolled: 1-line block ×4, first 2 shown]
	v_bfe_i32 v124, v7, 8, 8
	v_bfe_i32 v125, v7, 16, 8
	v_bfe_u32 v152, v30, 8, 4
	v_bfe_u32 v153, v30, 16, 4
	;; [unrolled: 1-line block ×8, first 2 shown]
	v_mul_i32_i24_e32 v143, v143, v122
	v_mul_i32_i24_e32 v29, v29, v2
	;; [unrolled: 1-line block ×8, first 2 shown]
	v_add3_u32 v5, v5, v147, v149
	v_add3_u32 v27, v27, v175, v177
	;; [unrolled: 1-line block ×4, first 2 shown]
	v_ashrrev_i32_e32 v7, 24, v7
	v_bfe_i32 v127, v3, 8, 8
	v_bfe_u32 v154, v30, 24, 4
	v_bfe_u32 v156, v30, 12, 4
	;; [unrolled: 1-line block ×8, first 2 shown]
	v_mul_i32_i24_e32 v152, v152, v124
	v_mul_i32_i24_e32 v153, v153, v125
	;; [unrolled: 1-line block ×8, first 2 shown]
	v_add3_u32 v5, v5, v143, v29
	v_add3_u32 v27, v27, v171, v90
	;; [unrolled: 1-line block ×4, first 2 shown]
	v_bfe_i32 v128, v3, 16, 8
	v_ashrrev_i32_e32 v3, 24, v3
	v_bfe_u32 v150, v30, 20, 4
	v_lshrrev_b32_e32 v30, 28, v30
	v_bfe_u32 v178, v91, 20, 4
	v_lshrrev_b32_e32 v91, 28, v91
	;; [unrolled: 2-line block ×4, first 2 shown]
	v_mul_i32_i24_e32 v154, v154, v7
	v_mul_i32_i24_e32 v156, v156, v127
	;; [unrolled: 1-line block ×8, first 2 shown]
	v_add3_u32 v5, v5, v152, v153
	v_add3_u32 v27, v27, v180, v181
	;; [unrolled: 1-line block ×4, first 2 shown]
	v_mul_i32_i24_e32 v150, v150, v128
	v_mul_i32_i24_e32 v30, v30, v3
	v_mul_i32_i24_e32 v178, v178, v128
	v_mul_i32_i24_e32 v91, v91, v3
	v_mul_i32_i24_e32 v206, v206, v128
	v_mul_i32_i24_e32 v95, v95, v3
	v_mul_i32_i24_e32 v2, v234, v128
	v_mul_i32_i24_e32 v1, v99, v3
	v_add3_u32 v3, v5, v154, v156
	v_add3_u32 v4, v27, v182, v184
	;; [unrolled: 1-line block ×4, first 2 shown]
	s_waitcnt lgkmcnt(0)
	v_pk_mul_f16 v101, v104, v101
	v_add3_u32 v3, v3, v150, v30
	v_add3_u32 v4, v4, v178, v91
	;; [unrolled: 1-line block ×4, first 2 shown]
	v_pk_mul_f16 v100, v104, v100
	v_pk_mul_f16 v6, v104, v102
	;; [unrolled: 1-line block ×3, first 2 shown]
	v_cvt_f32_i32_e32 v2, v3
	v_cvt_f32_i32_e32 v3, v4
	;; [unrolled: 1-line block ×4, first 2 shown]
	s_delay_alu instid0(VALU_DEP_4) | instskip(NEXT) | instid1(VALU_DEP_4)
	v_fma_mix_f32 v2, v101, v2, v101 op_sel:[0,0,1] op_sel_hi:[1,0,1]
	v_fma_mix_f32 v3, v100, v3, v100 op_sel:[0,0,1] op_sel_hi:[1,0,1]
	s_delay_alu instid0(VALU_DEP_4) | instskip(NEXT) | instid1(VALU_DEP_4)
	v_fma_mix_f32 v4, v6, v4, v6 op_sel:[0,0,1] op_sel_hi:[1,0,1]
	v_fma_mix_f32 v0, v1, v0, v1 op_sel:[0,0,1] op_sel_hi:[1,0,1]
	v_add_nc_u32_e32 v87, 4, v87
	s_delay_alu instid0(VALU_DEP_4)
	v_dual_add_f32 v59, v59, v3 :: v_dual_add_nc_u32 v86, 4, v86
	v_add_f32_e32 v33, v33, v2
	v_add_f32_e32 v55, v55, v4
	;; [unrolled: 1-line block ×3, first 2 shown]
	s_cbranch_scc1 .LBB180_12
; %bb.13:                               ;   in Loop: Header=BB180_5 Depth=1
	s_bitset1_b32 s18, 7
	s_delay_alu instid0(SALU_CYCLE_1)
	s_cmp_ge_i32 s18, s5
	s_barrier
	buffer_gl0_inv
	s_cbranch_scc1 .LBB180_4
; %bb.14:                               ;   in Loop: Header=BB180_5 Depth=1
	v_add_nc_u32_e32 v0, s6, v63
	s_delay_alu instid0(VALU_DEP_1) | instskip(NEXT) | instid1(VALU_DEP_1)
	v_cmp_gt_i32_e64 s1, s8, v0
	s_and_b32 s18, s0, s1
	s_delay_alu instid0(SALU_CYCLE_1)
	s_and_saveexec_b32 s1, s18
	s_cbranch_execz .LBB180_16
; %bb.15:                               ;   in Loop: Header=BB180_5 Depth=1
	v_add_nc_u32_e32 v2, v64, v0
	s_delay_alu instid0(VALU_DEP_1)
	v_mad_i64_i32 v[0:1], null, v2, 36, v[25:26]
	global_load_b32 v0, v[0:1], off offset:4
	s_waitcnt vmcnt(0)
	ds_store_b32 v60, v0
.LBB180_16:                             ;   in Loop: Header=BB180_5 Depth=1
	s_or_b32 exec_lo, exec_lo, s1
	s_and_saveexec_b32 s18, vcc_lo
	s_cbranch_execz .LBB180_19
; %bb.17:                               ;   in Loop: Header=BB180_5 Depth=1
	v_or_b32_e32 v0, s6, v32
	s_delay_alu instid0(VALU_DEP_1) | instskip(NEXT) | instid1(VALU_DEP_1)
	v_or_b32_e32 v1, 4, v0
	v_cmp_gt_i32_e64 s1, s8, v1
	s_delay_alu instid0(VALU_DEP_1) | instskip(NEXT) | instid1(SALU_CYCLE_1)
	s_and_b32 s1, s0, s1
	s_and_b32 exec_lo, exec_lo, s1
	s_cbranch_execz .LBB180_19
; %bb.18:                               ;   in Loop: Header=BB180_5 Depth=1
	v_ashrrev_i32_e32 v1, 31, v0
	v_add_co_u32 v2, s1, v64, v0
	s_delay_alu instid0(VALU_DEP_1) | instskip(NEXT) | instid1(VALU_DEP_2)
	v_add_co_ci_u32_e64 v3, s1, v65, v1, s1
	v_mad_u64_u32 v[0:1], null, v2, 36, s[14:15]
	s_delay_alu instid0(VALU_DEP_1)
	v_mad_i32_i24 v1, v3, 36, v1
	global_load_b32 v0, v[0:1], off
	s_waitcnt vmcnt(0)
	ds_store_b32 v61, v0
.LBB180_19:                             ;   in Loop: Header=BB180_5 Depth=1
	s_or_b32 exec_lo, exec_lo, s18
	v_dual_mov_b32 v0, v71 :: v_dual_mov_b32 v1, v70
	v_dual_mov_b32 v2, v76 :: v_dual_mov_b32 v3, v75
	v_dual_mov_b32 v4, v74 :: v_dual_mov_b32 v5, v73
	v_mov_b32_e32 v6, v72
	s_mov_b32 s1, 12
	s_waitcnt lgkmcnt(0)
	s_barrier
	buffer_gl0_inv
.LBB180_20:                             ;   Parent Loop BB180_5 Depth=1
                                        ; =>  This Inner Loop Header: Depth=2
	s_delay_alu instid0(VALU_DEP_2)
	v_add_nc_u32_e32 v89, 0x1080, v2
	v_add_nc_u32_e32 v91, 0x1088, v2
	ds_load_b128 v[27:30], v1
	ds_load_b128 v[81:84], v1 offset:16
	ds_load_b32 v7, v0
	ds_load_2addr_b32 v[85:86], v2 offset1:1
	ds_load_b32 v101, v4
	ds_load_b32 v102, v3
	ds_load_2addr_b32 v[87:88], v2 offset0:2 offset1:3
	v_add_nc_u32_e32 v93, 0x2100, v2
	v_add_nc_u32_e32 v95, 0x2108, v2
	v_add_nc_u32_e32 v97, 0x3180, v2
	v_add_nc_u32_e32 v99, 0x3188, v2
	ds_load_b32 v103, v5
	ds_load_b32 v104, v6
	ds_load_2addr_b32 v[89:90], v89 offset1:1
	ds_load_2addr_b32 v[91:92], v91 offset1:1
	;; [unrolled: 1-line block ×6, first 2 shown]
	v_add_nc_u32_e32 v5, 4, v5
	v_add_nc_u32_e32 v3, 4, v3
	;; [unrolled: 1-line block ×4, first 2 shown]
	s_add_i32 s1, s1, 4
	s_delay_alu instid0(SALU_CYCLE_1)
	s_cmp_lt_u32 s1, 28
	s_waitcnt lgkmcnt(14)
	v_bfe_i32 v105, v27, 0, 8
	v_bfe_i32 v106, v27, 8, 8
	;; [unrolled: 1-line block ×3, first 2 shown]
	s_waitcnt lgkmcnt(11)
	v_and_b32_e32 v130, 15, v85
	v_ashrrev_i32_e32 v27, 24, v27
	v_bfe_i32 v108, v81, 0, 8
	v_bfe_i32 v109, v81, 8, 8
	v_bfe_i32 v111, v28, 0, 8
	v_bfe_i32 v112, v28, 8, 8
	v_bfe_i32 v113, v28, 16, 8
	v_ashrrev_i32_e32 v28, 24, v28
	v_bfe_i32 v114, v82, 0, 8
	v_bfe_i32 v115, v82, 8, 8
	v_bfe_i32 v117, v29, 0, 8
	v_bfe_i32 v118, v29, 8, 8
	v_bfe_i32 v119, v29, 16, 8
	;; [unrolled: 6-line block ×3, first 2 shown]
	v_ashrrev_i32_e32 v30, 24, v30
	v_bfe_i32 v126, v84, 0, 8
	v_bfe_i32 v127, v84, 8, 8
	v_bfe_u32 v134, v85, 4, 4
	v_mul_i32_i24_e32 v130, v130, v105
	s_waitcnt lgkmcnt(5)
	v_and_b32_e32 v158, 15, v89
	v_bfe_u32 v159, v89, 8, 4
	v_bfe_u32 v160, v89, 16, 4
	;; [unrolled: 1-line block ×4, first 2 shown]
	v_and_b32_e32 v165, 15, v90
	v_bfe_u32 v166, v90, 8, 4
	v_bfe_u32 v167, v90, 16, 4
	;; [unrolled: 1-line block ×5, first 2 shown]
	s_waitcnt lgkmcnt(4)
	v_and_b32_e32 v172, 15, v91
	v_bfe_u32 v173, v91, 8, 4
	v_bfe_u32 v174, v91, 16, 4
	;; [unrolled: 1-line block ×5, first 2 shown]
	v_and_b32_e32 v179, 15, v92
	v_bfe_u32 v180, v92, 8, 4
	v_bfe_u32 v181, v92, 16, 4
	;; [unrolled: 1-line block ×5, first 2 shown]
	s_waitcnt lgkmcnt(3)
	v_and_b32_e32 v186, 15, v93
	s_waitcnt lgkmcnt(1)
	v_and_b32_e32 v214, 15, v97
	v_bfe_i32 v110, v81, 16, 8
	v_ashrrev_i32_e32 v81, 24, v81
	v_bfe_i32 v116, v82, 16, 8
	v_ashrrev_i32_e32 v82, 24, v82
	v_bfe_u32 v129, v85, 20, 4
	v_bfe_u32 v131, v85, 8, 4
	;; [unrolled: 1-line block ×5, first 2 shown]
	v_lshrrev_b32_e32 v85, 28, v85
	v_bfe_u32 v136, v86, 20, 4
	v_and_b32_e32 v137, 15, v86
	v_bfe_u32 v138, v86, 8, 4
	v_bfe_u32 v139, v86, 16, 4
	v_bfe_u32 v140, v86, 24, 4
	v_bfe_u32 v141, v86, 4, 4
	v_bfe_u32 v142, v86, 12, 4
	v_lshrrev_b32_e32 v86, 28, v86
	v_and_b32_e32 v144, 15, v87
	v_bfe_u32 v145, v87, 8, 4
	v_bfe_u32 v157, v89, 20, 4
	;; [unrolled: 1-line block ×3, first 2 shown]
	v_lshrrev_b32_e32 v89, 28, v89
	v_bfe_u32 v164, v90, 20, 4
	v_lshrrev_b32_e32 v90, 28, v90
	v_bfe_u32 v185, v93, 20, 4
	v_bfe_u32 v187, v93, 8, 4
	;; [unrolled: 1-line block ×6, first 2 shown]
	v_lshrrev_b32_e32 v93, 28, v93
	v_bfe_u32 v192, v94, 20, 4
	v_and_b32_e32 v193, 15, v94
	v_bfe_u32 v194, v94, 8, 4
	v_bfe_u32 v195, v94, 16, 4
	v_bfe_u32 v196, v94, 24, 4
	v_bfe_u32 v197, v94, 4, 4
	v_bfe_u32 v198, v94, 12, 4
	v_lshrrev_b32_e32 v94, 28, v94
	v_and_b32_e32 v200, 15, v95
	v_bfe_u32 v201, v95, 8, 4
	v_bfe_u32 v213, v97, 20, 4
	;; [unrolled: 1-line block ×7, first 2 shown]
	v_lshrrev_b32_e32 v97, 28, v97
	v_bfe_u32 v220, v98, 20, 4
	v_and_b32_e32 v221, 15, v98
	v_bfe_u32 v222, v98, 8, 4
	v_bfe_u32 v223, v98, 16, 4
	;; [unrolled: 1-line block ×5, first 2 shown]
	v_lshrrev_b32_e32 v98, 28, v98
	s_waitcnt lgkmcnt(0)
	v_and_b32_e32 v228, 15, v99
	v_bfe_u32 v229, v99, 8, 4
	v_mad_i32_i24 v130, v134, v108, v130
	v_mul_i32_i24_e32 v134, v158, v105
	v_mul_i32_i24_e32 v158, v159, v106
	;; [unrolled: 1-line block ×25, first 2 shown]
	v_bfe_u32 v146, v87, 16, 4
	v_mul_i32_i24_e32 v85, v85, v81
	v_mul_i32_i24_e32 v137, v137, v111
	;; [unrolled: 1-line block ×10, first 2 shown]
	v_bfe_u32 v202, v95, 16, 4
	v_bfe_u32 v230, v99, 16, 4
	v_mul_i32_i24_e32 v89, v89, v81
	v_mul_i32_i24_e32 v164, v164, v116
	;; [unrolled: 1-line block ×28, first 2 shown]
	v_mad_i32_i24 v117, v162, v108, v134
	v_mad_i32_i24 v118, v190, v108, v184
	;; [unrolled: 1-line block ×3, first 2 shown]
	v_mul_i32_i24_e32 v131, v131, v106
	v_mul_i32_i24_e32 v146, v146, v119
	;; [unrolled: 1-line block ×5, first 2 shown]
	v_add3_u32 v119, v130, v137, v141
	v_add3_u32 v117, v117, v163, v168
	v_add3_u32 v118, v118, v191, v196
	v_add3_u32 v97, v105, v97, v113
	v_bfe_u32 v148, v87, 4, 4
	v_and_b32_e32 v151, 15, v88
	v_mul_i32_i24_e32 v132, v132, v107
	v_mul_i32_i24_e32 v133, v133, v27
	v_bfe_u32 v203, v95, 24, 4
	v_bfe_u32 v204, v95, 4, 4
	;; [unrolled: 1-line block ×3, first 2 shown]
	v_and_b32_e32 v207, 15, v96
	v_bfe_u32 v232, v99, 4, 4
	v_and_b32_e32 v235, 15, v100
	v_mul_i32_i24_e32 v107, v216, v107
	v_mul_i32_i24_e32 v27, v217, v27
	v_add3_u32 v113, v119, v144, v131
	v_add3_u32 v117, v117, v170, v158
	;; [unrolled: 1-line block ×4, first 2 shown]
	v_mul_i32_i24_e32 v148, v148, v120
	v_mul_i32_i24_e32 v151, v151, v123
	;; [unrolled: 1-line block ×8, first 2 shown]
	v_add3_u32 v106, v113, v132, v133
	v_add3_u32 v113, v117, v159, v160
	;; [unrolled: 1-line block ×4, first 2 shown]
	v_mul_i32_i24_e32 v135, v135, v109
	v_mul_i32_i24_e32 v129, v129, v110
	;; [unrolled: 1-line block ×6, first 2 shown]
	v_add3_u32 v97, v106, v148, v151
	v_add3_u32 v106, v113, v175, v177
	;; [unrolled: 1-line block ×4, first 2 shown]
	v_bfe_u32 v155, v88, 4, 4
	v_add3_u32 v97, v97, v135, v129
	v_add3_u32 v105, v106, v161, v157
	;; [unrolled: 1-line block ×4, first 2 shown]
	v_mul_i32_i24_e32 v140, v140, v28
	v_bfe_u32 v208, v96, 8, 4
	v_bfe_u32 v209, v96, 16, 4
	;; [unrolled: 1-line block ×5, first 2 shown]
	v_mul_i32_i24_e32 v28, v224, v28
	v_add3_u32 v85, v97, v85, v138
	v_add3_u32 v89, v105, v89, v165
	;; [unrolled: 1-line block ×4, first 2 shown]
	v_bfe_i32 v122, v83, 16, 8
	v_ashrrev_i32_e32 v83, 24, v83
	v_bfe_u32 v143, v87, 20, 4
	v_bfe_u32 v147, v87, 24, 4
	;; [unrolled: 1-line block ×3, first 2 shown]
	v_lshrrev_b32_e32 v87, 28, v87
	v_mul_i32_i24_e32 v155, v155, v126
	v_bfe_u32 v171, v91, 20, 4
	v_lshrrev_b32_e32 v91, 28, v91
	v_bfe_u32 v199, v95, 20, 4
	v_lshrrev_b32_e32 v95, 28, v95
	v_bfe_u32 v227, v99, 20, 4
	v_bfe_u32 v231, v99, 24, 4
	;; [unrolled: 1-line block ×3, first 2 shown]
	v_lshrrev_b32_e32 v99, 28, v99
	v_mul_i32_i24_e32 v207, v208, v124
	v_mul_i32_i24_e32 v208, v209, v125
	;; [unrolled: 1-line block ×5, first 2 shown]
	v_add3_u32 v85, v85, v139, v140
	v_add3_u32 v89, v89, v166, v167
	;; [unrolled: 1-line block ×4, first 2 shown]
	v_mul_i32_i24_e32 v87, v87, v83
	v_mul_i32_i24_e32 v91, v91, v83
	;; [unrolled: 1-line block ×4, first 2 shown]
	v_add3_u32 v83, v85, v155, v142
	v_add3_u32 v85, v89, v182, v169
	;; [unrolled: 1-line block ×4, first 2 shown]
	v_mul_i32_i24_e32 v147, v147, v29
	v_add3_u32 v83, v83, v136, v86
	v_add3_u32 v85, v85, v164, v90
	;; [unrolled: 1-line block ×4, first 2 shown]
	v_mul_i32_i24_e32 v149, v149, v121
	v_mul_i32_i24_e32 v29, v231, v29
	;; [unrolled: 1-line block ×3, first 2 shown]
	v_add3_u32 v83, v83, v145, v146
	v_add3_u32 v85, v85, v172, v173
	;; [unrolled: 1-line block ×4, first 2 shown]
	v_bfe_u32 v152, v88, 8, 4
	v_bfe_u32 v153, v88, 16, 4
	v_mul_i32_i24_e32 v143, v143, v122
	v_bfe_u32 v236, v100, 8, 4
	v_bfe_u32 v237, v100, 16, 4
	v_mul_i32_i24_e32 v171, v171, v122
	v_mul_i32_i24_e32 v199, v199, v122
	;; [unrolled: 1-line block ×3, first 2 shown]
	v_add3_u32 v83, v83, v147, v149
	v_add3_u32 v85, v85, v174, v176
	;; [unrolled: 1-line block ×4, first 2 shown]
	v_bfe_u32 v154, v88, 24, 4
	v_bfe_u32 v156, v88, 12, 4
	v_mul_i32_i24_e32 v152, v152, v124
	v_mul_i32_i24_e32 v153, v153, v125
	v_bfe_u32 v212, v96, 12, 4
	v_bfe_u32 v238, v100, 24, 4
	;; [unrolled: 1-line block ×3, first 2 shown]
	v_mul_i32_i24_e32 v81, v236, v124
	v_mul_i32_i24_e32 v82, v237, v125
	v_add3_u32 v83, v83, v143, v87
	v_add3_u32 v85, v85, v171, v91
	;; [unrolled: 1-line block ×4, first 2 shown]
	v_bfe_i32 v128, v84, 16, 8
	v_ashrrev_i32_e32 v84, 24, v84
	v_bfe_u32 v150, v88, 20, 4
	v_lshrrev_b32_e32 v88, 28, v88
	v_mul_i32_i24_e32 v154, v154, v30
	v_mul_i32_i24_e32 v156, v156, v127
	v_bfe_u32 v178, v92, 20, 4
	v_lshrrev_b32_e32 v92, 28, v92
	v_bfe_u32 v206, v96, 20, 4
	v_lshrrev_b32_e32 v96, 28, v96
	;; [unrolled: 2-line block ×3, first 2 shown]
	v_mul_i32_i24_e32 v211, v212, v127
	v_mul_i32_i24_e32 v30, v238, v30
	;; [unrolled: 1-line block ×3, first 2 shown]
	v_add3_u32 v83, v83, v152, v153
	v_add3_u32 v85, v85, v179, v180
	;; [unrolled: 1-line block ×4, first 2 shown]
	v_mul_i32_i24_e32 v150, v150, v128
	v_mul_i32_i24_e32 v88, v88, v84
	v_mul_i32_i24_e32 v178, v178, v128
	v_mul_i32_i24_e32 v92, v92, v84
	v_mul_i32_i24_e32 v206, v206, v128
	v_mul_i32_i24_e32 v96, v96, v84
	v_mul_i32_i24_e32 v28, v234, v128
	v_mul_i32_i24_e32 v81, v100, v84
	v_add3_u32 v82, v83, v154, v156
	v_add3_u32 v83, v85, v181, v183
	;; [unrolled: 1-line block ×4, first 2 shown]
	v_pk_mul_f16 v102, v7, v102
	v_add3_u32 v30, v82, v150, v88
	v_add3_u32 v82, v83, v178, v92
	;; [unrolled: 1-line block ×4, first 2 shown]
	v_pk_mul_f16 v101, v7, v101
	v_pk_mul_f16 v29, v7, v103
	;; [unrolled: 1-line block ×3, first 2 shown]
	v_cvt_f32_i32_e32 v28, v30
	v_cvt_f32_i32_e32 v30, v82
	;; [unrolled: 1-line block ×4, first 2 shown]
	s_delay_alu instid0(VALU_DEP_4) | instskip(NEXT) | instid1(VALU_DEP_4)
	v_fma_mix_f32 v28, v102, v28, v102 op_sel:[0,0,1] op_sel_hi:[1,0,1]
	v_fma_mix_f32 v30, v101, v30, v101 op_sel:[0,0,1] op_sel_hi:[1,0,1]
	s_delay_alu instid0(VALU_DEP_4) | instskip(NEXT) | instid1(VALU_DEP_4)
	v_fma_mix_f32 v29, v29, v81, v29 op_sel:[0,0,1] op_sel_hi:[1,0,1]
	v_fma_mix_f32 v7, v7, v27, v7 op_sel:[0,0,1] op_sel_hi:[1,0,1]
	s_delay_alu instid0(VALU_DEP_4) | instskip(NEXT) | instid1(VALU_DEP_4)
	v_dual_add_f32 v33, v33, v28 :: v_dual_add_nc_u32 v6, 4, v6
	v_dual_add_f32 v59, v59, v30 :: v_dual_add_nc_u32 v4, 4, v4
	s_delay_alu instid0(VALU_DEP_4) | instskip(NEXT) | instid1(VALU_DEP_4)
	v_dual_add_f32 v55, v55, v29 :: v_dual_add_nc_u32 v2, 16, v2
	v_add_f32_e32 v22, v22, v7
	s_cbranch_scc1 .LBB180_20
; %bb.21:                               ;   in Loop: Header=BB180_5 Depth=1
	s_barrier
	buffer_gl0_inv
	s_branch .LBB180_4
.LBB180_22:
	s_mul_i32 s0, s10, s7
	s_waitcnt vmcnt(0)
	v_cmp_gt_i32_e32 vcc_lo, s0, v31
	s_and_saveexec_b32 s0, vcc_lo
	s_cbranch_execz .LBB180_31
; %bb.23:
	v_mul_lo_u32 v0, v31, s9
	v_add_nc_u32_e32 v1, s11, v32
	s_mov_b32 s0, exec_lo
	s_delay_alu instid0(VALU_DEP_1)
	v_cmpx_gt_u32_e64 s9, v1
	s_cbranch_execz .LBB180_25
; %bb.24:
	s_delay_alu instid0(VALU_DEP_3) | instskip(NEXT) | instid1(VALU_DEP_1)
	v_dual_mov_b32 v3, 0 :: v_dual_add_nc_u32 v2, v0, v1
	v_lshlrev_b64 v[2:3], 2, v[2:3]
	s_delay_alu instid0(VALU_DEP_1) | instskip(NEXT) | instid1(VALU_DEP_2)
	v_add_co_u32 v2, vcc_lo, s12, v2
	v_add_co_ci_u32_e32 v3, vcc_lo, s13, v3, vcc_lo
	global_store_b32 v[2:3], v33, off
.LBB180_25:
	s_or_b32 exec_lo, exec_lo, s0
	v_add_nc_u32_e32 v2, 32, v1
	s_mov_b32 s0, exec_lo
	s_delay_alu instid0(VALU_DEP_1)
	v_cmpx_gt_u32_e64 s9, v2
	s_cbranch_execz .LBB180_27
; %bb.26:
	v_dual_mov_b32 v3, 0 :: v_dual_add_nc_u32 v2, v0, v2
	s_delay_alu instid0(VALU_DEP_1) | instskip(NEXT) | instid1(VALU_DEP_1)
	v_lshlrev_b64 v[2:3], 2, v[2:3]
	v_add_co_u32 v2, vcc_lo, s12, v2
	s_delay_alu instid0(VALU_DEP_2)
	v_add_co_ci_u32_e32 v3, vcc_lo, s13, v3, vcc_lo
	global_store_b32 v[2:3], v59, off
.LBB180_27:
	s_or_b32 exec_lo, exec_lo, s0
	v_add_nc_u32_e32 v2, 64, v1
	s_mov_b32 s0, exec_lo
	s_delay_alu instid0(VALU_DEP_1)
	v_cmpx_gt_u32_e64 s9, v2
	s_cbranch_execz .LBB180_29
; %bb.28:
	v_dual_mov_b32 v3, 0 :: v_dual_add_nc_u32 v2, v0, v2
	s_delay_alu instid0(VALU_DEP_1) | instskip(NEXT) | instid1(VALU_DEP_1)
	v_lshlrev_b64 v[2:3], 2, v[2:3]
	v_add_co_u32 v2, vcc_lo, s12, v2
	s_delay_alu instid0(VALU_DEP_2)
	v_add_co_ci_u32_e32 v3, vcc_lo, s13, v3, vcc_lo
	global_store_b32 v[2:3], v55, off
.LBB180_29:
	s_or_b32 exec_lo, exec_lo, s0
	v_add_nc_u32_e32 v1, 0x60, v1
	s_delay_alu instid0(VALU_DEP_1)
	v_cmp_gt_u32_e32 vcc_lo, s9, v1
	s_and_b32 exec_lo, exec_lo, vcc_lo
	s_cbranch_execz .LBB180_31
; %bb.30:
	v_dual_mov_b32 v1, 0 :: v_dual_add_nc_u32 v0, v0, v1
	s_delay_alu instid0(VALU_DEP_1) | instskip(NEXT) | instid1(VALU_DEP_1)
	v_lshlrev_b64 v[0:1], 2, v[0:1]
	v_add_co_u32 v0, vcc_lo, s12, v0
	s_delay_alu instid0(VALU_DEP_2)
	v_add_co_ci_u32_e32 v1, vcc_lo, s13, v1, vcc_lo
	global_store_b32 v[0:1], v22, off
.LBB180_31:
	s_nop 0
	s_sendmsg sendmsg(MSG_DEALLOC_VGPRS)
	s_endpgm
	.section	.rodata,"a",@progbits
	.p2align	6, 0x0
	.amdhsa_kernel _ZL8moe_q4_1IfLb1EEvPKvS1_PT_PKiS5_S5_iiiiiii
		.amdhsa_group_segment_fixed_size 22272
		.amdhsa_private_segment_fixed_size 0
		.amdhsa_kernarg_size 76
		.amdhsa_user_sgpr_count 14
		.amdhsa_user_sgpr_dispatch_ptr 0
		.amdhsa_user_sgpr_queue_ptr 0
		.amdhsa_user_sgpr_kernarg_segment_ptr 1
		.amdhsa_user_sgpr_dispatch_id 0
		.amdhsa_user_sgpr_private_segment_size 0
		.amdhsa_wavefront_size32 1
		.amdhsa_uses_dynamic_stack 0
		.amdhsa_enable_private_segment 0
		.amdhsa_system_sgpr_workgroup_id_x 1
		.amdhsa_system_sgpr_workgroup_id_y 1
		.amdhsa_system_sgpr_workgroup_id_z 0
		.amdhsa_system_sgpr_workgroup_info 0
		.amdhsa_system_vgpr_workitem_id 1
		.amdhsa_next_free_vgpr 241
		.amdhsa_next_free_sgpr 20
		.amdhsa_reserve_vcc 1
		.amdhsa_float_round_mode_32 0
		.amdhsa_float_round_mode_16_64 0
		.amdhsa_float_denorm_mode_32 3
		.amdhsa_float_denorm_mode_16_64 3
		.amdhsa_dx10_clamp 1
		.amdhsa_ieee_mode 1
		.amdhsa_fp16_overflow 0
		.amdhsa_workgroup_processor_mode 1
		.amdhsa_memory_ordered 1
		.amdhsa_forward_progress 0
		.amdhsa_shared_vgpr_count 0
		.amdhsa_exception_fp_ieee_invalid_op 0
		.amdhsa_exception_fp_denorm_src 0
		.amdhsa_exception_fp_ieee_div_zero 0
		.amdhsa_exception_fp_ieee_overflow 0
		.amdhsa_exception_fp_ieee_underflow 0
		.amdhsa_exception_fp_ieee_inexact 0
		.amdhsa_exception_int_div_zero 0
	.end_amdhsa_kernel
	.section	.text._ZL8moe_q4_1IfLb1EEvPKvS1_PT_PKiS5_S5_iiiiiii,"axG",@progbits,_ZL8moe_q4_1IfLb1EEvPKvS1_PT_PKiS5_S5_iiiiiii,comdat
.Lfunc_end180:
	.size	_ZL8moe_q4_1IfLb1EEvPKvS1_PT_PKiS5_S5_iiiiiii, .Lfunc_end180-_ZL8moe_q4_1IfLb1EEvPKvS1_PT_PKiS5_S5_iiiiiii
                                        ; -- End function
	.section	.AMDGPU.csdata,"",@progbits
; Kernel info:
; codeLenInByte = 7884
; NumSgprs: 22
; NumVgprs: 241
; ScratchSize: 0
; MemoryBound: 0
; FloatMode: 240
; IeeeMode: 1
; LDSByteSize: 22272 bytes/workgroup (compile time only)
; SGPRBlocks: 2
; VGPRBlocks: 30
; NumSGPRsForWavesPerEU: 22
; NumVGPRsForWavesPerEU: 241
; Occupancy: 5
; WaveLimiterHint : 1
; COMPUTE_PGM_RSRC2:SCRATCH_EN: 0
; COMPUTE_PGM_RSRC2:USER_SGPR: 14
; COMPUTE_PGM_RSRC2:TRAP_HANDLER: 0
; COMPUTE_PGM_RSRC2:TGID_X_EN: 1
; COMPUTE_PGM_RSRC2:TGID_Y_EN: 1
; COMPUTE_PGM_RSRC2:TGID_Z_EN: 0
; COMPUTE_PGM_RSRC2:TIDIG_COMP_CNT: 1
	.section	.text._ZL8moe_q5_0IfLb0EEvPKvS1_PT_PKiS5_S5_iiiiiii,"axG",@progbits,_ZL8moe_q5_0IfLb0EEvPKvS1_PT_PKiS5_S5_iiiiiii,comdat
	.globl	_ZL8moe_q5_0IfLb0EEvPKvS1_PT_PKiS5_S5_iiiiiii ; -- Begin function _ZL8moe_q5_0IfLb0EEvPKvS1_PT_PKiS5_S5_iiiiiii
	.p2align	8
	.type	_ZL8moe_q5_0IfLb0EEvPKvS1_PT_PKiS5_S5_iiiiiii,@function
_ZL8moe_q5_0IfLb0EEvPKvS1_PT_PKiS5_S5_iiiiiii: ; @_ZL8moe_q5_0IfLb0EEvPKvS1_PT_PKiS5_S5_iiiiiii
; %bb.0:
	s_load_b128 s[4:7], s[0:1], 0x18
	s_mov_b32 s2, s15
	s_mov_b32 s3, 0
	s_delay_alu instid0(SALU_CYCLE_1)
	s_lshl_b64 s[8:9], s[2:3], 2
	s_waitcnt lgkmcnt(0)
	s_add_u32 s6, s6, s8
	s_addc_u32 s7, s7, s9
	s_load_b32 s12, s[6:7], 0x0
	s_waitcnt lgkmcnt(0)
	s_cmpk_gt_u32 s12, 0xff
	s_cbranch_scc1 .LBB181_31
; %bb.1:
	s_load_b64 s[6:7], s[0:1], 0x28
	s_lshl_b32 s2, s2, 3
	s_waitcnt lgkmcnt(0)
	s_load_b32 s3, s[6:7], 0x0
	s_waitcnt lgkmcnt(0)
	s_cmp_gt_u32 s2, s3
	s_cbranch_scc1 .LBB181_31
; %bb.2:
	v_bfe_u32 v3, v0, 10, 10
	v_mov_b32_e32 v2, 0
	s_lshl_b32 s16, s14, 7
	s_mov_b32 s17, 0
	s_delay_alu instid0(VALU_DEP_2) | instskip(NEXT) | instid1(VALU_DEP_2)
	v_add_nc_u32_e32 v1, s2, v3
	v_dual_mov_b32 v49, v2 :: v_dual_and_b32 v6, 0x3ff, v0
	v_mov_b32_e32 v42, v2
	v_mov_b32_e32 v7, v2
	s_delay_alu instid0(VALU_DEP_4) | instskip(NEXT) | instid1(VALU_DEP_1)
	v_lshlrev_b64 v[4:5], 2, v[1:2]
	v_add_co_u32 v4, vcc_lo, s4, v4
	s_delay_alu instid0(VALU_DEP_2)
	v_add_co_ci_u32_e32 v5, vcc_lo, s5, v5, vcc_lo
	global_load_b32 v5, v[4:5], off
	s_clause 0x2
	s_load_b64 s[10:11], s[0:1], 0x30
	s_load_b64 s[8:9], s[0:1], 0x10
	s_load_b128 s[4:7], s[0:1], 0x3c
	s_waitcnt lgkmcnt(0)
	s_cmp_lt_i32 s11, 32
	s_cbranch_scc1 .LBB181_22
; %bb.3:
	s_load_b128 s[0:3], s[0:1], 0x0
	s_ashr_i32 s13, s11, 31
	s_ashr_i32 s14, s5, 31
	s_mul_i32 s12, s12, s10
	s_lshr_b32 s10, s13, 27
	s_lshr_b32 s13, s14, 27
	s_add_i32 s15, s11, s10
	s_add_i32 s10, s5, s13
	s_ashr_i32 s5, s15, 5
	s_ashr_i32 s14, s12, 31
	s_mul_i32 s13, s5, s16
	s_ashr_i32 s10, s10, 5
	s_mul_hi_i32 s19, s13, 22
	s_mul_i32 s13, s13, 22
	v_lshlrev_b32_e32 v1, 3, v6
	s_waitcnt vmcnt(0)
	v_sub_nc_u32_e32 v17, 0, v5
	v_dual_mov_b32 v7, 0 :: v_dual_lshlrev_b32 v0, 2, v6
	v_lshrrev_b32_e32 v12, 3, v6
	v_mad_u32_u24 v15, 0x104, v3, v1
	s_waitcnt lgkmcnt(0)
	s_add_u32 s0, s0, s12
	s_addc_u32 s1, s1, s14
	s_add_u32 s18, s0, s13
	s_addc_u32 s19, s1, s19
	s_abs_i32 s1, s7
	v_max_i32_e32 v47, v5, v17
	v_cvt_f32_u32_e32 v4, s1
	s_sub_i32 s12, 0, s1
	v_and_b32_e32 v52, 31, v6
	v_lshlrev_b32_e32 v60, 7, v3
	v_mul_lo_u32 v9, s5, v3
	v_rcp_iflag_f32_e32 v1, v4
	v_and_b32_e32 v10, 7, v6
	s_lshl_b32 s0, s5, 3
	v_lshl_or_b32 v52, v52, 2, v60
	v_add_nc_u32_e32 v55, 64, v6
	v_add_nc_u32_e32 v57, 0x60, v6
	v_lshlrev_b32_e32 v58, 5, v6
	v_add_nc_u32_e32 v11, s0, v9
	v_and_b32_e32 v59, 0xfc, v6
	v_and_b32_e32 v55, 0x1fc, v55
	v_dual_mul_f32 v1, 0x4f7ffffe, v1 :: v_dual_lshlrev_b32 v42, 2, v10
	v_and_b32_e32 v57, 0x1fc, v57
	s_delay_alu instid0(VALU_DEP_4) | instskip(NEXT) | instid1(VALU_DEP_4)
	v_add_nc_u32_e32 v65, v58, v59
	v_add_nc_u32_e32 v63, v58, v55
	s_delay_alu instid0(VALU_DEP_4)
	v_cvt_u32_f32_e32 v1, v1
	s_and_not1_b32 s15, s15, 31
	v_add_nc_u32_e32 v62, v58, v57
	v_lshrrev_b32_e32 v8, 2, v6
	v_add_nc_u32_e32 v17, 0x820, v15
	v_mul_lo_u32 v37, s12, v1
	v_add_nc_u32_e32 v19, 0x1040, v15
	v_add_nc_u32_e32 v20, 0x1860, v15
	;; [unrolled: 1-line block ×7, first 2 shown]
	v_mul_hi_u32 v40, v1, v37
	v_add_nc_u32_e32 v28, 0x4920, v15
	v_add_nc_u32_e32 v30, 0x5140, v15
	;; [unrolled: 1-line block ×11, first 2 shown]
	v_lshl_add_u32 v61, v3, 4, 0x9680
	v_mul_hi_u32 v1, v47, v1
	v_add_nc_u32_e32 v63, 0x8a10, v63
	v_add_nc_u32_e32 v65, 0x8210, v65
	s_add_u32 s12, s2, 0x90
	s_addc_u32 s13, s3, 0
	s_delay_alu instid0(VALU_DEP_3) | instskip(SKIP_1) | instid1(VALU_DEP_2)
	v_mul_lo_u32 v50, v1, s1
	v_add_nc_u32_e32 v51, 1, v1
	v_sub_nc_u32_e32 v50, v47, v50
	s_delay_alu instid0(VALU_DEP_1) | instskip(SKIP_3) | instid1(VALU_DEP_4)
	v_subrev_nc_u32_e32 v53, s1, v50
	v_cmp_le_u32_e32 vcc_lo, s1, v50
	v_and_b32_e32 v14, 12, v0
	v_dual_cndmask_b32 v1, v1, v51 :: v_dual_and_b32 v0, 28, v0
	v_cndmask_b32_e32 v50, v50, v53, vcc_lo
	v_xor_b32_e32 v51, s7, v5
	s_delay_alu instid0(VALU_DEP_3) | instskip(NEXT) | instid1(VALU_DEP_3)
	v_add_nc_u32_e32 v53, 1, v1
	v_cmp_le_u32_e32 vcc_lo, s1, v50
	v_lshlrev_b32_e32 v2, 2, v3
	s_delay_alu instid0(VALU_DEP_4) | instskip(SKIP_2) | instid1(VALU_DEP_3)
	v_ashrrev_i32_e32 v54, 31, v51
	v_add_nc_u32_e32 v50, 0x9280, v52
	s_movk_i32 s1, 0x80
	v_dual_cndmask_b32 v51, v1, v53 :: v_dual_add_nc_u32 v4, v12, v2
	v_or_b32_e32 v2, v2, v6
	v_cmp_gt_u32_e32 vcc_lo, 4, v6
	v_mad_u32_u24 v66, 0x104, v6, s1
	s_delay_alu instid0(VALU_DEP_4)
	v_xor_b32_e32 v52, v51, v54
	v_mul_lo_u32 v37, s5, v4
	v_and_b32_e32 v41, 0x1ffc, v4
	v_lshlrev_b32_e32 v49, 5, v4
	v_add_nc_u32_e32 v43, 32, v4
	v_add_nc_u32_e32 v44, 64, v4
	;; [unrolled: 1-line block ×3, first 2 shown]
	v_lshl_add_u32 v51, v2, 2, 0x9680
	v_add_nc_u32_e32 v2, 32, v6
	v_and_b32_e32 v45, 0x3ffc, v43
	v_and_b32_e32 v46, 0x3ffc, v44
	;; [unrolled: 1-line block ×3, first 2 shown]
	v_add3_u32 v67, v41, v42, 0x8200
	v_lshlrev_b32_e32 v68, 5, v43
	v_lshlrev_b32_e32 v4, 5, v4
	v_add3_u32 v70, v45, v42, 0x8200
	v_add3_u32 v71, v46, v42, 0x8200
	v_add3_u32 v42, v48, v42, 0x8200
	v_lshrrev_b32_e32 v53, 3, v2
	v_and_b32_e32 v2, 0x1fc, v2
	v_add_nc_u32_e32 v68, v70, v68
	v_add_nc_u32_e32 v67, v67, v49
	;; [unrolled: 1-line block ×3, first 2 shown]
	v_dual_mov_b32 v42, 0 :: v_dual_add_nc_u32 v13, s0, v11
	v_dual_mov_b32 v49, 0 :: v_dual_add_nc_u32 v2, v58, v2
	v_sub_nc_u32_e32 v56, v52, v54
	v_lshlrev_b32_e32 v69, 5, v44
	v_add_nc_u32_e32 v43, s15, v37
	s_delay_alu instid0(VALU_DEP_4)
	v_add_nc_u32_e32 v58, 0x8600, v2
	v_add_nc_u32_e32 v64, 0x8610, v2
	v_mov_b32_e32 v2, 0
	v_add_nc_u32_e32 v16, s0, v13
	v_mul_lo_u32 v54, v56, s10
	v_add_nc_u32_e32 v45, s15, v43
	v_mul_u32_u24_e32 v52, 0x104, v6
	v_add_nc_u32_e32 v69, v71, v69
	v_add_nc_u32_e32 v18, s0, v16
	s_delay_alu instid0(VALU_DEP_4) | instskip(SKIP_1) | instid1(VALU_DEP_3)
	v_add_nc_u32_e32 v47, s15, v45
	v_ashrrev_i32_e32 v55, 31, v54
	v_add_nc_u32_e32 v22, s0, v18
	s_delay_alu instid0(VALU_DEP_1) | instskip(NEXT) | instid1(VALU_DEP_1)
	v_add_nc_u32_e32 v26, s0, v22
	v_add_nc_u32_e32 v29, s0, v26
	s_delay_alu instid0(VALU_DEP_1) | instskip(NEXT) | instid1(VALU_DEP_1)
	v_add_nc_u32_e32 v34, s0, v29
	;; [unrolled: 3-line block ×5, first 2 shown]
	v_add_nc_u32_e32 v48, s0, v46
	v_add_co_u32 v0, s0, s2, v0
	s_delay_alu instid0(VALU_DEP_1)
	v_add_co_ci_u32_e64 v1, null, s3, 0, s0
	v_cmp_gt_i32_e64 s0, s4, v56
	v_add_nc_u32_e32 v56, 0x8e00, v62
	v_add_nc_u32_e32 v62, 0x8e10, v62
	s_branch .LBB181_5
.LBB181_4:                              ;   in Loop: Header=BB181_5 Depth=1
	s_add_i32 s17, s17, 8
	s_delay_alu instid0(SALU_CYCLE_1)
	s_cmp_ge_i32 s17, s5
	s_cbranch_scc1 .LBB181_22
.LBB181_5:                              ; =>This Loop Header: Depth=1
                                        ;     Child Loop BB181_12 Depth 2
                                        ;     Child Loop BB181_20 Depth 2
	s_mul_i32 s1, s17, 22
	s_mul_hi_u32 s15, s17, 22
	s_add_u32 s14, s18, s1
	s_addc_u32 s15, s19, s15
	s_delay_alu instid0(SALU_CYCLE_1) | instskip(NEXT) | instid1(VALU_DEP_1)
	v_mad_u64_u32 v[3:4], null, v8, 22, s[14:15]
	v_mad_u64_u32 v[71:72], null, v9, 22, v[3:4]
	;; [unrolled: 1-line block ×7, first 2 shown]
	v_add_co_u32 v83, s1, v71, v14
	s_delay_alu instid0(VALU_DEP_1)
	v_add_co_ci_u32_e64 v84, s1, 0, v72, s1
	s_clause 0x5
	global_load_b32 v89, v[71:72], off offset:2
	global_load_b32 v90, v[73:74], off offset:2
	;; [unrolled: 1-line block ×7, first 2 shown]
	v_add_co_u32 v71, s1, v73, v14
	s_delay_alu instid0(VALU_DEP_1) | instskip(SKIP_3) | instid1(VALU_DEP_1)
	v_add_co_ci_u32_e64 v72, s1, 0, v74, s1
	v_mad_u64_u32 v[73:74], null, v29, 22, v[3:4]
	global_load_b32 v96, v[71:72], off offset:6
	v_add_co_u32 v71, s1, v75, v14
	v_add_co_ci_u32_e64 v72, s1, 0, v76, s1
	v_mad_u64_u32 v[75:76], null, v34, 22, v[3:4]
	global_load_b32 v102, v[73:74], off offset:2
	global_load_b32 v97, v[71:72], off offset:6
	v_add_co_u32 v71, s1, v77, v14
	s_delay_alu instid0(VALU_DEP_1) | instskip(SKIP_3) | instid1(VALU_DEP_1)
	v_add_co_ci_u32_e64 v72, s1, 0, v78, s1
	v_mad_u64_u32 v[77:78], null, v38, 22, v[3:4]
	global_load_b32 v98, v[71:72], off offset:6
	v_add_co_u32 v71, s1, v79, v14
	v_add_co_ci_u32_e64 v72, s1, 0, v80, s1
	v_mad_u64_u32 v[79:80], null, v39, 22, v[3:4]
	global_load_b32 v99, v[71:72], off offset:6
	v_add_co_u32 v71, s1, v81, v14
	s_delay_alu instid0(VALU_DEP_1) | instskip(SKIP_2) | instid1(VALU_DEP_1)
	v_add_co_ci_u32_e64 v72, s1, 0, v82, s1
	global_load_b32 v100, v[71:72], off offset:6
	v_mad_u64_u32 v[71:72], null, v26, 22, v[3:4]
	v_add_co_u32 v81, s1, v71, v14
	global_load_b32 v101, v[71:72], off offset:2
	v_add_co_ci_u32_e64 v82, s1, 0, v72, s1
	v_add_co_u32 v83, s1, v73, v14
	s_delay_alu instid0(VALU_DEP_1) | instskip(SKIP_1) | instid1(VALU_DEP_1)
	v_add_co_ci_u32_e64 v84, s1, 0, v74, s1
	v_add_co_u32 v85, s1, v75, v14
	v_add_co_ci_u32_e64 v86, s1, 0, v76, s1
	v_add_co_u32 v87, s1, v77, v14
	s_delay_alu instid0(VALU_DEP_1) | instskip(SKIP_4) | instid1(VALU_DEP_1)
	v_add_co_ci_u32_e64 v88, s1, 0, v78, s1
	s_clause 0x1
	global_load_b32 v76, v[75:76], off offset:2
	global_load_b32 v74, v[77:78], off offset:2
	v_add_co_u32 v77, s1, v79, v14
	v_add_co_ci_u32_e64 v78, s1, 0, v80, s1
	global_load_b32 v72, v[79:80], off offset:2
	s_clause 0x4
	global_load_b32 v82, v[81:82], off offset:6
	global_load_b32 v81, v[83:84], off offset:6
	;; [unrolled: 1-line block ×5, first 2 shown]
	s_waitcnt vmcnt(21)
	v_ashrrev_i32_e32 v77, v14, v89
	s_waitcnt vmcnt(20)
	v_ashrrev_i32_e32 v78, v14, v90
	;; [unrolled: 2-line block ×6, first 2 shown]
	s_waitcnt vmcnt(15)
	v_and_b32_e32 v85, 0xf0f0f0f, v95
	v_lshlrev_b32_e32 v86, 4, v77
	v_lshlrev_b32_e32 v87, 11, v77
	;; [unrolled: 1-line block ×4, first 2 shown]
	v_lshrrev_b32_e32 v90, 4, v95
	v_lshrrev_b32_e32 v91, 12, v77
	;; [unrolled: 1-line block ×3, first 2 shown]
	v_lshlrev_b32_e32 v93, 2, v77
	v_lshlrev_b32_e32 v95, 4, v78
	;; [unrolled: 1-line block ×5, first 2 shown]
	v_lshrrev_b32_e32 v106, 12, v78
	v_lshrrev_b32_e32 v107, 5, v78
	v_lshlrev_b32_e32 v108, 2, v78
	v_lshlrev_b32_e32 v77, 9, v77
	s_waitcnt vmcnt(14)
	v_and_b32_e32 v94, 0xf0f0f0f, v96
	v_lshrrev_b32_e32 v96, 4, v96
	v_lshlrev_b32_e32 v78, 9, v78
	v_lshlrev_b32_e32 v110, 4, v79
	;; [unrolled: 1-line block ×5, first 2 shown]
	v_lshrrev_b32_e32 v114, 12, v79
	v_lshrrev_b32_e32 v115, 5, v79
	v_lshlrev_b32_e32 v116, 2, v79
	v_lshrrev_b32_e32 v122, 12, v80
	v_lshrrev_b32_e32 v123, 5, v80
	v_lshlrev_b32_e32 v124, 2, v80
	v_lshlrev_b32_e32 v126, 4, v83
	;; [unrolled: 1-line block ×3, first 2 shown]
	v_lshrrev_b32_e32 v130, 12, v83
	v_lshrrev_b32_e32 v131, 5, v83
	v_lshlrev_b32_e32 v132, 2, v83
	v_lshlrev_b32_e32 v136, 18, v84
	;; [unrolled: 1-line block ×3, first 2 shown]
	v_and_b32_e32 v86, 16, v86
	v_and_b32_e32 v87, 0x1000, v87
	;; [unrolled: 1-line block ×14, first 2 shown]
	s_waitcnt vmcnt(12)
	v_and_b32_e32 v109, 0xf0f0f0f, v97
	v_lshrrev_b32_e32 v97, 4, v97
	v_lshlrev_b32_e32 v79, 9, v79
	s_waitcnt vmcnt(11)
	v_and_b32_e32 v117, 0xf0f0f0f, v98
	v_lshlrev_b32_e32 v118, 4, v80
	v_lshlrev_b32_e32 v119, 11, v80
	;; [unrolled: 1-line block ×4, first 2 shown]
	v_lshrrev_b32_e32 v98, 4, v98
	v_lshlrev_b32_e32 v80, 9, v80
	s_waitcnt vmcnt(10)
	v_and_b32_e32 v125, 0xf0f0f0f, v99
	v_lshlrev_b32_e32 v128, 18, v83
	v_lshlrev_b32_e32 v129, 25, v83
	v_lshrrev_b32_e32 v99, 4, v99
	v_lshlrev_b32_e32 v83, 9, v83
	s_waitcnt vmcnt(9)
	v_and_b32_e32 v133, 0xf0f0f0f, v100
	v_and_b32_e32 v90, 0xf0f0f0f, v90
	v_and_b32_e32 v77, 0x10000000, v77
	v_and_b32_e32 v96, 0xf0f0f0f, v96
	v_and_b32_e32 v78, 0x10000000, v78
	v_and_b32_e32 v110, 16, v110
	v_and_b32_e32 v111, 0x1000, v111
	v_and_b32_e32 v112, 0x100000, v112
	v_and_b32_e32 v113, 0x10000000, v113
	v_and_b32_e32 v114, 16, v114
	v_and_b32_e32 v115, 0x1000, v115
	v_and_b32_e32 v116, 0x100000, v116
	v_and_b32_e32 v122, 16, v122
	v_and_b32_e32 v123, 0x1000, v123
	v_and_b32_e32 v124, 0x100000, v124
	v_and_b32_e32 v126, 16, v126
	v_and_b32_e32 v127, 0x1000, v127
	v_and_b32_e32 v130, 16, v130
	v_and_b32_e32 v131, 0x1000, v131
	v_and_b32_e32 v132, 0x100000, v132
	v_and_b32_e32 v136, 0x100000, v136
	v_and_b32_e32 v137, 0x10000000, v137
	v_or3_b32 v86, v86, v85, v87
	v_or3_b32 v85, v85, v88, v89
	;; [unrolled: 1-line block ×6, first 2 shown]
	v_and_b32_e32 v97, 0xf0f0f0f, v97
	v_and_b32_e32 v79, 0x10000000, v79
	;; [unrolled: 1-line block ×10, first 2 shown]
	v_or3_b32 v92, v110, v109, v111
	v_or3_b32 v93, v109, v112, v113
	;; [unrolled: 1-line block ×8, first 2 shown]
	v_lshrrev_b32_e32 v87, 16, v89
	v_and_b32_e32 v89, 0x1f00, v88
	v_lshlrev_b16 v88, 8, v88
	v_or3_b32 v78, v91, v78, v96
	v_or3_b32 v103, v117, v120, v121
	;; [unrolled: 1-line block ×3, first 2 shown]
	v_lshrrev_b32_e32 v85, 16, v85
	v_lshrrev_b32_e32 v90, 16, v93
	v_and_b32_e32 v91, 0x1f00, v92
	v_lshlrev_b16 v92, 8, v92
	v_or3_b32 v79, v94, v79, v97
	v_or3_b32 v80, v104, v80, v98
	v_and_b32_e32 v97, 0x1f00, v105
	v_lshlrev_b16 v98, 8, v105
	v_or3_b32 v83, v107, v83, v99
	v_lshrrev_b32_e32 v99, 16, v109
	v_lshrrev_b32_e32 v104, 16, v77
	v_and_b32_e32 v105, 0x1f00, v77
	v_lshlrev_b16 v77, 8, v77
	v_add_nc_u16 v88, v88, 0xf000
	v_lshrrev_b32_e32 v107, 16, v78
	v_and_b32_e32 v109, 0x1f00, v78
	v_lshlrev_b16 v78, 8, v78
	v_and_b32_e32 v118, 16, v118
	v_and_b32_e32 v119, 0x1000, v119
	;; [unrolled: 1-line block ×3, first 2 shown]
	v_lshlrev_b16 v86, 8, v86
	v_lshrrev_b32_e32 v93, 16, v103
	v_lshrrev_b32_e32 v96, 16, v106
	v_and_b32_e32 v103, 0x1f00, v85
	v_lshlrev_b16 v85, 8, v85
	v_and_b32_e32 v106, 0x1f00, v87
	v_lshlrev_b16 v87, 8, v87
	v_add_nc_u16 v92, v92, 0xf000
	v_and_b32_e32 v111, 0x1f00, v90
	v_lshlrev_b16 v90, 8, v90
	v_lshrrev_b32_e32 v112, 16, v79
	v_and_b32_e32 v113, 0x1f00, v79
	v_lshlrev_b16 v79, 8, v79
	v_add_nc_i16 v77, v77, 0xf000 clamp
	v_lshrrev_b16 v88, 8, v88
	v_add_nc_i16 v78, v78, 0xf000 clamp
	v_and_b32_e32 v121, 0xffffff00, v107
	v_lshlrev_b16 v107, 8, v107
	v_or3_b32 v95, v118, v117, v119
	v_add_nc_u16 v86, v86, 0xf000
	v_add_nc_u16 v85, v85, 0xf000
	;; [unrolled: 1-line block ×3, first 2 shown]
	v_lshrrev_b16 v92, 8, v92
	v_add_nc_u16 v90, v90, 0xf000
	v_add_nc_i16 v79, v79, 0xf000 clamp
	v_and_b32_e32 v122, 0xffffff00, v112
	v_lshlrev_b16 v112, 8, v112
	v_lshrrev_b16 v77, 8, v77
	v_or_b32_e32 v88, v89, v88
	v_lshrrev_b16 v78, 8, v78
	v_add_nc_i16 v89, v121, 0xf000 clamp
	v_add_nc_i16 v107, v107, 0xf000 clamp
	v_and_b32_e32 v94, 0x1f00, v95
	v_lshlrev_b16 v95, 8, v95
	v_and_b32_e32 v114, 0x1f00, v93
	v_lshlrev_b16 v93, 8, v93
	v_lshrrev_b16 v86, 8, v86
	v_lshrrev_b16 v85, 8, v85
	;; [unrolled: 1-line block ×3, first 2 shown]
	v_or_b32_e32 v91, v91, v92
	v_lshrrev_b16 v90, 8, v90
	v_lshrrev_b16 v79, 8, v79
	v_add_nc_i16 v92, v122, 0xf000 clamp
	v_add_nc_i16 v112, v112, 0xf000 clamp
	v_or_b32_e32 v77, v105, v77
	v_or_b32_e32 v78, v109, v78
	v_and_b32_e32 v89, 0xffffff00, v89
	v_lshrrev_b16 v105, 8, v107
	v_add_nc_u16 v95, v95, 0xf000
	v_lshrrev_b32_e32 v115, 16, v80
	v_and_b32_e32 v116, 0x1f00, v80
	v_lshlrev_b16 v80, 8, v80
	v_lshlrev_b32_e32 v134, 4, v84
	v_lshlrev_b32_e32 v135, 11, v84
	v_add_nc_u16 v98, v98, 0xf000
	v_and_b32_e32 v117, 0x1f00, v96
	v_lshlrev_b16 v96, 8, v96
	v_lshrrev_b32_e32 v118, 16, v83
	v_and_b32_e32 v119, 0x1f00, v83
	v_lshlrev_b16 v83, 8, v83
	v_and_b32_e32 v120, 0xffffff00, v104
	v_lshlrev_b16 v104, 8, v104
	v_add_nc_u16 v93, v93, 0xf000
	v_or_b32_e32 v86, v110, v86
	v_or_b32_e32 v85, v103, v85
	v_or_b32_e32 v87, v106, v87
	v_or_b32_e32 v90, v111, v90
	v_or_b32_e32 v79, v113, v79
	v_and_b32_e32 v92, 0xffffff00, v92
	v_lshrrev_b16 v106, 8, v112
	v_add_nc_u16 v78, v78, 0xf000
	v_or_b32_e32 v89, v105, v89
	v_lshrrev_b16 v95, 8, v95
	v_add_nc_i16 v80, v80, 0xf000 clamp
	v_and_b32_e32 v123, 0xffffff00, v115
	v_lshlrev_b16 v115, 8, v115
	v_lshrrev_b32_e32 v138, 12, v84
	v_lshrrev_b32_e32 v139, 5, v84
	v_lshlrev_b32_e32 v140, 2, v84
	v_and_b32_e32 v134, 16, v134
	v_and_b32_e32 v135, 0x1000, v135
	v_lshrrev_b16 v98, 8, v98
	v_add_nc_u16 v96, v96, 0xf000
	v_add_nc_i16 v83, v83, 0xf000 clamp
	v_and_b32_e32 v124, 0xffffff00, v118
	v_lshlrev_b16 v118, 8, v118
	v_add_nc_i16 v110, v120, 0xf000 clamp
	v_add_nc_i16 v104, v104, 0xf000 clamp
	v_lshrrev_b16 v93, 8, v93
	v_add_nc_u16 v86, v86, 0xf000
	v_add_nc_u16 v88, v88, 0xf000
	;; [unrolled: 1-line block ×7, first 2 shown]
	v_or_b32_e32 v92, v106, v92
	v_and_b32_e32 v78, 0xffff, v78
	v_lshlrev_b32_e32 v89, 16, v89
	v_or_b32_e32 v94, v94, v95
	v_lshrrev_b16 v80, 8, v80
	v_add_nc_i16 v95, v123, 0xf000 clamp
	v_add_nc_i16 v115, v115, 0xf000 clamp
	v_lshrrev_b32_e32 v100, 4, v100
	v_lshlrev_b32_e32 v84, 9, v84
	v_and_b32_e32 v138, 16, v138
	v_and_b32_e32 v139, 0x1000, v139
	v_or3_b32 v108, v134, v133, v135
	v_or_b32_e32 v97, v97, v98
	v_lshrrev_b16 v96, 8, v96
	v_lshrrev_b16 v83, 8, v83
	v_add_nc_i16 v98, v124, 0xf000 clamp
	v_add_nc_i16 v118, v118, 0xf000 clamp
	v_and_b32_e32 v103, 0xffffff00, v110
	v_lshrrev_b16 v104, 8, v104
	v_or_b32_e32 v93, v114, v93
	v_and_b32_e32 v86, 0xffff, v86
	v_and_b32_e32 v88, 0xffff, v88
	;; [unrolled: 1-line block ×3, first 2 shown]
	v_lshlrev_b32_e32 v85, 16, v85
	v_lshlrev_b32_e32 v87, 16, v87
	;; [unrolled: 1-line block ×3, first 2 shown]
	v_and_b32_e32 v79, 0xffff, v79
	v_lshlrev_b32_e32 v92, 16, v92
	v_or_b32_e32 v78, v78, v89
	v_and_b32_e32 v89, 0x100000, v140
	v_or_b32_e32 v80, v116, v80
	v_and_b32_e32 v95, 0xffffff00, v95
	v_lshrrev_b16 v107, 8, v115
	v_add_nc_u16 v94, v94, 0xf000
	v_or_b32_e32 v96, v117, v96
	v_or_b32_e32 v83, v119, v83
	v_and_b32_e32 v98, 0xffffff00, v98
	v_lshrrev_b16 v109, 8, v118
	v_add_nc_u16 v77, v77, 0xf000
	v_or_b32_e32 v103, v104, v103
	v_add_nc_u16 v93, v93, 0xf000
	v_or_b32_e32 v85, v86, v85
	v_or_b32_e32 v86, v88, v87
	;; [unrolled: 1-line block ×4, first 2 shown]
	v_lshlrev_b16 v90, 8, v108
	v_and_b32_e32 v92, 0xf0f0f0f, v100
	v_and_b32_e32 v84, 0x10000000, v84
	v_or3_b32 v89, v139, v138, v89
	v_add_nc_u16 v80, v80, 0xf000
	v_or_b32_e32 v95, v107, v95
	v_lshlrev_b16 v91, 8, v99
	v_add_nc_u16 v97, v97, 0xf000
	v_and_b32_e32 v94, 0xffff, v94
	v_add_nc_u16 v96, v96, 0xf000
	v_add_nc_u16 v83, v83, 0xf000
	v_or_b32_e32 v98, v109, v98
	v_and_b32_e32 v77, 0xffff, v77
	v_lshlrev_b32_e32 v103, 16, v103
	v_lshlrev_b32_e32 v93, 16, v93
	v_add_nc_u16 v90, v90, 0xf000
	v_or3_b32 v84, v89, v84, v92
	v_and_b32_e32 v80, 0xffff, v80
	v_lshlrev_b32_e32 v95, 16, v95
	v_add_nc_u16 v91, v91, 0xf000
	v_and_b32_e32 v97, 0xffff, v97
	v_lshlrev_b32_e32 v96, 16, v96
	v_and_b32_e32 v83, 0xffff, v83
	v_lshlrev_b32_e32 v98, 16, v98
	v_or_b32_e32 v77, v77, v103
	v_or_b32_e32 v88, v94, v93
	v_and_b32_e32 v89, 0x1f00, v108
	v_lshrrev_b16 v90, 8, v90
	v_lshlrev_b16 v94, 8, v84
	v_or_b32_e32 v80, v80, v95
	v_and_b32_e32 v92, 0x1f00, v99
	v_lshrrev_b16 v91, 8, v91
	v_or_b32_e32 v93, v97, v96
	v_or_b32_e32 v83, v83, v98
	ds_store_2addr_b32 v15, v85, v77 offset1:1
	ds_store_2addr_b32 v17, v86, v78 offset1:1
	;; [unrolled: 1-line block ×4, first 2 shown]
	v_or_b32_e32 v77, v89, v90
	v_add_nc_i16 v79, v94, 0xf000 clamp
	v_lshrrev_b32_e32 v80, 16, v84
	v_or_b32_e32 v78, v92, v91
	ds_store_2addr_b32 v21, v93, v83 offset1:1
	v_add_nc_u16 v77, v77, 0xf000
	v_and_b32_e32 v83, 0x1f00, v84
	v_lshrrev_b16 v79, 8, v79
	v_and_b32_e32 v84, 0xffffff00, v80
	s_waitcnt vmcnt(8)
	v_ashrrev_i32_e32 v86, v14, v101
	v_add_nc_u16 v78, v78, 0xf000
	v_and_b32_e32 v85, 0xffff, v77
	v_or_b32_e32 v83, v83, v79
	v_add_nc_i16 v77, v84, 0xf000 clamp
	v_lshlrev_b16 v84, 8, v80
	v_mad_u64_u32 v[79:80], null, v40, 22, v[3:4]
	v_lshlrev_b32_e32 v89, 18, v86
	v_lshlrev_b32_e32 v90, 25, v86
	;; [unrolled: 1-line block ×5, first 2 shown]
	s_waitcnt vmcnt(4)
	v_and_b32_e32 v91, 0xf0f0f0f, v82
	v_and_b32_e32 v89, 0x100000, v89
	;; [unrolled: 1-line block ×4, first 2 shown]
	global_load_b32 v78, v[79:80], off offset:2
	v_add_co_u32 v79, s1, v79, v14
	v_and_b32_e32 v88, 0x1000, v88
	v_add_co_ci_u32_e64 v80, s1, 0, v80, s1
	v_or3_b32 v89, v91, v89, v90
	v_add_nc_i16 v84, v84, 0xf000 clamp
	s_delay_alu instid0(VALU_DEP_4)
	v_or3_b32 v88, v92, v91, v88
	v_and_b32_e32 v90, 0xffffff00, v77
	global_load_b32 v77, v[79:80], off offset:6
	v_lshrrev_b32_e32 v80, 16, v89
	v_lshrrev_b16 v79, 8, v84
	v_and_b32_e32 v84, 0x1f00, v88
	v_lshlrev_b16 v88, 8, v88
	v_lshrrev_b32_e32 v89, 12, v86
	v_lshrrev_b32_e32 v91, 5, v86
	v_lshlrev_b16 v92, 8, v80
	v_lshlrev_b32_e32 v93, 2, v86
	v_add_nc_u16 v88, v88, 0xf000
	v_and_b32_e32 v89, 16, v89
	v_and_b32_e32 v91, 0x1000, v91
	v_add_nc_u16 v92, v92, 0xf000
	v_and_b32_e32 v93, 0x100000, v93
	v_lshrrev_b32_e32 v82, 4, v82
	v_lshlrev_b32_e32 v86, 9, v86
	v_lshrrev_b16 v88, 8, v88
	v_and_b32_e32 v80, 0x1f00, v80
	v_or3_b32 v89, v91, v89, v93
	v_lshrrev_b16 v91, 8, v92
	v_and_b32_e32 v82, 0xf0f0f0f, v82
	v_and_b32_e32 v86, 0x10000000, v86
	v_add_nc_u16 v83, v83, 0xf000
	v_or_b32_e32 v79, v79, v90
	v_or_b32_e32 v84, v84, v88
	;; [unrolled: 1-line block ×3, first 2 shown]
	v_or3_b32 v82, v89, v86, v82
	v_and_b32_e32 v83, 0xffff, v83
	v_lshlrev_b32_e32 v79, 16, v79
	v_add_nc_u16 v84, v84, 0xf000
	v_add_nc_u16 v80, v80, 0xf000
	v_lshlrev_b16 v86, 8, v82
	v_or_b32_e32 v85, v85, v87
	v_or_b32_e32 v79, v83, v79
	v_and_b32_e32 v83, 0xffff, v84
	v_lshlrev_b32_e32 v80, 16, v80
	v_ashrrev_i32_e32 v88, v14, v102
	v_add_nc_i16 v86, v86, 0xf000 clamp
	v_and_b32_e32 v84, 0x1f00, v82
	v_lshrrev_b32_e32 v87, 16, v82
	ds_store_2addr_b32 v23, v85, v79 offset1:1
	v_or_b32_e32 v85, v83, v80
	v_mad_u64_u32 v[82:83], null, v41, 22, v[3:4]
	v_lshlrev_b32_e32 v80, 25, v88
	v_lshrrev_b16 v86, 8, v86
	v_lshlrev_b32_e32 v79, 18, v88
	v_lshlrev_b32_e32 v90, 4, v88
	;; [unrolled: 1-line block ×3, first 2 shown]
	v_and_b32_e32 v92, 0x10000000, v80
	global_load_b32 v80, v[82:83], off offset:2
	v_add_co_u32 v82, s1, v82, v14
	v_or_b32_e32 v84, v84, v86
	s_waitcnt vmcnt(6)
	v_and_b32_e32 v89, 0xf0f0f0f, v81
	v_and_b32_e32 v79, 0x100000, v79
	v_add_co_ci_u32_e64 v83, s1, 0, v83, s1
	v_and_b32_e32 v90, 16, v90
	v_and_b32_e32 v91, 0x1000, v91
	;; [unrolled: 1-line block ×3, first 2 shown]
	v_lshlrev_b16 v87, 8, v87
	v_or3_b32 v92, v89, v79, v92
	global_load_b32 v79, v[82:83], off offset:6
	v_add_nc_u16 v82, v84, 0xf000
	v_or3_b32 v84, v90, v89, v91
	v_add_nc_i16 v83, v86, 0xf000 clamp
	v_add_nc_i16 v86, v87, 0xf000 clamp
	v_lshrrev_b32_e32 v87, 16, v92
	v_lshrrev_b32_e32 v89, 12, v88
	;; [unrolled: 1-line block ×3, first 2 shown]
	v_lshlrev_b16 v91, 8, v84
	v_lshlrev_b32_e32 v92, 2, v88
	v_lshrrev_b32_e32 v81, 4, v81
	v_and_b32_e32 v89, 16, v89
	v_and_b32_e32 v90, 0x1000, v90
	v_lshlrev_b32_e32 v88, 9, v88
	v_and_b32_e32 v92, 0x100000, v92
	v_add_nc_u16 v91, v91, 0xf000
	v_and_b32_e32 v81, 0xf0f0f0f, v81
	v_and_b32_e32 v83, 0xffffff00, v83
	;; [unrolled: 1-line block ×3, first 2 shown]
	v_or3_b32 v89, v90, v89, v92
	v_lshrrev_b16 v90, 8, v91
	v_lshlrev_b16 v91, 8, v87
	v_lshrrev_b16 v86, 8, v86
	v_and_b32_e32 v84, 0x1f00, v84
	v_or3_b32 v81, v89, v88, v81
	v_and_b32_e32 v88, 0xffff, v82
	v_add_nc_u16 v82, v91, 0xf000
	v_or_b32_e32 v83, v86, v83
	v_and_b32_e32 v87, 0x1f00, v87
	v_lshlrev_b16 v86, 8, v81
	v_or_b32_e32 v84, v84, v90
	v_lshrrev_b16 v82, 8, v82
	v_lshrrev_b32_e32 v89, 16, v81
	v_and_b32_e32 v90, 0x1f00, v81
	v_add_nc_i16 v86, v86, 0xf000 clamp
	v_ashrrev_i32_e32 v92, v14, v76
	v_or_b32_e32 v87, v87, v82
	v_mad_u64_u32 v[81:82], null, v44, 22, v[3:4]
	s_delay_alu instid0(VALU_DEP_4)
	v_lshrrev_b16 v86, 8, v86
	v_and_b32_e32 v91, 0xffffff00, v89
	v_lshlrev_b32_e32 v76, 4, v92
	v_lshlrev_b32_e32 v93, 11, v92
	v_lshlrev_b16 v89, 8, v89
	v_or_b32_e32 v86, v90, v86
	global_load_b32 v94, v[81:82], off offset:2
	v_add_co_u32 v81, s1, v81, v14
	v_add_nc_i16 v90, v91, 0xf000 clamp
	s_waitcnt vmcnt(7)
	v_and_b32_e32 v91, 0xf0f0f0f, v75
	v_add_co_ci_u32_e64 v82, s1, 0, v82, s1
	v_and_b32_e32 v95, 16, v76
	v_and_b32_e32 v93, 0x1000, v93
	v_add_nc_i16 v89, v89, 0xf000 clamp
	v_lshlrev_b32_e32 v96, 18, v92
	v_lshlrev_b32_e32 v97, 25, v92
	global_load_b32 v76, v[81:82], off offset:6
	v_or3_b32 v82, v95, v91, v93
	v_and_b32_e32 v81, 0xffffff00, v90
	v_lshrrev_b16 v89, 8, v89
	v_and_b32_e32 v90, 0x100000, v96
	v_and_b32_e32 v93, 0x10000000, v97
	v_lshlrev_b16 v95, 8, v82
	v_add_nc_u16 v86, v86, 0xf000
	v_or_b32_e32 v81, v89, v81
	v_lshlrev_b32_e32 v83, 16, v83
	v_or3_b32 v89, v91, v90, v93
	v_add_nc_u16 v90, v95, 0xf000
	v_and_b32_e32 v86, 0xffff, v86
	v_lshlrev_b32_e32 v81, 16, v81
	v_and_b32_e32 v82, 0x1f00, v82
	v_or_b32_e32 v83, v88, v83
	v_lshrrev_b16 v90, 8, v90
	v_lshrrev_b32_e32 v88, 5, v92
	v_or_b32_e32 v86, v86, v81
	v_add_nc_u16 v84, v84, 0xf000
	v_add_nc_u16 v87, v87, 0xf000
	v_or_b32_e32 v81, v82, v90
	v_lshrrev_b32_e32 v82, 12, v92
	v_lshlrev_b32_e32 v90, 2, v92
	v_lshrrev_b32_e32 v75, 4, v75
	v_and_b32_e32 v88, 0x1000, v88
	v_lshlrev_b32_e32 v91, 9, v92
	v_and_b32_e32 v82, 16, v82
	v_and_b32_e32 v90, 0x100000, v90
	;; [unrolled: 1-line block ×3, first 2 shown]
	v_lshlrev_b32_e32 v87, 16, v87
	v_lshrrev_b32_e32 v89, 16, v89
	v_and_b32_e32 v75, 0xf0f0f0f, v75
	v_and_b32_e32 v91, 0x10000000, v91
	v_or3_b32 v88, v88, v82, v90
	v_or_b32_e32 v84, v84, v87
	v_lshlrev_b16 v87, 8, v89
	v_add_nc_u16 v90, v81, 0xf000
	v_mad_u64_u32 v[81:82], null, v46, 22, v[3:4]
	v_or3_b32 v75, v88, v91, v75
	s_delay_alu instid0(VALU_DEP_4)
	v_add_nc_u16 v87, v87, 0xf000
	ds_store_2addr_b32 v24, v85, v83 offset1:1
	ds_store_2addr_b32 v25, v84, v86 offset1:1
	v_and_b32_e32 v89, 0x1f00, v89
	v_ashrrev_i32_e32 v74, v14, v74
	v_lshlrev_b16 v85, 8, v75
	global_load_b32 v86, v[81:82], off offset:2
	v_add_co_u32 v81, s1, v81, v14
	v_lshrrev_b16 v87, 8, v87
	v_add_co_ci_u32_e64 v82, s1, 0, v82, s1
	v_add_nc_i16 v85, v85, 0xf000 clamp
	v_and_b32_e32 v83, 0xffff, v90
	s_delay_alu instid0(VALU_DEP_4)
	v_or_b32_e32 v87, v89, v87
	global_load_b32 v88, v[81:82], off offset:6
	v_lshlrev_b32_e32 v89, 11, v74
	v_lshrrev_b16 v81, 8, v85
	v_lshlrev_b32_e32 v85, 4, v74
	v_add_nc_u16 v84, v87, 0xf000
	v_lshrrev_b32_e32 v87, 16, v75
	v_and_b32_e32 v75, 0x1f00, v75
	s_waitcnt vmcnt(9)
	v_and_b32_e32 v90, 0xf0f0f0f, v73
	v_lshlrev_b32_e32 v91, 18, v74
	v_lshlrev_b32_e32 v92, 25, v74
	v_and_b32_e32 v85, 16, v85
	v_and_b32_e32 v89, 0x1000, v89
	;; [unrolled: 1-line block ×3, first 2 shown]
	v_lshlrev_b16 v87, 8, v87
	v_and_b32_e32 v91, 0x100000, v91
	v_and_b32_e32 v92, 0x10000000, v92
	v_or_b32_e32 v75, v75, v81
	v_or3_b32 v81, v85, v90, v89
	v_lshlrev_b32_e32 v84, 16, v84
	v_add_nc_i16 v82, v82, 0xf000 clamp
	v_add_nc_i16 v85, v87, 0xf000 clamp
	v_or3_b32 v87, v90, v91, v92
	v_lshlrev_b16 v89, 8, v81
	v_or_b32_e32 v83, v83, v84
	v_and_b32_e32 v82, 0xffffff00, v82
	v_lshrrev_b16 v85, 8, v85
	v_lshrrev_b32_e32 v87, 16, v87
	v_add_nc_u16 v84, v89, 0xf000
	v_lshrrev_b32_e32 v89, 12, v74
	v_lshrrev_b32_e32 v90, 5, v74
	v_lshlrev_b32_e32 v91, 2, v74
	v_lshrrev_b32_e32 v73, 4, v73
	v_or_b32_e32 v82, v85, v82
	v_lshlrev_b16 v85, 8, v87
	v_and_b32_e32 v89, 16, v89
	v_and_b32_e32 v90, 0x1000, v90
	v_lshlrev_b32_e32 v92, 9, v74
	v_and_b32_e32 v91, 0x100000, v91
	v_and_b32_e32 v93, 0xf0f0f0f, v73
	v_mad_u64_u32 v[73:74], null, v48, 22, v[3:4]
	v_add_nc_u16 v75, v75, 0xf000
	v_and_b32_e32 v81, 0x1f00, v81
	v_lshrrev_b16 v84, 8, v84
	v_add_nc_u16 v85, v85, 0xf000
	v_and_b32_e32 v3, 0x10000000, v92
	v_or3_b32 v4, v90, v89, v91
	v_and_b32_e32 v75, 0xffff, v75
	v_lshlrev_b32_e32 v82, 16, v82
	v_or_b32_e32 v81, v81, v84
	v_and_b32_e32 v84, 0x1f00, v87
	v_lshrrev_b16 v85, 8, v85
	v_or3_b32 v87, v4, v3, v93
	global_load_b32 v89, v[73:74], off offset:2
	v_add_co_u32 v3, s1, v73, v14
	s_delay_alu instid0(VALU_DEP_1)
	v_add_co_ci_u32_e64 v4, s1, 0, v74, s1
	v_or_b32_e32 v73, v75, v82
	v_add_nc_u16 v74, v81, 0xf000
	v_or_b32_e32 v75, v84, v85
	v_lshlrev_b16 v81, 8, v87
	v_ashrrev_i32_e32 v72, v14, v72
	global_load_b32 v85, v[3:4], off offset:6
	ds_store_2addr_b32 v27, v83, v73 offset1:1
	v_add_nc_u16 v4, v75, 0xf000
	v_add_nc_i16 v73, v81, 0xf000 clamp
	v_lshlrev_b32_e32 v75, 4, v72
	v_lshlrev_b32_e32 v81, 11, v72
	v_and_b32_e32 v3, 0xffff, v74
	v_lshrrev_b32_e32 v74, 16, v87
	s_waitcnt vmcnt(10)
	v_and_b32_e32 v83, 0xf0f0f0f, v71
	v_and_b32_e32 v75, 16, v75
	;; [unrolled: 1-line block ×4, first 2 shown]
	v_lshrrev_b16 v73, 8, v73
	v_lshlrev_b32_e32 v84, 18, v72
	v_lshlrev_b32_e32 v87, 25, v72
	v_and_b32_e32 v90, 0xffffff00, v74
	v_lshlrev_b16 v74, 8, v74
	v_or3_b32 v75, v75, v83, v81
	v_and_b32_e32 v81, 0x100000, v84
	v_and_b32_e32 v84, 0x10000000, v87
	v_add_nc_i16 v87, v90, 0xf000 clamp
	v_add_nc_i16 v74, v74, 0xf000 clamp
	v_or_b32_e32 v73, v82, v73
	v_lshlrev_b16 v82, 8, v75
	v_or3_b32 v81, v83, v81, v84
	v_and_b32_e32 v83, 0xffffff00, v87
	v_lshrrev_b16 v74, 8, v74
	v_lshlrev_b32_e32 v4, 16, v4
	v_add_nc_u16 v82, v82, 0xf000
	v_lshrrev_b32_e32 v87, 16, v81
	v_add_nc_u16 v73, v73, 0xf000
	v_or_b32_e32 v74, v74, v83
	v_and_b32_e32 v75, 0x1f00, v75
	v_lshrrev_b16 v81, 8, v82
	v_or_b32_e32 v90, v3, v4
	v_mad_u64_u32 v[3:4], null, v10, 22, s[14:15]
	v_and_b32_e32 v91, 0xffff, v73
	v_lshlrev_b32_e32 v92, 16, v74
	v_or_b32_e32 v75, v75, v81
	v_lshrrev_b32_e32 v71, 4, v71
	v_lshrrev_b32_e32 v73, 12, v72
	;; [unrolled: 1-line block ×3, first 2 shown]
	v_lshlrev_b32_e32 v81, 2, v72
	v_lshlrev_b32_e32 v72, 9, v72
	v_and_b32_e32 v95, 0xf0f0f0f, v71
	v_and_b32_e32 v73, 16, v73
	;; [unrolled: 1-line block ×5, first 2 shown]
	v_mad_u64_u32 v[71:72], null, v37, 22, v[3:4]
	v_lshlrev_b16 v82, 8, v87
	s_delay_alu instid0(VALU_DEP_4) | instskip(SKIP_2) | instid1(VALU_DEP_4)
	v_or3_b32 v97, v74, v73, v81
	v_mad_u64_u32 v[73:74], null, v43, 22, v[3:4]
	v_mad_u64_u32 v[83:84], null, v47, 22, v[3:4]
	v_add_nc_u16 v93, v82, 0xf000
	v_mad_u64_u32 v[81:82], null, v45, 22, v[3:4]
	s_clause 0x1
	global_load_u16 v3, v[71:72], off
	global_load_u16 v73, v[73:74], off
	v_add_nc_u16 v4, v75, 0xf000
	s_clause 0x1
	global_load_u16 v75, v[81:82], off
	global_load_u16 v81, v[83:84], off
	v_or3_b32 v72, v97, v96, v95
	v_and_b32_e32 v71, 0x1f00, v87
	v_lshrrev_b16 v74, 8, v93
	v_or_b32_e32 v83, v91, v92
	s_waitcnt vmcnt(13)
	v_ashrrev_i32_e32 v78, v14, v78
	v_lshlrev_b16 v82, 8, v72
	v_and_b32_e32 v4, 0xffff, v4
	v_or_b32_e32 v71, v71, v74
	ds_store_2addr_b32 v28, v90, v83 offset1:1
	v_lshlrev_b32_e32 v84, 4, v78
	v_lshlrev_b32_e32 v87, 11, v78
	v_add_nc_i16 v74, v82, 0xf000 clamp
	v_lshrrev_b32_e32 v82, 16, v72
	v_and_b32_e32 v72, 0x1f00, v72
	s_waitcnt vmcnt(12)
	v_and_b32_e32 v92, 0xf0f0f0f, v77
	v_and_b32_e32 v84, 16, v84
	;; [unrolled: 1-line block ×3, first 2 shown]
	v_lshrrev_b16 v74, 8, v74
	v_and_b32_e32 v91, 0xffffff00, v82
	v_lshlrev_b16 v82, 8, v82
	v_lshlrev_b32_e32 v93, 18, v78
	v_or3_b32 v84, v84, v92, v87
	v_or_b32_e32 v72, v72, v74
	v_lshlrev_b32_e32 v95, 25, v78
	v_add_nc_i16 v91, v91, 0xf000 clamp
	v_add_nc_i16 v82, v82, 0xf000 clamp
	v_lshlrev_b16 v74, 8, v84
	v_and_b32_e32 v87, 0x100000, v93
	v_and_b32_e32 v93, 0x10000000, v95
	;; [unrolled: 1-line block ×4, first 2 shown]
	v_add_nc_u16 v74, v74, 0xf000
	v_lshrrev_b16 v82, 8, v82
	v_or3_b32 v87, v92, v87, v93
	v_lshrrev_b32_e32 v92, 5, v78
	v_lshlrev_b32_e32 v93, 2, v78
	v_lshrrev_b16 v74, 8, v74
	v_add_nc_u16 v71, v71, 0xf000
	v_add_nc_u16 v72, v72, 0xf000
	v_or_b32_e32 v82, v82, v91
	v_lshrrev_b32_e32 v87, 16, v87
	v_or_b32_e32 v74, v84, v74
	v_lshrrev_b32_e32 v84, 12, v78
	v_lshrrev_b32_e32 v77, 4, v77
	v_and_b32_e32 v92, 0x1000, v92
	v_lshlrev_b32_e32 v78, 9, v78
	v_and_b32_e32 v93, 0x100000, v93
	v_and_b32_e32 v84, 16, v84
	v_lshlrev_b32_e32 v71, 16, v71
	v_and_b32_e32 v72, 0xffff, v72
	v_lshlrev_b16 v91, 8, v87
	v_lshlrev_b32_e32 v82, 16, v82
	v_and_b32_e32 v77, 0xf0f0f0f, v77
	v_and_b32_e32 v78, 0x10000000, v78
	v_or3_b32 v84, v92, v84, v93
	v_add_nc_u16 v91, v91, 0xf000
	v_or_b32_e32 v4, v4, v71
	v_or_b32_e32 v72, v72, v82
	v_add_nc_u16 v74, v74, 0xf000
	v_or3_b32 v77, v84, v78, v77
	v_and_b32_e32 v87, 0x1f00, v87
	v_lshrrev_b16 v91, 8, v91
	ds_store_2addr_b32 v30, v4, v72 offset1:1
	v_and_b32_e32 v4, 0xffff, v74
	s_waitcnt vmcnt(11)
	v_ashrrev_i32_e32 v78, v14, v80
	v_lshlrev_b16 v72, 8, v77
	v_lshrrev_b32_e32 v74, 16, v77
	v_or_b32_e32 v71, v87, v91
	v_and_b32_e32 v77, 0x1f00, v77
	v_lshlrev_b32_e32 v83, 18, v78
	v_lshlrev_b32_e32 v84, 25, v78
	v_add_nc_i16 v72, v72, 0xf000 clamp
	v_and_b32_e32 v80, 0xffffff00, v74
	v_lshlrev_b32_e32 v82, 4, v78
	v_lshlrev_b32_e32 v87, 11, v78
	v_and_b32_e32 v83, 0x100000, v83
	v_and_b32_e32 v84, 0x10000000, v84
	s_waitcnt vmcnt(10)
	v_and_b32_e32 v90, 0xf0f0f0f, v79
	v_and_b32_e32 v82, 16, v82
	;; [unrolled: 1-line block ×3, first 2 shown]
	v_lshrrev_b16 v72, 8, v72
	v_add_nc_i16 v80, v80, 0xf000 clamp
	v_or3_b32 v83, v90, v83, v84
	v_lshrrev_b32_e32 v84, 12, v78
	v_or3_b32 v82, v82, v90, v87
	v_or_b32_e32 v72, v77, v72
	v_and_b32_e32 v77, 0xffffff00, v80
	v_lshrrev_b32_e32 v80, 16, v83
	v_lshrrev_b32_e32 v87, 5, v78
	v_lshlrev_b32_e32 v91, 2, v78
	v_lshlrev_b16 v74, 8, v74
	v_and_b32_e32 v83, 0x1f00, v82
	v_lshlrev_b16 v82, 8, v82
	v_lshlrev_b16 v90, 8, v80
	v_lshrrev_b32_e32 v79, 4, v79
	v_and_b32_e32 v84, 16, v84
	v_and_b32_e32 v87, 0x1000, v87
	v_lshlrev_b32_e32 v78, 9, v78
	v_and_b32_e32 v91, 0x100000, v91
	v_add_nc_i16 v74, v74, 0xf000 clamp
	v_add_nc_u16 v82, v82, 0xf000
	v_add_nc_u16 v90, v90, 0xf000
	v_and_b32_e32 v79, 0xf0f0f0f, v79
	v_and_b32_e32 v78, 0x10000000, v78
	v_or3_b32 v84, v87, v84, v91
	v_add_nc_u16 v71, v71, 0xf000
	v_lshrrev_b16 v74, 8, v74
	v_lshrrev_b16 v82, 8, v82
	v_and_b32_e32 v80, 0x1f00, v80
	v_lshrrev_b16 v87, 8, v90
	v_or3_b32 v78, v84, v78, v79
	v_lshlrev_b32_e32 v71, 16, v71
	v_add_nc_u16 v72, v72, 0xf000
	v_or_b32_e32 v74, v74, v77
	v_or_b32_e32 v77, v83, v82
	;; [unrolled: 1-line block ×3, first 2 shown]
	v_lshlrev_b16 v80, 8, v78
	v_and_b32_e32 v72, 0xffff, v72
	v_lshlrev_b32_e32 v74, 16, v74
	v_add_nc_u16 v77, v77, 0xf000
	v_add_nc_u16 v79, v79, 0xf000
	v_or_b32_e32 v4, v4, v71
	v_add_nc_i16 v71, v80, 0xf000 clamp
	v_or_b32_e32 v72, v72, v74
	v_and_b32_e32 v74, 0xffff, v77
	v_lshlrev_b32_e32 v77, 16, v79
	v_and_b32_e32 v79, 0x1f00, v78
	v_lshrrev_b16 v71, 8, v71
	s_waitcnt vmcnt(9)
	v_ashrrev_i32_e32 v80, v14, v94
	ds_store_2addr_b32 v31, v4, v72 offset1:1
	v_or_b32_e32 v4, v74, v77
	v_lshrrev_b32_e32 v78, 16, v78
	v_or_b32_e32 v71, v79, v71
	v_lshlrev_b32_e32 v74, 18, v80
	v_lshlrev_b32_e32 v77, 25, v80
	;; [unrolled: 1-line block ×4, first 2 shown]
	s_waitcnt vmcnt(8)
	v_and_b32_e32 v83, 0xf0f0f0f, v76
	v_and_b32_e32 v74, 0x100000, v74
	;; [unrolled: 1-line block ×6, first 2 shown]
	v_lshrrev_b32_e32 v76, 4, v76
	v_or3_b32 v74, v83, v74, v77
	v_lshlrev_b16 v77, 8, v78
	v_or3_b32 v78, v79, v83, v82
	v_lshrrev_b32_e32 v79, 12, v80
	v_lshrrev_b32_e32 v82, 5, v80
	v_lshlrev_b32_e32 v83, 2, v80
	v_lshlrev_b32_e32 v80, 9, v80
	v_lshrrev_b32_e32 v74, 16, v74
	v_and_b32_e32 v79, 16, v79
	v_and_b32_e32 v82, 0x1000, v82
	v_and_b32_e32 v83, 0x100000, v83
	v_lshlrev_b16 v84, 8, v78
	v_and_b32_e32 v76, 0xf0f0f0f, v76
	v_and_b32_e32 v80, 0x10000000, v80
	v_lshlrev_b16 v87, 8, v74
	v_or3_b32 v79, v82, v79, v83
	v_add_nc_u16 v82, v84, 0xf000
	v_add_nc_i16 v72, v72, 0xf000 clamp
	v_add_nc_i16 v77, v77, 0xf000 clamp
	v_add_nc_u16 v83, v87, 0xf000
	v_or3_b32 v76, v79, v80, v76
	v_and_b32_e32 v78, 0x1f00, v78
	v_lshrrev_b16 v79, 8, v82
	v_and_b32_e32 v74, 0x1f00, v74
	v_lshrrev_b16 v80, 8, v83
	v_lshlrev_b16 v82, 8, v76
	v_and_b32_e32 v72, 0xffffff00, v72
	v_lshrrev_b16 v77, 8, v77
	v_or_b32_e32 v78, v78, v79
	v_or_b32_e32 v74, v74, v80
	v_add_nc_i16 v79, v82, 0xf000 clamp
	v_add_nc_u16 v71, v71, 0xf000
	v_or_b32_e32 v72, v77, v72
	v_add_nc_u16 v77, v78, 0xf000
	v_and_b32_e32 v78, 0x1f00, v76
	v_lshrrev_b16 v79, 8, v79
	s_waitcnt vmcnt(7)
	v_ashrrev_i32_e32 v80, v14, v86
	v_add_nc_u16 v74, v74, 0xf000
	v_and_b32_e32 v71, 0xffff, v71
	v_lshlrev_b32_e32 v72, 16, v72
	v_or_b32_e32 v78, v78, v79
	v_lshlrev_b32_e32 v79, 18, v80
	v_lshlrev_b32_e32 v83, 25, v80
	v_and_b32_e32 v77, 0xffff, v77
	v_lshlrev_b32_e32 v74, 16, v74
	s_waitcnt vmcnt(6)
	v_and_b32_e32 v82, 0xf0f0f0f, v88
	v_and_b32_e32 v79, 0x100000, v79
	v_lshrrev_b32_e32 v86, 12, v80
	v_lshrrev_b32_e32 v87, 5, v80
	v_and_b32_e32 v83, 0x10000000, v83
	v_lshlrev_b32_e32 v90, 2, v80
	v_or_b32_e32 v71, v71, v72
	v_or_b32_e32 v72, v77, v74
	v_lshlrev_b32_e32 v74, 4, v80
	v_lshlrev_b32_e32 v84, 11, v80
	v_lshrrev_b32_e32 v88, 4, v88
	v_and_b32_e32 v86, 16, v86
	v_and_b32_e32 v87, 0x1000, v87
	v_lshlrev_b32_e32 v80, 9, v80
	v_and_b32_e32 v90, 0x100000, v90
	v_or3_b32 v79, v82, v79, v83
	v_lshrrev_b32_e32 v76, 16, v76
	v_and_b32_e32 v83, 0xf0f0f0f, v88
	v_and_b32_e32 v80, 0x10000000, v80
	v_or3_b32 v86, v87, v86, v90
	v_lshrrev_b32_e32 v79, 16, v79
	v_add_nc_u16 v77, v78, 0xf000
	v_and_b32_e32 v78, 0xffffff00, v76
	v_and_b32_e32 v74, 16, v74
	;; [unrolled: 1-line block ×3, first 2 shown]
	v_lshlrev_b16 v76, 8, v76
	v_or3_b32 v80, v86, v80, v83
	v_lshlrev_b16 v83, 8, v79
	v_add_nc_i16 v78, v78, 0xf000 clamp
	v_or3_b32 v74, v74, v82, v84
	v_add_nc_i16 v76, v76, 0xf000 clamp
	v_lshlrev_b16 v84, 8, v80
	v_add_nc_u16 v83, v83, 0xf000
	v_and_b32_e32 v78, 0xffffff00, v78
	v_and_b32_e32 v79, 0x1f00, v79
	v_lshrrev_b16 v76, 8, v76
	v_add_nc_i16 v84, v84, 0xf000 clamp
	v_lshrrev_b16 v83, 8, v83
	v_and_b32_e32 v86, 0x1f00, v80
	v_lshlrev_b16 v82, 8, v74
	v_or_b32_e32 v76, v76, v78
	v_lshrrev_b16 v84, 8, v84
	v_or_b32_e32 v78, v79, v83
	v_and_b32_e32 v74, 0x1f00, v74
	v_add_nc_u16 v82, v82, 0xf000
	v_lshrrev_b32_e32 v80, 16, v80
	v_or_b32_e32 v79, v86, v84
	v_add_nc_u16 v78, v78, 0xf000
	v_and_b32_e32 v77, 0xffff, v77
	v_lshrrev_b16 v82, 8, v82
	v_lshlrev_b32_e32 v76, 16, v76
	v_add_nc_u16 v79, v79, 0xf000
	v_lshlrev_b32_e32 v78, 16, v78
	s_waitcnt vmcnt(5)
	v_ashrrev_i32_e32 v83, v14, v89
	v_or_b32_e32 v74, v74, v82
	v_and_b32_e32 v82, 0xffffff00, v80
	v_lshlrev_b16 v80, 8, v80
	v_and_b32_e32 v79, 0xffff, v79
	v_lshlrev_b32_e32 v84, 4, v83
	v_lshlrev_b32_e32 v86, 11, v83
	;; [unrolled: 1-line block ×4, first 2 shown]
	v_lshrrev_b32_e32 v90, 12, v83
	v_lshrrev_b32_e32 v91, 5, v83
	v_lshlrev_b32_e32 v92, 2, v83
	s_waitcnt vmcnt(4)
	v_and_b32_e32 v88, 0xf0f0f0f, v85
	v_and_b32_e32 v84, 16, v84
	;; [unrolled: 1-line block ×5, first 2 shown]
	v_lshrrev_b32_e32 v85, 4, v85
	v_and_b32_e32 v90, 16, v90
	v_and_b32_e32 v91, 0x1000, v91
	v_lshlrev_b32_e32 v83, 9, v83
	v_and_b32_e32 v92, 0x100000, v92
	v_or3_b32 v84, v84, v88, v86
	v_or3_b32 v86, v88, v87, v89
	v_and_b32_e32 v85, 0xf0f0f0f, v85
	v_and_b32_e32 v83, 0x10000000, v83
	v_or3_b32 v87, v91, v90, v92
	v_lshlrev_b16 v88, 8, v84
	v_lshrrev_b32_e32 v86, 16, v86
	v_add_nc_i16 v82, v82, 0xf000 clamp
	v_add_nc_i16 v80, v80, 0xf000 clamp
	v_or3_b32 v83, v87, v83, v85
	v_add_nc_u16 v85, v88, 0xf000
	v_lshlrev_b16 v87, 8, v86
	v_and_b32_e32 v84, 0x1f00, v84
	v_and_b32_e32 v86, 0x1f00, v86
	v_lshlrev_b16 v88, 8, v83
	v_lshrrev_b32_e32 v89, 16, v83
	v_add_nc_u16 v87, v87, 0xf000
	v_lshrrev_b16 v85, 8, v85
	v_and_b32_e32 v83, 0x1f00, v83
	v_add_nc_i16 v88, v88, 0xf000 clamp
	v_and_b32_e32 v90, 0xffffff00, v89
	v_lshlrev_b16 v89, 8, v89
	v_lshrrev_b16 v87, 8, v87
	v_and_b32_e32 v82, 0xffffff00, v82
	v_lshrrev_b16 v88, 8, v88
	v_add_nc_i16 v90, v90, 0xf000 clamp
	v_add_nc_i16 v89, v89, 0xf000 clamp
	v_lshrrev_b16 v80, 8, v80
	v_or_b32_e32 v84, v84, v85
	v_or_b32_e32 v85, v86, v87
	;; [unrolled: 1-line block ×3, first 2 shown]
	v_and_b32_e32 v86, 0xffffff00, v90
	v_lshrrev_b16 v87, 8, v89
	v_add_nc_u16 v74, v74, 0xf000
	v_or_b32_e32 v80, v80, v82
	v_add_nc_u16 v82, v84, 0xf000
	v_add_nc_u16 v84, v85, 0xf000
	;; [unrolled: 1-line block ×3, first 2 shown]
	v_or_b32_e32 v85, v87, v86
	v_and_b32_e32 v74, 0xffff, v74
	v_lshlrev_b32_e32 v80, 16, v80
	v_and_b32_e32 v82, 0xffff, v82
	v_lshlrev_b32_e32 v84, 16, v84
	;; [unrolled: 2-line block ×3, first 2 shown]
	v_or_b32_e32 v76, v77, v76
	v_or_b32_e32 v74, v74, v78
	;; [unrolled: 1-line block ×4, first 2 shown]
	s_waitcnt vmcnt(3)
	v_cvt_f32_f16_e32 v3, v3
	v_or_b32_e32 v79, v83, v85
	ds_store_2addr_b32 v32, v4, v71 offset1:1
	ds_store_2addr_b32 v33, v72, v76 offset1:1
	;; [unrolled: 1-line block ×4, first 2 shown]
	s_waitcnt vmcnt(2)
	v_cvt_f32_f16_e32 v4, v73
	ds_store_b32 v67, v3
	s_waitcnt vmcnt(1)
	v_cvt_f32_f16_e32 v3, v75
	s_waitcnt vmcnt(0)
	v_cvt_f32_f16_e32 v71, v81
	s_lshl_b32 s14, s17, 5
	ds_store_b32 v68, v4
	s_cmp_lt_i32 s14, s11
	ds_store_b32 v69, v3
	ds_store_b32 v70, v71
	s_cbranch_scc0 .LBB181_4
; %bb.6:                                ;   in Loop: Header=BB181_5 Depth=1
	v_add_nc_u32_e32 v3, s17, v12
	s_delay_alu instid0(VALU_DEP_1) | instskip(NEXT) | instid1(VALU_DEP_1)
	v_cmp_gt_i32_e64 s1, s10, v3
	s_and_b32 s15, s0, s1
	s_delay_alu instid0(SALU_CYCLE_1)
	s_and_saveexec_b32 s1, s15
	s_cbranch_execz .LBB181_8
; %bb.7:                                ;   in Loop: Header=BB181_5 Depth=1
	v_add_nc_u32_e32 v71, v54, v3
	s_delay_alu instid0(VALU_DEP_1)
	v_mad_i64_i32 v[3:4], null, v71, 36, v[0:1]
	global_load_b32 v3, v[3:4], off offset:4
	s_waitcnt vmcnt(0)
	ds_store_b32 v50, v3
.LBB181_8:                              ;   in Loop: Header=BB181_5 Depth=1
	s_or_b32 exec_lo, exec_lo, s1
	s_and_saveexec_b32 s15, vcc_lo
	s_cbranch_execz .LBB181_11
; %bb.9:                                ;   in Loop: Header=BB181_5 Depth=1
	v_or_b32_e32 v3, s17, v6
	s_delay_alu instid0(VALU_DEP_1) | instskip(NEXT) | instid1(VALU_DEP_1)
	v_cmp_gt_i32_e64 s1, s10, v3
	s_and_b32 s1, s0, s1
	s_delay_alu instid0(SALU_CYCLE_1)
	s_and_b32 exec_lo, exec_lo, s1
	s_cbranch_execz .LBB181_11
; %bb.10:                               ;   in Loop: Header=BB181_5 Depth=1
	v_add_nc_u32_e32 v71, v54, v3
	s_delay_alu instid0(VALU_DEP_1)
	v_mad_i64_i32 v[3:4], null, v71, 36, s[2:3]
	global_load_b32 v3, v[3:4], off
	s_waitcnt vmcnt(0)
	v_cvt_f32_f16_e32 v3, v3
	ds_store_b32 v51, v3
.LBB181_11:                             ;   in Loop: Header=BB181_5 Depth=1
	s_or_b32 exec_lo, exec_lo, s15
	v_dual_mov_b32 v3, v61 :: v_dual_mov_b32 v4, v60
	v_dual_mov_b32 v71, v52 :: v_dual_mov_b32 v72, v59
	v_dual_mov_b32 v73, v58 :: v_dual_mov_b32 v74, v57
	v_mov_b32_e32 v75, v56
	s_mov_b32 s1, -4
	s_waitcnt lgkmcnt(0)
	s_barrier
	buffer_gl0_inv
.LBB181_12:                             ;   Parent Loop BB181_5 Depth=1
                                        ; =>  This Inner Loop Header: Depth=2
	ds_load_b128 v[76:79], v4
	ds_load_b32 v116, v3
	ds_load_b128 v[80:83], v4 offset:16
	ds_load_2addr_b32 v[84:85], v71 offset1:1
	ds_load_2addr_b32 v[86:87], v71 offset0:2 offset1:3
	ds_load_2addr_b32 v[88:89], v71 offset0:4 offset1:5
	ds_load_b32 v117, v72
	ds_load_2addr_b32 v[90:91], v71 offset0:6 offset1:7
	v_add_nc_u32_e32 v92, 0x2080, v71
	v_add_nc_u32_e32 v94, 0x4100, v71
	;; [unrolled: 1-line block ×3, first 2 shown]
	ds_load_b32 v118, v73
	ds_load_b32 v119, v74
	ds_load_2addr_b32 v[92:93], v92 offset1:1
	ds_load_2addr_b32 v[94:95], v94 offset1:1
	;; [unrolled: 1-line block ×3, first 2 shown]
	ds_load_b32 v120, v75
	v_add_nc_u32_e32 v98, 0x2088, v71
	v_add_nc_u32_e32 v100, 0x4108, v71
	;; [unrolled: 1-line block ×9, first 2 shown]
	ds_load_2addr_b32 v[98:99], v98 offset1:1
	ds_load_2addr_b32 v[100:101], v100 offset1:1
	;; [unrolled: 1-line block ×9, first 2 shown]
	v_add_nc_u32_e32 v75, 4, v75
	s_waitcnt lgkmcnt(19)
	v_dot4_i32_iu8 v84, v84, v76, 0 neg_lo:[1,1,0]
	v_add_nc_u32_e32 v74, 4, v74
	v_add_nc_u32_e32 v73, 4, v73
	;; [unrolled: 1-line block ×4, first 2 shown]
	s_waitcnt lgkmcnt(12)
	v_dot4_i32_iu8 v92, v92, v76, 0 neg_lo:[1,1,0]
	s_waitcnt lgkmcnt(11)
	v_dot4_i32_iu8 v94, v94, v76, 0 neg_lo:[1,1,0]
	;; [unrolled: 2-line block ×3, first 2 shown]
	v_dot4_i32_iu8 v84, v85, v80, v84 neg_lo:[1,1,0]
	s_add_i32 s1, s1, 4
	v_dot4_i32_iu8 v85, v93, v80, v92 neg_lo:[1,1,0]
	v_dot4_i32_iu8 v92, v95, v80, v94 neg_lo:[1,1,0]
	;; [unrolled: 1-line block ×4, first 2 shown]
	s_cmp_lt_u32 s1, 12
	s_waitcnt lgkmcnt(8)
	v_dot4_i32_iu8 v84, v98, v77, v85 neg_lo:[1,1,0]
	s_waitcnt lgkmcnt(7)
	v_dot4_i32_iu8 v85, v100, v77, v92 neg_lo:[1,1,0]
	;; [unrolled: 2-line block ×3, first 2 shown]
	v_dot4_i32_iu8 v77, v87, v81, v80 neg_lo:[1,1,0]
	v_dot4_i32_iu8 v80, v99, v81, v84 neg_lo:[1,1,0]
	v_dot4_i32_iu8 v84, v101, v81, v85 neg_lo:[1,1,0]
	s_delay_alu instid0(VALU_DEP_4) | instskip(NEXT) | instid1(VALU_DEP_4)
	v_dot4_i32_iu8 v76, v103, v81, v76 neg_lo:[1,1,0]
	v_dot4_i32_iu8 v77, v88, v78, v77 neg_lo:[1,1,0]
	s_waitcnt lgkmcnt(5)
	v_dot4_i32_iu8 v80, v104, v78, v80 neg_lo:[1,1,0]
	s_waitcnt lgkmcnt(3)
	;; [unrolled: 2-line block ×3, first 2 shown]
	v_dot4_i32_iu8 v76, v112, v78, v76 neg_lo:[1,1,0]
	v_dot4_i32_iu8 v77, v89, v82, v77 neg_lo:[1,1,0]
	v_mul_f32_e32 v78, v116, v117
	v_dot4_i32_iu8 v80, v105, v82, v80 neg_lo:[1,1,0]
	v_dot4_i32_iu8 v81, v109, v82, v81 neg_lo:[1,1,0]
	;; [unrolled: 1-line block ×3, first 2 shown]
	v_mul_f32_e32 v82, v116, v118
	v_dot4_i32_iu8 v77, v90, v79, v77 neg_lo:[1,1,0]
	v_dot4_i32_iu8 v80, v106, v79, v80 neg_lo:[1,1,0]
	v_dot4_i32_iu8 v81, v110, v79, v81 neg_lo:[1,1,0]
	s_waitcnt lgkmcnt(0)
	v_dot4_i32_iu8 v76, v114, v79, v76 neg_lo:[1,1,0]
	v_mul_f32_e32 v79, v116, v119
	v_dot4_i32_iu8 v77, v91, v83, v77 neg_lo:[1,1,0]
	v_dot4_i32_iu8 v80, v107, v83, v80 neg_lo:[1,1,0]
	;; [unrolled: 1-line block ×4, first 2 shown]
	v_mul_f32_e32 v83, v116, v120
	v_cvt_f32_i32_e32 v77, v77
	v_cvt_f32_i32_e32 v80, v80
	;; [unrolled: 1-line block ×4, first 2 shown]
	v_add_nc_u32_e32 v71, 32, v71
	v_add_nc_u32_e32 v3, 4, v3
	v_fmac_f32_e32 v7, v78, v77
	v_fmac_f32_e32 v49, v82, v80
	;; [unrolled: 1-line block ×4, first 2 shown]
	s_cbranch_scc1 .LBB181_12
; %bb.13:                               ;   in Loop: Header=BB181_5 Depth=1
	s_bitset1_b32 s14, 7
	s_delay_alu instid0(SALU_CYCLE_1)
	s_cmp_ge_i32 s14, s11
	s_barrier
	buffer_gl0_inv
	s_cbranch_scc1 .LBB181_4
; %bb.14:                               ;   in Loop: Header=BB181_5 Depth=1
	v_add_nc_u32_e32 v3, s17, v53
	s_delay_alu instid0(VALU_DEP_1) | instskip(NEXT) | instid1(VALU_DEP_1)
	v_cmp_gt_i32_e64 s1, s10, v3
	s_and_b32 s14, s0, s1
	s_delay_alu instid0(SALU_CYCLE_1)
	s_and_saveexec_b32 s1, s14
	s_cbranch_execz .LBB181_16
; %bb.15:                               ;   in Loop: Header=BB181_5 Depth=1
	v_add_nc_u32_e32 v71, v54, v3
	s_delay_alu instid0(VALU_DEP_1)
	v_mad_i64_i32 v[3:4], null, v71, 36, v[0:1]
	global_load_b32 v3, v[3:4], off offset:4
	s_waitcnt vmcnt(0)
	ds_store_b32 v50, v3
.LBB181_16:                             ;   in Loop: Header=BB181_5 Depth=1
	s_or_b32 exec_lo, exec_lo, s1
	s_and_saveexec_b32 s14, vcc_lo
	s_cbranch_execz .LBB181_19
; %bb.17:                               ;   in Loop: Header=BB181_5 Depth=1
	v_or_b32_e32 v3, s17, v6
	s_delay_alu instid0(VALU_DEP_1) | instskip(NEXT) | instid1(VALU_DEP_1)
	v_or_b32_e32 v4, 4, v3
	v_cmp_gt_i32_e64 s1, s10, v4
	s_delay_alu instid0(VALU_DEP_1) | instskip(NEXT) | instid1(SALU_CYCLE_1)
	s_and_b32 s1, s0, s1
	s_and_b32 exec_lo, exec_lo, s1
	s_cbranch_execz .LBB181_19
; %bb.18:                               ;   in Loop: Header=BB181_5 Depth=1
	v_ashrrev_i32_e32 v4, 31, v3
	v_add_co_u32 v71, s1, v54, v3
	s_delay_alu instid0(VALU_DEP_1) | instskip(NEXT) | instid1(VALU_DEP_2)
	v_add_co_ci_u32_e64 v72, s1, v55, v4, s1
	v_mad_u64_u32 v[3:4], null, v71, 36, s[12:13]
	s_delay_alu instid0(VALU_DEP_1)
	v_mad_i32_i24 v4, v72, 36, v4
	global_load_b32 v3, v[3:4], off
	s_waitcnt vmcnt(0)
	v_cvt_f32_f16_e32 v3, v3
	ds_store_b32 v51, v3
.LBB181_19:                             ;   in Loop: Header=BB181_5 Depth=1
	s_or_b32 exec_lo, exec_lo, s14
	v_dual_mov_b32 v3, v61 :: v_dual_mov_b32 v4, v60
	v_dual_mov_b32 v71, v66 :: v_dual_mov_b32 v72, v65
	;; [unrolled: 1-line block ×3, first 2 shown]
	v_mov_b32_e32 v75, v62
	s_mov_b32 s1, 12
	s_waitcnt lgkmcnt(0)
	s_barrier
	buffer_gl0_inv
.LBB181_20:                             ;   Parent Loop BB181_5 Depth=1
                                        ; =>  This Inner Loop Header: Depth=2
	ds_load_b128 v[76:79], v4
	ds_load_b32 v116, v3
	ds_load_b128 v[80:83], v4 offset:16
	ds_load_2addr_b32 v[84:85], v71 offset1:1
	ds_load_2addr_b32 v[86:87], v71 offset0:2 offset1:3
	ds_load_2addr_b32 v[88:89], v71 offset0:4 offset1:5
	ds_load_b32 v117, v72
	ds_load_2addr_b32 v[90:91], v71 offset0:6 offset1:7
	v_add_nc_u32_e32 v92, 0x2080, v71
	v_add_nc_u32_e32 v94, 0x4100, v71
	;; [unrolled: 1-line block ×3, first 2 shown]
	ds_load_b32 v118, v73
	ds_load_b32 v119, v74
	ds_load_2addr_b32 v[92:93], v92 offset1:1
	ds_load_2addr_b32 v[94:95], v94 offset1:1
	;; [unrolled: 1-line block ×3, first 2 shown]
	ds_load_b32 v120, v75
	v_add_nc_u32_e32 v98, 0x2088, v71
	v_add_nc_u32_e32 v100, 0x4108, v71
	v_add_nc_u32_e32 v102, 0x6188, v71
	v_add_nc_u32_e32 v104, 0x2090, v71
	v_add_nc_u32_e32 v106, 0x2098, v71
	v_add_nc_u32_e32 v108, 0x4110, v71
	v_add_nc_u32_e32 v110, 0x4118, v71
	v_add_nc_u32_e32 v112, 0x6190, v71
	v_add_nc_u32_e32 v114, 0x6198, v71
	ds_load_2addr_b32 v[98:99], v98 offset1:1
	ds_load_2addr_b32 v[100:101], v100 offset1:1
	ds_load_2addr_b32 v[102:103], v102 offset1:1
	ds_load_2addr_b32 v[104:105], v104 offset1:1
	ds_load_2addr_b32 v[106:107], v106 offset1:1
	ds_load_2addr_b32 v[108:109], v108 offset1:1
	ds_load_2addr_b32 v[110:111], v110 offset1:1
	ds_load_2addr_b32 v[112:113], v112 offset1:1
	ds_load_2addr_b32 v[114:115], v114 offset1:1
	v_add_nc_u32_e32 v75, 4, v75
	s_waitcnt lgkmcnt(19)
	v_dot4_i32_iu8 v84, v84, v76, 0 neg_lo:[1,1,0]
	v_add_nc_u32_e32 v74, 4, v74
	v_add_nc_u32_e32 v73, 4, v73
	;; [unrolled: 1-line block ×4, first 2 shown]
	s_waitcnt lgkmcnt(12)
	v_dot4_i32_iu8 v92, v92, v76, 0 neg_lo:[1,1,0]
	s_waitcnt lgkmcnt(11)
	v_dot4_i32_iu8 v94, v94, v76, 0 neg_lo:[1,1,0]
	;; [unrolled: 2-line block ×3, first 2 shown]
	v_dot4_i32_iu8 v84, v85, v80, v84 neg_lo:[1,1,0]
	s_add_i32 s1, s1, 4
	v_dot4_i32_iu8 v85, v93, v80, v92 neg_lo:[1,1,0]
	v_dot4_i32_iu8 v92, v95, v80, v94 neg_lo:[1,1,0]
	;; [unrolled: 1-line block ×4, first 2 shown]
	s_cmp_lt_u32 s1, 28
	s_waitcnt lgkmcnt(8)
	v_dot4_i32_iu8 v84, v98, v77, v85 neg_lo:[1,1,0]
	s_waitcnt lgkmcnt(7)
	v_dot4_i32_iu8 v85, v100, v77, v92 neg_lo:[1,1,0]
	;; [unrolled: 2-line block ×3, first 2 shown]
	v_dot4_i32_iu8 v77, v87, v81, v80 neg_lo:[1,1,0]
	v_dot4_i32_iu8 v80, v99, v81, v84 neg_lo:[1,1,0]
	;; [unrolled: 1-line block ×3, first 2 shown]
	s_delay_alu instid0(VALU_DEP_4) | instskip(NEXT) | instid1(VALU_DEP_4)
	v_dot4_i32_iu8 v76, v103, v81, v76 neg_lo:[1,1,0]
	v_dot4_i32_iu8 v77, v88, v78, v77 neg_lo:[1,1,0]
	s_waitcnt lgkmcnt(5)
	v_dot4_i32_iu8 v80, v104, v78, v80 neg_lo:[1,1,0]
	s_waitcnt lgkmcnt(3)
	;; [unrolled: 2-line block ×3, first 2 shown]
	v_dot4_i32_iu8 v76, v112, v78, v76 neg_lo:[1,1,0]
	v_dot4_i32_iu8 v77, v89, v82, v77 neg_lo:[1,1,0]
	v_mul_f32_e32 v78, v116, v117
	v_dot4_i32_iu8 v80, v105, v82, v80 neg_lo:[1,1,0]
	v_dot4_i32_iu8 v81, v109, v82, v81 neg_lo:[1,1,0]
	v_dot4_i32_iu8 v76, v113, v82, v76 neg_lo:[1,1,0]
	v_mul_f32_e32 v82, v116, v118
	v_dot4_i32_iu8 v77, v90, v79, v77 neg_lo:[1,1,0]
	v_dot4_i32_iu8 v80, v106, v79, v80 neg_lo:[1,1,0]
	;; [unrolled: 1-line block ×3, first 2 shown]
	s_waitcnt lgkmcnt(0)
	v_dot4_i32_iu8 v76, v114, v79, v76 neg_lo:[1,1,0]
	v_mul_f32_e32 v79, v116, v119
	v_dot4_i32_iu8 v77, v91, v83, v77 neg_lo:[1,1,0]
	v_dot4_i32_iu8 v80, v107, v83, v80 neg_lo:[1,1,0]
	;; [unrolled: 1-line block ×4, first 2 shown]
	v_mul_f32_e32 v83, v116, v120
	v_cvt_f32_i32_e32 v77, v77
	v_cvt_f32_i32_e32 v80, v80
	;; [unrolled: 1-line block ×4, first 2 shown]
	v_add_nc_u32_e32 v71, 32, v71
	v_add_nc_u32_e32 v3, 4, v3
	v_fmac_f32_e32 v7, v78, v77
	v_fmac_f32_e32 v49, v82, v80
	;; [unrolled: 1-line block ×4, first 2 shown]
	s_cbranch_scc1 .LBB181_20
; %bb.21:                               ;   in Loop: Header=BB181_5 Depth=1
	s_barrier
	buffer_gl0_inv
	s_branch .LBB181_4
.LBB181_22:
	s_mul_i32 s0, s7, s4
	s_waitcnt vmcnt(0)
	v_cmp_gt_i32_e32 vcc_lo, s0, v5
	s_and_saveexec_b32 s0, vcc_lo
	s_cbranch_execz .LBB181_31
; %bb.23:
	v_mul_lo_u32 v0, v5, s6
	v_add_nc_u32_e32 v1, s16, v6
	s_mov_b32 s0, exec_lo
	s_delay_alu instid0(VALU_DEP_1)
	v_cmpx_gt_u32_e64 s6, v1
	s_cbranch_execz .LBB181_25
; %bb.24:
	s_delay_alu instid0(VALU_DEP_3) | instskip(NEXT) | instid1(VALU_DEP_1)
	v_dual_mov_b32 v4, 0 :: v_dual_add_nc_u32 v3, v0, v1
	v_lshlrev_b64 v[3:4], 2, v[3:4]
	s_delay_alu instid0(VALU_DEP_1) | instskip(NEXT) | instid1(VALU_DEP_2)
	v_add_co_u32 v3, vcc_lo, s8, v3
	v_add_co_ci_u32_e32 v4, vcc_lo, s9, v4, vcc_lo
	global_store_b32 v[3:4], v7, off
.LBB181_25:
	s_or_b32 exec_lo, exec_lo, s0
	v_add_nc_u32_e32 v3, 32, v1
	s_mov_b32 s0, exec_lo
	s_delay_alu instid0(VALU_DEP_1)
	v_cmpx_gt_u32_e64 s6, v3
	s_cbranch_execz .LBB181_27
; %bb.26:
	v_dual_mov_b32 v4, 0 :: v_dual_add_nc_u32 v3, v0, v3
	s_delay_alu instid0(VALU_DEP_1) | instskip(NEXT) | instid1(VALU_DEP_1)
	v_lshlrev_b64 v[3:4], 2, v[3:4]
	v_add_co_u32 v3, vcc_lo, s8, v3
	s_delay_alu instid0(VALU_DEP_2)
	v_add_co_ci_u32_e32 v4, vcc_lo, s9, v4, vcc_lo
	global_store_b32 v[3:4], v49, off
.LBB181_27:
	s_or_b32 exec_lo, exec_lo, s0
	v_add_nc_u32_e32 v3, 64, v1
	s_mov_b32 s0, exec_lo
	s_delay_alu instid0(VALU_DEP_1)
	v_cmpx_gt_u32_e64 s6, v3
	s_cbranch_execz .LBB181_29
; %bb.28:
	v_dual_mov_b32 v4, 0 :: v_dual_add_nc_u32 v3, v0, v3
	s_delay_alu instid0(VALU_DEP_1) | instskip(NEXT) | instid1(VALU_DEP_1)
	v_lshlrev_b64 v[3:4], 2, v[3:4]
	v_add_co_u32 v3, vcc_lo, s8, v3
	s_delay_alu instid0(VALU_DEP_2)
	v_add_co_ci_u32_e32 v4, vcc_lo, s9, v4, vcc_lo
	global_store_b32 v[3:4], v42, off
.LBB181_29:
	s_or_b32 exec_lo, exec_lo, s0
	v_add_nc_u32_e32 v1, 0x60, v1
	s_delay_alu instid0(VALU_DEP_1)
	v_cmp_gt_u32_e32 vcc_lo, s6, v1
	s_and_b32 exec_lo, exec_lo, vcc_lo
	s_cbranch_execz .LBB181_31
; %bb.30:
	v_dual_mov_b32 v1, 0 :: v_dual_add_nc_u32 v0, v0, v1
	s_delay_alu instid0(VALU_DEP_1) | instskip(NEXT) | instid1(VALU_DEP_1)
	v_lshlrev_b64 v[0:1], 2, v[0:1]
	v_add_co_u32 v0, vcc_lo, s8, v0
	s_delay_alu instid0(VALU_DEP_2)
	v_add_co_ci_u32_e32 v1, vcc_lo, s9, v1, vcc_lo
	global_store_b32 v[0:1], v2, off
.LBB181_31:
	s_nop 0
	s_sendmsg sendmsg(MSG_DEALLOC_VGPRS)
	s_endpgm
	.section	.rodata,"a",@progbits
	.p2align	6, 0x0
	.amdhsa_kernel _ZL8moe_q5_0IfLb0EEvPKvS1_PT_PKiS5_S5_iiiiiii
		.amdhsa_group_segment_fixed_size 38656
		.amdhsa_private_segment_fixed_size 0
		.amdhsa_kernarg_size 76
		.amdhsa_user_sgpr_count 14
		.amdhsa_user_sgpr_dispatch_ptr 0
		.amdhsa_user_sgpr_queue_ptr 0
		.amdhsa_user_sgpr_kernarg_segment_ptr 1
		.amdhsa_user_sgpr_dispatch_id 0
		.amdhsa_user_sgpr_private_segment_size 0
		.amdhsa_wavefront_size32 1
		.amdhsa_uses_dynamic_stack 0
		.amdhsa_enable_private_segment 0
		.amdhsa_system_sgpr_workgroup_id_x 1
		.amdhsa_system_sgpr_workgroup_id_y 1
		.amdhsa_system_sgpr_workgroup_id_z 0
		.amdhsa_system_sgpr_workgroup_info 0
		.amdhsa_system_vgpr_workitem_id 1
		.amdhsa_next_free_vgpr 141
		.amdhsa_next_free_sgpr 20
		.amdhsa_reserve_vcc 1
		.amdhsa_float_round_mode_32 0
		.amdhsa_float_round_mode_16_64 0
		.amdhsa_float_denorm_mode_32 3
		.amdhsa_float_denorm_mode_16_64 3
		.amdhsa_dx10_clamp 1
		.amdhsa_ieee_mode 1
		.amdhsa_fp16_overflow 0
		.amdhsa_workgroup_processor_mode 1
		.amdhsa_memory_ordered 1
		.amdhsa_forward_progress 0
		.amdhsa_shared_vgpr_count 0
		.amdhsa_exception_fp_ieee_invalid_op 0
		.amdhsa_exception_fp_denorm_src 0
		.amdhsa_exception_fp_ieee_div_zero 0
		.amdhsa_exception_fp_ieee_overflow 0
		.amdhsa_exception_fp_ieee_underflow 0
		.amdhsa_exception_fp_ieee_inexact 0
		.amdhsa_exception_int_div_zero 0
	.end_amdhsa_kernel
	.section	.text._ZL8moe_q5_0IfLb0EEvPKvS1_PT_PKiS5_S5_iiiiiii,"axG",@progbits,_ZL8moe_q5_0IfLb0EEvPKvS1_PT_PKiS5_S5_iiiiiii,comdat
.Lfunc_end181:
	.size	_ZL8moe_q5_0IfLb0EEvPKvS1_PT_PKiS5_S5_iiiiiii, .Lfunc_end181-_ZL8moe_q5_0IfLb0EEvPKvS1_PT_PKiS5_S5_iiiiiii
                                        ; -- End function
	.section	.AMDGPU.csdata,"",@progbits
; Kernel info:
; codeLenInByte = 10864
; NumSgprs: 22
; NumVgprs: 141
; ScratchSize: 0
; MemoryBound: 0
; FloatMode: 240
; IeeeMode: 1
; LDSByteSize: 38656 bytes/workgroup (compile time only)
; SGPRBlocks: 2
; VGPRBlocks: 17
; NumSGPRsForWavesPerEU: 22
; NumVGPRsForWavesPerEU: 141
; Occupancy: 6
; WaveLimiterHint : 1
; COMPUTE_PGM_RSRC2:SCRATCH_EN: 0
; COMPUTE_PGM_RSRC2:USER_SGPR: 14
; COMPUTE_PGM_RSRC2:TRAP_HANDLER: 0
; COMPUTE_PGM_RSRC2:TGID_X_EN: 1
; COMPUTE_PGM_RSRC2:TGID_Y_EN: 1
; COMPUTE_PGM_RSRC2:TGID_Z_EN: 0
; COMPUTE_PGM_RSRC2:TIDIG_COMP_CNT: 1
	.section	.text._ZL8moe_q5_0IfLb1EEvPKvS1_PT_PKiS5_S5_iiiiiii,"axG",@progbits,_ZL8moe_q5_0IfLb1EEvPKvS1_PT_PKiS5_S5_iiiiiii,comdat
	.globl	_ZL8moe_q5_0IfLb1EEvPKvS1_PT_PKiS5_S5_iiiiiii ; -- Begin function _ZL8moe_q5_0IfLb1EEvPKvS1_PT_PKiS5_S5_iiiiiii
	.p2align	8
	.type	_ZL8moe_q5_0IfLb1EEvPKvS1_PT_PKiS5_S5_iiiiiii,@function
_ZL8moe_q5_0IfLb1EEvPKvS1_PT_PKiS5_S5_iiiiiii: ; @_ZL8moe_q5_0IfLb1EEvPKvS1_PT_PKiS5_S5_iiiiiii
; %bb.0:
	s_load_b128 s[4:7], s[0:1], 0x18
	s_mov_b32 s2, s15
	s_mov_b32 s3, 0
	s_delay_alu instid0(SALU_CYCLE_1)
	s_lshl_b64 s[8:9], s[2:3], 2
	s_waitcnt lgkmcnt(0)
	s_add_u32 s6, s6, s8
	s_addc_u32 s7, s7, s9
	s_load_b32 s15, s[6:7], 0x0
	s_waitcnt lgkmcnt(0)
	s_cmpk_gt_u32 s15, 0xff
	s_cbranch_scc1 .LBB182_31
; %bb.1:
	s_load_b64 s[6:7], s[0:1], 0x28
	s_lshl_b32 s2, s2, 3
	s_waitcnt lgkmcnt(0)
	s_load_b32 s3, s[6:7], 0x0
	s_waitcnt lgkmcnt(0)
	s_cmp_gt_u32 s2, s3
	s_cbranch_scc1 .LBB182_31
; %bb.2:
	v_bfe_u32 v19, v0, 10, 10
	v_mov_b32_e32 v14, 0
	s_mov_b32 s18, 0
	s_delay_alu instid0(VALU_DEP_2) | instskip(NEXT) | instid1(VALU_DEP_2)
	v_add_nc_u32_e32 v13, s2, v19
	v_dual_mov_b32 v49, v14 :: v_dual_and_b32 v22, 0x3ff, v0
	v_mov_b32_e32 v46, v14
	v_mov_b32_e32 v23, v14
	s_delay_alu instid0(VALU_DEP_4) | instskip(NEXT) | instid1(VALU_DEP_1)
	v_lshlrev_b64 v[1:2], 2, v[13:14]
	v_add_co_u32 v1, vcc_lo, s4, v1
	s_delay_alu instid0(VALU_DEP_2)
	v_add_co_ci_u32_e32 v2, vcc_lo, s5, v2, vcc_lo
	global_load_b32 v21, v[1:2], off
	s_clause 0x1
	s_load_b256 s[4:11], s[0:1], 0x30
	s_load_b64 s[12:13], s[0:1], 0x10
	s_waitcnt lgkmcnt(0)
	s_lshl_b32 s11, s14, 7
	s_cmp_lt_i32 s5, 32
	s_cbranch_scc1 .LBB182_22
; %bb.3:
	s_load_b128 s[0:3], s[0:1], 0x0
	s_ashr_i32 s14, s5, 31
	s_mul_i32 s15, s15, s4
	s_lshr_b32 s4, s14, 27
	s_ashr_i32 s16, s8, 31
	s_add_i32 s4, s5, s4
	s_lshr_b32 s14, s16, 27
	s_ashr_i32 s4, s4, 5
	s_add_i32 s8, s8, s14
	s_mul_i32 s14, s4, s11
	s_ashr_i32 s16, s15, 31
	s_ashr_i32 s8, s8, 5
	s_mul_hi_i32 s17, s14, 22
	s_mul_i32 s14, s14, 22
	v_add_nc_u32_e32 v0, 8, v19
	v_lshlrev_b32_e32 v18, 3, v22
	v_add_nc_u32_e32 v4, 24, v19
	v_add_nc_u32_e32 v8, 48, v19
	v_add_nc_u32_e32 v11, 0x48, v19
	v_add_nc_u32_e32 v14, 0x60, v19
	s_waitcnt lgkmcnt(0)
	s_add_u32 s0, s0, s15
	s_addc_u32 s1, s1, s16
	s_add_u32 s19, s0, s14
	s_addc_u32 s20, s1, s17
	s_abs_i32 s1, s10
	s_not_b32 s0, s11
	v_cvt_f32_u32_e32 v16, s1
	s_add_i32 s0, s0, s6
	v_add_nc_u32_e32 v17, 0x70, v19
	v_min_i32_e32 v2, s0, v19
	v_min_i32_e32 v5, s0, v0
	v_rcp_iflag_f32_e32 v16, v16
	v_add_nc_u32_e32 v3, 16, v19
	v_min_i32_e32 v8, s0, v8
	v_mad_u64_u32 v[0:1], null, 0x104, v2, v[18:19]
	v_mul_lo_u32 v26, v2, s4
	v_mul_lo_u32 v27, v5, s4
	v_mad_u64_u32 v[1:2], null, 0x104, v5, v[18:19]
	v_min_i32_e32 v5, s0, v4
	s_delay_alu instid0(TRANS32_DEP_1)
	v_mul_f32_e32 v44, 0x4f7ffffe, v16
	v_min_i32_e32 v6, s0, v3
	v_add_nc_u32_e32 v4, 32, v19
	v_mul_lo_u32 v32, v8, s4
	v_mul_lo_u32 v29, v5, s4
	v_min_i32_e32 v11, s0, v11
	v_mul_lo_u32 v28, v6, s4
	v_mad_u64_u32 v[2:3], null, 0x104, v6, v[18:19]
	v_add_nc_u32_e32 v6, 40, v19
	v_min_i32_e32 v7, s0, v4
	v_mad_u64_u32 v[3:4], null, 0x104, v5, v[18:19]
	v_mul_lo_u32 v35, v11, s4
	s_delay_alu instid0(VALU_DEP_4) | instskip(NEXT) | instid1(VALU_DEP_4)
	v_min_i32_e32 v9, s0, v6
	v_mul_lo_u32 v30, v7, s4
	v_mad_u64_u32 v[4:5], null, 0x104, v7, v[18:19]
	v_add_nc_u32_e32 v7, 56, v19
	s_delay_alu instid0(VALU_DEP_4) | instskip(SKIP_2) | instid1(VALU_DEP_4)
	v_mul_lo_u32 v31, v9, s4
	v_mad_u64_u32 v[5:6], null, 0x104, v9, v[18:19]
	v_add_nc_u32_e32 v9, 64, v19
	v_min_i32_e32 v10, s0, v7
	v_mad_u64_u32 v[6:7], null, 0x104, v8, v[18:19]
	v_add_nc_u32_e32 v42, 0x78, v19
	s_delay_alu instid0(VALU_DEP_4) | instskip(NEXT) | instid1(VALU_DEP_4)
	v_min_i32_e32 v12, s0, v9
	v_mul_lo_u32 v33, v10, s4
	v_mad_u64_u32 v[7:8], null, 0x104, v10, v[18:19]
	v_add_nc_u32_e32 v10, 0x50, v19
	s_delay_alu instid0(VALU_DEP_4) | instskip(SKIP_2) | instid1(VALU_DEP_4)
	v_mul_lo_u32 v34, v12, s4
	v_mad_u64_u32 v[8:9], null, 0x104, v12, v[18:19]
	v_add_nc_u32_e32 v12, 0x58, v19
	v_min_i32_e32 v13, s0, v10
	v_mad_u64_u32 v[9:10], null, 0x104, v11, v[18:19]
	v_lshlrev_b32_e32 v46, 2, v19
	s_delay_alu instid0(VALU_DEP_4) | instskip(NEXT) | instid1(VALU_DEP_4)
	v_min_i32_e32 v15, s0, v12
	v_mad_u64_u32 v[10:11], null, 0x104, v13, v[18:19]
	v_lshrrev_b32_e32 v39, 3, v22
	v_min_i32_e32 v14, s0, v14
	s_delay_alu instid0(VALU_DEP_4)
	v_mad_u64_u32 v[11:12], null, 0x104, v15, v[18:19]
	v_add_nc_u32_e32 v12, 0x68, v19
	v_mul_lo_u32 v37, v15, s4
	v_min_i32_e32 v17, s0, v17
	v_min_i32_e32 v43, s0, v42
	v_cvt_u32_f32_e32 v48, v44
	v_min_i32_e32 v15, s0, v12
	v_add_nc_u32_e32 v45, v39, v46
	v_mul_lo_u32 v36, v13, s4
	v_mad_u64_u32 v[12:13], null, 0x104, v14, v[18:19]
	s_sub_i32 s6, 0, s1
	v_mul_lo_u32 v38, v14, s4
	v_mul_lo_u32 v40, v15, s4
	v_mad_u64_u32 v[13:14], null, 0x104, v15, v[18:19]
	v_mad_u64_u32 v[15:16], null, 0x104, v17, v[18:19]
	v_mul_lo_u32 v41, v17, s4
	v_mad_u64_u32 v[16:17], null, 0x104, v43, v[18:19]
	v_mul_lo_u32 v18, s6, v48
	v_add_nc_u32_e32 v17, 32, v45
	v_min_i32_e32 v47, s0, v45
	v_add_nc_u32_e32 v49, 64, v45
	v_add_nc_u32_e32 v45, 0x60, v45
	s_waitcnt vmcnt(0)
	v_sub_nc_u32_e32 v51, 0, v21
	v_min_i32_e32 v17, s0, v17
	v_ashrrev_i32_e32 v14, 31, v47
	v_mul_hi_u32 v18, v48, v18
	v_min_i32_e32 v54, s0, v45
	v_min_i32_e32 v49, s0, v49
	v_ashrrev_i32_e32 v50, 31, v17
	v_lshrrev_b32_e32 v14, 30, v14
	v_mul_lo_u32 v42, v43, s4
	v_and_b32_e32 v43, 7, v22
	v_ashrrev_i32_e32 v53, 31, v49
	v_lshrrev_b32_e32 v45, 30, v50
	v_max_i32_e32 v50, v21, v51
	v_add_nc_u32_e32 v18, v48, v18
	v_ashrrev_i32_e32 v51, 31, v54
	v_lshrrev_b32_e32 v48, 30, v53
	v_add_nc_u32_e32 v14, v47, v14
	v_add_nc_u32_e32 v45, v17, v45
	v_mul_hi_u32 v18, v50, v18
	v_lshrrev_b32_e32 v51, 30, v51
	v_add_nc_u32_e32 v48, v49, v48
	v_mul_lo_u32 v44, v47, s4
	v_and_b32_e32 v14, -4, v14
	v_lshlrev_b32_e32 v52, 2, v43
	v_add_nc_u32_e32 v51, v54, v51
	v_lshlrev_b32_e32 v67, 5, v47
	v_mul_lo_u32 v53, v18, s1
	v_and_b32_e32 v47, -4, v45
	v_mul_lo_u32 v45, v17, s4
	v_and_b32_e32 v48, -4, v48
	v_lshlrev_b32_e32 v69, 5, v17
	v_and_b32_e32 v17, -4, v51
	v_add3_u32 v14, v14, v52, 0x8200
	v_add3_u32 v68, v47, v52, 0x8200
	v_sub_nc_u32_e32 v50, v50, v53
	v_add3_u32 v70, v48, v52, 0x8200
	v_add3_u32 v71, v17, v52, 0x8200
	v_add_nc_u32_e32 v17, 1, v18
	v_dual_mov_b32 v23, 0 :: v_dual_lshlrev_b32 v20, 2, v22
	v_subrev_nc_u32_e32 v52, s1, v50
	v_cmp_le_u32_e32 vcc_lo, s1, v50
	v_and_b32_e32 v51, 31, v22
	v_lshlrev_b32_e32 v60, 7, v19
	v_and_b32_e32 v25, 12, v20
	v_or_b32_e32 v46, v46, v22
	v_cndmask_b32_e32 v17, v18, v17, vcc_lo
	v_cndmask_b32_e32 v50, v50, v52, vcc_lo
	v_and_b32_e32 v18, 28, v20
	v_xor_b32_e32 v20, s10, v21
	v_lshl_or_b32 v51, v51, 2, v60
	v_add_nc_u32_e32 v52, 1, v17
	v_cmp_le_u32_e32 vcc_lo, s1, v50
	v_add_nc_u32_e32 v55, 64, v22
	v_ashrrev_i32_e32 v20, 31, v20
	v_add_nc_u32_e32 v50, 0x9280, v51
	v_lshl_add_u32 v51, v46, 2, 0x9680
	v_cndmask_b32_e32 v52, v17, v52, vcc_lo
	v_add_nc_u32_e32 v46, 32, v22
	v_add_nc_u32_e32 v56, 0x60, v22
	v_lshlrev_b32_e32 v57, 5, v22
	v_and_b32_e32 v55, 0x1fc, v55
	v_xor_b32_e32 v52, v52, v20
	v_lshrrev_b32_e32 v53, 3, v46
	v_and_b32_e32 v56, 0x1fc, v56
	v_and_b32_e32 v46, 0x1fc, v46
	;; [unrolled: 1-line block ×3, first 2 shown]
	v_sub_nc_u32_e32 v20, v52, v20
	v_mul_lo_u32 v48, v54, s4
	v_lshlrev_b32_e32 v72, 5, v54
	v_add_co_u32 v17, s0, s2, v18
	s_delay_alu instid0(VALU_DEP_4)
	v_mul_lo_u32 v54, v20, s8
	v_mul_lo_u32 v47, v49, s4
	v_lshlrev_b32_e32 v49, 5, v49
	v_add_co_ci_u32_e64 v18, null, s3, 0, s0
	v_cmp_gt_i32_e64 s0, s7, v20
	v_add_nc_u32_e32 v20, v57, v56
	v_add_nc_u32_e32 v63, v57, v55
	;; [unrolled: 1-line block ×4, first 2 shown]
	s_movk_i32 s1, 0x80
	v_lshrrev_b32_e32 v24, 2, v22
	v_cmp_gt_u32_e32 vcc_lo, 4, v22
	v_mul_u32_u24_e32 v52, 0x104, v22
	v_ashrrev_i32_e32 v55, 31, v54
	v_add_nc_u32_e32 v56, 0x8e00, v20
	v_add_nc_u32_e32 v57, 0x8a00, v63
	;; [unrolled: 1-line block ×5, first 2 shown]
	v_lshl_add_u32 v61, v19, 4, 0x9680
	v_add_nc_u32_e32 v62, 0x8e10, v20
	v_add_nc_u32_e32 v63, 0x8a10, v63
	;; [unrolled: 1-line block ×3, first 2 shown]
	v_dual_mov_b32 v46, 0 :: v_dual_add_nc_u32 v65, 0x8210, v65
	v_mad_u32_u24 v66, 0x104, v22, s1
	v_add_nc_u32_e32 v67, v14, v67
	v_add_nc_u32_e32 v68, v68, v69
	;; [unrolled: 1-line block ×3, first 2 shown]
	v_dual_mov_b32 v49, 0 :: v_dual_add_nc_u32 v70, v71, v72
	v_mov_b32_e32 v14, 0
	s_add_u32 s14, s2, 0x90
	s_addc_u32 s15, s3, 0
	s_branch .LBB182_5
.LBB182_4:                              ;   in Loop: Header=BB182_5 Depth=1
	s_add_i32 s18, s18, 8
	s_delay_alu instid0(SALU_CYCLE_1)
	s_cmp_ge_i32 s18, s4
	s_cbranch_scc1 .LBB182_22
.LBB182_5:                              ; =>This Loop Header: Depth=1
                                        ;     Child Loop BB182_12 Depth 2
                                        ;     Child Loop BB182_20 Depth 2
	s_mul_i32 s1, s18, 22
	s_mul_hi_u32 s6, s18, 22
	s_add_u32 s16, s19, s1
	s_addc_u32 s17, s20, s6
	s_lshl_b32 s6, s18, 5
	v_mad_u64_u32 v[19:20], null, v24, 22, s[16:17]
	s_cmp_lt_i32 s6, s5
	s_delay_alu instid0(VALU_DEP_1)
	v_mad_i64_i32 v[71:72], null, v26, 22, v[19:20]
	v_mad_i64_i32 v[73:74], null, v27, 22, v[19:20]
	;; [unrolled: 1-line block ×6, first 2 shown]
	v_add_co_u32 v75, s1, v71, v25
	s_delay_alu instid0(VALU_DEP_1)
	v_add_co_ci_u32_e64 v76, s1, 0, v72, s1
	s_clause 0x5
	global_load_b32 v77, v[71:72], off offset:2
	global_load_b32 v78, v[73:74], off offset:2
	;; [unrolled: 1-line block ×7, first 2 shown]
	v_add_co_u32 v71, s1, v73, v25
	s_delay_alu instid0(VALU_DEP_1) | instskip(SKIP_4) | instid1(VALU_DEP_1)
	v_add_co_ci_u32_e64 v72, s1, 0, v74, s1
	v_mad_i64_i32 v[91:92], null, v35, 22, v[19:20]
	v_mad_i64_i32 v[93:94], null, v36, 22, v[19:20]
	global_load_b32 v75, v[71:72], off offset:6
	v_add_co_u32 v71, s1, v83, v25
	v_add_co_ci_u32_e64 v72, s1, 0, v84, s1
	global_load_b32 v74, v[71:72], off offset:6
	v_add_co_u32 v71, s1, v85, v25
	s_delay_alu instid0(VALU_DEP_1) | instskip(SKIP_3) | instid1(VALU_DEP_1)
	v_add_co_ci_u32_e64 v72, s1, 0, v86, s1
	v_mad_i64_i32 v[85:86], null, v32, 22, v[19:20]
	global_load_b32 v73, v[71:72], off offset:6
	v_add_co_u32 v71, s1, v87, v25
	v_add_co_ci_u32_e64 v72, s1, 0, v88, s1
	v_add_co_u32 v83, s1, v89, v25
	s_delay_alu instid0(VALU_DEP_1)
	v_add_co_ci_u32_e64 v84, s1, 0, v90, s1
	global_load_b32 v72, v[71:72], off offset:6
	v_mad_i64_i32 v[87:88], null, v33, 22, v[19:20]
	global_load_b32 v71, v[83:84], off offset:6
	v_mad_i64_i32 v[89:90], null, v34, 22, v[19:20]
	v_mad_u64_u32 v[83:84], null, v43, 22, s[16:17]
	v_add_co_u32 v103, s1, v85, v25
	s_delay_alu instid0(VALU_DEP_1)
	v_add_co_ci_u32_e64 v104, s1, 0, v86, s1
	s_clause 0x2
	global_load_b32 v105, v[85:86], off offset:2
	global_load_b32 v106, v[87:88], off offset:2
	;; [unrolled: 1-line block ×3, first 2 shown]
	v_add_co_u32 v85, s1, v87, v25
	v_mad_i64_i32 v[95:96], null, v44, 22, v[83:84]
	v_mad_i64_i32 v[97:98], null, v45, 22, v[83:84]
	v_add_co_ci_u32_e64 v86, s1, 0, v88, s1
	v_mad_i64_i32 v[99:100], null, v47, 22, v[83:84]
	v_add_co_u32 v87, s1, v89, v25
	v_mad_i64_i32 v[101:102], null, v48, 22, v[83:84]
	v_add_co_ci_u32_e64 v88, s1, 0, v90, s1
	v_add_co_u32 v89, s1, v91, v25
	s_delay_alu instid0(VALU_DEP_1)
	v_add_co_ci_u32_e64 v90, s1, 0, v92, s1
	s_clause 0x4
	global_load_b32 v84, v[91:92], off offset:2
	global_load_u16 v91, v[95:96], off
	global_load_u16 v92, v[97:98], off
	;; [unrolled: 1-line block ×4, first 2 shown]
	s_clause 0x3
	global_load_b32 v97, v[103:104], off offset:6
	global_load_b32 v85, v[85:86], off offset:6
	;; [unrolled: 1-line block ×4, first 2 shown]
	s_waitcnt vmcnt(23)
	v_ashrrev_i32_e32 v77, v25, v77
	s_waitcnt vmcnt(22)
	v_ashrrev_i32_e32 v78, v25, v78
	;; [unrolled: 2-line block ×5, first 2 shown]
	v_lshlrev_b32_e32 v88, 4, v77
	v_lshlrev_b32_e32 v89, 11, v77
	;; [unrolled: 1-line block ×4, first 2 shown]
	v_lshrrev_b32_e32 v99, 12, v77
	v_lshrrev_b32_e32 v100, 5, v77
	v_lshlrev_b32_e32 v101, 2, v77
	s_waitcnt vmcnt(17)
	v_and_b32_e32 v87, 0xf0f0f0f, v76
	v_lshrrev_b32_e32 v76, 4, v76
	v_lshlrev_b32_e32 v77, 9, v77
	v_lshlrev_b32_e32 v103, 4, v78
	v_lshlrev_b32_e32 v104, 11, v78
	v_lshlrev_b32_e32 v108, 18, v78
	v_lshlrev_b32_e32 v109, 25, v78
	v_lshrrev_b32_e32 v110, 12, v78
	v_lshrrev_b32_e32 v111, 5, v78
	v_lshlrev_b32_e32 v112, 2, v78
	v_lshlrev_b32_e32 v114, 4, v79
	v_lshlrev_b32_e32 v115, 11, v79
	v_lshlrev_b32_e32 v116, 18, v79
	v_lshlrev_b32_e32 v117, 25, v79
	v_lshrrev_b32_e32 v118, 12, v79
	;; [unrolled: 7-line block ×3, first 2 shown]
	v_lshrrev_b32_e32 v127, 5, v80
	v_lshlrev_b32_e32 v128, 2, v80
	v_lshrrev_b32_e32 v134, 12, v81
	v_lshrrev_b32_e32 v135, 5, v81
	v_lshlrev_b32_e32 v136, 2, v81
	v_and_b32_e32 v88, 16, v88
	v_and_b32_e32 v89, 0x1000, v89
	;; [unrolled: 1-line block ×7, first 2 shown]
	s_waitcnt vmcnt(16)
	v_and_b32_e32 v102, 0xf0f0f0f, v75
	v_lshrrev_b32_e32 v75, 4, v75
	v_lshlrev_b32_e32 v78, 9, v78
	s_waitcnt vmcnt(15)
	v_and_b32_e32 v113, 0xf0f0f0f, v74
	v_lshrrev_b32_e32 v74, 4, v74
	v_lshlrev_b32_e32 v79, 9, v79
	;; [unrolled: 4-line block ×3, first 2 shown]
	s_waitcnt vmcnt(13)
	v_and_b32_e32 v129, 0xf0f0f0f, v72
	v_lshlrev_b32_e32 v130, 4, v81
	v_lshlrev_b32_e32 v131, 11, v81
	;; [unrolled: 1-line block ×4, first 2 shown]
	v_lshrrev_b32_e32 v72, 4, v72
	v_lshlrev_b32_e32 v81, 9, v81
	v_and_b32_e32 v76, 0xf0f0f0f, v76
	v_and_b32_e32 v77, 0x10000000, v77
	;; [unrolled: 1-line block ×26, first 2 shown]
	v_or3_b32 v88, v88, v87, v89
	v_or3_b32 v87, v87, v90, v98
	;; [unrolled: 1-line block ×3, first 2 shown]
	v_and_b32_e32 v75, 0xf0f0f0f, v75
	v_and_b32_e32 v78, 0x10000000, v78
	;; [unrolled: 1-line block ×10, first 2 shown]
	v_or3_b32 v90, v103, v102, v104
	v_or3_b32 v98, v102, v108, v109
	;; [unrolled: 1-line block ×10, first 2 shown]
	v_lshrrev_b32_e32 v87, 16, v87
	v_and_b32_e32 v114, 0x1f00, v88
	v_lshlrev_b16 v88, 8, v88
	v_or3_b32 v76, v89, v77, v76
	v_or3_b32 v110, v129, v132, v133
	;; [unrolled: 1-line block ×3, first 2 shown]
	v_lshrrev_b32_e32 v78, 16, v101
	v_or3_b32 v74, v102, v79, v74
	v_lshrrev_b32_e32 v79, 16, v104
	v_lshlrev_b16 v101, 8, v103
	v_or3_b32 v73, v108, v80, v73
	v_or3_b32 v72, v111, v81, v72
	v_add_nc_u16 v81, v88, 0xf000
	v_and_b32_e32 v88, 0x1f00, v87
	v_lshlrev_b16 v87, 8, v87
	v_lshrrev_b32_e32 v104, 16, v76
	v_and_b32_e32 v108, 0x1f00, v76
	v_lshlrev_b16 v76, 8, v76
	v_and_b32_e32 v130, 16, v130
	v_and_b32_e32 v131, 0x1000, v131
	v_lshrrev_b32_e32 v80, 16, v110
	v_lshrrev_b32_e32 v110, 16, v75
	v_add_nc_u16 v101, v101, 0xf000
	v_lshrrev_b32_e32 v119, 16, v73
	v_and_b32_e32 v120, 0x1f00, v73
	v_lshlrev_b16 v73, 8, v73
	v_lshrrev_b16 v81, 8, v81
	v_add_nc_u16 v87, v87, 0xf000
	v_add_nc_i16 v76, v76, 0xf000 clamp
	v_and_b32_e32 v124, 0xffffff00, v104
	v_lshlrev_b16 v104, 8, v104
	v_lshrrev_b32_e32 v122, 16, v72
	v_and_b32_e32 v123, 0x1f00, v72
	v_lshlrev_b16 v72, 8, v72
	v_or3_b32 v109, v130, v129, v131
	v_lshrrev_b32_e32 v77, 16, v98
	v_and_b32_e32 v98, 0x1f00, v100
	v_lshlrev_b16 v99, 8, v100
	v_and_b32_e32 v100, 0x1f00, v103
	v_and_b32_e32 v125, 0xffffff00, v110
	v_lshlrev_b16 v110, 8, v110
	v_lshrrev_b16 v101, 8, v101
	v_add_nc_i16 v73, v73, 0xf000 clamp
	v_and_b32_e32 v127, 0xffffff00, v119
	v_lshlrev_b16 v119, 8, v119
	v_or_b32_e32 v81, v114, v81
	v_lshrrev_b16 v87, 8, v87
	v_lshrrev_b16 v76, 8, v76
	v_add_nc_i16 v114, v124, 0xf000 clamp
	v_add_nc_i16 v104, v104, 0xf000 clamp
	;; [unrolled: 1-line block ×3, first 2 shown]
	v_and_b32_e32 v89, 0x1f00, v90
	v_lshlrev_b16 v90, 8, v90
	v_and_b32_e32 v102, 0x1f00, v109
	v_lshlrev_b16 v103, 8, v109
	;; [unrolled: 2-line block ×3, first 2 shown]
	v_add_nc_i16 v110, v110, 0xf000 clamp
	v_or_b32_e32 v100, v100, v101
	v_lshrrev_b16 v73, 8, v73
	v_add_nc_i16 v101, v127, 0xf000 clamp
	v_add_nc_i16 v119, v119, 0xf000 clamp
	v_or_b32_e32 v87, v88, v87
	v_or_b32_e32 v76, v108, v76
	v_and_b32_e32 v88, 0xffffff00, v114
	v_lshrrev_b16 v104, 8, v104
	v_lshrrev_b16 v72, 8, v72
	v_add_nc_u16 v90, v90, 0xf000
	v_and_b32_e32 v115, 0x1f00, v78
	v_lshlrev_b16 v78, 8, v78
	v_and_b32_e32 v118, 0x1f00, v79
	v_lshlrev_b16 v79, 8, v79
	v_add_nc_u16 v77, v77, 0xf000
	v_lshrrev_b16 v108, 8, v110
	v_or_b32_e32 v73, v120, v73
	v_and_b32_e32 v101, 0xffffff00, v101
	v_lshrrev_b16 v110, 8, v119
	v_add_nc_u16 v76, v76, 0xf000
	v_or_b32_e32 v88, v104, v88
	v_add_nc_u16 v99, v99, 0xf000
	v_lshrrev_b32_e32 v116, 16, v74
	v_and_b32_e32 v117, 0x1f00, v74
	v_lshlrev_b16 v74, 8, v74
	v_or_b32_e32 v72, v123, v72
	v_ashrrev_i32_e32 v82, v25, v82
	v_lshrrev_b16 v90, 8, v90
	v_add_nc_u16 v78, v78, 0xf000
	v_add_nc_u16 v79, v79, 0xf000
	v_lshrrev_b16 v77, 8, v77
	v_add_nc_u16 v81, v81, 0xf000
	v_add_nc_u16 v87, v87, 0xf000
	;; [unrolled: 1-line block ×3, first 2 shown]
	v_or_b32_e32 v101, v110, v101
	v_and_b32_e32 v76, 0xffff, v76
	v_lshlrev_b32_e32 v88, 16, v88
	v_lshrrev_b16 v99, 8, v99
	v_add_nc_i16 v74, v74, 0xf000 clamp
	v_and_b32_e32 v126, 0xffffff00, v116
	v_lshlrev_b16 v116, 8, v116
	v_add_nc_u16 v72, v72, 0xf000
	v_lshlrev_b32_e32 v138, 4, v82
	v_lshlrev_b32_e32 v139, 11, v82
	v_or_b32_e32 v89, v89, v90
	v_lshrrev_b16 v78, 8, v78
	v_lshrrev_b16 v79, 8, v79
	v_or_b32_e32 v77, v109, v77
	v_and_b32_e32 v81, 0xffff, v81
	v_lshlrev_b32_e32 v87, 16, v87
	v_and_b32_e32 v73, 0xffff, v73
	v_lshlrev_b32_e32 v101, 16, v101
	v_or_b32_e32 v76, v76, v88
	global_load_b32 v88, v[93:94], off offset:2
	v_lshlrev_b32_e32 v140, 18, v82
	v_lshlrev_b32_e32 v141, 25, v82
	v_or_b32_e32 v98, v98, v99
	v_lshrrev_b16 v74, 8, v74
	v_add_nc_i16 v99, v126, 0xf000 clamp
	v_add_nc_i16 v116, v116, 0xf000 clamp
	v_and_b32_e32 v104, 0xffff, v72
	v_add_co_u32 v72, s1, v93, v25
	v_and_b32_e32 v111, 0x1f00, v75
	v_lshlrev_b16 v75, 8, v75
	s_waitcnt vmcnt(13)
	v_and_b32_e32 v137, 0xf0f0f0f, v71
	v_and_b32_e32 v138, 16, v138
	;; [unrolled: 1-line block ×3, first 2 shown]
	v_add_nc_u16 v89, v89, 0xf000
	v_or_b32_e32 v78, v115, v78
	v_or_b32_e32 v79, v118, v79
	v_add_nc_u16 v77, v77, 0xf000
	v_or_b32_e32 v81, v81, v87
	v_or_b32_e32 v87, v73, v101
	v_add_co_ci_u32_e64 v73, s1, 0, v94, s1
	v_and_b32_e32 v140, 0x100000, v140
	v_and_b32_e32 v141, 0x10000000, v141
	v_or_b32_e32 v74, v117, v74
	v_and_b32_e32 v99, 0xffffff00, v99
	v_lshrrev_b16 v109, 8, v116
	v_add_nc_i16 v75, v75, 0xf000 clamp
	v_or3_b32 v112, v138, v137, v139
	v_add_nc_u16 v103, v103, 0xf000
	v_and_b32_e32 v121, 0x1f00, v80
	v_lshlrev_b16 v80, 8, v80
	v_add_nc_u16 v98, v98, 0xf000
	v_add_nc_u16 v100, v100, 0xf000
	v_and_b32_e32 v89, 0xffff, v89
	v_add_nc_u16 v78, v78, 0xf000
	v_add_nc_u16 v79, v79, 0xf000
	v_lshlrev_b32_e32 v77, 16, v77
	global_load_b32 v94, v[72:73], off offset:6
	v_or3_b32 v113, v137, v140, v141
	v_add_nc_u16 v74, v74, 0xf000
	v_or_b32_e32 v99, v109, v99
	v_lshrrev_b16 v75, 8, v75
	v_add_nc_i16 v90, v125, 0xf000 clamp
	v_lshrrev_b16 v103, 8, v103
	v_add_nc_u16 v80, v80, 0xf000
	v_and_b32_e32 v128, 0xffffff00, v122
	v_lshlrev_b16 v122, 8, v122
	v_and_b32_e32 v98, 0xffff, v98
	v_and_b32_e32 v100, 0xffff, v100
	v_lshlrev_b32_e32 v78, 16, v78
	v_lshlrev_b32_e32 v79, 16, v79
	v_or_b32_e32 v77, v89, v77
	v_lshlrev_b16 v89, 8, v112
	v_and_b32_e32 v74, 0xffff, v74
	v_lshlrev_b32_e32 v99, 16, v99
	v_lshrrev_b32_e32 v93, 16, v113
	v_or_b32_e32 v75, v111, v75
	v_and_b32_e32 v90, 0xffffff00, v90
	v_or_b32_e32 v102, v102, v103
	v_lshrrev_b16 v80, 8, v80
	v_add_nc_i16 v103, v128, 0xf000 clamp
	v_add_nc_i16 v122, v122, 0xf000 clamp
	v_or_b32_e32 v78, v98, v78
	v_or_b32_e32 v79, v100, v79
	v_add_nc_u16 v73, v89, 0xf000
	v_lshrrev_b32_e32 v89, 12, v82
	v_lshrrev_b32_e32 v98, 5, v82
	v_lshlrev_b32_e32 v100, 2, v82
	v_or_b32_e32 v74, v74, v99
	v_lshlrev_b16 v99, 8, v93
	v_add_nc_u16 v75, v75, 0xf000
	v_or_b32_e32 v90, v108, v90
	v_or_b32_e32 v80, v121, v80
	v_and_b32_e32 v103, 0xffffff00, v103
	v_lshrrev_b16 v111, 8, v122
	v_lshrrev_b32_e32 v71, 4, v71
	v_and_b32_e32 v89, 16, v89
	v_and_b32_e32 v98, 0x1000, v98
	v_lshlrev_b32_e32 v82, 9, v82
	v_and_b32_e32 v100, 0x100000, v100
	v_and_b32_e32 v72, 0x1f00, v112
	v_lshrrev_b16 v73, 8, v73
	v_add_nc_u16 v99, v99, 0xf000
	v_and_b32_e32 v75, 0xffff, v75
	v_lshlrev_b32_e32 v90, 16, v90
	v_add_nc_u16 v102, v102, 0xf000
	v_add_nc_u16 v80, v80, 0xf000
	v_or_b32_e32 v103, v111, v103
	v_and_b32_e32 v71, 0xf0f0f0f, v71
	v_and_b32_e32 v82, 0x10000000, v82
	v_or3_b32 v89, v98, v89, v100
	v_or_b32_e32 v72, v72, v73
	v_and_b32_e32 v73, 0x1f00, v93
	v_lshrrev_b16 v93, 8, v99
	s_waitcnt vmcnt(9)
	v_cvt_f32_f16_e32 v91, v91
	v_or_b32_e32 v75, v75, v90
	v_and_b32_e32 v102, 0xffff, v102
	v_lshlrev_b32_e32 v80, 16, v80
	v_lshlrev_b32_e32 v103, 16, v103
	v_or3_b32 v82, v89, v82, v71
	s_waitcnt vmcnt(8)
	v_cvt_f32_f16_e32 v71, v92
	s_waitcnt vmcnt(7)
	v_cvt_f32_f16_e32 v89, v95
	ds_store_2addr_b32 v0, v81, v76 offset1:1
	ds_store_b32 v67, v91
	ds_store_2addr_b32 v1, v77, v75 offset1:1
	ds_store_b32 v68, v71
	ds_store_2addr_b32 v2, v78, v74 offset1:1
	ds_store_b32 v69, v89
	v_add_nc_u16 v74, v72, 0xf000
	v_or_b32_e32 v75, v73, v93
	v_mad_i64_i32 v[72:73], null, v37, 22, v[19:20]
	v_or_b32_e32 v80, v102, v80
	v_or_b32_e32 v90, v104, v103
	ds_store_2addr_b32 v3, v79, v87 offset1:1
	ds_store_2addr_b32 v4, v80, v90 offset1:1
	global_load_b32 v80, v[72:73], off offset:2
	v_lshlrev_b16 v76, 8, v82
	v_lshrrev_b32_e32 v77, 16, v82
	v_add_co_u32 v72, s1, v72, v25
	s_delay_alu instid0(VALU_DEP_1) | instskip(NEXT) | instid1(VALU_DEP_4)
	v_add_co_ci_u32_e64 v73, s1, 0, v73, s1
	v_add_nc_i16 v76, v76, 0xf000 clamp
	s_delay_alu instid0(VALU_DEP_4)
	v_and_b32_e32 v79, 0xffffff00, v77
	v_lshlrev_b16 v77, 8, v77
	v_and_b32_e32 v78, 0x1f00, v82
	global_load_b32 v82, v[72:73], off offset:6
	v_lshrrev_b16 v76, 8, v76
	v_ashrrev_i32_e32 v81, v25, v105
	v_add_nc_i16 v77, v77, 0xf000 clamp
	v_add_nc_u16 v75, v75, 0xf000
	v_add_nc_i16 v79, v79, 0xf000 clamp
	v_or_b32_e32 v73, v78, v76
	v_lshlrev_b32_e32 v78, 25, v81
	v_lshrrev_b16 v76, 8, v77
	v_lshlrev_b32_e32 v77, 18, v81
	v_lshlrev_b32_e32 v87, 4, v81
	;; [unrolled: 1-line block ×3, first 2 shown]
	v_and_b32_e32 v74, 0xffff, v74
	v_lshlrev_b32_e32 v72, 16, v75
	v_and_b32_e32 v75, 0xffffff00, v79
	s_waitcnt vmcnt(7)
	v_and_b32_e32 v79, 0xf0f0f0f, v97
	v_and_b32_e32 v77, 0x100000, v77
	;; [unrolled: 1-line block ×3, first 2 shown]
	v_add_nc_u16 v73, v73, 0xf000
	v_and_b32_e32 v87, 16, v87
	v_and_b32_e32 v89, 0x1000, v89
	v_or_b32_e32 v75, v76, v75
	v_or3_b32 v76, v79, v77, v78
	v_or_b32_e32 v74, v74, v72
	v_and_b32_e32 v77, 0xffff, v73
	v_or3_b32 v72, v87, v79, v89
	v_lshrrev_b32_e32 v73, 12, v81
	v_lshrrev_b32_e32 v78, 5, v81
	v_lshlrev_b32_e32 v87, 2, v81
	v_lshrrev_b32_e32 v89, 4, v97
	v_lshlrev_b16 v79, 8, v72
	v_and_b32_e32 v73, 16, v73
	v_and_b32_e32 v78, 0x1000, v78
	v_lshlrev_b32_e32 v81, 9, v81
	v_and_b32_e32 v87, 0x100000, v87
	v_lshrrev_b32_e32 v76, 16, v76
	v_add_nc_u16 v79, v79, 0xf000
	v_and_b32_e32 v90, 0x1f00, v72
	v_and_b32_e32 v89, 0xf0f0f0f, v89
	;; [unrolled: 1-line block ×3, first 2 shown]
	v_or3_b32 v78, v78, v73, v87
	v_mad_i64_i32 v[72:73], null, v38, 22, v[19:20]
	v_lshlrev_b32_e32 v75, 16, v75
	v_lshrrev_b16 v79, 8, v79
	v_lshlrev_b16 v87, 8, v76
	v_or3_b32 v78, v78, v81, v89
	v_and_b32_e32 v76, 0x1f00, v76
	v_or_b32_e32 v75, v77, v75
	global_load_b32 v89, v[72:73], off offset:2
	v_or_b32_e32 v77, v90, v79
	v_add_nc_u16 v79, v87, 0xf000
	v_lshrrev_b32_e32 v81, 16, v78
	v_lshlrev_b16 v87, 8, v78
	v_add_co_u32 v72, s1, v72, v25
	s_delay_alu instid0(VALU_DEP_1) | instskip(NEXT) | instid1(VALU_DEP_3)
	v_add_co_ci_u32_e64 v73, s1, 0, v73, s1
	v_add_nc_i16 v87, v87, 0xf000 clamp
	v_and_b32_e32 v90, 0xffffff00, v81
	v_lshlrev_b16 v81, 8, v81
	global_load_b32 v91, v[72:73], off offset:6
	v_lshrrev_b16 v79, 8, v79
	v_and_b32_e32 v72, 0x1f00, v78
	v_lshrrev_b16 v73, 8, v87
	v_add_nc_i16 v78, v90, 0xf000 clamp
	v_add_nc_i16 v81, v81, 0xf000 clamp
	v_or_b32_e32 v76, v76, v79
	v_ashrrev_i32_e32 v79, v25, v106
	v_or_b32_e32 v72, v72, v73
	v_and_b32_e32 v73, 0xffffff00, v78
	v_lshrrev_b16 v78, 8, v81
	s_waitcnt vmcnt(8)
	v_and_b32_e32 v92, 0xf0f0f0f, v85
	v_lshlrev_b32_e32 v81, 11, v79
	v_add_nc_u16 v72, v72, 0xf000
	v_lshlrev_b32_e32 v87, 18, v79
	v_or_b32_e32 v73, v78, v73
	v_lshlrev_b32_e32 v78, 4, v79
	v_lshlrev_b32_e32 v90, 25, v79
	v_and_b32_e32 v81, 0x1000, v81
	v_add_nc_u16 v77, v77, 0xf000
	v_add_nc_u16 v76, v76, 0xf000
	v_and_b32_e32 v78, 16, v78
	v_and_b32_e32 v87, 0x100000, v87
	;; [unrolled: 1-line block ×4, first 2 shown]
	v_lshlrev_b32_e32 v73, 16, v73
	v_or3_b32 v78, v78, v92, v81
	v_and_b32_e32 v77, 0xffff, v77
	v_lshlrev_b32_e32 v76, 16, v76
	v_or3_b32 v81, v92, v87, v90
	ds_store_2addr_b32 v5, v74, v75 offset1:1
	v_or_b32_e32 v75, v72, v73
	v_lshlrev_b16 v72, 8, v78
	v_or_b32_e32 v74, v77, v76
	v_lshrrev_b32_e32 v76, 16, v81
	v_and_b32_e32 v73, 0x1f00, v78
	v_lshrrev_b32_e32 v77, 12, v79
	v_lshrrev_b32_e32 v78, 5, v79
	v_add_nc_u16 v72, v72, 0xf000
	v_lshlrev_b32_e32 v81, 2, v79
	v_lshrrev_b32_e32 v85, 4, v85
	v_and_b32_e32 v77, 16, v77
	v_and_b32_e32 v78, 0x1000, v78
	v_lshrrev_b16 v72, 8, v72
	v_and_b32_e32 v81, 0x100000, v81
	v_lshlrev_b32_e32 v79, 9, v79
	v_and_b32_e32 v85, 0xf0f0f0f, v85
	v_lshlrev_b16 v87, 8, v76
	ds_store_2addr_b32 v6, v74, v75 offset1:1
	v_or3_b32 v77, v78, v77, v81
	v_or_b32_e32 v78, v73, v72
	v_mad_i64_i32 v[72:73], null, v40, 22, v[19:20]
	v_and_b32_e32 v79, 0x10000000, v79
	v_add_nc_u16 v81, v87, 0xf000
	v_and_b32_e32 v75, 0x1f00, v76
	v_add_nc_u16 v74, v78, 0xf000
	s_waitcnt vmcnt(7)
	v_and_b32_e32 v93, 0xf0f0f0f, v86
	v_or3_b32 v77, v77, v79, v85
	global_load_b32 v79, v[72:73], off offset:2
	v_add_co_u32 v72, s1, v72, v25
	s_delay_alu instid0(VALU_DEP_1)
	v_add_co_ci_u32_e64 v73, s1, 0, v73, s1
	v_lshrrev_b16 v76, 8, v81
	v_lshlrev_b16 v78, 8, v77
	v_ashrrev_i32_e32 v85, v25, v107
	global_load_b32 v81, v[72:73], off offset:6
	v_and_b32_e32 v72, 0x1f00, v77
	v_or_b32_e32 v75, v75, v76
	v_add_nc_i16 v76, v78, 0xf000 clamp
	v_lshrrev_b32_e32 v78, 16, v77
	v_lshlrev_b32_e32 v87, 11, v85
	v_lshlrev_b32_e32 v90, 18, v85
	;; [unrolled: 1-line block ×3, first 2 shown]
	v_lshrrev_b16 v73, 8, v76
	v_and_b32_e32 v76, 0xffffff00, v78
	v_lshlrev_b16 v77, 8, v78
	v_lshlrev_b32_e32 v78, 4, v85
	v_and_b32_e32 v87, 0x1000, v87
	v_and_b32_e32 v90, 0x100000, v90
	;; [unrolled: 1-line block ×3, first 2 shown]
	v_or_b32_e32 v72, v72, v73
	v_and_b32_e32 v78, 16, v78
	v_add_nc_i16 v76, v76, 0xf000 clamp
	v_add_nc_i16 v77, v77, 0xf000 clamp
	v_cvt_f32_f16_e32 v71, v96
	v_add_nc_u16 v72, v72, 0xf000
	v_or3_b32 v73, v78, v93, v87
	v_or3_b32 v78, v93, v90, v92
	v_and_b32_e32 v76, 0xffffff00, v76
	v_lshrrev_b16 v77, 8, v77
	v_and_b32_e32 v90, 0xffff, v72
	v_lshlrev_b16 v87, 8, v73
	v_lshrrev_b32_e32 v78, 16, v78
	v_and_b32_e32 v92, 0x1f00, v73
	v_lshrrev_b32_e32 v93, 12, v85
	v_lshrrev_b32_e32 v95, 5, v85
	v_mad_i64_i32 v[72:73], null, v41, 22, v[19:20]
	v_lshlrev_b32_e32 v96, 2, v85
	v_or_b32_e32 v76, v77, v76
	v_add_nc_u16 v77, v87, 0xf000
	v_lshlrev_b16 v87, 8, v78
	v_lshrrev_b32_e32 v86, 4, v86
	v_lshlrev_b32_e32 v85, 9, v85
	v_and_b32_e32 v93, 16, v93
	v_and_b32_e32 v95, 0x1000, v95
	;; [unrolled: 1-line block ×3, first 2 shown]
	global_load_b32 v97, v[72:73], off offset:2
	v_add_co_u32 v72, s1, v72, v25
	v_add_nc_u16 v75, v75, 0xf000
	v_lshrrev_b16 v77, 8, v77
	v_add_nc_u16 v87, v87, 0xf000
	v_and_b32_e32 v86, 0xf0f0f0f, v86
	v_and_b32_e32 v85, 0x10000000, v85
	v_add_co_ci_u32_e64 v73, s1, 0, v73, s1
	v_or3_b32 v93, v95, v93, v96
	v_and_b32_e32 v74, 0xffff, v74
	v_lshlrev_b32_e32 v75, 16, v75
	v_lshlrev_b32_e32 v76, 16, v76
	v_or_b32_e32 v77, v92, v77
	v_and_b32_e32 v78, 0x1f00, v78
	v_lshrrev_b16 v87, 8, v87
	global_load_b32 v92, v[72:73], off offset:6
	v_or3_b32 v72, v93, v85, v86
	v_or_b32_e32 v73, v74, v75
	v_or_b32_e32 v74, v90, v76
	v_add_nc_u16 v75, v77, 0xf000
	v_or_b32_e32 v76, v78, v87
	v_lshlrev_b16 v77, 8, v72
	v_lshrrev_b32_e32 v78, 16, v72
	ds_store_2addr_b32 v7, v73, v74 offset1:1
	v_and_b32_e32 v74, 0xffff, v75
	v_add_nc_u16 v73, v76, 0xf000
	v_add_nc_i16 v75, v77, 0xf000 clamp
	v_and_b32_e32 v76, 0xffffff00, v78
	v_lshlrev_b16 v77, 8, v78
	v_ashrrev_i32_e32 v78, v25, v84
	v_and_b32_e32 v72, 0x1f00, v72
	v_lshrrev_b16 v75, 8, v75
	v_add_nc_i16 v76, v76, 0xf000 clamp
	v_add_nc_i16 v77, v77, 0xf000 clamp
	v_lshlrev_b32_e32 v85, 18, v78
	v_lshlrev_b32_e32 v86, 25, v78
	s_waitcnt vmcnt(10)
	v_and_b32_e32 v90, 0xf0f0f0f, v83
	v_or_b32_e32 v72, v72, v75
	v_and_b32_e32 v75, 0xffffff00, v76
	v_and_b32_e32 v85, 0x100000, v85
	;; [unrolled: 1-line block ×3, first 2 shown]
	v_lshrrev_b16 v76, 8, v77
	v_lshlrev_b32_e32 v84, 4, v78
	v_lshlrev_b32_e32 v87, 11, v78
	v_lshrrev_b32_e32 v83, 4, v83
	v_or3_b32 v77, v90, v85, v86
	v_lshlrev_b32_e32 v85, 16, v73
	v_add_nc_u16 v86, v72, 0xf000
	v_mad_i64_i32 v[72:73], null, v42, 22, v[19:20]
	v_lshlrev_b32_e32 v19, 2, v78
	v_and_b32_e32 v84, 16, v84
	v_and_b32_e32 v87, 0x1000, v87
	v_or_b32_e32 v75, v76, v75
	v_lshrrev_b32_e32 v76, 16, v77
	v_and_b32_e32 v93, 0x100000, v19
	global_load_b32 v95, v[72:73], off offset:2
	v_add_co_u32 v19, s1, v72, v25
	s_delay_alu instid0(VALU_DEP_1)
	v_add_co_ci_u32_e64 v20, s1, 0, v73, s1
	v_or3_b32 v84, v84, v90, v87
	v_lshrrev_b32_e32 v87, 12, v78
	v_lshrrev_b32_e32 v90, 5, v78
	global_load_b32 v19, v[19:20], off offset:6
	v_lshlrev_b32_e32 v78, 9, v78
	v_and_b32_e32 v77, 0x1f00, v84
	v_lshlrev_b16 v84, 8, v84
	v_and_b32_e32 v87, 16, v87
	v_and_b32_e32 v90, 0x1000, v90
	;; [unrolled: 1-line block ×4, first 2 shown]
	v_add_nc_u16 v84, v84, 0xf000
	v_and_b32_e32 v20, 0xffff, v86
	v_or3_b32 v83, v90, v87, v93
	v_lshlrev_b32_e32 v75, 16, v75
	v_or_b32_e32 v74, v74, v85
	v_lshrrev_b16 v72, 8, v84
	v_lshlrev_b16 v84, 8, v76
	v_or3_b32 v73, v83, v78, v73
	v_or_b32_e32 v20, v20, v75
	v_and_b32_e32 v76, 0x1f00, v76
	v_or_b32_e32 v72, v77, v72
	v_add_nc_u16 v77, v84, 0xf000
	v_lshlrev_b16 v75, 8, v73
	ds_store_2addr_b32 v8, v74, v20 offset1:1
	v_lshrrev_b32_e32 v74, 16, v73
	v_add_nc_u16 v72, v72, 0xf000
	v_lshrrev_b16 v77, 8, v77
	v_and_b32_e32 v73, 0x1f00, v73
	s_waitcnt vmcnt(10)
	v_and_b32_e32 v86, 0xf0f0f0f, v94
	v_lshrrev_b32_e32 v87, 4, v94
	v_and_b32_e32 v20, 0xffff, v72
	v_add_nc_i16 v72, v75, 0xf000 clamp
	v_or_b32_e32 v75, v76, v77
	v_ashrrev_i32_e32 v76, v25, v88
	v_and_b32_e32 v77, 0xffffff00, v74
	v_lshlrev_b16 v74, 8, v74
	v_lshrrev_b16 v72, 8, v72
	v_add_nc_u16 v75, v75, 0xf000
	v_lshlrev_b32_e32 v83, 18, v76
	v_lshlrev_b32_e32 v84, 25, v76
	;; [unrolled: 1-line block ×4, first 2 shown]
	v_add_nc_i16 v77, v77, 0xf000 clamp
	v_and_b32_e32 v83, 0x100000, v83
	v_and_b32_e32 v84, 0x10000000, v84
	;; [unrolled: 1-line block ×4, first 2 shown]
	v_add_nc_i16 v74, v74, 0xf000 clamp
	v_or_b32_e32 v72, v73, v72
	v_or3_b32 v73, v86, v83, v84
	v_and_b32_e32 v77, 0xffffff00, v77
	v_or3_b32 v78, v78, v86, v85
	v_lshrrev_b16 v74, 8, v74
	v_lshrrev_b32_e32 v84, 12, v76
	v_lshrrev_b32_e32 v73, 16, v73
	v_lshrrev_b32_e32 v85, 5, v76
	v_lshlrev_b16 v83, 8, v78
	v_or_b32_e32 v74, v74, v77
	v_lshlrev_b32_e32 v86, 2, v76
	v_lshlrev_b16 v77, 8, v73
	v_add_nc_u16 v72, v72, 0xf000
	v_add_nc_u16 v83, v83, 0xf000
	v_and_b32_e32 v78, 0x1f00, v78
	v_and_b32_e32 v73, 0x1f00, v73
	v_add_nc_u16 v77, v77, 0xf000
	v_and_b32_e32 v84, 16, v84
	v_lshrrev_b16 v83, 8, v83
	v_and_b32_e32 v85, 0x1000, v85
	v_lshlrev_b32_e32 v76, 9, v76
	v_lshrrev_b16 v77, 8, v77
	v_and_b32_e32 v86, 0x100000, v86
	v_lshlrev_b32_e32 v75, 16, v75
	v_and_b32_e32 v72, 0xffff, v72
	v_lshlrev_b32_e32 v74, 16, v74
	v_or_b32_e32 v78, v78, v83
	v_or_b32_e32 v73, v73, v77
	v_and_b32_e32 v77, 0xf0f0f0f, v87
	v_and_b32_e32 v76, 0x10000000, v76
	v_or3_b32 v83, v85, v84, v86
	v_or_b32_e32 v20, v20, v75
	v_or_b32_e32 v72, v72, v74
	v_add_nc_u16 v74, v78, 0xf000
	v_add_nc_u16 v73, v73, 0xf000
	v_or3_b32 v75, v83, v76, v77
	s_waitcnt vmcnt(9)
	v_ashrrev_i32_e32 v76, v25, v80
	ds_store_2addr_b32 v9, v20, v72 offset1:1
	v_and_b32_e32 v20, 0xffff, v74
	s_waitcnt vmcnt(8)
	v_and_b32_e32 v80, 0xf0f0f0f, v82
	v_lshlrev_b16 v78, 8, v75
	v_lshlrev_b32_e32 v74, 4, v76
	v_lshlrev_b32_e32 v77, 11, v76
	;; [unrolled: 1-line block ×5, first 2 shown]
	v_and_b32_e32 v74, 16, v74
	v_and_b32_e32 v77, 0x1000, v77
	v_lshrrev_b32_e32 v73, 16, v75
	v_add_nc_i16 v78, v78, 0xf000 clamp
	v_and_b32_e32 v75, 0x1f00, v75
	v_or_b32_e32 v20, v20, v72
	v_or3_b32 v74, v74, v80, v77
	v_and_b32_e32 v77, 0x100000, v83
	v_and_b32_e32 v83, 0x10000000, v84
	v_and_b32_e32 v85, 0xffffff00, v73
	v_lshlrev_b16 v73, 8, v73
	v_lshrrev_b16 v78, 8, v78
	v_lshlrev_b16 v84, 8, v74
	v_or3_b32 v77, v80, v77, v83
	v_add_nc_i16 v85, v85, 0xf000 clamp
	v_add_nc_i16 v73, v73, 0xf000 clamp
	v_or_b32_e32 v75, v75, v78
	v_add_nc_u16 v78, v84, 0xf000
	v_lshrrev_b32_e32 v77, 16, v77
	v_and_b32_e32 v80, 0xffffff00, v85
	v_lshrrev_b16 v73, 8, v73
	v_and_b32_e32 v74, 0x1f00, v74
	v_lshrrev_b16 v78, 8, v78
	v_add_nc_u16 v72, v75, 0xf000
	v_lshlrev_b16 v75, 8, v77
	v_or_b32_e32 v73, v73, v80
	v_lshrrev_b32_e32 v80, 5, v76
	v_or_b32_e32 v74, v74, v78
	v_lshrrev_b32_e32 v78, 12, v76
	v_add_nc_u16 v75, v75, 0xf000
	v_lshlrev_b32_e32 v83, 2, v76
	v_lshrrev_b32_e32 v82, 4, v82
	v_and_b32_e32 v80, 0x1000, v80
	v_and_b32_e32 v78, 16, v78
	v_lshlrev_b32_e32 v76, 9, v76
	v_and_b32_e32 v83, 0x100000, v83
	v_and_b32_e32 v77, 0x1f00, v77
	v_lshrrev_b16 v75, 8, v75
	v_and_b32_e32 v82, 0xf0f0f0f, v82
	v_and_b32_e32 v76, 0x10000000, v76
	v_or3_b32 v78, v80, v78, v83
	v_and_b32_e32 v72, 0xffff, v72
	v_or_b32_e32 v75, v77, v75
	s_waitcnt vmcnt(7)
	v_ashrrev_i32_e32 v77, v25, v89
	v_lshlrev_b32_e32 v73, 16, v73
	v_or3_b32 v76, v78, v76, v82
	v_add_nc_u16 v74, v74, 0xf000
	s_delay_alu instid0(VALU_DEP_4)
	v_lshlrev_b32_e32 v78, 4, v77
	v_lshlrev_b32_e32 v80, 11, v77
	;; [unrolled: 1-line block ×4, first 2 shown]
	v_lshlrev_b16 v82, 8, v76
	s_waitcnt vmcnt(6)
	v_and_b32_e32 v83, 0xf0f0f0f, v91
	v_and_b32_e32 v78, 16, v78
	v_and_b32_e32 v80, 0x1000, v80
	v_or_b32_e32 v72, v72, v73
	v_and_b32_e32 v73, 0xffff, v74
	v_add_nc_u16 v74, v75, 0xf000
	v_lshrrev_b32_e32 v75, 16, v76
	v_or3_b32 v78, v78, v83, v80
	v_and_b32_e32 v80, 0x100000, v84
	v_and_b32_e32 v84, 0x10000000, v85
	v_add_nc_i16 v82, v82, 0xf000 clamp
	v_and_b32_e32 v76, 0x1f00, v76
	v_and_b32_e32 v86, 0xffffff00, v75
	v_lshlrev_b16 v75, 8, v75
	v_or3_b32 v80, v83, v80, v84
	v_lshrrev_b16 v82, 8, v82
	v_lshlrev_b16 v85, 8, v78
	v_add_nc_i16 v86, v86, 0xf000 clamp
	v_add_nc_i16 v75, v75, 0xf000 clamp
	v_lshrrev_b32_e32 v80, 16, v80
	v_or_b32_e32 v76, v76, v82
	v_add_nc_u16 v82, v85, 0xf000
	v_and_b32_e32 v83, 0xffffff00, v86
	v_lshrrev_b16 v75, 8, v75
	v_lshlrev_b16 v84, 8, v80
	v_and_b32_e32 v78, 0x1f00, v78
	v_lshrrev_b16 v82, 8, v82
	v_lshlrev_b32_e32 v85, 2, v77
	v_or_b32_e32 v75, v75, v83
	v_add_nc_u16 v84, v84, 0xf000
	v_lshrrev_b32_e32 v83, 5, v77
	v_or_b32_e32 v78, v78, v82
	v_lshrrev_b32_e32 v82, 12, v77
	v_and_b32_e32 v80, 0x1f00, v80
	v_lshrrev_b16 v84, 8, v84
	v_lshlrev_b32_e32 v74, 16, v74
	v_add_nc_u16 v76, v76, 0xf000
	v_lshrrev_b32_e32 v86, 4, v91
	v_and_b32_e32 v82, 16, v82
	v_and_b32_e32 v83, 0x1000, v83
	v_lshlrev_b32_e32 v77, 9, v77
	v_and_b32_e32 v85, 0x100000, v85
	v_or_b32_e32 v80, v80, v84
	v_and_b32_e32 v86, 0xf0f0f0f, v86
	v_and_b32_e32 v76, 0xffff, v76
	;; [unrolled: 1-line block ×3, first 2 shown]
	v_or3_b32 v82, v83, v82, v85
	v_lshlrev_b32_e32 v75, 16, v75
	v_add_nc_u16 v78, v78, 0xf000
	v_or_b32_e32 v73, v73, v74
	v_add_nc_u16 v74, v80, 0xf000
	v_or3_b32 v77, v82, v77, v86
	v_or_b32_e32 v75, v76, v75
	v_and_b32_e32 v76, 0xffff, v78
	ds_store_2addr_b32 v10, v20, v72 offset1:1
	ds_store_2addr_b32 v11, v73, v75 offset1:1
	v_lshlrev_b32_e32 v74, 16, v74
	v_lshlrev_b16 v78, 8, v77
	v_lshrrev_b32_e32 v80, 16, v77
	v_and_b32_e32 v75, 0x1f00, v77
	s_delay_alu instid0(VALU_DEP_4)
	v_or_b32_e32 v73, v76, v74
	s_waitcnt vmcnt(5)
	v_ashrrev_i32_e32 v74, v25, v79
	v_add_nc_i16 v20, v78, 0xf000 clamp
	v_and_b32_e32 v72, 0xffffff00, v80
	v_lshlrev_b16 v76, 8, v80
	s_waitcnt vmcnt(4)
	v_and_b32_e32 v82, 0xf0f0f0f, v81
	v_lshlrev_b32_e32 v77, 18, v74
	v_lshlrev_b32_e32 v78, 25, v74
	;; [unrolled: 1-line block ×4, first 2 shown]
	v_lshrrev_b16 v20, 8, v20
	v_and_b32_e32 v77, 0x100000, v77
	v_and_b32_e32 v78, 0x10000000, v78
	;; [unrolled: 1-line block ×4, first 2 shown]
	v_or_b32_e32 v20, v75, v20
	v_lshrrev_b32_e32 v81, 4, v81
	v_or3_b32 v75, v82, v77, v78
	v_lshrrev_b32_e32 v78, 12, v74
	v_or3_b32 v77, v79, v82, v80
	v_lshrrev_b32_e32 v79, 5, v74
	v_lshlrev_b32_e32 v80, 2, v74
	v_lshrrev_b32_e32 v75, 16, v75
	v_and_b32_e32 v78, 16, v78
	v_lshlrev_b32_e32 v74, 9, v74
	v_and_b32_e32 v79, 0x1000, v79
	v_and_b32_e32 v80, 0x100000, v80
	v_lshlrev_b16 v82, 8, v77
	v_lshlrev_b16 v83, 8, v75
	v_and_b32_e32 v81, 0xf0f0f0f, v81
	v_and_b32_e32 v74, 0x10000000, v74
	v_or3_b32 v78, v79, v78, v80
	v_add_nc_i16 v72, v72, 0xf000 clamp
	v_add_nc_i16 v76, v76, 0xf000 clamp
	v_add_nc_u16 v79, v82, 0xf000
	v_add_nc_u16 v80, v83, 0xf000
	v_or3_b32 v74, v78, v74, v81
	v_and_b32_e32 v72, 0xffffff00, v72
	v_lshrrev_b16 v76, 8, v76
	v_and_b32_e32 v77, 0x1f00, v77
	v_lshrrev_b16 v78, 8, v79
	v_lshrrev_b16 v79, 8, v80
	v_lshlrev_b16 v80, 8, v74
	v_add_nc_u16 v20, v20, 0xf000
	v_or_b32_e32 v72, v76, v72
	v_or_b32_e32 v76, v77, v78
	v_and_b32_e32 v75, 0x1f00, v75
	v_add_nc_i16 v77, v80, 0xf000 clamp
	v_and_b32_e32 v20, 0xffff, v20
	v_lshlrev_b32_e32 v72, 16, v72
	v_add_nc_u16 v76, v76, 0xf000
	v_and_b32_e32 v78, 0x1f00, v74
	v_lshrrev_b16 v77, 8, v77
	v_or_b32_e32 v75, v75, v79
	v_or_b32_e32 v20, v20, v72
	v_and_b32_e32 v72, 0xffff, v76
	s_waitcnt vmcnt(3)
	v_ashrrev_i32_e32 v76, v25, v97
	v_or_b32_e32 v77, v78, v77
	v_add_nc_u16 v75, v75, 0xf000
	ds_store_2addr_b32 v12, v73, v20 offset1:1
	v_lshrrev_b32_e32 v74, 16, v74
	v_lshlrev_b32_e32 v79, 25, v76
	v_add_nc_u16 v73, v77, 0xf000
	v_lshlrev_b32_e32 v77, 18, v76
	v_lshlrev_b32_e32 v75, 16, v75
	s_waitcnt vmcnt(2)
	v_and_b32_e32 v78, 0xf0f0f0f, v92
	v_lshrrev_b32_e32 v81, 12, v76
	v_lshrrev_b32_e32 v82, 5, v76
	v_and_b32_e32 v77, 0x100000, v77
	v_and_b32_e32 v79, 0x10000000, v79
	v_lshlrev_b32_e32 v83, 2, v76
	v_or_b32_e32 v20, v72, v75
	v_lshlrev_b32_e32 v72, 4, v76
	v_lshlrev_b32_e32 v80, 11, v76
	v_lshrrev_b32_e32 v84, 4, v92
	v_and_b32_e32 v81, 16, v81
	v_and_b32_e32 v82, 0x1000, v82
	v_lshlrev_b32_e32 v76, 9, v76
	v_and_b32_e32 v83, 0x100000, v83
	v_or3_b32 v77, v78, v77, v79
	v_and_b32_e32 v79, 0xf0f0f0f, v84
	v_and_b32_e32 v75, 0xffffff00, v74
	;; [unrolled: 1-line block ×3, first 2 shown]
	v_or3_b32 v81, v82, v81, v83
	v_lshrrev_b32_e32 v77, 16, v77
	v_and_b32_e32 v72, 16, v72
	v_and_b32_e32 v80, 0x1000, v80
	v_lshlrev_b16 v74, 8, v74
	v_or3_b32 v76, v81, v76, v79
	v_lshlrev_b16 v79, 8, v77
	v_add_nc_i16 v75, v75, 0xf000 clamp
	v_or3_b32 v72, v72, v78, v80
	v_add_nc_i16 v74, v74, 0xf000 clamp
	v_lshlrev_b16 v80, 8, v76
	v_add_nc_u16 v79, v79, 0xf000
	v_and_b32_e32 v75, 0xffffff00, v75
	v_and_b32_e32 v77, 0x1f00, v77
	v_lshrrev_b16 v74, 8, v74
	v_add_nc_i16 v80, v80, 0xf000 clamp
	v_lshrrev_b16 v79, 8, v79
	v_and_b32_e32 v81, 0x1f00, v76
	v_lshlrev_b16 v78, 8, v72
	v_or_b32_e32 v74, v74, v75
	v_lshrrev_b16 v80, 8, v80
	v_or_b32_e32 v75, v77, v79
	s_waitcnt vmcnt(1)
	v_ashrrev_i32_e32 v79, v25, v95
	v_add_nc_u16 v78, v78, 0xf000
	v_and_b32_e32 v72, 0x1f00, v72
	v_or_b32_e32 v77, v81, v80
	v_lshrrev_b32_e32 v76, 16, v76
	v_lshlrev_b32_e32 v80, 4, v79
	v_lshlrev_b32_e32 v81, 11, v79
	;; [unrolled: 1-line block ×4, first 2 shown]
	v_lshrrev_b32_e32 v85, 12, v79
	v_lshrrev_b32_e32 v86, 5, v79
	v_lshlrev_b32_e32 v87, 2, v79
	s_waitcnt vmcnt(0)
	v_and_b32_e32 v83, 0xf0f0f0f, v19
	v_and_b32_e32 v80, 16, v80
	;; [unrolled: 1-line block ×5, first 2 shown]
	v_lshrrev_b32_e32 v19, 4, v19
	v_and_b32_e32 v85, 16, v85
	v_and_b32_e32 v86, 0x1000, v86
	v_lshlrev_b32_e32 v79, 9, v79
	v_and_b32_e32 v87, 0x100000, v87
	v_or3_b32 v80, v80, v83, v81
	v_or3_b32 v81, v83, v82, v84
	v_and_b32_e32 v19, 0xf0f0f0f, v19
	v_and_b32_e32 v79, 0x10000000, v79
	v_or3_b32 v82, v86, v85, v87
	v_lshlrev_b16 v83, 8, v80
	v_lshrrev_b32_e32 v81, 16, v81
	v_lshrrev_b16 v78, 8, v78
	v_and_b32_e32 v80, 0x1f00, v80
	v_or3_b32 v19, v82, v79, v19
	v_add_nc_u16 v79, v83, 0xf000
	v_lshlrev_b16 v82, 8, v81
	v_or_b32_e32 v72, v72, v78
	v_and_b32_e32 v78, 0xffffff00, v76
	v_lshlrev_b16 v83, 8, v19
	v_lshrrev_b32_e32 v84, 16, v19
	v_lshlrev_b16 v76, 8, v76
	v_add_nc_u16 v82, v82, 0xf000
	v_add_nc_i16 v78, v78, 0xf000 clamp
	v_add_nc_i16 v83, v83, 0xf000 clamp
	v_and_b32_e32 v85, 0xffffff00, v84
	v_lshlrev_b16 v84, 8, v84
	v_add_nc_i16 v76, v76, 0xf000 clamp
	v_lshrrev_b16 v79, 8, v79
	v_and_b32_e32 v81, 0x1f00, v81
	v_lshrrev_b16 v82, 8, v82
	v_and_b32_e32 v19, 0x1f00, v19
	v_lshrrev_b16 v83, 8, v83
	v_add_nc_i16 v85, v85, 0xf000 clamp
	v_add_nc_i16 v84, v84, 0xf000 clamp
	v_and_b32_e32 v78, 0xffffff00, v78
	v_lshrrev_b16 v76, 8, v76
	v_or_b32_e32 v79, v80, v79
	v_or_b32_e32 v80, v81, v82
	;; [unrolled: 1-line block ×3, first 2 shown]
	v_and_b32_e32 v81, 0xffffff00, v85
	v_lshrrev_b16 v82, 8, v84
	v_add_nc_u16 v72, v72, 0xf000
	v_add_nc_u16 v75, v75, 0xf000
	v_add_nc_u16 v77, v77, 0xf000
	v_or_b32_e32 v76, v76, v78
	v_add_nc_u16 v78, v79, 0xf000
	v_add_nc_u16 v79, v80, 0xf000
	;; [unrolled: 1-line block ×3, first 2 shown]
	v_or_b32_e32 v80, v82, v81
	v_and_b32_e32 v73, 0xffff, v73
	v_lshlrev_b32_e32 v74, 16, v74
	v_and_b32_e32 v72, 0xffff, v72
	v_lshlrev_b32_e32 v75, 16, v75
	;; [unrolled: 2-line block ×5, first 2 shown]
	v_or_b32_e32 v73, v73, v74
	v_or_b32_e32 v72, v72, v75
	;; [unrolled: 1-line block ×5, first 2 shown]
	ds_store_2addr_b32 v13, v20, v73 offset1:1
	ds_store_2addr_b32 v15, v72, v74 offset1:1
	;; [unrolled: 1-line block ×3, first 2 shown]
	ds_store_b32 v70, v71
	s_cbranch_scc0 .LBB182_4
; %bb.6:                                ;   in Loop: Header=BB182_5 Depth=1
	v_add_nc_u32_e32 v19, s18, v39
	s_delay_alu instid0(VALU_DEP_1) | instskip(NEXT) | instid1(VALU_DEP_1)
	v_cmp_gt_i32_e64 s1, s8, v19
	s_and_b32 s16, s0, s1
	s_delay_alu instid0(SALU_CYCLE_1)
	s_and_saveexec_b32 s1, s16
	s_cbranch_execz .LBB182_8
; %bb.7:                                ;   in Loop: Header=BB182_5 Depth=1
	v_add_nc_u32_e32 v71, v54, v19
	s_delay_alu instid0(VALU_DEP_1)
	v_mad_i64_i32 v[19:20], null, v71, 36, v[17:18]
	global_load_b32 v19, v[19:20], off offset:4
	s_waitcnt vmcnt(0)
	ds_store_b32 v50, v19
.LBB182_8:                              ;   in Loop: Header=BB182_5 Depth=1
	s_or_b32 exec_lo, exec_lo, s1
	s_and_saveexec_b32 s16, vcc_lo
	s_cbranch_execz .LBB182_11
; %bb.9:                                ;   in Loop: Header=BB182_5 Depth=1
	v_or_b32_e32 v19, s18, v22
	s_delay_alu instid0(VALU_DEP_1) | instskip(NEXT) | instid1(VALU_DEP_1)
	v_cmp_gt_i32_e64 s1, s8, v19
	s_and_b32 s1, s0, s1
	s_delay_alu instid0(SALU_CYCLE_1)
	s_and_b32 exec_lo, exec_lo, s1
	s_cbranch_execz .LBB182_11
; %bb.10:                               ;   in Loop: Header=BB182_5 Depth=1
	v_add_nc_u32_e32 v71, v54, v19
	s_delay_alu instid0(VALU_DEP_1)
	v_mad_i64_i32 v[19:20], null, v71, 36, s[2:3]
	global_load_b32 v19, v[19:20], off
	s_waitcnt vmcnt(0)
	v_cvt_f32_f16_e32 v19, v19
	ds_store_b32 v51, v19
.LBB182_11:                             ;   in Loop: Header=BB182_5 Depth=1
	s_or_b32 exec_lo, exec_lo, s16
	v_dual_mov_b32 v19, v61 :: v_dual_mov_b32 v20, v60
	v_dual_mov_b32 v71, v52 :: v_dual_mov_b32 v72, v59
	;; [unrolled: 1-line block ×3, first 2 shown]
	v_mov_b32_e32 v75, v56
	s_mov_b32 s1, -4
	s_waitcnt lgkmcnt(0)
	s_barrier
	buffer_gl0_inv
.LBB182_12:                             ;   Parent Loop BB182_5 Depth=1
                                        ; =>  This Inner Loop Header: Depth=2
	ds_load_b128 v[76:79], v20
	ds_load_b32 v116, v19
	ds_load_b128 v[80:83], v20 offset:16
	ds_load_2addr_b32 v[84:85], v71 offset1:1
	ds_load_2addr_b32 v[86:87], v71 offset0:2 offset1:3
	ds_load_2addr_b32 v[88:89], v71 offset0:4 offset1:5
	ds_load_b32 v117, v72
	ds_load_2addr_b32 v[90:91], v71 offset0:6 offset1:7
	v_add_nc_u32_e32 v92, 0x2080, v71
	v_add_nc_u32_e32 v94, 0x4100, v71
	;; [unrolled: 1-line block ×3, first 2 shown]
	ds_load_b32 v118, v73
	ds_load_b32 v119, v74
	ds_load_2addr_b32 v[92:93], v92 offset1:1
	ds_load_2addr_b32 v[94:95], v94 offset1:1
	;; [unrolled: 1-line block ×3, first 2 shown]
	ds_load_b32 v120, v75
	v_add_nc_u32_e32 v98, 0x2088, v71
	v_add_nc_u32_e32 v100, 0x4108, v71
	v_add_nc_u32_e32 v102, 0x6188, v71
	v_add_nc_u32_e32 v104, 0x2090, v71
	v_add_nc_u32_e32 v106, 0x2098, v71
	v_add_nc_u32_e32 v108, 0x4110, v71
	v_add_nc_u32_e32 v110, 0x4118, v71
	v_add_nc_u32_e32 v112, 0x6190, v71
	v_add_nc_u32_e32 v114, 0x6198, v71
	ds_load_2addr_b32 v[98:99], v98 offset1:1
	ds_load_2addr_b32 v[100:101], v100 offset1:1
	;; [unrolled: 1-line block ×9, first 2 shown]
	v_add_nc_u32_e32 v75, 4, v75
	s_waitcnt lgkmcnt(19)
	v_dot4_i32_iu8 v84, v84, v76, 0 neg_lo:[1,1,0]
	v_add_nc_u32_e32 v74, 4, v74
	v_add_nc_u32_e32 v73, 4, v73
	;; [unrolled: 1-line block ×4, first 2 shown]
	s_waitcnt lgkmcnt(12)
	v_dot4_i32_iu8 v92, v92, v76, 0 neg_lo:[1,1,0]
	s_waitcnt lgkmcnt(11)
	v_dot4_i32_iu8 v94, v94, v76, 0 neg_lo:[1,1,0]
	;; [unrolled: 2-line block ×3, first 2 shown]
	v_dot4_i32_iu8 v84, v85, v80, v84 neg_lo:[1,1,0]
	s_add_i32 s1, s1, 4
	v_dot4_i32_iu8 v85, v93, v80, v92 neg_lo:[1,1,0]
	v_dot4_i32_iu8 v92, v95, v80, v94 neg_lo:[1,1,0]
	;; [unrolled: 1-line block ×4, first 2 shown]
	s_cmp_lt_u32 s1, 12
	s_waitcnt lgkmcnt(8)
	v_dot4_i32_iu8 v84, v98, v77, v85 neg_lo:[1,1,0]
	s_waitcnt lgkmcnt(7)
	v_dot4_i32_iu8 v85, v100, v77, v92 neg_lo:[1,1,0]
	;; [unrolled: 2-line block ×3, first 2 shown]
	v_dot4_i32_iu8 v77, v87, v81, v80 neg_lo:[1,1,0]
	v_dot4_i32_iu8 v80, v99, v81, v84 neg_lo:[1,1,0]
	;; [unrolled: 1-line block ×3, first 2 shown]
	s_delay_alu instid0(VALU_DEP_4) | instskip(NEXT) | instid1(VALU_DEP_4)
	v_dot4_i32_iu8 v76, v103, v81, v76 neg_lo:[1,1,0]
	v_dot4_i32_iu8 v77, v88, v78, v77 neg_lo:[1,1,0]
	s_waitcnt lgkmcnt(5)
	v_dot4_i32_iu8 v80, v104, v78, v80 neg_lo:[1,1,0]
	s_waitcnt lgkmcnt(3)
	;; [unrolled: 2-line block ×3, first 2 shown]
	v_dot4_i32_iu8 v76, v112, v78, v76 neg_lo:[1,1,0]
	v_dot4_i32_iu8 v77, v89, v82, v77 neg_lo:[1,1,0]
	v_mul_f32_e32 v78, v116, v117
	v_dot4_i32_iu8 v80, v105, v82, v80 neg_lo:[1,1,0]
	v_dot4_i32_iu8 v81, v109, v82, v81 neg_lo:[1,1,0]
	v_dot4_i32_iu8 v76, v113, v82, v76 neg_lo:[1,1,0]
	v_mul_f32_e32 v82, v116, v118
	v_dot4_i32_iu8 v77, v90, v79, v77 neg_lo:[1,1,0]
	v_dot4_i32_iu8 v80, v106, v79, v80 neg_lo:[1,1,0]
	;; [unrolled: 1-line block ×3, first 2 shown]
	s_waitcnt lgkmcnt(0)
	v_dot4_i32_iu8 v76, v114, v79, v76 neg_lo:[1,1,0]
	v_mul_f32_e32 v79, v116, v119
	v_dot4_i32_iu8 v77, v91, v83, v77 neg_lo:[1,1,0]
	v_dot4_i32_iu8 v80, v107, v83, v80 neg_lo:[1,1,0]
	;; [unrolled: 1-line block ×4, first 2 shown]
	v_mul_f32_e32 v83, v116, v120
	v_cvt_f32_i32_e32 v77, v77
	v_cvt_f32_i32_e32 v80, v80
	;; [unrolled: 1-line block ×4, first 2 shown]
	v_add_nc_u32_e32 v71, 32, v71
	v_add_nc_u32_e32 v19, 4, v19
	v_fmac_f32_e32 v23, v78, v77
	v_fmac_f32_e32 v49, v82, v80
	;; [unrolled: 1-line block ×4, first 2 shown]
	s_cbranch_scc1 .LBB182_12
; %bb.13:                               ;   in Loop: Header=BB182_5 Depth=1
	s_bitset1_b32 s6, 7
	s_delay_alu instid0(SALU_CYCLE_1)
	s_cmp_ge_i32 s6, s5
	s_barrier
	buffer_gl0_inv
	s_cbranch_scc1 .LBB182_4
; %bb.14:                               ;   in Loop: Header=BB182_5 Depth=1
	v_add_nc_u32_e32 v19, s18, v53
	s_delay_alu instid0(VALU_DEP_1) | instskip(NEXT) | instid1(VALU_DEP_1)
	v_cmp_gt_i32_e64 s1, s8, v19
	s_and_b32 s6, s0, s1
	s_delay_alu instid0(SALU_CYCLE_1)
	s_and_saveexec_b32 s1, s6
	s_cbranch_execz .LBB182_16
; %bb.15:                               ;   in Loop: Header=BB182_5 Depth=1
	v_add_nc_u32_e32 v71, v54, v19
	s_delay_alu instid0(VALU_DEP_1)
	v_mad_i64_i32 v[19:20], null, v71, 36, v[17:18]
	global_load_b32 v19, v[19:20], off offset:4
	s_waitcnt vmcnt(0)
	ds_store_b32 v50, v19
.LBB182_16:                             ;   in Loop: Header=BB182_5 Depth=1
	s_or_b32 exec_lo, exec_lo, s1
	s_and_saveexec_b32 s6, vcc_lo
	s_cbranch_execz .LBB182_19
; %bb.17:                               ;   in Loop: Header=BB182_5 Depth=1
	v_or_b32_e32 v19, s18, v22
	s_delay_alu instid0(VALU_DEP_1) | instskip(NEXT) | instid1(VALU_DEP_1)
	v_or_b32_e32 v20, 4, v19
	v_cmp_gt_i32_e64 s1, s8, v20
	s_delay_alu instid0(VALU_DEP_1) | instskip(NEXT) | instid1(SALU_CYCLE_1)
	s_and_b32 s1, s0, s1
	s_and_b32 exec_lo, exec_lo, s1
	s_cbranch_execz .LBB182_19
; %bb.18:                               ;   in Loop: Header=BB182_5 Depth=1
	v_ashrrev_i32_e32 v20, 31, v19
	v_add_co_u32 v71, s1, v54, v19
	s_delay_alu instid0(VALU_DEP_1) | instskip(NEXT) | instid1(VALU_DEP_2)
	v_add_co_ci_u32_e64 v72, s1, v55, v20, s1
	v_mad_u64_u32 v[19:20], null, v71, 36, s[14:15]
	s_delay_alu instid0(VALU_DEP_1)
	v_mad_i32_i24 v20, v72, 36, v20
	global_load_b32 v19, v[19:20], off
	s_waitcnt vmcnt(0)
	v_cvt_f32_f16_e32 v19, v19
	ds_store_b32 v51, v19
.LBB182_19:                             ;   in Loop: Header=BB182_5 Depth=1
	s_or_b32 exec_lo, exec_lo, s6
	v_dual_mov_b32 v19, v61 :: v_dual_mov_b32 v20, v60
	v_dual_mov_b32 v71, v66 :: v_dual_mov_b32 v72, v65
	;; [unrolled: 1-line block ×3, first 2 shown]
	v_mov_b32_e32 v75, v62
	s_mov_b32 s1, 12
	s_waitcnt lgkmcnt(0)
	s_barrier
	buffer_gl0_inv
.LBB182_20:                             ;   Parent Loop BB182_5 Depth=1
                                        ; =>  This Inner Loop Header: Depth=2
	ds_load_b128 v[76:79], v20
	ds_load_b32 v116, v19
	ds_load_b128 v[80:83], v20 offset:16
	ds_load_2addr_b32 v[84:85], v71 offset1:1
	ds_load_2addr_b32 v[86:87], v71 offset0:2 offset1:3
	ds_load_2addr_b32 v[88:89], v71 offset0:4 offset1:5
	ds_load_b32 v117, v72
	ds_load_2addr_b32 v[90:91], v71 offset0:6 offset1:7
	v_add_nc_u32_e32 v92, 0x2080, v71
	v_add_nc_u32_e32 v94, 0x4100, v71
	;; [unrolled: 1-line block ×3, first 2 shown]
	ds_load_b32 v118, v73
	ds_load_b32 v119, v74
	ds_load_2addr_b32 v[92:93], v92 offset1:1
	ds_load_2addr_b32 v[94:95], v94 offset1:1
	;; [unrolled: 1-line block ×3, first 2 shown]
	ds_load_b32 v120, v75
	v_add_nc_u32_e32 v98, 0x2088, v71
	v_add_nc_u32_e32 v100, 0x4108, v71
	;; [unrolled: 1-line block ×9, first 2 shown]
	ds_load_2addr_b32 v[98:99], v98 offset1:1
	ds_load_2addr_b32 v[100:101], v100 offset1:1
	;; [unrolled: 1-line block ×9, first 2 shown]
	v_add_nc_u32_e32 v75, 4, v75
	s_waitcnt lgkmcnt(19)
	v_dot4_i32_iu8 v84, v84, v76, 0 neg_lo:[1,1,0]
	v_add_nc_u32_e32 v74, 4, v74
	v_add_nc_u32_e32 v73, 4, v73
	;; [unrolled: 1-line block ×4, first 2 shown]
	s_waitcnt lgkmcnt(12)
	v_dot4_i32_iu8 v92, v92, v76, 0 neg_lo:[1,1,0]
	s_waitcnt lgkmcnt(11)
	v_dot4_i32_iu8 v94, v94, v76, 0 neg_lo:[1,1,0]
	;; [unrolled: 2-line block ×3, first 2 shown]
	v_dot4_i32_iu8 v84, v85, v80, v84 neg_lo:[1,1,0]
	s_add_i32 s1, s1, 4
	v_dot4_i32_iu8 v85, v93, v80, v92 neg_lo:[1,1,0]
	v_dot4_i32_iu8 v92, v95, v80, v94 neg_lo:[1,1,0]
	;; [unrolled: 1-line block ×4, first 2 shown]
	s_cmp_lt_u32 s1, 28
	s_waitcnt lgkmcnt(8)
	v_dot4_i32_iu8 v84, v98, v77, v85 neg_lo:[1,1,0]
	s_waitcnt lgkmcnt(7)
	v_dot4_i32_iu8 v85, v100, v77, v92 neg_lo:[1,1,0]
	;; [unrolled: 2-line block ×3, first 2 shown]
	v_dot4_i32_iu8 v77, v87, v81, v80 neg_lo:[1,1,0]
	v_dot4_i32_iu8 v80, v99, v81, v84 neg_lo:[1,1,0]
	;; [unrolled: 1-line block ×3, first 2 shown]
	s_delay_alu instid0(VALU_DEP_4) | instskip(NEXT) | instid1(VALU_DEP_4)
	v_dot4_i32_iu8 v76, v103, v81, v76 neg_lo:[1,1,0]
	v_dot4_i32_iu8 v77, v88, v78, v77 neg_lo:[1,1,0]
	s_waitcnt lgkmcnt(5)
	v_dot4_i32_iu8 v80, v104, v78, v80 neg_lo:[1,1,0]
	s_waitcnt lgkmcnt(3)
	;; [unrolled: 2-line block ×3, first 2 shown]
	v_dot4_i32_iu8 v76, v112, v78, v76 neg_lo:[1,1,0]
	v_dot4_i32_iu8 v77, v89, v82, v77 neg_lo:[1,1,0]
	v_mul_f32_e32 v78, v116, v117
	v_dot4_i32_iu8 v80, v105, v82, v80 neg_lo:[1,1,0]
	v_dot4_i32_iu8 v81, v109, v82, v81 neg_lo:[1,1,0]
	;; [unrolled: 1-line block ×3, first 2 shown]
	v_mul_f32_e32 v82, v116, v118
	v_dot4_i32_iu8 v77, v90, v79, v77 neg_lo:[1,1,0]
	v_dot4_i32_iu8 v80, v106, v79, v80 neg_lo:[1,1,0]
	v_dot4_i32_iu8 v81, v110, v79, v81 neg_lo:[1,1,0]
	s_waitcnt lgkmcnt(0)
	v_dot4_i32_iu8 v76, v114, v79, v76 neg_lo:[1,1,0]
	v_mul_f32_e32 v79, v116, v119
	v_dot4_i32_iu8 v77, v91, v83, v77 neg_lo:[1,1,0]
	v_dot4_i32_iu8 v80, v107, v83, v80 neg_lo:[1,1,0]
	;; [unrolled: 1-line block ×4, first 2 shown]
	v_mul_f32_e32 v83, v116, v120
	v_cvt_f32_i32_e32 v77, v77
	v_cvt_f32_i32_e32 v80, v80
	;; [unrolled: 1-line block ×4, first 2 shown]
	v_add_nc_u32_e32 v71, 32, v71
	v_add_nc_u32_e32 v19, 4, v19
	v_fmac_f32_e32 v23, v78, v77
	v_fmac_f32_e32 v49, v82, v80
	;; [unrolled: 1-line block ×4, first 2 shown]
	s_cbranch_scc1 .LBB182_20
; %bb.21:                               ;   in Loop: Header=BB182_5 Depth=1
	s_barrier
	buffer_gl0_inv
	s_branch .LBB182_4
.LBB182_22:
	s_mul_i32 s0, s10, s7
	s_waitcnt vmcnt(0)
	v_cmp_gt_i32_e32 vcc_lo, s0, v21
	s_and_saveexec_b32 s0, vcc_lo
	s_cbranch_execz .LBB182_31
; %bb.23:
	v_mul_lo_u32 v0, v21, s9
	v_add_nc_u32_e32 v1, s11, v22
	s_mov_b32 s0, exec_lo
	s_delay_alu instid0(VALU_DEP_1)
	v_cmpx_gt_u32_e64 s9, v1
	s_cbranch_execz .LBB182_25
; %bb.24:
	s_delay_alu instid0(VALU_DEP_3) | instskip(NEXT) | instid1(VALU_DEP_1)
	v_dual_mov_b32 v3, 0 :: v_dual_add_nc_u32 v2, v0, v1
	v_lshlrev_b64 v[2:3], 2, v[2:3]
	s_delay_alu instid0(VALU_DEP_1) | instskip(NEXT) | instid1(VALU_DEP_2)
	v_add_co_u32 v2, vcc_lo, s12, v2
	v_add_co_ci_u32_e32 v3, vcc_lo, s13, v3, vcc_lo
	global_store_b32 v[2:3], v23, off
.LBB182_25:
	s_or_b32 exec_lo, exec_lo, s0
	v_add_nc_u32_e32 v2, 32, v1
	s_mov_b32 s0, exec_lo
	s_delay_alu instid0(VALU_DEP_1)
	v_cmpx_gt_u32_e64 s9, v2
	s_cbranch_execz .LBB182_27
; %bb.26:
	v_dual_mov_b32 v3, 0 :: v_dual_add_nc_u32 v2, v0, v2
	s_delay_alu instid0(VALU_DEP_1) | instskip(NEXT) | instid1(VALU_DEP_1)
	v_lshlrev_b64 v[2:3], 2, v[2:3]
	v_add_co_u32 v2, vcc_lo, s12, v2
	s_delay_alu instid0(VALU_DEP_2)
	v_add_co_ci_u32_e32 v3, vcc_lo, s13, v3, vcc_lo
	global_store_b32 v[2:3], v49, off
.LBB182_27:
	s_or_b32 exec_lo, exec_lo, s0
	v_add_nc_u32_e32 v2, 64, v1
	s_mov_b32 s0, exec_lo
	s_delay_alu instid0(VALU_DEP_1)
	v_cmpx_gt_u32_e64 s9, v2
	s_cbranch_execz .LBB182_29
; %bb.28:
	v_dual_mov_b32 v3, 0 :: v_dual_add_nc_u32 v2, v0, v2
	s_delay_alu instid0(VALU_DEP_1) | instskip(NEXT) | instid1(VALU_DEP_1)
	v_lshlrev_b64 v[2:3], 2, v[2:3]
	v_add_co_u32 v2, vcc_lo, s12, v2
	s_delay_alu instid0(VALU_DEP_2)
	v_add_co_ci_u32_e32 v3, vcc_lo, s13, v3, vcc_lo
	global_store_b32 v[2:3], v46, off
.LBB182_29:
	s_or_b32 exec_lo, exec_lo, s0
	v_add_nc_u32_e32 v1, 0x60, v1
	s_delay_alu instid0(VALU_DEP_1)
	v_cmp_gt_u32_e32 vcc_lo, s9, v1
	s_and_b32 exec_lo, exec_lo, vcc_lo
	s_cbranch_execz .LBB182_31
; %bb.30:
	v_dual_mov_b32 v1, 0 :: v_dual_add_nc_u32 v0, v0, v1
	s_delay_alu instid0(VALU_DEP_1) | instskip(NEXT) | instid1(VALU_DEP_1)
	v_lshlrev_b64 v[0:1], 2, v[0:1]
	v_add_co_u32 v0, vcc_lo, s12, v0
	s_delay_alu instid0(VALU_DEP_2)
	v_add_co_ci_u32_e32 v1, vcc_lo, s13, v1, vcc_lo
	global_store_b32 v[0:1], v14, off
.LBB182_31:
	s_nop 0
	s_sendmsg sendmsg(MSG_DEALLOC_VGPRS)
	s_endpgm
	.section	.rodata,"a",@progbits
	.p2align	6, 0x0
	.amdhsa_kernel _ZL8moe_q5_0IfLb1EEvPKvS1_PT_PKiS5_S5_iiiiiii
		.amdhsa_group_segment_fixed_size 38656
		.amdhsa_private_segment_fixed_size 0
		.amdhsa_kernarg_size 76
		.amdhsa_user_sgpr_count 14
		.amdhsa_user_sgpr_dispatch_ptr 0
		.amdhsa_user_sgpr_queue_ptr 0
		.amdhsa_user_sgpr_kernarg_segment_ptr 1
		.amdhsa_user_sgpr_dispatch_id 0
		.amdhsa_user_sgpr_private_segment_size 0
		.amdhsa_wavefront_size32 1
		.amdhsa_uses_dynamic_stack 0
		.amdhsa_enable_private_segment 0
		.amdhsa_system_sgpr_workgroup_id_x 1
		.amdhsa_system_sgpr_workgroup_id_y 1
		.amdhsa_system_sgpr_workgroup_id_z 0
		.amdhsa_system_sgpr_workgroup_info 0
		.amdhsa_system_vgpr_workitem_id 1
		.amdhsa_next_free_vgpr 142
		.amdhsa_next_free_sgpr 21
		.amdhsa_reserve_vcc 1
		.amdhsa_float_round_mode_32 0
		.amdhsa_float_round_mode_16_64 0
		.amdhsa_float_denorm_mode_32 3
		.amdhsa_float_denorm_mode_16_64 3
		.amdhsa_dx10_clamp 1
		.amdhsa_ieee_mode 1
		.amdhsa_fp16_overflow 0
		.amdhsa_workgroup_processor_mode 1
		.amdhsa_memory_ordered 1
		.amdhsa_forward_progress 0
		.amdhsa_shared_vgpr_count 0
		.amdhsa_exception_fp_ieee_invalid_op 0
		.amdhsa_exception_fp_denorm_src 0
		.amdhsa_exception_fp_ieee_div_zero 0
		.amdhsa_exception_fp_ieee_overflow 0
		.amdhsa_exception_fp_ieee_underflow 0
		.amdhsa_exception_fp_ieee_inexact 0
		.amdhsa_exception_int_div_zero 0
	.end_amdhsa_kernel
	.section	.text._ZL8moe_q5_0IfLb1EEvPKvS1_PT_PKiS5_S5_iiiiiii,"axG",@progbits,_ZL8moe_q5_0IfLb1EEvPKvS1_PT_PKiS5_S5_iiiiiii,comdat
.Lfunc_end182:
	.size	_ZL8moe_q5_0IfLb1EEvPKvS1_PT_PKiS5_S5_iiiiiii, .Lfunc_end182-_ZL8moe_q5_0IfLb1EEvPKvS1_PT_PKiS5_S5_iiiiiii
                                        ; -- End function
	.section	.AMDGPU.csdata,"",@progbits
; Kernel info:
; codeLenInByte = 11148
; NumSgprs: 23
; NumVgprs: 142
; ScratchSize: 0
; MemoryBound: 0
; FloatMode: 240
; IeeeMode: 1
; LDSByteSize: 38656 bytes/workgroup (compile time only)
; SGPRBlocks: 2
; VGPRBlocks: 17
; NumSGPRsForWavesPerEU: 23
; NumVGPRsForWavesPerEU: 142
; Occupancy: 6
; WaveLimiterHint : 1
; COMPUTE_PGM_RSRC2:SCRATCH_EN: 0
; COMPUTE_PGM_RSRC2:USER_SGPR: 14
; COMPUTE_PGM_RSRC2:TRAP_HANDLER: 0
; COMPUTE_PGM_RSRC2:TGID_X_EN: 1
; COMPUTE_PGM_RSRC2:TGID_Y_EN: 1
; COMPUTE_PGM_RSRC2:TGID_Z_EN: 0
; COMPUTE_PGM_RSRC2:TIDIG_COMP_CNT: 1
	.section	.text._ZL8moe_q5_1IfLb0EEvPKvS1_PT_PKiS5_S5_iiiiiii,"axG",@progbits,_ZL8moe_q5_1IfLb0EEvPKvS1_PT_PKiS5_S5_iiiiiii,comdat
	.globl	_ZL8moe_q5_1IfLb0EEvPKvS1_PT_PKiS5_S5_iiiiiii ; -- Begin function _ZL8moe_q5_1IfLb0EEvPKvS1_PT_PKiS5_S5_iiiiiii
	.p2align	8
	.type	_ZL8moe_q5_1IfLb0EEvPKvS1_PT_PKiS5_S5_iiiiiii,@function
_ZL8moe_q5_1IfLb0EEvPKvS1_PT_PKiS5_S5_iiiiiii: ; @_ZL8moe_q5_1IfLb0EEvPKvS1_PT_PKiS5_S5_iiiiiii
; %bb.0:
	s_load_b128 s[4:7], s[0:1], 0x18
	s_mov_b32 s2, s15
	s_mov_b32 s3, 0
	s_delay_alu instid0(SALU_CYCLE_1)
	s_lshl_b64 s[8:9], s[2:3], 2
	s_waitcnt lgkmcnt(0)
	s_add_u32 s6, s6, s8
	s_addc_u32 s7, s7, s9
	s_load_b32 s12, s[6:7], 0x0
	s_waitcnt lgkmcnt(0)
	s_cmpk_gt_u32 s12, 0xff
	s_cbranch_scc1 .LBB183_31
; %bb.1:
	s_load_b64 s[6:7], s[0:1], 0x28
	s_lshl_b32 s2, s2, 3
	s_waitcnt lgkmcnt(0)
	s_load_b32 s3, s[6:7], 0x0
	s_waitcnt lgkmcnt(0)
	s_cmp_gt_u32 s2, s3
	s_cbranch_scc1 .LBB183_31
; %bb.2:
	v_bfe_u32 v3, v0, 10, 10
	v_mov_b32_e32 v2, 0
	s_lshl_b32 s16, s14, 7
	s_mov_b32 s17, 0
	s_delay_alu instid0(VALU_DEP_2) | instskip(NEXT) | instid1(VALU_DEP_2)
	v_add_nc_u32_e32 v1, s2, v3
	v_dual_mov_b32 v49, v2 :: v_dual_and_b32 v6, 0x3ff, v0
	v_mov_b32_e32 v42, v2
	v_mov_b32_e32 v7, v2
	s_delay_alu instid0(VALU_DEP_4) | instskip(NEXT) | instid1(VALU_DEP_1)
	v_lshlrev_b64 v[4:5], 2, v[1:2]
	v_add_co_u32 v4, vcc_lo, s4, v4
	s_delay_alu instid0(VALU_DEP_2)
	v_add_co_ci_u32_e32 v5, vcc_lo, s5, v5, vcc_lo
	global_load_b32 v5, v[4:5], off
	s_clause 0x2
	s_load_b64 s[10:11], s[0:1], 0x30
	s_load_b64 s[8:9], s[0:1], 0x10
	s_load_b128 s[4:7], s[0:1], 0x3c
	s_waitcnt lgkmcnt(0)
	s_cmp_lt_i32 s11, 32
	s_cbranch_scc1 .LBB183_22
; %bb.3:
	s_load_b128 s[0:3], s[0:1], 0x0
	s_ashr_i32 s13, s11, 31
	s_ashr_i32 s14, s5, 31
	s_mul_i32 s12, s12, s10
	s_lshr_b32 s10, s13, 27
	s_lshr_b32 s13, s14, 27
	s_add_i32 s15, s11, s10
	s_add_i32 s10, s5, s13
	s_ashr_i32 s5, s15, 5
	s_ashr_i32 s14, s12, 31
	s_mul_i32 s13, s5, s16
	s_ashr_i32 s10, s10, 5
	s_mul_hi_i32 s19, s13, 24
	s_mul_i32 s13, s13, 24
	v_lshlrev_b32_e32 v1, 3, v6
	s_waitcnt vmcnt(0)
	v_sub_nc_u32_e32 v17, 0, v5
	v_dual_mov_b32 v7, 0 :: v_dual_lshlrev_b32 v0, 2, v6
	v_lshrrev_b32_e32 v12, 3, v6
	v_mad_u32_u24 v15, 0x104, v3, v1
	s_waitcnt lgkmcnt(0)
	s_add_u32 s0, s0, s12
	s_addc_u32 s1, s1, s14
	s_add_u32 s18, s0, s13
	s_addc_u32 s19, s1, s19
	s_abs_i32 s1, s7
	v_max_i32_e32 v47, v5, v17
	v_cvt_f32_u32_e32 v4, s1
	s_sub_i32 s12, 0, s1
	v_and_b32_e32 v52, 31, v6
	v_lshlrev_b32_e32 v60, 7, v3
	v_mul_lo_u32 v9, s5, v3
	v_rcp_iflag_f32_e32 v1, v4
	v_and_b32_e32 v10, 7, v6
	s_lshl_b32 s0, s5, 3
	v_lshl_or_b32 v52, v52, 2, v60
	v_add_nc_u32_e32 v55, 64, v6
	v_add_nc_u32_e32 v57, 0x60, v6
	v_lshlrev_b32_e32 v58, 5, v6
	v_add_nc_u32_e32 v11, s0, v9
	v_and_b32_e32 v59, 0xfc, v6
	v_and_b32_e32 v55, 0x1fc, v55
	v_dual_mul_f32 v1, 0x4f7ffffe, v1 :: v_dual_lshlrev_b32 v42, 2, v10
	v_and_b32_e32 v57, 0x1fc, v57
	s_delay_alu instid0(VALU_DEP_4) | instskip(NEXT) | instid1(VALU_DEP_4)
	v_add_nc_u32_e32 v65, v58, v59
	v_add_nc_u32_e32 v63, v58, v55
	s_delay_alu instid0(VALU_DEP_4)
	v_cvt_u32_f32_e32 v1, v1
	s_and_not1_b32 s15, s15, 31
	v_add_nc_u32_e32 v62, v58, v57
	v_lshrrev_b32_e32 v8, 2, v6
	v_add_nc_u32_e32 v17, 0x820, v15
	v_mul_lo_u32 v37, s12, v1
	v_add_nc_u32_e32 v19, 0x1040, v15
	v_add_nc_u32_e32 v20, 0x1860, v15
	;; [unrolled: 1-line block ×7, first 2 shown]
	v_mul_hi_u32 v40, v1, v37
	v_add_nc_u32_e32 v28, 0x4920, v15
	v_add_nc_u32_e32 v30, 0x5140, v15
	;; [unrolled: 1-line block ×11, first 2 shown]
	v_lshl_add_u32 v61, v3, 4, 0x9680
	v_mul_hi_u32 v1, v47, v1
	v_add_nc_u32_e32 v63, 0x8a10, v63
	v_add_nc_u32_e32 v65, 0x8210, v65
	s_add_u32 s12, s2, 0x90
	s_addc_u32 s13, s3, 0
	s_delay_alu instid0(VALU_DEP_3) | instskip(SKIP_1) | instid1(VALU_DEP_2)
	v_mul_lo_u32 v50, v1, s1
	v_add_nc_u32_e32 v51, 1, v1
	v_sub_nc_u32_e32 v50, v47, v50
	s_delay_alu instid0(VALU_DEP_1) | instskip(SKIP_3) | instid1(VALU_DEP_4)
	v_subrev_nc_u32_e32 v53, s1, v50
	v_cmp_le_u32_e32 vcc_lo, s1, v50
	v_and_b32_e32 v14, 12, v0
	v_dual_cndmask_b32 v1, v1, v51 :: v_dual_and_b32 v0, 28, v0
	v_cndmask_b32_e32 v50, v50, v53, vcc_lo
	v_xor_b32_e32 v51, s7, v5
	s_delay_alu instid0(VALU_DEP_3) | instskip(NEXT) | instid1(VALU_DEP_3)
	v_add_nc_u32_e32 v53, 1, v1
	v_cmp_le_u32_e32 vcc_lo, s1, v50
	v_lshlrev_b32_e32 v2, 2, v3
	s_delay_alu instid0(VALU_DEP_4) | instskip(SKIP_2) | instid1(VALU_DEP_3)
	v_ashrrev_i32_e32 v54, 31, v51
	v_add_nc_u32_e32 v50, 0x9280, v52
	s_movk_i32 s1, 0x80
	v_dual_cndmask_b32 v51, v1, v53 :: v_dual_add_nc_u32 v4, v12, v2
	v_or_b32_e32 v2, v2, v6
	v_cmp_gt_u32_e32 vcc_lo, 4, v6
	v_mad_u32_u24 v66, 0x104, v6, s1
	s_delay_alu instid0(VALU_DEP_4)
	v_xor_b32_e32 v52, v51, v54
	v_mul_lo_u32 v37, s5, v4
	v_and_b32_e32 v41, 0x1ffc, v4
	v_lshlrev_b32_e32 v49, 5, v4
	v_add_nc_u32_e32 v43, 32, v4
	v_add_nc_u32_e32 v44, 64, v4
	;; [unrolled: 1-line block ×3, first 2 shown]
	v_lshl_add_u32 v51, v2, 2, 0x9680
	v_add_nc_u32_e32 v2, 32, v6
	v_and_b32_e32 v45, 0x3ffc, v43
	v_and_b32_e32 v46, 0x3ffc, v44
	;; [unrolled: 1-line block ×3, first 2 shown]
	v_add3_u32 v67, v41, v42, 0x8200
	v_lshlrev_b32_e32 v68, 5, v43
	v_lshlrev_b32_e32 v4, 5, v4
	v_add3_u32 v70, v45, v42, 0x8200
	v_add3_u32 v71, v46, v42, 0x8200
	;; [unrolled: 1-line block ×3, first 2 shown]
	v_lshrrev_b32_e32 v53, 3, v2
	v_and_b32_e32 v2, 0x1fc, v2
	v_add_nc_u32_e32 v68, v70, v68
	v_add_nc_u32_e32 v67, v67, v49
	;; [unrolled: 1-line block ×3, first 2 shown]
	v_dual_mov_b32 v42, 0 :: v_dual_add_nc_u32 v13, s0, v11
	v_dual_mov_b32 v49, 0 :: v_dual_add_nc_u32 v2, v58, v2
	v_sub_nc_u32_e32 v56, v52, v54
	v_lshlrev_b32_e32 v69, 5, v44
	v_add_nc_u32_e32 v43, s15, v37
	s_delay_alu instid0(VALU_DEP_4)
	v_add_nc_u32_e32 v58, 0x8600, v2
	v_add_nc_u32_e32 v64, 0x8610, v2
	v_mov_b32_e32 v2, 0
	v_add_nc_u32_e32 v16, s0, v13
	v_mul_lo_u32 v54, v56, s10
	v_add_nc_u32_e32 v45, s15, v43
	v_mul_u32_u24_e32 v52, 0x104, v6
	v_add_nc_u32_e32 v69, v71, v69
	v_add_nc_u32_e32 v18, s0, v16
	s_delay_alu instid0(VALU_DEP_4) | instskip(SKIP_1) | instid1(VALU_DEP_3)
	v_add_nc_u32_e32 v47, s15, v45
	v_ashrrev_i32_e32 v55, 31, v54
	v_add_nc_u32_e32 v22, s0, v18
	s_delay_alu instid0(VALU_DEP_1) | instskip(NEXT) | instid1(VALU_DEP_1)
	v_add_nc_u32_e32 v26, s0, v22
	v_add_nc_u32_e32 v29, s0, v26
	s_delay_alu instid0(VALU_DEP_1) | instskip(NEXT) | instid1(VALU_DEP_1)
	v_add_nc_u32_e32 v34, s0, v29
	;; [unrolled: 3-line block ×5, first 2 shown]
	v_add_nc_u32_e32 v48, s0, v46
	v_add_co_u32 v0, s0, s2, v0
	s_delay_alu instid0(VALU_DEP_1)
	v_add_co_ci_u32_e64 v1, null, s3, 0, s0
	v_cmp_gt_i32_e64 s0, s4, v56
	v_add_nc_u32_e32 v56, 0x8e00, v62
	v_add_nc_u32_e32 v62, 0x8e10, v62
	s_branch .LBB183_5
.LBB183_4:                              ;   in Loop: Header=BB183_5 Depth=1
	s_add_i32 s17, s17, 8
	s_delay_alu instid0(SALU_CYCLE_1)
	s_cmp_ge_i32 s17, s5
	s_cbranch_scc1 .LBB183_22
.LBB183_5:                              ; =>This Loop Header: Depth=1
                                        ;     Child Loop BB183_12 Depth 2
                                        ;     Child Loop BB183_20 Depth 2
	s_mul_i32 s1, s17, 24
	s_mul_hi_u32 s15, s17, 24
	s_add_u32 s14, s18, s1
	s_addc_u32 s15, s19, s15
	s_delay_alu instid0(SALU_CYCLE_1) | instskip(NEXT) | instid1(VALU_DEP_1)
	v_mad_u64_u32 v[3:4], null, v8, 24, s[14:15]
	v_mad_u64_u32 v[71:72], null, v9, 24, v[3:4]
	;; [unrolled: 1-line block ×5, first 2 shown]
	s_delay_alu instid0(VALU_DEP_4) | instskip(NEXT) | instid1(VALU_DEP_1)
	v_add_co_u32 v81, s1, v71, v14
	v_add_co_ci_u32_e64 v82, s1, 0, v72, s1
	s_clause 0x1
	global_load_b32 v91, v[71:72], off offset:4
	global_load_b32 v92, v[73:74], off offset:4
	v_add_co_u32 v73, s1, v73, v14
	v_mad_u64_u32 v[79:80], null, v18, 24, v[3:4]
	v_mad_u64_u32 v[71:72], null, v22, 24, v[3:4]
	v_add_co_ci_u32_e64 v74, s1, 0, v74, s1
	v_mad_u64_u32 v[83:84], null, v26, 24, v[3:4]
	v_mad_u64_u32 v[85:86], null, v29, 24, v[3:4]
	;; [unrolled: 1-line block ×4, first 2 shown]
	s_clause 0x7
	global_load_b32 v93, v[75:76], off offset:4
	global_load_b32 v94, v[77:78], off offset:4
	;; [unrolled: 1-line block ×8, first 2 shown]
	s_clause 0x1
	global_load_b32 v101, v[81:82], off offset:8
	global_load_b32 v102, v[73:74], off offset:8
	v_add_co_u32 v73, s1, v75, v14
	s_delay_alu instid0(VALU_DEP_1) | instskip(SKIP_3) | instid1(VALU_DEP_1)
	v_add_co_ci_u32_e64 v74, s1, 0, v76, s1
	v_mad_u64_u32 v[75:76], null, v44, 24, v[3:4]
	global_load_b32 v103, v[73:74], off offset:8
	v_add_co_u32 v73, s1, v77, v14
	v_add_co_ci_u32_e64 v74, s1, 0, v78, s1
	v_mad_u64_u32 v[77:78], null, v46, 24, v[3:4]
	global_load_b32 v113, v[75:76], off offset:4
	global_load_b32 v104, v[73:74], off offset:8
	v_add_co_u32 v73, s1, v79, v14
	s_delay_alu instid0(VALU_DEP_1) | instskip(SKIP_1) | instid1(VALU_DEP_1)
	v_add_co_ci_u32_e64 v74, s1, 0, v80, s1
	v_add_co_u32 v71, s1, v71, v14
	v_add_co_ci_u32_e64 v72, s1, 0, v72, s1
	global_load_b32 v105, v[73:74], off offset:8
	v_mad_u64_u32 v[79:80], null, v48, 24, v[3:4]
	global_load_b32 v106, v[71:72], off offset:8
	v_add_co_u32 v71, s1, v83, v14
	s_delay_alu instid0(VALU_DEP_1) | instskip(SKIP_3) | instid1(VALU_DEP_1)
	v_add_co_ci_u32_e64 v72, s1, 0, v84, s1
	v_mad_u64_u32 v[73:74], null, v41, 24, v[3:4]
	global_load_b32 v107, v[71:72], off offset:8
	v_add_co_u32 v71, s1, v85, v14
	v_add_co_ci_u32_e64 v72, s1, 0, v86, s1
	global_load_b32 v111, v[73:74], off offset:4
	global_load_b32 v108, v[71:72], off offset:8
	v_add_co_u32 v71, s1, v87, v14
	s_delay_alu instid0(VALU_DEP_1) | instskip(SKIP_2) | instid1(VALU_DEP_1)
	v_add_co_ci_u32_e64 v72, s1, 0, v88, s1
	global_load_b32 v87, v[71:72], off offset:8
	v_add_co_u32 v71, s1, v89, v14
	v_add_co_ci_u32_e64 v72, s1, 0, v90, s1
	global_load_b32 v88, v[71:72], off offset:8
	v_mad_u64_u32 v[71:72], null, v39, 24, v[3:4]
	global_load_b32 v89, v[71:72], off offset:4
	v_add_co_u32 v71, s1, v71, v14
	s_delay_alu instid0(VALU_DEP_1) | instskip(SKIP_4) | instid1(VALU_DEP_1)
	v_add_co_ci_u32_e64 v72, s1, 0, v72, s1
	global_load_b32 v90, v[71:72], off offset:8
	v_mad_u64_u32 v[71:72], null, v40, 24, v[3:4]
	global_load_b32 v109, v[71:72], off offset:4
	v_add_co_u32 v71, s1, v71, v14
	v_add_co_ci_u32_e64 v72, s1, 0, v72, s1
	v_add_co_u32 v73, s1, v73, v14
	s_delay_alu instid0(VALU_DEP_1)
	v_add_co_ci_u32_e64 v74, s1, 0, v74, s1
	s_clause 0x1
	global_load_b32 v110, v[71:72], off offset:8
	global_load_b32 v112, v[73:74], off offset:8
	v_mad_u64_u32 v[71:72], null, v10, 24, s[14:15]
	s_lshl_b32 s14, s17, 5
	s_delay_alu instid0(SALU_CYCLE_1) | instskip(NEXT) | instid1(VALU_DEP_1)
	s_cmp_lt_i32 s14, s11
	v_mad_u64_u32 v[3:4], null, v37, 24, v[71:72]
	v_mad_u64_u32 v[81:82], null, v43, 24, v[71:72]
	;; [unrolled: 1-line block ×4, first 2 shown]
	v_add_co_u32 v71, s1, v75, v14
	s_delay_alu instid0(VALU_DEP_1) | instskip(SKIP_1) | instid1(VALU_DEP_1)
	v_add_co_ci_u32_e64 v72, s1, 0, v76, s1
	v_add_co_u32 v73, s1, v77, v14
	v_add_co_ci_u32_e64 v74, s1, 0, v78, s1
	v_add_co_u32 v75, s1, v79, v14
	global_load_b32 v77, v[77:78], off offset:4
	v_add_co_ci_u32_e64 v76, s1, 0, v80, s1
	s_clause 0x4
	global_load_b32 v78, v[79:80], off offset:4
	global_load_b32 v3, v[3:4], off
	global_load_b32 v4, v[81:82], off
	;; [unrolled: 1-line block ×4, first 2 shown]
	s_clause 0x2
	global_load_b32 v71, v[71:72], off offset:8
	global_load_b32 v72, v[73:74], off offset:8
	;; [unrolled: 1-line block ×3, first 2 shown]
	s_waitcnt vmcnt(35)
	v_ashrrev_i32_e32 v74, v14, v91
	s_waitcnt vmcnt(34)
	v_ashrrev_i32_e32 v75, v14, v92
	s_delay_alu instid0(VALU_DEP_1)
	v_lshlrev_b32_e32 v114, 4, v75
	v_lshlrev_b32_e32 v115, 11, v75
	v_lshrrev_b32_e32 v118, 12, v75
	v_lshrrev_b32_e32 v119, 5, v75
	s_waitcnt vmcnt(33)
	v_ashrrev_i32_e32 v76, v14, v93
	s_waitcnt vmcnt(32)
	v_ashrrev_i32_e32 v81, v14, v94
	;; [unrolled: 2-line block ×7, first 2 shown]
	v_lshlrev_b32_e32 v93, 4, v74
	v_lshlrev_b32_e32 v94, 11, v74
	s_waitcnt vmcnt(25)
	v_lshrrev_b32_e32 v97, 4, v101
	v_lshrrev_b32_e32 v98, 12, v74
	;; [unrolled: 1-line block ×3, first 2 shown]
	v_and_b32_e32 v92, 0xf0f0f0f, v101
	s_waitcnt vmcnt(24)
	v_and_b32_e32 v101, 0xf0f0f0f, v102
	v_lshrrev_b32_e32 v102, 4, v102
	v_lshlrev_b32_e32 v122, 4, v76
	v_lshlrev_b32_e32 v123, 11, v76
	s_waitcnt vmcnt(23)
	v_and_b32_e32 v121, 0xf0f0f0f, v103
	v_lshrrev_b32_e32 v103, 4, v103
	v_lshrrev_b32_e32 v126, 12, v76
	;; [unrolled: 1-line block ×3, first 2 shown]
	v_lshlrev_b32_e32 v130, 4, v81
	v_lshlrev_b32_e32 v131, 11, v81
	v_lshrrev_b32_e32 v134, 12, v81
	v_lshrrev_b32_e32 v135, 5, v81
	s_waitcnt vmcnt(21)
	v_and_b32_e32 v129, 0xf0f0f0f, v104
	v_lshrrev_b32_e32 v104, 4, v104
	v_lshlrev_b32_e32 v138, 4, v82
	v_lshlrev_b32_e32 v139, 11, v82
	v_lshrrev_b32_e32 v142, 12, v82
	v_lshrrev_b32_e32 v143, 5, v82
	v_ashrrev_i32_e32 v91, v14, v100
	v_lshlrev_b32_e32 v95, 18, v74
	v_lshlrev_b32_e32 v96, 25, v74
	s_waitcnt vmcnt(20)
	v_and_b32_e32 v137, 0xf0f0f0f, v105
	v_lshrrev_b32_e32 v105, 4, v105
	v_lshlrev_b32_e32 v100, 2, v74
	v_lshlrev_b32_e32 v74, 9, v74
	s_waitcnt vmcnt(19)
	v_and_b32_e32 v145, 0xf0f0f0f, v106
	v_lshlrev_b32_e32 v146, 4, v83
	v_lshlrev_b32_e32 v147, 11, v83
	v_lshrrev_b32_e32 v106, 4, v106
	v_lshrrev_b32_e32 v150, 12, v83
	;; [unrolled: 1-line block ×3, first 2 shown]
	v_lshlrev_b32_e32 v154, 4, v84
	s_waitcnt vmcnt(18)
	v_and_b32_e32 v153, 0xf0f0f0f, v107
	v_lshlrev_b32_e32 v155, 11, v84
	v_lshrrev_b32_e32 v107, 4, v107
	v_lshrrev_b32_e32 v158, 12, v84
	v_lshrrev_b32_e32 v159, 5, v84
	v_and_b32_e32 v93, 16, v93
	v_and_b32_e32 v94, 0x1000, v94
	v_and_b32_e32 v97, 0xf0f0f0f, v97
	v_and_b32_e32 v98, 16, v98
	v_and_b32_e32 v99, 0x1000, v99
	v_lshlrev_b32_e32 v116, 18, v75
	v_lshlrev_b32_e32 v117, 25, v75
	v_lshlrev_b32_e32 v120, 2, v75
	v_lshlrev_b32_e32 v75, 9, v75
	v_and_b32_e32 v114, 16, v114
	v_and_b32_e32 v115, 0x1000, v115
	v_and_b32_e32 v102, 0xf0f0f0f, v102
	v_and_b32_e32 v118, 16, v118
	v_and_b32_e32 v119, 0x1000, v119
	v_lshlrev_b32_e32 v124, 18, v76
	v_lshlrev_b32_e32 v125, 25, v76
	v_lshlrev_b32_e32 v128, 2, v76
	v_lshlrev_b32_e32 v76, 9, v76
	;; [unrolled: 9-line block ×5, first 2 shown]
	v_lshlrev_b32_e32 v156, 18, v84
	v_lshlrev_b32_e32 v157, 25, v84
	;; [unrolled: 1-line block ×4, first 2 shown]
	v_and_b32_e32 v95, 0x100000, v95
	v_and_b32_e32 v96, 0x10000000, v96
	;; [unrolled: 1-line block ×14, first 2 shown]
	v_or3_b32 v92, v93, v92, v94
	v_or3_b32 v93, v98, v97, v99
	v_and_b32_e32 v116, 0x100000, v116
	v_and_b32_e32 v117, 0x10000000, v117
	v_and_b32_e32 v120, 0x100000, v120
	v_and_b32_e32 v75, 0x10000000, v75
	v_or3_b32 v94, v114, v101, v115
	v_or3_b32 v97, v118, v102, v119
	v_and_b32_e32 v124, 0x100000, v124
	v_and_b32_e32 v125, 0x10000000, v125
	v_and_b32_e32 v128, 0x100000, v128
	v_and_b32_e32 v76, 0x10000000, v76
	;; [unrolled: 6-line block ×4, first 2 shown]
	v_or3_b32 v103, v138, v137, v139
	v_or3_b32 v104, v142, v105, v143
	s_waitcnt vmcnt(15)
	v_and_b32_e32 v169, 0xf0f0f0f, v87
	v_lshrrev_b32_e32 v87, 4, v87
	v_lshrrev_b32_e32 v174, 12, v86
	;; [unrolled: 1-line block ×3, first 2 shown]
	v_and_b32_e32 v148, 0x100000, v148
	v_and_b32_e32 v149, 0x10000000, v149
	;; [unrolled: 1-line block ×8, first 2 shown]
	v_or3_b32 v105, v146, v145, v147
	v_or3_b32 v106, v150, v106, v151
	;; [unrolled: 1-line block ×14, first 2 shown]
	v_and_b32_e32 v161, 0xf0f0f0f, v108
	v_lshlrev_b32_e32 v162, 4, v85
	v_lshlrev_b32_e32 v163, 11, v85
	v_lshrrev_b32_e32 v108, 4, v108
	v_lshrrev_b32_e32 v166, 12, v85
	;; [unrolled: 1-line block ×3, first 2 shown]
	v_lshlrev_b32_e32 v170, 4, v86
	v_lshlrev_b32_e32 v171, 11, v86
	v_lshlrev_b32_e32 v172, 18, v86
	v_lshlrev_b32_e32 v173, 25, v86
	v_lshlrev_b32_e32 v176, 2, v86
	v_lshlrev_b32_e32 v86, 9, v86
	v_and_b32_e32 v87, 0xf0f0f0f, v87
	v_and_b32_e32 v174, 16, v174
	;; [unrolled: 1-line block ×3, first 2 shown]
	v_or3_b32 v97, v105, v148, v149
	v_or3_b32 v83, v106, v152, v83
	;; [unrolled: 1-line block ×4, first 2 shown]
	ds_store_2addr_b32 v15, v92, v74 offset1:1
	ds_store_2addr_b32 v17, v93, v75 offset1:1
	;; [unrolled: 1-line block ×7, first 2 shown]
	v_lshlrev_b32_e32 v75, 4, v91
	v_lshlrev_b32_e32 v76, 11, v91
	;; [unrolled: 1-line block ×6, first 2 shown]
	v_and_b32_e32 v162, 16, v162
	v_and_b32_e32 v163, 0x1000, v163
	;; [unrolled: 1-line block ×5, first 2 shown]
	v_or3_b32 v74, v174, v87, v175
	v_and_b32_e32 v81, 0x100000, v176
	v_and_b32_e32 v82, 0x10000000, v86
	s_waitcnt vmcnt(14)
	v_and_b32_e32 v83, 0xf0f0f0f, v88
	v_and_b32_e32 v75, 16, v75
	;; [unrolled: 1-line block ×7, first 2 shown]
	v_or3_b32 v115, v162, v161, v163
	v_or3_b32 v108, v166, v108, v167
	;; [unrolled: 1-line block ×4, first 2 shown]
	v_lshrrev_b32_e32 v76, 4, v88
	v_lshrrev_b32_e32 v82, 12, v91
	;; [unrolled: 1-line block ×3, first 2 shown]
	v_and_b32_e32 v170, 16, v170
	v_and_b32_e32 v171, 0x1000, v171
	v_or3_b32 v99, v115, v164, v165
	v_or3_b32 v85, v108, v168, v85
	v_and_b32_e32 v76, 0xf0f0f0f, v76
	v_and_b32_e32 v82, 16, v82
	;; [unrolled: 1-line block ×3, first 2 shown]
	s_waitcnt vmcnt(13)
	v_ashrrev_i32_e32 v86, v14, v89
	v_and_b32_e32 v172, 0x100000, v172
	v_and_b32_e32 v173, 0x10000000, v173
	v_or3_b32 v118, v170, v169, v171
	ds_store_2addr_b32 v25, v99, v85 offset1:1
	v_lshlrev_b32_e32 v81, 18, v91
	v_lshlrev_b32_e32 v85, 25, v91
	v_or3_b32 v76, v82, v76, v83
	v_lshlrev_b32_e32 v82, 4, v86
	v_lshlrev_b32_e32 v83, 11, v86
	v_or3_b32 v84, v118, v172, v173
	v_and_b32_e32 v81, 0x100000, v81
	v_and_b32_e32 v85, 0x10000000, v85
	v_lshlrev_b32_e32 v87, 2, v91
	v_lshlrev_b32_e32 v88, 9, v91
	s_waitcnt vmcnt(12)
	v_and_b32_e32 v89, 0xf0f0f0f, v90
	v_and_b32_e32 v82, 16, v82
	;; [unrolled: 1-line block ×5, first 2 shown]
	ds_store_2addr_b32 v27, v84, v74 offset1:1
	v_or3_b32 v74, v75, v81, v85
	v_or3_b32 v81, v82, v89, v83
	v_lshrrev_b32_e32 v82, 4, v90
	v_lshrrev_b32_e32 v83, 12, v86
	;; [unrolled: 1-line block ×3, first 2 shown]
	v_or3_b32 v75, v76, v87, v88
	s_waitcnt vmcnt(11)
	v_ashrrev_i32_e32 v87, v14, v109
	v_and_b32_e32 v82, 0xf0f0f0f, v82
	v_and_b32_e32 v83, 16, v83
	;; [unrolled: 1-line block ×3, first 2 shown]
	v_lshlrev_b32_e32 v76, 18, v86
	v_lshlrev_b32_e32 v85, 25, v86
	;; [unrolled: 1-line block ×4, first 2 shown]
	v_or3_b32 v82, v83, v82, v84
	v_lshlrev_b32_e32 v83, 4, v87
	v_lshlrev_b32_e32 v84, 11, v87
	v_and_b32_e32 v76, 0x100000, v76
	v_and_b32_e32 v85, 0x10000000, v85
	;; [unrolled: 1-line block ×4, first 2 shown]
	s_waitcnt vmcnt(10)
	v_and_b32_e32 v89, 0xf0f0f0f, v110
	v_and_b32_e32 v83, 16, v83
	;; [unrolled: 1-line block ×3, first 2 shown]
	ds_store_2addr_b32 v28, v74, v75 offset1:1
	v_or3_b32 v74, v81, v76, v85
	v_or3_b32 v75, v82, v88, v86
	v_lshrrev_b32_e32 v82, 4, v110
	v_or3_b32 v81, v83, v89, v84
	v_lshrrev_b32_e32 v83, 12, v87
	v_lshrrev_b32_e32 v84, 5, v87
	v_ashrrev_i32_e32 v86, v14, v111
	v_and_b32_e32 v82, 0xf0f0f0f, v82
	v_lshlrev_b32_e32 v76, 18, v87
	v_and_b32_e32 v83, 16, v83
	v_and_b32_e32 v84, 0x1000, v84
	v_lshlrev_b32_e32 v85, 25, v87
	v_lshlrev_b32_e32 v88, 2, v87
	;; [unrolled: 1-line block ×3, first 2 shown]
	v_and_b32_e32 v76, 0x100000, v76
	v_or3_b32 v82, v83, v82, v84
	v_lshlrev_b32_e32 v83, 4, v86
	v_lshlrev_b32_e32 v84, 11, v86
	v_and_b32_e32 v85, 0x10000000, v85
	v_and_b32_e32 v88, 0x100000, v88
	;; [unrolled: 1-line block ×3, first 2 shown]
	s_waitcnt vmcnt(9)
	v_and_b32_e32 v89, 0xf0f0f0f, v112
	v_and_b32_e32 v83, 16, v83
	;; [unrolled: 1-line block ×3, first 2 shown]
	ds_store_2addr_b32 v30, v74, v75 offset1:1
	v_or3_b32 v74, v81, v76, v85
	v_or3_b32 v75, v82, v88, v87
	v_lshrrev_b32_e32 v82, 4, v112
	v_or3_b32 v81, v83, v89, v84
	v_lshrrev_b32_e32 v83, 12, v86
	v_lshrrev_b32_e32 v84, 5, v86
	v_ashrrev_i32_e32 v87, v14, v113
	v_and_b32_e32 v82, 0xf0f0f0f, v82
	v_lshlrev_b32_e32 v76, 18, v86
	v_and_b32_e32 v83, 16, v83
	v_and_b32_e32 v84, 0x1000, v84
	v_lshlrev_b32_e32 v85, 25, v86
	v_lshlrev_b32_e32 v88, 2, v86
	v_lshlrev_b32_e32 v86, 9, v86
	v_and_b32_e32 v76, 0x100000, v76
	v_or3_b32 v82, v83, v82, v84
	v_lshlrev_b32_e32 v83, 4, v87
	v_lshlrev_b32_e32 v84, 11, v87
	v_and_b32_e32 v85, 0x10000000, v85
	v_and_b32_e32 v88, 0x100000, v88
	;; [unrolled: 1-line block ×3, first 2 shown]
	s_waitcnt vmcnt(2)
	v_and_b32_e32 v89, 0xf0f0f0f, v71
	v_and_b32_e32 v83, 16, v83
	;; [unrolled: 1-line block ×3, first 2 shown]
	v_lshlrev_b32_e32 v90, 18, v87
	v_lshlrev_b32_e32 v91, 25, v87
	v_or3_b32 v76, v81, v76, v85
	v_or3_b32 v81, v82, v88, v86
	;; [unrolled: 1-line block ×3, first 2 shown]
	v_and_b32_e32 v83, 0x100000, v90
	v_and_b32_e32 v84, 0x10000000, v91
	v_lshrrev_b32_e32 v85, 12, v87
	v_lshrrev_b32_e32 v86, 5, v87
	v_ashrrev_i32_e32 v77, v14, v77
	v_lshrrev_b32_e32 v71, 4, v71
	v_or3_b32 v82, v82, v83, v84
	v_and_b32_e32 v83, 16, v85
	v_and_b32_e32 v84, 0x1000, v86
	v_lshlrev_b32_e32 v85, 4, v77
	v_lshlrev_b32_e32 v86, 11, v77
	v_and_b32_e32 v71, 0xf0f0f0f, v71
	v_lshlrev_b32_e32 v88, 2, v87
	v_lshlrev_b32_e32 v87, 9, v87
	s_waitcnt vmcnt(1)
	v_and_b32_e32 v89, 0xf0f0f0f, v72
	v_and_b32_e32 v85, 16, v85
	;; [unrolled: 1-line block ×3, first 2 shown]
	v_lshlrev_b32_e32 v90, 18, v77
	v_ashrrev_i32_e32 v78, v14, v78
	v_or3_b32 v71, v83, v71, v84
	v_and_b32_e32 v83, 0x100000, v88
	v_and_b32_e32 v84, 0x10000000, v87
	v_or3_b32 v85, v85, v89, v86
	v_and_b32_e32 v86, 0x100000, v90
	v_lshrrev_b32_e32 v72, 4, v72
	v_lshrrev_b32_e32 v87, 12, v77
	;; [unrolled: 1-line block ×3, first 2 shown]
	v_lshlrev_b32_e32 v90, 4, v78
	v_lshlrev_b32_e32 v91, 11, v78
	v_and_b32_e32 v72, 0xf0f0f0f, v72
	v_and_b32_e32 v87, 16, v87
	;; [unrolled: 1-line block ×3, first 2 shown]
	s_waitcnt vmcnt(0)
	v_and_b32_e32 v93, 0xf0f0f0f, v73
	v_and_b32_e32 v90, 16, v90
	v_and_b32_e32 v91, 0x1000, v91
	v_lshlrev_b32_e32 v92, 2, v77
	v_or3_b32 v72, v87, v72, v88
	v_lshrrev_b32_e32 v73, 4, v73
	v_lshlrev_b32_e32 v89, 25, v77
	v_or3_b32 v88, v90, v93, v91
	v_lshrrev_b32_e32 v90, 12, v78
	v_lshrrev_b32_e32 v91, 5, v78
	v_lshlrev_b32_e32 v77, 9, v77
	v_and_b32_e32 v87, 0x100000, v92
	v_lshlrev_b32_e32 v92, 18, v78
	v_lshlrev_b32_e32 v93, 25, v78
	v_and_b32_e32 v73, 0xf0f0f0f, v73
	v_and_b32_e32 v90, 16, v90
	;; [unrolled: 1-line block ×3, first 2 shown]
	v_lshlrev_b32_e32 v94, 2, v78
	v_lshlrev_b32_e32 v78, 9, v78
	v_and_b32_e32 v89, 0x10000000, v89
	v_and_b32_e32 v77, 0x10000000, v77
	v_and_b32_e32 v92, 0x100000, v92
	v_and_b32_e32 v93, 0x10000000, v93
	v_or3_b32 v73, v90, v73, v91
	v_and_b32_e32 v90, 0x100000, v94
	v_and_b32_e32 v78, 0x10000000, v78
	v_or3_b32 v71, v71, v83, v84
	v_or3_b32 v83, v85, v86, v89
	;; [unrolled: 1-line block ×5, first 2 shown]
	ds_store_2addr_b32 v31, v74, v75 offset1:1
	ds_store_2addr_b32 v32, v76, v81 offset1:1
	;; [unrolled: 1-line block ×5, first 2 shown]
	ds_store_b32 v67, v3
	ds_store_b32 v68, v4
	;; [unrolled: 1-line block ×4, first 2 shown]
	s_cbranch_scc0 .LBB183_4
; %bb.6:                                ;   in Loop: Header=BB183_5 Depth=1
	v_add_nc_u32_e32 v3, s17, v12
	s_delay_alu instid0(VALU_DEP_1) | instskip(NEXT) | instid1(VALU_DEP_1)
	v_cmp_gt_i32_e64 s1, s10, v3
	s_and_b32 s15, s0, s1
	s_delay_alu instid0(SALU_CYCLE_1)
	s_and_saveexec_b32 s1, s15
	s_cbranch_execz .LBB183_8
; %bb.7:                                ;   in Loop: Header=BB183_5 Depth=1
	v_add_nc_u32_e32 v71, v54, v3
	s_delay_alu instid0(VALU_DEP_1)
	v_mad_i64_i32 v[3:4], null, v71, 36, v[0:1]
	global_load_b32 v3, v[3:4], off offset:4
	s_waitcnt vmcnt(0)
	ds_store_b32 v50, v3
.LBB183_8:                              ;   in Loop: Header=BB183_5 Depth=1
	s_or_b32 exec_lo, exec_lo, s1
	s_and_saveexec_b32 s15, vcc_lo
	s_cbranch_execz .LBB183_11
; %bb.9:                                ;   in Loop: Header=BB183_5 Depth=1
	v_or_b32_e32 v3, s17, v6
	s_delay_alu instid0(VALU_DEP_1) | instskip(NEXT) | instid1(VALU_DEP_1)
	v_cmp_gt_i32_e64 s1, s10, v3
	s_and_b32 s1, s0, s1
	s_delay_alu instid0(SALU_CYCLE_1)
	s_and_b32 exec_lo, exec_lo, s1
	s_cbranch_execz .LBB183_11
; %bb.10:                               ;   in Loop: Header=BB183_5 Depth=1
	v_add_nc_u32_e32 v71, v54, v3
	s_delay_alu instid0(VALU_DEP_1)
	v_mad_i64_i32 v[3:4], null, v71, 36, s[2:3]
	global_load_b32 v3, v[3:4], off
	s_waitcnt vmcnt(0)
	ds_store_b32 v51, v3
.LBB183_11:                             ;   in Loop: Header=BB183_5 Depth=1
	s_or_b32 exec_lo, exec_lo, s15
	v_dual_mov_b32 v3, v61 :: v_dual_mov_b32 v4, v60
	v_dual_mov_b32 v71, v52 :: v_dual_mov_b32 v72, v59
	;; [unrolled: 1-line block ×3, first 2 shown]
	v_mov_b32_e32 v75, v56
	s_mov_b32 s1, -4
	s_waitcnt lgkmcnt(0)
	s_barrier
	buffer_gl0_inv
.LBB183_12:                             ;   Parent Loop BB183_5 Depth=1
                                        ; =>  This Inner Loop Header: Depth=2
	v_add_nc_u32_e32 v92, 0x2080, v71
	v_add_nc_u32_e32 v94, 0x4100, v71
	;; [unrolled: 1-line block ×3, first 2 shown]
	ds_load_b128 v[76:79], v4
	ds_load_b32 v116, v3
	ds_load_b128 v[80:83], v4 offset:16
	ds_load_2addr_b32 v[84:85], v71 offset1:1
	ds_load_2addr_b32 v[86:87], v71 offset0:2 offset1:3
	ds_load_2addr_b32 v[88:89], v71 offset0:4 offset1:5
	ds_load_b32 v117, v72
	ds_load_2addr_b32 v[90:91], v71 offset0:6 offset1:7
	ds_load_b32 v118, v73
	ds_load_2addr_b32 v[92:93], v92 offset1:1
	ds_load_2addr_b32 v[94:95], v94 offset1:1
	;; [unrolled: 1-line block ×3, first 2 shown]
	ds_load_b32 v119, v74
	ds_load_b32 v120, v75
	v_add_nc_u32_e32 v98, 0x2088, v71
	v_add_nc_u32_e32 v100, 0x4108, v71
	;; [unrolled: 1-line block ×9, first 2 shown]
	ds_load_2addr_b32 v[98:99], v98 offset1:1
	ds_load_2addr_b32 v[100:101], v100 offset1:1
	;; [unrolled: 1-line block ×9, first 2 shown]
	v_add_nc_u32_e32 v74, 4, v74
	v_add_nc_u32_e32 v72, 4, v72
	v_add_nc_u32_e32 v71, 32, v71
	v_add_nc_u32_e32 v4, 32, v4
	s_waitcnt lgkmcnt(19)
	v_dot4_i32_iu8 v84, v84, v76, 0 neg_lo:[1,1,0]
	s_waitcnt lgkmcnt(13)
	v_dot4_i32_iu8 v92, v92, v76, 0 neg_lo:[1,1,0]
	;; [unrolled: 2-line block ×4, first 2 shown]
	v_add_nc_u32_e32 v3, 4, v3
	v_dot4_i32_iu8 v84, v85, v80, v84 neg_lo:[1,1,0]
	v_dot4_i32_iu8 v85, v93, v80, v92 neg_lo:[1,1,0]
	;; [unrolled: 1-line block ×4, first 2 shown]
	s_add_i32 s1, s1, 4
	v_dot4_i32_iu8 v80, v86, v77, v84 neg_lo:[1,1,0]
	s_waitcnt lgkmcnt(8)
	v_dot4_i32_iu8 v84, v98, v77, v85 neg_lo:[1,1,0]
	s_waitcnt lgkmcnt(7)
	;; [unrolled: 2-line block ×3, first 2 shown]
	v_dot4_i32_iu8 v76, v102, v77, v76 neg_lo:[1,1,0]
	s_cmp_lt_u32 s1, 12
	v_dot4_i32_iu8 v77, v87, v81, v80 neg_lo:[1,1,0]
	v_dot4_i32_iu8 v80, v99, v81, v84 neg_lo:[1,1,0]
	;; [unrolled: 1-line block ×4, first 2 shown]
	s_delay_alu instid0(VALU_DEP_4)
	v_dot4_i32_iu8 v77, v88, v78, v77 neg_lo:[1,1,0]
	s_waitcnt lgkmcnt(5)
	v_dot4_i32_iu8 v80, v104, v78, v80 neg_lo:[1,1,0]
	s_waitcnt lgkmcnt(3)
	v_dot4_i32_iu8 v81, v108, v78, v84 neg_lo:[1,1,0]
	s_waitcnt lgkmcnt(1)
	v_dot4_i32_iu8 v76, v112, v78, v76 neg_lo:[1,1,0]
	v_pk_mul_f16 v78, v116, v117
	v_dot4_i32_iu8 v77, v89, v82, v77 neg_lo:[1,1,0]
	v_dot4_i32_iu8 v80, v105, v82, v80 neg_lo:[1,1,0]
	;; [unrolled: 1-line block ×4, first 2 shown]
	v_pk_mul_f16 v82, v116, v118
	v_dot4_i32_iu8 v77, v90, v79, v77 neg_lo:[1,1,0]
	v_dot4_i32_iu8 v80, v106, v79, v80 neg_lo:[1,1,0]
	;; [unrolled: 1-line block ×3, first 2 shown]
	s_waitcnt lgkmcnt(0)
	v_dot4_i32_iu8 v76, v114, v79, v76 neg_lo:[1,1,0]
	v_pk_mul_f16 v79, v116, v119
	v_dot4_i32_iu8 v77, v91, v83, v77 neg_lo:[1,1,0]
	v_dot4_i32_iu8 v80, v107, v83, v80 neg_lo:[1,1,0]
	;; [unrolled: 1-line block ×4, first 2 shown]
	v_pk_mul_f16 v83, v116, v120
	v_cvt_f32_i32_e32 v77, v77
	v_cvt_f32_i32_e32 v80, v80
	;; [unrolled: 1-line block ×4, first 2 shown]
	s_delay_alu instid0(VALU_DEP_4) | instskip(NEXT) | instid1(VALU_DEP_4)
	v_fma_mix_f32 v77, v78, v77, v78 op_sel:[0,0,1] op_sel_hi:[1,0,1]
	v_fma_mix_f32 v78, v82, v80, v82 op_sel:[0,0,1] op_sel_hi:[1,0,1]
	s_delay_alu instid0(VALU_DEP_4) | instskip(NEXT) | instid1(VALU_DEP_4)
	v_fma_mix_f32 v79, v79, v81, v79 op_sel:[0,0,1] op_sel_hi:[1,0,1]
	v_fma_mix_f32 v76, v83, v76, v83 op_sel:[0,0,1] op_sel_hi:[1,0,1]
	v_add_nc_u32_e32 v75, 4, v75
	v_add_nc_u32_e32 v73, 4, v73
	s_delay_alu instid0(VALU_DEP_4) | instskip(NEXT) | instid1(VALU_DEP_4)
	v_dual_add_f32 v7, v7, v77 :: v_dual_add_f32 v42, v42, v79
	v_dual_add_f32 v49, v49, v78 :: v_dual_add_f32 v2, v2, v76
	s_cbranch_scc1 .LBB183_12
; %bb.13:                               ;   in Loop: Header=BB183_5 Depth=1
	s_bitset1_b32 s14, 7
	s_delay_alu instid0(SALU_CYCLE_1)
	s_cmp_ge_i32 s14, s11
	s_barrier
	buffer_gl0_inv
	s_cbranch_scc1 .LBB183_4
; %bb.14:                               ;   in Loop: Header=BB183_5 Depth=1
	v_add_nc_u32_e32 v3, s17, v53
	s_delay_alu instid0(VALU_DEP_1) | instskip(NEXT) | instid1(VALU_DEP_1)
	v_cmp_gt_i32_e64 s1, s10, v3
	s_and_b32 s14, s0, s1
	s_delay_alu instid0(SALU_CYCLE_1)
	s_and_saveexec_b32 s1, s14
	s_cbranch_execz .LBB183_16
; %bb.15:                               ;   in Loop: Header=BB183_5 Depth=1
	v_add_nc_u32_e32 v71, v54, v3
	s_delay_alu instid0(VALU_DEP_1)
	v_mad_i64_i32 v[3:4], null, v71, 36, v[0:1]
	global_load_b32 v3, v[3:4], off offset:4
	s_waitcnt vmcnt(0)
	ds_store_b32 v50, v3
.LBB183_16:                             ;   in Loop: Header=BB183_5 Depth=1
	s_or_b32 exec_lo, exec_lo, s1
	s_and_saveexec_b32 s14, vcc_lo
	s_cbranch_execz .LBB183_19
; %bb.17:                               ;   in Loop: Header=BB183_5 Depth=1
	v_or_b32_e32 v3, s17, v6
	s_delay_alu instid0(VALU_DEP_1) | instskip(NEXT) | instid1(VALU_DEP_1)
	v_or_b32_e32 v4, 4, v3
	v_cmp_gt_i32_e64 s1, s10, v4
	s_delay_alu instid0(VALU_DEP_1) | instskip(NEXT) | instid1(SALU_CYCLE_1)
	s_and_b32 s1, s0, s1
	s_and_b32 exec_lo, exec_lo, s1
	s_cbranch_execz .LBB183_19
; %bb.18:                               ;   in Loop: Header=BB183_5 Depth=1
	v_ashrrev_i32_e32 v4, 31, v3
	v_add_co_u32 v71, s1, v54, v3
	s_delay_alu instid0(VALU_DEP_1) | instskip(NEXT) | instid1(VALU_DEP_2)
	v_add_co_ci_u32_e64 v72, s1, v55, v4, s1
	v_mad_u64_u32 v[3:4], null, v71, 36, s[12:13]
	s_delay_alu instid0(VALU_DEP_1)
	v_mad_i32_i24 v4, v72, 36, v4
	global_load_b32 v3, v[3:4], off
	s_waitcnt vmcnt(0)
	ds_store_b32 v51, v3
.LBB183_19:                             ;   in Loop: Header=BB183_5 Depth=1
	s_or_b32 exec_lo, exec_lo, s14
	v_dual_mov_b32 v3, v61 :: v_dual_mov_b32 v4, v60
	v_dual_mov_b32 v71, v66 :: v_dual_mov_b32 v72, v65
	;; [unrolled: 1-line block ×3, first 2 shown]
	v_mov_b32_e32 v75, v62
	s_mov_b32 s1, 12
	s_waitcnt lgkmcnt(0)
	s_barrier
	buffer_gl0_inv
.LBB183_20:                             ;   Parent Loop BB183_5 Depth=1
                                        ; =>  This Inner Loop Header: Depth=2
	v_add_nc_u32_e32 v92, 0x2080, v71
	v_add_nc_u32_e32 v94, 0x4100, v71
	;; [unrolled: 1-line block ×3, first 2 shown]
	ds_load_b128 v[76:79], v4
	ds_load_b32 v116, v3
	ds_load_b128 v[80:83], v4 offset:16
	ds_load_2addr_b32 v[84:85], v71 offset1:1
	ds_load_2addr_b32 v[86:87], v71 offset0:2 offset1:3
	ds_load_2addr_b32 v[88:89], v71 offset0:4 offset1:5
	ds_load_b32 v117, v72
	ds_load_2addr_b32 v[90:91], v71 offset0:6 offset1:7
	ds_load_b32 v118, v73
	ds_load_2addr_b32 v[92:93], v92 offset1:1
	ds_load_2addr_b32 v[94:95], v94 offset1:1
	;; [unrolled: 1-line block ×3, first 2 shown]
	ds_load_b32 v119, v74
	ds_load_b32 v120, v75
	v_add_nc_u32_e32 v98, 0x2088, v71
	v_add_nc_u32_e32 v100, 0x4108, v71
	;; [unrolled: 1-line block ×9, first 2 shown]
	ds_load_2addr_b32 v[98:99], v98 offset1:1
	ds_load_2addr_b32 v[100:101], v100 offset1:1
	ds_load_2addr_b32 v[102:103], v102 offset1:1
	ds_load_2addr_b32 v[104:105], v104 offset1:1
	ds_load_2addr_b32 v[106:107], v106 offset1:1
	ds_load_2addr_b32 v[108:109], v108 offset1:1
	ds_load_2addr_b32 v[110:111], v110 offset1:1
	ds_load_2addr_b32 v[112:113], v112 offset1:1
	ds_load_2addr_b32 v[114:115], v114 offset1:1
	v_add_nc_u32_e32 v74, 4, v74
	v_add_nc_u32_e32 v72, 4, v72
	;; [unrolled: 1-line block ×4, first 2 shown]
	s_waitcnt lgkmcnt(19)
	v_dot4_i32_iu8 v84, v84, v76, 0 neg_lo:[1,1,0]
	s_waitcnt lgkmcnt(13)
	v_dot4_i32_iu8 v92, v92, v76, 0 neg_lo:[1,1,0]
	;; [unrolled: 2-line block ×4, first 2 shown]
	v_add_nc_u32_e32 v3, 4, v3
	v_dot4_i32_iu8 v84, v85, v80, v84 neg_lo:[1,1,0]
	v_dot4_i32_iu8 v85, v93, v80, v92 neg_lo:[1,1,0]
	;; [unrolled: 1-line block ×4, first 2 shown]
	s_add_i32 s1, s1, 4
	v_dot4_i32_iu8 v80, v86, v77, v84 neg_lo:[1,1,0]
	s_waitcnt lgkmcnt(8)
	v_dot4_i32_iu8 v84, v98, v77, v85 neg_lo:[1,1,0]
	s_waitcnt lgkmcnt(7)
	;; [unrolled: 2-line block ×3, first 2 shown]
	v_dot4_i32_iu8 v76, v102, v77, v76 neg_lo:[1,1,0]
	s_cmp_lt_u32 s1, 28
	v_dot4_i32_iu8 v77, v87, v81, v80 neg_lo:[1,1,0]
	v_dot4_i32_iu8 v80, v99, v81, v84 neg_lo:[1,1,0]
	;; [unrolled: 1-line block ×4, first 2 shown]
	s_delay_alu instid0(VALU_DEP_4)
	v_dot4_i32_iu8 v77, v88, v78, v77 neg_lo:[1,1,0]
	s_waitcnt lgkmcnt(5)
	v_dot4_i32_iu8 v80, v104, v78, v80 neg_lo:[1,1,0]
	s_waitcnt lgkmcnt(3)
	;; [unrolled: 2-line block ×3, first 2 shown]
	v_dot4_i32_iu8 v76, v112, v78, v76 neg_lo:[1,1,0]
	v_pk_mul_f16 v78, v116, v117
	v_dot4_i32_iu8 v77, v89, v82, v77 neg_lo:[1,1,0]
	v_dot4_i32_iu8 v80, v105, v82, v80 neg_lo:[1,1,0]
	;; [unrolled: 1-line block ×4, first 2 shown]
	v_pk_mul_f16 v82, v116, v118
	v_dot4_i32_iu8 v77, v90, v79, v77 neg_lo:[1,1,0]
	v_dot4_i32_iu8 v80, v106, v79, v80 neg_lo:[1,1,0]
	;; [unrolled: 1-line block ×3, first 2 shown]
	s_waitcnt lgkmcnt(0)
	v_dot4_i32_iu8 v76, v114, v79, v76 neg_lo:[1,1,0]
	v_pk_mul_f16 v79, v116, v119
	v_dot4_i32_iu8 v77, v91, v83, v77 neg_lo:[1,1,0]
	v_dot4_i32_iu8 v80, v107, v83, v80 neg_lo:[1,1,0]
	;; [unrolled: 1-line block ×4, first 2 shown]
	v_pk_mul_f16 v83, v116, v120
	v_cvt_f32_i32_e32 v77, v77
	v_cvt_f32_i32_e32 v80, v80
	;; [unrolled: 1-line block ×4, first 2 shown]
	s_delay_alu instid0(VALU_DEP_4) | instskip(NEXT) | instid1(VALU_DEP_4)
	v_fma_mix_f32 v77, v78, v77, v78 op_sel:[0,0,1] op_sel_hi:[1,0,1]
	v_fma_mix_f32 v78, v82, v80, v82 op_sel:[0,0,1] op_sel_hi:[1,0,1]
	s_delay_alu instid0(VALU_DEP_4) | instskip(NEXT) | instid1(VALU_DEP_4)
	v_fma_mix_f32 v79, v79, v81, v79 op_sel:[0,0,1] op_sel_hi:[1,0,1]
	v_fma_mix_f32 v76, v83, v76, v83 op_sel:[0,0,1] op_sel_hi:[1,0,1]
	v_add_nc_u32_e32 v75, 4, v75
	v_add_nc_u32_e32 v73, 4, v73
	s_delay_alu instid0(VALU_DEP_4) | instskip(NEXT) | instid1(VALU_DEP_4)
	v_dual_add_f32 v7, v7, v77 :: v_dual_add_f32 v42, v42, v79
	v_dual_add_f32 v49, v49, v78 :: v_dual_add_f32 v2, v2, v76
	s_cbranch_scc1 .LBB183_20
; %bb.21:                               ;   in Loop: Header=BB183_5 Depth=1
	s_barrier
	buffer_gl0_inv
	s_branch .LBB183_4
.LBB183_22:
	s_mul_i32 s0, s7, s4
	s_waitcnt vmcnt(0)
	v_cmp_gt_i32_e32 vcc_lo, s0, v5
	s_and_saveexec_b32 s0, vcc_lo
	s_cbranch_execz .LBB183_31
; %bb.23:
	v_mul_lo_u32 v0, v5, s6
	v_add_nc_u32_e32 v1, s16, v6
	s_mov_b32 s0, exec_lo
	s_delay_alu instid0(VALU_DEP_1)
	v_cmpx_gt_u32_e64 s6, v1
	s_cbranch_execz .LBB183_25
; %bb.24:
	s_delay_alu instid0(VALU_DEP_3) | instskip(NEXT) | instid1(VALU_DEP_1)
	v_dual_mov_b32 v4, 0 :: v_dual_add_nc_u32 v3, v0, v1
	v_lshlrev_b64 v[3:4], 2, v[3:4]
	s_delay_alu instid0(VALU_DEP_1) | instskip(NEXT) | instid1(VALU_DEP_2)
	v_add_co_u32 v3, vcc_lo, s8, v3
	v_add_co_ci_u32_e32 v4, vcc_lo, s9, v4, vcc_lo
	global_store_b32 v[3:4], v7, off
.LBB183_25:
	s_or_b32 exec_lo, exec_lo, s0
	v_add_nc_u32_e32 v3, 32, v1
	s_mov_b32 s0, exec_lo
	s_delay_alu instid0(VALU_DEP_1)
	v_cmpx_gt_u32_e64 s6, v3
	s_cbranch_execz .LBB183_27
; %bb.26:
	v_dual_mov_b32 v4, 0 :: v_dual_add_nc_u32 v3, v0, v3
	s_delay_alu instid0(VALU_DEP_1) | instskip(NEXT) | instid1(VALU_DEP_1)
	v_lshlrev_b64 v[3:4], 2, v[3:4]
	v_add_co_u32 v3, vcc_lo, s8, v3
	s_delay_alu instid0(VALU_DEP_2)
	v_add_co_ci_u32_e32 v4, vcc_lo, s9, v4, vcc_lo
	global_store_b32 v[3:4], v49, off
.LBB183_27:
	s_or_b32 exec_lo, exec_lo, s0
	v_add_nc_u32_e32 v3, 64, v1
	s_mov_b32 s0, exec_lo
	s_delay_alu instid0(VALU_DEP_1)
	v_cmpx_gt_u32_e64 s6, v3
	s_cbranch_execz .LBB183_29
; %bb.28:
	v_dual_mov_b32 v4, 0 :: v_dual_add_nc_u32 v3, v0, v3
	s_delay_alu instid0(VALU_DEP_1) | instskip(NEXT) | instid1(VALU_DEP_1)
	v_lshlrev_b64 v[3:4], 2, v[3:4]
	v_add_co_u32 v3, vcc_lo, s8, v3
	s_delay_alu instid0(VALU_DEP_2)
	v_add_co_ci_u32_e32 v4, vcc_lo, s9, v4, vcc_lo
	global_store_b32 v[3:4], v42, off
.LBB183_29:
	s_or_b32 exec_lo, exec_lo, s0
	v_add_nc_u32_e32 v1, 0x60, v1
	s_delay_alu instid0(VALU_DEP_1)
	v_cmp_gt_u32_e32 vcc_lo, s6, v1
	s_and_b32 exec_lo, exec_lo, vcc_lo
	s_cbranch_execz .LBB183_31
; %bb.30:
	v_dual_mov_b32 v1, 0 :: v_dual_add_nc_u32 v0, v0, v1
	s_delay_alu instid0(VALU_DEP_1) | instskip(NEXT) | instid1(VALU_DEP_1)
	v_lshlrev_b64 v[0:1], 2, v[0:1]
	v_add_co_u32 v0, vcc_lo, s8, v0
	s_delay_alu instid0(VALU_DEP_2)
	v_add_co_ci_u32_e32 v1, vcc_lo, s9, v1, vcc_lo
	global_store_b32 v[0:1], v2, off
.LBB183_31:
	s_nop 0
	s_sendmsg sendmsg(MSG_DEALLOC_VGPRS)
	s_endpgm
	.section	.rodata,"a",@progbits
	.p2align	6, 0x0
	.amdhsa_kernel _ZL8moe_q5_1IfLb0EEvPKvS1_PT_PKiS5_S5_iiiiiii
		.amdhsa_group_segment_fixed_size 38656
		.amdhsa_private_segment_fixed_size 0
		.amdhsa_kernarg_size 76
		.amdhsa_user_sgpr_count 14
		.amdhsa_user_sgpr_dispatch_ptr 0
		.amdhsa_user_sgpr_queue_ptr 0
		.amdhsa_user_sgpr_kernarg_segment_ptr 1
		.amdhsa_user_sgpr_dispatch_id 0
		.amdhsa_user_sgpr_private_segment_size 0
		.amdhsa_wavefront_size32 1
		.amdhsa_uses_dynamic_stack 0
		.amdhsa_enable_private_segment 0
		.amdhsa_system_sgpr_workgroup_id_x 1
		.amdhsa_system_sgpr_workgroup_id_y 1
		.amdhsa_system_sgpr_workgroup_id_z 0
		.amdhsa_system_sgpr_workgroup_info 0
		.amdhsa_system_vgpr_workitem_id 1
		.amdhsa_next_free_vgpr 177
		.amdhsa_next_free_sgpr 20
		.amdhsa_reserve_vcc 1
		.amdhsa_float_round_mode_32 0
		.amdhsa_float_round_mode_16_64 0
		.amdhsa_float_denorm_mode_32 3
		.amdhsa_float_denorm_mode_16_64 3
		.amdhsa_dx10_clamp 1
		.amdhsa_ieee_mode 1
		.amdhsa_fp16_overflow 0
		.amdhsa_workgroup_processor_mode 1
		.amdhsa_memory_ordered 1
		.amdhsa_forward_progress 0
		.amdhsa_shared_vgpr_count 0
		.amdhsa_exception_fp_ieee_invalid_op 0
		.amdhsa_exception_fp_denorm_src 0
		.amdhsa_exception_fp_ieee_div_zero 0
		.amdhsa_exception_fp_ieee_overflow 0
		.amdhsa_exception_fp_ieee_underflow 0
		.amdhsa_exception_fp_ieee_inexact 0
		.amdhsa_exception_int_div_zero 0
	.end_amdhsa_kernel
	.section	.text._ZL8moe_q5_1IfLb0EEvPKvS1_PT_PKiS5_S5_iiiiiii,"axG",@progbits,_ZL8moe_q5_1IfLb0EEvPKvS1_PT_PKiS5_S5_iiiiiii,comdat
.Lfunc_end183:
	.size	_ZL8moe_q5_1IfLb0EEvPKvS1_PT_PKiS5_S5_iiiiiii, .Lfunc_end183-_ZL8moe_q5_1IfLb0EEvPKvS1_PT_PKiS5_S5_iiiiiii
                                        ; -- End function
	.section	.AMDGPU.csdata,"",@progbits
; Kernel info:
; codeLenInByte = 6836
; NumSgprs: 22
; NumVgprs: 177
; ScratchSize: 0
; MemoryBound: 0
; FloatMode: 240
; IeeeMode: 1
; LDSByteSize: 38656 bytes/workgroup (compile time only)
; SGPRBlocks: 2
; VGPRBlocks: 22
; NumSGPRsForWavesPerEU: 22
; NumVGPRsForWavesPerEU: 177
; Occupancy: 6
; WaveLimiterHint : 1
; COMPUTE_PGM_RSRC2:SCRATCH_EN: 0
; COMPUTE_PGM_RSRC2:USER_SGPR: 14
; COMPUTE_PGM_RSRC2:TRAP_HANDLER: 0
; COMPUTE_PGM_RSRC2:TGID_X_EN: 1
; COMPUTE_PGM_RSRC2:TGID_Y_EN: 1
; COMPUTE_PGM_RSRC2:TGID_Z_EN: 0
; COMPUTE_PGM_RSRC2:TIDIG_COMP_CNT: 1
	.section	.text._ZL8moe_q5_1IfLb1EEvPKvS1_PT_PKiS5_S5_iiiiiii,"axG",@progbits,_ZL8moe_q5_1IfLb1EEvPKvS1_PT_PKiS5_S5_iiiiiii,comdat
	.globl	_ZL8moe_q5_1IfLb1EEvPKvS1_PT_PKiS5_S5_iiiiiii ; -- Begin function _ZL8moe_q5_1IfLb1EEvPKvS1_PT_PKiS5_S5_iiiiiii
	.p2align	8
	.type	_ZL8moe_q5_1IfLb1EEvPKvS1_PT_PKiS5_S5_iiiiiii,@function
_ZL8moe_q5_1IfLb1EEvPKvS1_PT_PKiS5_S5_iiiiiii: ; @_ZL8moe_q5_1IfLb1EEvPKvS1_PT_PKiS5_S5_iiiiiii
; %bb.0:
	s_load_b128 s[4:7], s[0:1], 0x18
	s_mov_b32 s2, s15
	s_mov_b32 s3, 0
	s_delay_alu instid0(SALU_CYCLE_1)
	s_lshl_b64 s[8:9], s[2:3], 2
	s_waitcnt lgkmcnt(0)
	s_add_u32 s6, s6, s8
	s_addc_u32 s7, s7, s9
	s_load_b32 s15, s[6:7], 0x0
	s_waitcnt lgkmcnt(0)
	s_cmpk_gt_u32 s15, 0xff
	s_cbranch_scc1 .LBB184_31
; %bb.1:
	s_load_b64 s[6:7], s[0:1], 0x28
	s_lshl_b32 s2, s2, 3
	s_waitcnt lgkmcnt(0)
	s_load_b32 s3, s[6:7], 0x0
	s_waitcnt lgkmcnt(0)
	s_cmp_gt_u32 s2, s3
	s_cbranch_scc1 .LBB184_31
; %bb.2:
	v_bfe_u32 v19, v0, 10, 10
	v_mov_b32_e32 v14, 0
	s_mov_b32 s18, 0
	s_delay_alu instid0(VALU_DEP_2) | instskip(NEXT) | instid1(VALU_DEP_2)
	v_add_nc_u32_e32 v13, s2, v19
	v_dual_mov_b32 v49, v14 :: v_dual_and_b32 v22, 0x3ff, v0
	v_mov_b32_e32 v46, v14
	v_mov_b32_e32 v23, v14
	s_delay_alu instid0(VALU_DEP_4) | instskip(NEXT) | instid1(VALU_DEP_1)
	v_lshlrev_b64 v[1:2], 2, v[13:14]
	v_add_co_u32 v1, vcc_lo, s4, v1
	s_delay_alu instid0(VALU_DEP_2)
	v_add_co_ci_u32_e32 v2, vcc_lo, s5, v2, vcc_lo
	global_load_b32 v21, v[1:2], off
	s_clause 0x1
	s_load_b256 s[4:11], s[0:1], 0x30
	s_load_b64 s[12:13], s[0:1], 0x10
	s_waitcnt lgkmcnt(0)
	s_lshl_b32 s11, s14, 7
	s_cmp_lt_i32 s5, 32
	s_cbranch_scc1 .LBB184_22
; %bb.3:
	s_load_b128 s[0:3], s[0:1], 0x0
	s_ashr_i32 s14, s5, 31
	s_mul_i32 s15, s15, s4
	s_lshr_b32 s4, s14, 27
	s_ashr_i32 s16, s8, 31
	s_add_i32 s4, s5, s4
	s_lshr_b32 s14, s16, 27
	s_ashr_i32 s4, s4, 5
	s_add_i32 s8, s8, s14
	s_mul_i32 s14, s4, s11
	s_ashr_i32 s16, s15, 31
	s_ashr_i32 s8, s8, 5
	s_mul_hi_i32 s17, s14, 24
	s_mul_i32 s14, s14, 24
	v_add_nc_u32_e32 v0, 8, v19
	v_lshlrev_b32_e32 v18, 3, v22
	v_add_nc_u32_e32 v4, 24, v19
	v_add_nc_u32_e32 v8, 48, v19
	;; [unrolled: 1-line block ×4, first 2 shown]
	s_waitcnt lgkmcnt(0)
	s_add_u32 s0, s0, s15
	s_addc_u32 s1, s1, s16
	s_add_u32 s19, s0, s14
	s_addc_u32 s20, s1, s17
	s_abs_i32 s1, s10
	s_not_b32 s0, s11
	v_cvt_f32_u32_e32 v16, s1
	s_add_i32 s0, s0, s6
	v_add_nc_u32_e32 v17, 0x70, v19
	v_min_i32_e32 v2, s0, v19
	v_min_i32_e32 v5, s0, v0
	v_rcp_iflag_f32_e32 v16, v16
	v_add_nc_u32_e32 v3, 16, v19
	v_min_i32_e32 v8, s0, v8
	v_mad_u64_u32 v[0:1], null, 0x104, v2, v[18:19]
	v_mul_lo_u32 v26, v2, s4
	v_mul_lo_u32 v27, v5, s4
	v_mad_u64_u32 v[1:2], null, 0x104, v5, v[18:19]
	v_min_i32_e32 v5, s0, v4
	s_delay_alu instid0(TRANS32_DEP_1)
	v_mul_f32_e32 v44, 0x4f7ffffe, v16
	v_min_i32_e32 v6, s0, v3
	v_add_nc_u32_e32 v4, 32, v19
	v_mul_lo_u32 v32, v8, s4
	v_mul_lo_u32 v29, v5, s4
	v_min_i32_e32 v11, s0, v11
	v_mul_lo_u32 v28, v6, s4
	v_mad_u64_u32 v[2:3], null, 0x104, v6, v[18:19]
	v_add_nc_u32_e32 v6, 40, v19
	v_min_i32_e32 v7, s0, v4
	v_mad_u64_u32 v[3:4], null, 0x104, v5, v[18:19]
	v_mul_lo_u32 v35, v11, s4
	s_delay_alu instid0(VALU_DEP_4) | instskip(NEXT) | instid1(VALU_DEP_4)
	v_min_i32_e32 v9, s0, v6
	v_mul_lo_u32 v30, v7, s4
	v_mad_u64_u32 v[4:5], null, 0x104, v7, v[18:19]
	v_add_nc_u32_e32 v7, 56, v19
	s_delay_alu instid0(VALU_DEP_4) | instskip(SKIP_2) | instid1(VALU_DEP_4)
	v_mul_lo_u32 v31, v9, s4
	v_mad_u64_u32 v[5:6], null, 0x104, v9, v[18:19]
	v_add_nc_u32_e32 v9, 64, v19
	v_min_i32_e32 v10, s0, v7
	v_mad_u64_u32 v[6:7], null, 0x104, v8, v[18:19]
	v_add_nc_u32_e32 v42, 0x78, v19
	s_delay_alu instid0(VALU_DEP_4) | instskip(NEXT) | instid1(VALU_DEP_4)
	v_min_i32_e32 v12, s0, v9
	v_mul_lo_u32 v33, v10, s4
	v_mad_u64_u32 v[7:8], null, 0x104, v10, v[18:19]
	v_add_nc_u32_e32 v10, 0x50, v19
	s_delay_alu instid0(VALU_DEP_4) | instskip(SKIP_2) | instid1(VALU_DEP_4)
	v_mul_lo_u32 v34, v12, s4
	v_mad_u64_u32 v[8:9], null, 0x104, v12, v[18:19]
	v_add_nc_u32_e32 v12, 0x58, v19
	v_min_i32_e32 v13, s0, v10
	v_mad_u64_u32 v[9:10], null, 0x104, v11, v[18:19]
	v_lshlrev_b32_e32 v46, 2, v19
	s_delay_alu instid0(VALU_DEP_4) | instskip(NEXT) | instid1(VALU_DEP_4)
	v_min_i32_e32 v15, s0, v12
	v_mad_u64_u32 v[10:11], null, 0x104, v13, v[18:19]
	v_lshrrev_b32_e32 v39, 3, v22
	v_min_i32_e32 v14, s0, v14
	s_delay_alu instid0(VALU_DEP_4)
	v_mad_u64_u32 v[11:12], null, 0x104, v15, v[18:19]
	v_add_nc_u32_e32 v12, 0x68, v19
	v_mul_lo_u32 v37, v15, s4
	v_min_i32_e32 v17, s0, v17
	v_min_i32_e32 v43, s0, v42
	v_cvt_u32_f32_e32 v48, v44
	v_min_i32_e32 v15, s0, v12
	v_add_nc_u32_e32 v45, v39, v46
	v_mul_lo_u32 v36, v13, s4
	v_mad_u64_u32 v[12:13], null, 0x104, v14, v[18:19]
	s_sub_i32 s6, 0, s1
	v_mul_lo_u32 v38, v14, s4
	v_mul_lo_u32 v40, v15, s4
	v_mad_u64_u32 v[13:14], null, 0x104, v15, v[18:19]
	v_mad_u64_u32 v[15:16], null, 0x104, v17, v[18:19]
	v_mul_lo_u32 v41, v17, s4
	v_mad_u64_u32 v[16:17], null, 0x104, v43, v[18:19]
	v_mul_lo_u32 v18, s6, v48
	v_add_nc_u32_e32 v17, 32, v45
	v_min_i32_e32 v47, s0, v45
	v_add_nc_u32_e32 v49, 64, v45
	v_add_nc_u32_e32 v45, 0x60, v45
	s_waitcnt vmcnt(0)
	v_sub_nc_u32_e32 v51, 0, v21
	v_min_i32_e32 v17, s0, v17
	v_ashrrev_i32_e32 v14, 31, v47
	v_mul_hi_u32 v18, v48, v18
	v_min_i32_e32 v54, s0, v45
	v_min_i32_e32 v49, s0, v49
	v_ashrrev_i32_e32 v50, 31, v17
	v_lshrrev_b32_e32 v14, 30, v14
	v_mul_lo_u32 v42, v43, s4
	v_and_b32_e32 v43, 7, v22
	v_ashrrev_i32_e32 v53, 31, v49
	v_lshrrev_b32_e32 v45, 30, v50
	v_max_i32_e32 v50, v21, v51
	v_add_nc_u32_e32 v18, v48, v18
	v_ashrrev_i32_e32 v51, 31, v54
	v_lshrrev_b32_e32 v48, 30, v53
	v_add_nc_u32_e32 v14, v47, v14
	v_add_nc_u32_e32 v45, v17, v45
	v_mul_hi_u32 v18, v50, v18
	v_lshrrev_b32_e32 v51, 30, v51
	v_add_nc_u32_e32 v48, v49, v48
	v_mul_lo_u32 v44, v47, s4
	v_and_b32_e32 v14, -4, v14
	v_lshlrev_b32_e32 v52, 2, v43
	v_add_nc_u32_e32 v51, v54, v51
	v_lshlrev_b32_e32 v67, 5, v47
	v_mul_lo_u32 v53, v18, s1
	v_and_b32_e32 v47, -4, v45
	v_mul_lo_u32 v45, v17, s4
	v_and_b32_e32 v48, -4, v48
	v_lshlrev_b32_e32 v69, 5, v17
	v_and_b32_e32 v17, -4, v51
	v_add3_u32 v14, v14, v52, 0x8200
	v_add3_u32 v68, v47, v52, 0x8200
	v_sub_nc_u32_e32 v50, v50, v53
	v_add3_u32 v70, v48, v52, 0x8200
	v_add3_u32 v71, v17, v52, 0x8200
	v_add_nc_u32_e32 v17, 1, v18
	v_dual_mov_b32 v23, 0 :: v_dual_lshlrev_b32 v20, 2, v22
	v_subrev_nc_u32_e32 v52, s1, v50
	v_cmp_le_u32_e32 vcc_lo, s1, v50
	v_and_b32_e32 v51, 31, v22
	v_lshlrev_b32_e32 v60, 7, v19
	v_and_b32_e32 v25, 12, v20
	v_or_b32_e32 v46, v46, v22
	v_cndmask_b32_e32 v17, v18, v17, vcc_lo
	v_cndmask_b32_e32 v50, v50, v52, vcc_lo
	v_and_b32_e32 v18, 28, v20
	v_xor_b32_e32 v20, s10, v21
	v_lshl_or_b32 v51, v51, 2, v60
	v_add_nc_u32_e32 v52, 1, v17
	v_cmp_le_u32_e32 vcc_lo, s1, v50
	v_add_nc_u32_e32 v55, 64, v22
	v_ashrrev_i32_e32 v20, 31, v20
	v_add_nc_u32_e32 v50, 0x9280, v51
	v_lshl_add_u32 v51, v46, 2, 0x9680
	v_cndmask_b32_e32 v52, v17, v52, vcc_lo
	v_add_nc_u32_e32 v46, 32, v22
	v_add_nc_u32_e32 v56, 0x60, v22
	v_lshlrev_b32_e32 v57, 5, v22
	v_and_b32_e32 v55, 0x1fc, v55
	v_xor_b32_e32 v52, v52, v20
	v_lshrrev_b32_e32 v53, 3, v46
	v_and_b32_e32 v56, 0x1fc, v56
	v_and_b32_e32 v46, 0x1fc, v46
	;; [unrolled: 1-line block ×3, first 2 shown]
	v_sub_nc_u32_e32 v20, v52, v20
	v_mul_lo_u32 v48, v54, s4
	v_lshlrev_b32_e32 v72, 5, v54
	v_add_co_u32 v17, s0, s2, v18
	s_delay_alu instid0(VALU_DEP_4)
	v_mul_lo_u32 v54, v20, s8
	v_mul_lo_u32 v47, v49, s4
	v_lshlrev_b32_e32 v49, 5, v49
	v_add_co_ci_u32_e64 v18, null, s3, 0, s0
	v_cmp_gt_i32_e64 s0, s7, v20
	v_add_nc_u32_e32 v20, v57, v56
	v_add_nc_u32_e32 v63, v57, v55
	v_add_nc_u32_e32 v46, v57, v46
	v_add_nc_u32_e32 v65, v57, v58
	s_movk_i32 s1, 0x80
	v_lshrrev_b32_e32 v24, 2, v22
	v_cmp_gt_u32_e32 vcc_lo, 4, v22
	v_mul_u32_u24_e32 v52, 0x104, v22
	v_ashrrev_i32_e32 v55, 31, v54
	v_add_nc_u32_e32 v56, 0x8e00, v20
	v_add_nc_u32_e32 v57, 0x8a00, v63
	;; [unrolled: 1-line block ×5, first 2 shown]
	v_lshl_add_u32 v61, v19, 4, 0x9680
	v_add_nc_u32_e32 v62, 0x8e10, v20
	v_add_nc_u32_e32 v63, 0x8a10, v63
	;; [unrolled: 1-line block ×3, first 2 shown]
	v_dual_mov_b32 v46, 0 :: v_dual_add_nc_u32 v65, 0x8210, v65
	v_mad_u32_u24 v66, 0x104, v22, s1
	v_add_nc_u32_e32 v67, v14, v67
	v_add_nc_u32_e32 v68, v68, v69
	;; [unrolled: 1-line block ×3, first 2 shown]
	v_dual_mov_b32 v49, 0 :: v_dual_add_nc_u32 v70, v71, v72
	v_mov_b32_e32 v14, 0
	s_add_u32 s14, s2, 0x90
	s_addc_u32 s15, s3, 0
	s_branch .LBB184_5
.LBB184_4:                              ;   in Loop: Header=BB184_5 Depth=1
	s_add_i32 s18, s18, 8
	s_delay_alu instid0(SALU_CYCLE_1)
	s_cmp_ge_i32 s18, s4
	s_cbranch_scc1 .LBB184_22
.LBB184_5:                              ; =>This Loop Header: Depth=1
                                        ;     Child Loop BB184_12 Depth 2
                                        ;     Child Loop BB184_20 Depth 2
	s_mul_i32 s1, s18, 24
	s_mul_hi_u32 s6, s18, 24
	s_add_u32 s16, s19, s1
	s_addc_u32 s17, s20, s6
	s_lshl_b32 s6, s18, 5
	v_mad_u64_u32 v[19:20], null, v24, 24, s[16:17]
	s_cmp_lt_i32 s6, s5
	s_delay_alu instid0(VALU_DEP_1) | instskip(SKIP_3) | instid1(VALU_DEP_4)
	v_mad_i64_i32 v[71:72], null, v26, 24, v[19:20]
	v_mad_i64_i32 v[73:74], null, v27, 24, v[19:20]
	;; [unrolled: 1-line block ×4, first 2 shown]
	v_add_co_u32 v81, s1, v71, v25
	s_delay_alu instid0(VALU_DEP_1)
	v_add_co_ci_u32_e64 v82, s1, 0, v72, s1
	s_clause 0x1
	global_load_b32 v91, v[71:72], off offset:4
	global_load_b32 v92, v[73:74], off offset:4
	v_add_co_u32 v73, s1, v73, v25
	v_mad_i64_i32 v[79:80], null, v30, 24, v[19:20]
	v_mad_i64_i32 v[71:72], null, v31, 24, v[19:20]
	v_add_co_ci_u32_e64 v74, s1, 0, v74, s1
	v_mad_i64_i32 v[83:84], null, v32, 24, v[19:20]
	v_mad_i64_i32 v[85:86], null, v33, 24, v[19:20]
	;; [unrolled: 1-line block ×4, first 2 shown]
	s_clause 0x7
	global_load_b32 v93, v[75:76], off offset:4
	global_load_b32 v94, v[77:78], off offset:4
	;; [unrolled: 1-line block ×8, first 2 shown]
	s_clause 0x1
	global_load_b32 v101, v[81:82], off offset:8
	global_load_b32 v102, v[73:74], off offset:8
	v_add_co_u32 v73, s1, v75, v25
	s_delay_alu instid0(VALU_DEP_1) | instskip(SKIP_3) | instid1(VALU_DEP_1)
	v_add_co_ci_u32_e64 v74, s1, 0, v76, s1
	v_mad_i64_i32 v[75:76], null, v40, 24, v[19:20]
	global_load_b32 v103, v[73:74], off offset:8
	v_add_co_u32 v73, s1, v77, v25
	v_add_co_ci_u32_e64 v74, s1, 0, v78, s1
	v_mad_i64_i32 v[77:78], null, v41, 24, v[19:20]
	global_load_b32 v113, v[75:76], off offset:4
	global_load_b32 v104, v[73:74], off offset:8
	v_add_co_u32 v73, s1, v79, v25
	s_delay_alu instid0(VALU_DEP_1) | instskip(SKIP_1) | instid1(VALU_DEP_1)
	v_add_co_ci_u32_e64 v74, s1, 0, v80, s1
	v_add_co_u32 v71, s1, v71, v25
	v_add_co_ci_u32_e64 v72, s1, 0, v72, s1
	global_load_b32 v105, v[73:74], off offset:8
	v_mad_i64_i32 v[79:80], null, v42, 24, v[19:20]
	global_load_b32 v106, v[71:72], off offset:8
	v_add_co_u32 v71, s1, v83, v25
	s_delay_alu instid0(VALU_DEP_1) | instskip(SKIP_3) | instid1(VALU_DEP_1)
	v_add_co_ci_u32_e64 v72, s1, 0, v84, s1
	v_mad_i64_i32 v[73:74], null, v38, 24, v[19:20]
	global_load_b32 v107, v[71:72], off offset:8
	v_add_co_u32 v71, s1, v85, v25
	v_add_co_ci_u32_e64 v72, s1, 0, v86, s1
	global_load_b32 v111, v[73:74], off offset:4
	global_load_b32 v108, v[71:72], off offset:8
	v_add_co_u32 v71, s1, v87, v25
	s_delay_alu instid0(VALU_DEP_1) | instskip(SKIP_2) | instid1(VALU_DEP_1)
	v_add_co_ci_u32_e64 v72, s1, 0, v88, s1
	global_load_b32 v87, v[71:72], off offset:8
	v_add_co_u32 v71, s1, v89, v25
	v_add_co_ci_u32_e64 v72, s1, 0, v90, s1
	global_load_b32 v88, v[71:72], off offset:8
	v_mad_i64_i32 v[71:72], null, v36, 24, v[19:20]
	global_load_b32 v89, v[71:72], off offset:4
	v_add_co_u32 v71, s1, v71, v25
	s_delay_alu instid0(VALU_DEP_1) | instskip(SKIP_4) | instid1(VALU_DEP_1)
	v_add_co_ci_u32_e64 v72, s1, 0, v72, s1
	global_load_b32 v90, v[71:72], off offset:8
	v_mad_i64_i32 v[71:72], null, v37, 24, v[19:20]
	global_load_b32 v109, v[71:72], off offset:4
	v_add_co_u32 v71, s1, v71, v25
	v_add_co_ci_u32_e64 v72, s1, 0, v72, s1
	v_add_co_u32 v73, s1, v73, v25
	s_delay_alu instid0(VALU_DEP_1) | instskip(SKIP_4) | instid1(VALU_DEP_1)
	v_add_co_ci_u32_e64 v74, s1, 0, v74, s1
	s_clause 0x1
	global_load_b32 v110, v[71:72], off offset:8
	global_load_b32 v112, v[73:74], off offset:8
	v_mad_u64_u32 v[71:72], null, v43, 24, s[16:17]
	v_mad_i64_i32 v[19:20], null, v44, 24, v[71:72]
	v_mad_i64_i32 v[81:82], null, v45, 24, v[71:72]
	;; [unrolled: 1-line block ×4, first 2 shown]
	v_add_co_u32 v71, s1, v75, v25
	s_delay_alu instid0(VALU_DEP_1) | instskip(SKIP_1) | instid1(VALU_DEP_1)
	v_add_co_ci_u32_e64 v72, s1, 0, v76, s1
	v_add_co_u32 v73, s1, v77, v25
	v_add_co_ci_u32_e64 v74, s1, 0, v78, s1
	v_add_co_u32 v75, s1, v79, v25
	global_load_b32 v77, v[77:78], off offset:4
	v_add_co_ci_u32_e64 v76, s1, 0, v80, s1
	s_clause 0x4
	global_load_b32 v78, v[79:80], off offset:4
	global_load_b32 v19, v[19:20], off
	global_load_b32 v20, v[81:82], off
	;; [unrolled: 1-line block ×4, first 2 shown]
	s_clause 0x2
	global_load_b32 v71, v[71:72], off offset:8
	global_load_b32 v72, v[73:74], off offset:8
	;; [unrolled: 1-line block ×3, first 2 shown]
	s_waitcnt vmcnt(35)
	v_ashrrev_i32_e32 v74, v25, v91
	s_waitcnt vmcnt(34)
	v_ashrrev_i32_e32 v75, v25, v92
	s_delay_alu instid0(VALU_DEP_1)
	v_lshlrev_b32_e32 v114, 4, v75
	v_lshlrev_b32_e32 v115, 11, v75
	v_lshrrev_b32_e32 v118, 12, v75
	v_lshrrev_b32_e32 v119, 5, v75
	s_waitcnt vmcnt(33)
	v_ashrrev_i32_e32 v76, v25, v93
	s_waitcnt vmcnt(32)
	v_ashrrev_i32_e32 v81, v25, v94
	;; [unrolled: 2-line block ×7, first 2 shown]
	v_lshlrev_b32_e32 v93, 4, v74
	v_lshlrev_b32_e32 v94, 11, v74
	s_waitcnt vmcnt(25)
	v_lshrrev_b32_e32 v97, 4, v101
	v_lshrrev_b32_e32 v98, 12, v74
	;; [unrolled: 1-line block ×3, first 2 shown]
	v_and_b32_e32 v92, 0xf0f0f0f, v101
	s_waitcnt vmcnt(24)
	v_and_b32_e32 v101, 0xf0f0f0f, v102
	v_lshrrev_b32_e32 v102, 4, v102
	v_lshlrev_b32_e32 v122, 4, v76
	v_lshlrev_b32_e32 v123, 11, v76
	s_waitcnt vmcnt(23)
	v_and_b32_e32 v121, 0xf0f0f0f, v103
	v_lshrrev_b32_e32 v103, 4, v103
	v_lshrrev_b32_e32 v126, 12, v76
	v_lshrrev_b32_e32 v127, 5, v76
	v_lshlrev_b32_e32 v130, 4, v81
	v_lshlrev_b32_e32 v131, 11, v81
	v_lshrrev_b32_e32 v134, 12, v81
	v_lshrrev_b32_e32 v135, 5, v81
	s_waitcnt vmcnt(21)
	v_and_b32_e32 v129, 0xf0f0f0f, v104
	v_lshrrev_b32_e32 v104, 4, v104
	v_lshlrev_b32_e32 v138, 4, v82
	v_lshlrev_b32_e32 v139, 11, v82
	v_lshrrev_b32_e32 v142, 12, v82
	v_lshrrev_b32_e32 v143, 5, v82
	v_ashrrev_i32_e32 v91, v25, v100
	v_lshlrev_b32_e32 v95, 18, v74
	v_lshlrev_b32_e32 v96, 25, v74
	s_waitcnt vmcnt(20)
	v_and_b32_e32 v137, 0xf0f0f0f, v105
	v_lshrrev_b32_e32 v105, 4, v105
	v_lshlrev_b32_e32 v100, 2, v74
	v_lshlrev_b32_e32 v74, 9, v74
	s_waitcnt vmcnt(19)
	v_and_b32_e32 v145, 0xf0f0f0f, v106
	v_lshlrev_b32_e32 v146, 4, v83
	v_lshlrev_b32_e32 v147, 11, v83
	v_lshrrev_b32_e32 v106, 4, v106
	v_lshrrev_b32_e32 v150, 12, v83
	;; [unrolled: 1-line block ×3, first 2 shown]
	v_lshlrev_b32_e32 v154, 4, v84
	s_waitcnt vmcnt(18)
	v_and_b32_e32 v153, 0xf0f0f0f, v107
	v_lshlrev_b32_e32 v155, 11, v84
	v_lshrrev_b32_e32 v107, 4, v107
	v_lshrrev_b32_e32 v158, 12, v84
	;; [unrolled: 1-line block ×3, first 2 shown]
	v_and_b32_e32 v93, 16, v93
	v_and_b32_e32 v94, 0x1000, v94
	v_and_b32_e32 v97, 0xf0f0f0f, v97
	v_and_b32_e32 v98, 16, v98
	v_and_b32_e32 v99, 0x1000, v99
	v_lshlrev_b32_e32 v116, 18, v75
	v_lshlrev_b32_e32 v117, 25, v75
	v_lshlrev_b32_e32 v120, 2, v75
	v_lshlrev_b32_e32 v75, 9, v75
	v_and_b32_e32 v114, 16, v114
	v_and_b32_e32 v115, 0x1000, v115
	v_and_b32_e32 v102, 0xf0f0f0f, v102
	v_and_b32_e32 v118, 16, v118
	v_and_b32_e32 v119, 0x1000, v119
	v_lshlrev_b32_e32 v124, 18, v76
	v_lshlrev_b32_e32 v125, 25, v76
	v_lshlrev_b32_e32 v128, 2, v76
	v_lshlrev_b32_e32 v76, 9, v76
	;; [unrolled: 9-line block ×5, first 2 shown]
	v_lshlrev_b32_e32 v156, 18, v84
	v_lshlrev_b32_e32 v157, 25, v84
	;; [unrolled: 1-line block ×4, first 2 shown]
	v_and_b32_e32 v95, 0x100000, v95
	v_and_b32_e32 v96, 0x10000000, v96
	;; [unrolled: 1-line block ×14, first 2 shown]
	v_or3_b32 v92, v93, v92, v94
	v_or3_b32 v93, v98, v97, v99
	v_and_b32_e32 v116, 0x100000, v116
	v_and_b32_e32 v117, 0x10000000, v117
	v_and_b32_e32 v120, 0x100000, v120
	v_and_b32_e32 v75, 0x10000000, v75
	v_or3_b32 v94, v114, v101, v115
	v_or3_b32 v97, v118, v102, v119
	v_and_b32_e32 v124, 0x100000, v124
	v_and_b32_e32 v125, 0x10000000, v125
	v_and_b32_e32 v128, 0x100000, v128
	v_and_b32_e32 v76, 0x10000000, v76
	;; [unrolled: 6-line block ×4, first 2 shown]
	v_or3_b32 v103, v138, v137, v139
	v_or3_b32 v104, v142, v105, v143
	s_waitcnt vmcnt(15)
	v_and_b32_e32 v169, 0xf0f0f0f, v87
	v_lshrrev_b32_e32 v87, 4, v87
	v_lshrrev_b32_e32 v174, 12, v86
	;; [unrolled: 1-line block ×3, first 2 shown]
	v_and_b32_e32 v148, 0x100000, v148
	v_and_b32_e32 v149, 0x10000000, v149
	;; [unrolled: 1-line block ×8, first 2 shown]
	v_or3_b32 v105, v146, v145, v147
	v_or3_b32 v106, v150, v106, v151
	;; [unrolled: 1-line block ×14, first 2 shown]
	v_and_b32_e32 v161, 0xf0f0f0f, v108
	v_lshlrev_b32_e32 v162, 4, v85
	v_lshlrev_b32_e32 v163, 11, v85
	v_lshrrev_b32_e32 v108, 4, v108
	v_lshrrev_b32_e32 v166, 12, v85
	;; [unrolled: 1-line block ×3, first 2 shown]
	v_lshlrev_b32_e32 v170, 4, v86
	v_lshlrev_b32_e32 v171, 11, v86
	;; [unrolled: 1-line block ×6, first 2 shown]
	v_and_b32_e32 v87, 0xf0f0f0f, v87
	v_and_b32_e32 v174, 16, v174
	v_and_b32_e32 v175, 0x1000, v175
	v_or3_b32 v97, v105, v148, v149
	v_or3_b32 v83, v106, v152, v83
	;; [unrolled: 1-line block ×4, first 2 shown]
	ds_store_2addr_b32 v0, v92, v74 offset1:1
	ds_store_2addr_b32 v1, v93, v75 offset1:1
	;; [unrolled: 1-line block ×7, first 2 shown]
	v_lshlrev_b32_e32 v75, 4, v91
	v_lshlrev_b32_e32 v76, 11, v91
	;; [unrolled: 1-line block ×6, first 2 shown]
	v_and_b32_e32 v162, 16, v162
	v_and_b32_e32 v163, 0x1000, v163
	;; [unrolled: 1-line block ×5, first 2 shown]
	v_or3_b32 v74, v174, v87, v175
	v_and_b32_e32 v81, 0x100000, v176
	v_and_b32_e32 v82, 0x10000000, v86
	s_waitcnt vmcnt(14)
	v_and_b32_e32 v83, 0xf0f0f0f, v88
	v_and_b32_e32 v75, 16, v75
	;; [unrolled: 1-line block ×7, first 2 shown]
	v_or3_b32 v115, v162, v161, v163
	v_or3_b32 v108, v166, v108, v167
	v_or3_b32 v74, v74, v81, v82
	v_or3_b32 v75, v75, v83, v76
	v_lshrrev_b32_e32 v76, 4, v88
	v_lshrrev_b32_e32 v82, 12, v91
	;; [unrolled: 1-line block ×3, first 2 shown]
	v_and_b32_e32 v170, 16, v170
	v_and_b32_e32 v171, 0x1000, v171
	v_or3_b32 v99, v115, v164, v165
	v_or3_b32 v85, v108, v168, v85
	v_and_b32_e32 v76, 0xf0f0f0f, v76
	v_and_b32_e32 v82, 16, v82
	;; [unrolled: 1-line block ×3, first 2 shown]
	s_waitcnt vmcnt(13)
	v_ashrrev_i32_e32 v86, v25, v89
	v_and_b32_e32 v172, 0x100000, v172
	v_and_b32_e32 v173, 0x10000000, v173
	v_or3_b32 v118, v170, v169, v171
	ds_store_2addr_b32 v7, v99, v85 offset1:1
	v_lshlrev_b32_e32 v81, 18, v91
	v_lshlrev_b32_e32 v85, 25, v91
	v_or3_b32 v76, v82, v76, v83
	v_lshlrev_b32_e32 v82, 4, v86
	v_lshlrev_b32_e32 v83, 11, v86
	v_or3_b32 v84, v118, v172, v173
	v_and_b32_e32 v81, 0x100000, v81
	v_and_b32_e32 v85, 0x10000000, v85
	v_lshlrev_b32_e32 v87, 2, v91
	v_lshlrev_b32_e32 v88, 9, v91
	s_waitcnt vmcnt(12)
	v_and_b32_e32 v89, 0xf0f0f0f, v90
	v_and_b32_e32 v82, 16, v82
	;; [unrolled: 1-line block ×5, first 2 shown]
	ds_store_2addr_b32 v8, v84, v74 offset1:1
	v_or3_b32 v74, v75, v81, v85
	v_or3_b32 v81, v82, v89, v83
	v_lshrrev_b32_e32 v82, 4, v90
	v_lshrrev_b32_e32 v83, 12, v86
	;; [unrolled: 1-line block ×3, first 2 shown]
	v_or3_b32 v75, v76, v87, v88
	s_waitcnt vmcnt(11)
	v_ashrrev_i32_e32 v87, v25, v109
	v_and_b32_e32 v82, 0xf0f0f0f, v82
	v_and_b32_e32 v83, 16, v83
	;; [unrolled: 1-line block ×3, first 2 shown]
	v_lshlrev_b32_e32 v76, 18, v86
	v_lshlrev_b32_e32 v85, 25, v86
	;; [unrolled: 1-line block ×4, first 2 shown]
	v_or3_b32 v82, v83, v82, v84
	v_lshlrev_b32_e32 v83, 4, v87
	v_lshlrev_b32_e32 v84, 11, v87
	v_and_b32_e32 v76, 0x100000, v76
	v_and_b32_e32 v85, 0x10000000, v85
	;; [unrolled: 1-line block ×4, first 2 shown]
	s_waitcnt vmcnt(10)
	v_and_b32_e32 v89, 0xf0f0f0f, v110
	v_and_b32_e32 v83, 16, v83
	;; [unrolled: 1-line block ×3, first 2 shown]
	ds_store_2addr_b32 v9, v74, v75 offset1:1
	v_or3_b32 v74, v81, v76, v85
	v_or3_b32 v75, v82, v88, v86
	v_lshrrev_b32_e32 v82, 4, v110
	v_or3_b32 v81, v83, v89, v84
	v_lshrrev_b32_e32 v83, 12, v87
	v_lshrrev_b32_e32 v84, 5, v87
	v_ashrrev_i32_e32 v86, v25, v111
	v_and_b32_e32 v82, 0xf0f0f0f, v82
	v_lshlrev_b32_e32 v76, 18, v87
	v_and_b32_e32 v83, 16, v83
	v_and_b32_e32 v84, 0x1000, v84
	v_lshlrev_b32_e32 v85, 25, v87
	v_lshlrev_b32_e32 v88, 2, v87
	;; [unrolled: 1-line block ×3, first 2 shown]
	v_and_b32_e32 v76, 0x100000, v76
	v_or3_b32 v82, v83, v82, v84
	v_lshlrev_b32_e32 v83, 4, v86
	v_lshlrev_b32_e32 v84, 11, v86
	v_and_b32_e32 v85, 0x10000000, v85
	v_and_b32_e32 v88, 0x100000, v88
	;; [unrolled: 1-line block ×3, first 2 shown]
	s_waitcnt vmcnt(9)
	v_and_b32_e32 v89, 0xf0f0f0f, v112
	v_and_b32_e32 v83, 16, v83
	;; [unrolled: 1-line block ×3, first 2 shown]
	ds_store_2addr_b32 v10, v74, v75 offset1:1
	v_or3_b32 v74, v81, v76, v85
	v_or3_b32 v75, v82, v88, v87
	v_lshrrev_b32_e32 v82, 4, v112
	v_or3_b32 v81, v83, v89, v84
	v_lshrrev_b32_e32 v83, 12, v86
	v_lshrrev_b32_e32 v84, 5, v86
	v_ashrrev_i32_e32 v87, v25, v113
	v_and_b32_e32 v82, 0xf0f0f0f, v82
	v_lshlrev_b32_e32 v76, 18, v86
	v_and_b32_e32 v83, 16, v83
	v_and_b32_e32 v84, 0x1000, v84
	v_lshlrev_b32_e32 v85, 25, v86
	v_lshlrev_b32_e32 v88, 2, v86
	;; [unrolled: 1-line block ×3, first 2 shown]
	v_and_b32_e32 v76, 0x100000, v76
	v_or3_b32 v82, v83, v82, v84
	v_lshlrev_b32_e32 v83, 4, v87
	v_lshlrev_b32_e32 v84, 11, v87
	v_and_b32_e32 v85, 0x10000000, v85
	v_and_b32_e32 v88, 0x100000, v88
	;; [unrolled: 1-line block ×3, first 2 shown]
	s_waitcnt vmcnt(2)
	v_and_b32_e32 v89, 0xf0f0f0f, v71
	v_and_b32_e32 v83, 16, v83
	;; [unrolled: 1-line block ×3, first 2 shown]
	v_lshlrev_b32_e32 v90, 18, v87
	v_lshlrev_b32_e32 v91, 25, v87
	v_or3_b32 v76, v81, v76, v85
	v_or3_b32 v81, v82, v88, v86
	;; [unrolled: 1-line block ×3, first 2 shown]
	v_and_b32_e32 v83, 0x100000, v90
	v_and_b32_e32 v84, 0x10000000, v91
	v_lshrrev_b32_e32 v85, 12, v87
	v_lshrrev_b32_e32 v86, 5, v87
	v_ashrrev_i32_e32 v77, v25, v77
	v_lshrrev_b32_e32 v71, 4, v71
	v_or3_b32 v82, v82, v83, v84
	v_and_b32_e32 v83, 16, v85
	v_and_b32_e32 v84, 0x1000, v86
	v_lshlrev_b32_e32 v85, 4, v77
	v_lshlrev_b32_e32 v86, 11, v77
	v_and_b32_e32 v71, 0xf0f0f0f, v71
	v_lshlrev_b32_e32 v88, 2, v87
	v_lshlrev_b32_e32 v87, 9, v87
	s_waitcnt vmcnt(1)
	v_and_b32_e32 v89, 0xf0f0f0f, v72
	v_and_b32_e32 v85, 16, v85
	;; [unrolled: 1-line block ×3, first 2 shown]
	v_lshlrev_b32_e32 v90, 18, v77
	v_ashrrev_i32_e32 v78, v25, v78
	v_or3_b32 v71, v83, v71, v84
	v_and_b32_e32 v83, 0x100000, v88
	v_and_b32_e32 v84, 0x10000000, v87
	v_or3_b32 v85, v85, v89, v86
	v_and_b32_e32 v86, 0x100000, v90
	v_lshrrev_b32_e32 v72, 4, v72
	v_lshrrev_b32_e32 v87, 12, v77
	;; [unrolled: 1-line block ×3, first 2 shown]
	v_lshlrev_b32_e32 v90, 4, v78
	v_lshlrev_b32_e32 v91, 11, v78
	v_and_b32_e32 v72, 0xf0f0f0f, v72
	v_and_b32_e32 v87, 16, v87
	;; [unrolled: 1-line block ×3, first 2 shown]
	s_waitcnt vmcnt(0)
	v_and_b32_e32 v93, 0xf0f0f0f, v73
	v_and_b32_e32 v90, 16, v90
	;; [unrolled: 1-line block ×3, first 2 shown]
	v_lshlrev_b32_e32 v92, 2, v77
	v_or3_b32 v72, v87, v72, v88
	v_lshrrev_b32_e32 v73, 4, v73
	v_lshlrev_b32_e32 v89, 25, v77
	v_or3_b32 v88, v90, v93, v91
	v_lshrrev_b32_e32 v90, 12, v78
	v_lshrrev_b32_e32 v91, 5, v78
	v_lshlrev_b32_e32 v77, 9, v77
	v_and_b32_e32 v87, 0x100000, v92
	v_lshlrev_b32_e32 v92, 18, v78
	v_lshlrev_b32_e32 v93, 25, v78
	v_and_b32_e32 v73, 0xf0f0f0f, v73
	v_and_b32_e32 v90, 16, v90
	;; [unrolled: 1-line block ×3, first 2 shown]
	v_lshlrev_b32_e32 v94, 2, v78
	v_lshlrev_b32_e32 v78, 9, v78
	v_and_b32_e32 v89, 0x10000000, v89
	v_and_b32_e32 v77, 0x10000000, v77
	v_and_b32_e32 v92, 0x100000, v92
	v_and_b32_e32 v93, 0x10000000, v93
	v_or3_b32 v73, v90, v73, v91
	v_and_b32_e32 v90, 0x100000, v94
	v_and_b32_e32 v78, 0x10000000, v78
	v_or3_b32 v71, v71, v83, v84
	v_or3_b32 v83, v85, v86, v89
	;; [unrolled: 1-line block ×5, first 2 shown]
	ds_store_2addr_b32 v11, v74, v75 offset1:1
	ds_store_2addr_b32 v12, v76, v81 offset1:1
	;; [unrolled: 1-line block ×5, first 2 shown]
	ds_store_b32 v67, v19
	ds_store_b32 v68, v20
	;; [unrolled: 1-line block ×4, first 2 shown]
	s_cbranch_scc0 .LBB184_4
; %bb.6:                                ;   in Loop: Header=BB184_5 Depth=1
	v_add_nc_u32_e32 v19, s18, v39
	s_delay_alu instid0(VALU_DEP_1) | instskip(NEXT) | instid1(VALU_DEP_1)
	v_cmp_gt_i32_e64 s1, s8, v19
	s_and_b32 s16, s0, s1
	s_delay_alu instid0(SALU_CYCLE_1)
	s_and_saveexec_b32 s1, s16
	s_cbranch_execz .LBB184_8
; %bb.7:                                ;   in Loop: Header=BB184_5 Depth=1
	v_add_nc_u32_e32 v71, v54, v19
	s_delay_alu instid0(VALU_DEP_1)
	v_mad_i64_i32 v[19:20], null, v71, 36, v[17:18]
	global_load_b32 v19, v[19:20], off offset:4
	s_waitcnt vmcnt(0)
	ds_store_b32 v50, v19
.LBB184_8:                              ;   in Loop: Header=BB184_5 Depth=1
	s_or_b32 exec_lo, exec_lo, s1
	s_and_saveexec_b32 s16, vcc_lo
	s_cbranch_execz .LBB184_11
; %bb.9:                                ;   in Loop: Header=BB184_5 Depth=1
	v_or_b32_e32 v19, s18, v22
	s_delay_alu instid0(VALU_DEP_1) | instskip(NEXT) | instid1(VALU_DEP_1)
	v_cmp_gt_i32_e64 s1, s8, v19
	s_and_b32 s1, s0, s1
	s_delay_alu instid0(SALU_CYCLE_1)
	s_and_b32 exec_lo, exec_lo, s1
	s_cbranch_execz .LBB184_11
; %bb.10:                               ;   in Loop: Header=BB184_5 Depth=1
	v_add_nc_u32_e32 v71, v54, v19
	s_delay_alu instid0(VALU_DEP_1)
	v_mad_i64_i32 v[19:20], null, v71, 36, s[2:3]
	global_load_b32 v19, v[19:20], off
	s_waitcnt vmcnt(0)
	ds_store_b32 v51, v19
.LBB184_11:                             ;   in Loop: Header=BB184_5 Depth=1
	s_or_b32 exec_lo, exec_lo, s16
	v_dual_mov_b32 v19, v61 :: v_dual_mov_b32 v20, v60
	v_dual_mov_b32 v71, v52 :: v_dual_mov_b32 v72, v59
	;; [unrolled: 1-line block ×3, first 2 shown]
	v_mov_b32_e32 v75, v56
	s_mov_b32 s1, -4
	s_waitcnt lgkmcnt(0)
	s_barrier
	buffer_gl0_inv
.LBB184_12:                             ;   Parent Loop BB184_5 Depth=1
                                        ; =>  This Inner Loop Header: Depth=2
	v_add_nc_u32_e32 v92, 0x2080, v71
	v_add_nc_u32_e32 v94, 0x4100, v71
	;; [unrolled: 1-line block ×3, first 2 shown]
	ds_load_b128 v[76:79], v20
	ds_load_b32 v116, v19
	ds_load_b128 v[80:83], v20 offset:16
	ds_load_2addr_b32 v[84:85], v71 offset1:1
	ds_load_2addr_b32 v[86:87], v71 offset0:2 offset1:3
	ds_load_2addr_b32 v[88:89], v71 offset0:4 offset1:5
	ds_load_b32 v117, v72
	ds_load_2addr_b32 v[90:91], v71 offset0:6 offset1:7
	ds_load_b32 v118, v73
	ds_load_2addr_b32 v[92:93], v92 offset1:1
	ds_load_2addr_b32 v[94:95], v94 offset1:1
	;; [unrolled: 1-line block ×3, first 2 shown]
	ds_load_b32 v119, v74
	ds_load_b32 v120, v75
	v_add_nc_u32_e32 v98, 0x2088, v71
	v_add_nc_u32_e32 v100, 0x4108, v71
	;; [unrolled: 1-line block ×9, first 2 shown]
	ds_load_2addr_b32 v[98:99], v98 offset1:1
	ds_load_2addr_b32 v[100:101], v100 offset1:1
	;; [unrolled: 1-line block ×9, first 2 shown]
	v_add_nc_u32_e32 v74, 4, v74
	v_add_nc_u32_e32 v72, 4, v72
	;; [unrolled: 1-line block ×4, first 2 shown]
	s_waitcnt lgkmcnt(19)
	v_dot4_i32_iu8 v84, v84, v76, 0 neg_lo:[1,1,0]
	s_waitcnt lgkmcnt(13)
	v_dot4_i32_iu8 v92, v92, v76, 0 neg_lo:[1,1,0]
	s_waitcnt lgkmcnt(12)
	v_dot4_i32_iu8 v94, v94, v76, 0 neg_lo:[1,1,0]
	s_waitcnt lgkmcnt(11)
	v_dot4_i32_iu8 v76, v96, v76, 0 neg_lo:[1,1,0]
	v_add_nc_u32_e32 v19, 4, v19
	v_dot4_i32_iu8 v84, v85, v80, v84 neg_lo:[1,1,0]
	v_dot4_i32_iu8 v85, v93, v80, v92 neg_lo:[1,1,0]
	;; [unrolled: 1-line block ×4, first 2 shown]
	s_add_i32 s1, s1, 4
	v_dot4_i32_iu8 v80, v86, v77, v84 neg_lo:[1,1,0]
	s_waitcnt lgkmcnt(8)
	v_dot4_i32_iu8 v84, v98, v77, v85 neg_lo:[1,1,0]
	s_waitcnt lgkmcnt(7)
	;; [unrolled: 2-line block ×3, first 2 shown]
	v_dot4_i32_iu8 v76, v102, v77, v76 neg_lo:[1,1,0]
	s_cmp_lt_u32 s1, 12
	v_dot4_i32_iu8 v77, v87, v81, v80 neg_lo:[1,1,0]
	v_dot4_i32_iu8 v80, v99, v81, v84 neg_lo:[1,1,0]
	;; [unrolled: 1-line block ×4, first 2 shown]
	s_delay_alu instid0(VALU_DEP_4)
	v_dot4_i32_iu8 v77, v88, v78, v77 neg_lo:[1,1,0]
	s_waitcnt lgkmcnt(5)
	v_dot4_i32_iu8 v80, v104, v78, v80 neg_lo:[1,1,0]
	s_waitcnt lgkmcnt(3)
	;; [unrolled: 2-line block ×3, first 2 shown]
	v_dot4_i32_iu8 v76, v112, v78, v76 neg_lo:[1,1,0]
	v_pk_mul_f16 v78, v116, v117
	v_dot4_i32_iu8 v77, v89, v82, v77 neg_lo:[1,1,0]
	v_dot4_i32_iu8 v80, v105, v82, v80 neg_lo:[1,1,0]
	;; [unrolled: 1-line block ×4, first 2 shown]
	v_pk_mul_f16 v82, v116, v118
	v_dot4_i32_iu8 v77, v90, v79, v77 neg_lo:[1,1,0]
	v_dot4_i32_iu8 v80, v106, v79, v80 neg_lo:[1,1,0]
	;; [unrolled: 1-line block ×3, first 2 shown]
	s_waitcnt lgkmcnt(0)
	v_dot4_i32_iu8 v76, v114, v79, v76 neg_lo:[1,1,0]
	v_pk_mul_f16 v79, v116, v119
	v_dot4_i32_iu8 v77, v91, v83, v77 neg_lo:[1,1,0]
	v_dot4_i32_iu8 v80, v107, v83, v80 neg_lo:[1,1,0]
	;; [unrolled: 1-line block ×4, first 2 shown]
	v_pk_mul_f16 v83, v116, v120
	v_cvt_f32_i32_e32 v77, v77
	v_cvt_f32_i32_e32 v80, v80
	;; [unrolled: 1-line block ×4, first 2 shown]
	s_delay_alu instid0(VALU_DEP_4) | instskip(NEXT) | instid1(VALU_DEP_4)
	v_fma_mix_f32 v77, v78, v77, v78 op_sel:[0,0,1] op_sel_hi:[1,0,1]
	v_fma_mix_f32 v78, v82, v80, v82 op_sel:[0,0,1] op_sel_hi:[1,0,1]
	s_delay_alu instid0(VALU_DEP_4) | instskip(NEXT) | instid1(VALU_DEP_4)
	v_fma_mix_f32 v79, v79, v81, v79 op_sel:[0,0,1] op_sel_hi:[1,0,1]
	v_fma_mix_f32 v76, v83, v76, v83 op_sel:[0,0,1] op_sel_hi:[1,0,1]
	v_add_nc_u32_e32 v75, 4, v75
	v_add_nc_u32_e32 v73, 4, v73
	s_delay_alu instid0(VALU_DEP_4) | instskip(NEXT) | instid1(VALU_DEP_4)
	v_dual_add_f32 v23, v23, v77 :: v_dual_add_f32 v46, v46, v79
	v_dual_add_f32 v49, v49, v78 :: v_dual_add_f32 v14, v14, v76
	s_cbranch_scc1 .LBB184_12
; %bb.13:                               ;   in Loop: Header=BB184_5 Depth=1
	s_bitset1_b32 s6, 7
	s_delay_alu instid0(SALU_CYCLE_1)
	s_cmp_ge_i32 s6, s5
	s_barrier
	buffer_gl0_inv
	s_cbranch_scc1 .LBB184_4
; %bb.14:                               ;   in Loop: Header=BB184_5 Depth=1
	v_add_nc_u32_e32 v19, s18, v53
	s_delay_alu instid0(VALU_DEP_1) | instskip(NEXT) | instid1(VALU_DEP_1)
	v_cmp_gt_i32_e64 s1, s8, v19
	s_and_b32 s6, s0, s1
	s_delay_alu instid0(SALU_CYCLE_1)
	s_and_saveexec_b32 s1, s6
	s_cbranch_execz .LBB184_16
; %bb.15:                               ;   in Loop: Header=BB184_5 Depth=1
	v_add_nc_u32_e32 v71, v54, v19
	s_delay_alu instid0(VALU_DEP_1)
	v_mad_i64_i32 v[19:20], null, v71, 36, v[17:18]
	global_load_b32 v19, v[19:20], off offset:4
	s_waitcnt vmcnt(0)
	ds_store_b32 v50, v19
.LBB184_16:                             ;   in Loop: Header=BB184_5 Depth=1
	s_or_b32 exec_lo, exec_lo, s1
	s_and_saveexec_b32 s6, vcc_lo
	s_cbranch_execz .LBB184_19
; %bb.17:                               ;   in Loop: Header=BB184_5 Depth=1
	v_or_b32_e32 v19, s18, v22
	s_delay_alu instid0(VALU_DEP_1) | instskip(NEXT) | instid1(VALU_DEP_1)
	v_or_b32_e32 v20, 4, v19
	v_cmp_gt_i32_e64 s1, s8, v20
	s_delay_alu instid0(VALU_DEP_1) | instskip(NEXT) | instid1(SALU_CYCLE_1)
	s_and_b32 s1, s0, s1
	s_and_b32 exec_lo, exec_lo, s1
	s_cbranch_execz .LBB184_19
; %bb.18:                               ;   in Loop: Header=BB184_5 Depth=1
	v_ashrrev_i32_e32 v20, 31, v19
	v_add_co_u32 v71, s1, v54, v19
	s_delay_alu instid0(VALU_DEP_1) | instskip(NEXT) | instid1(VALU_DEP_2)
	v_add_co_ci_u32_e64 v72, s1, v55, v20, s1
	v_mad_u64_u32 v[19:20], null, v71, 36, s[14:15]
	s_delay_alu instid0(VALU_DEP_1)
	v_mad_i32_i24 v20, v72, 36, v20
	global_load_b32 v19, v[19:20], off
	s_waitcnt vmcnt(0)
	ds_store_b32 v51, v19
.LBB184_19:                             ;   in Loop: Header=BB184_5 Depth=1
	s_or_b32 exec_lo, exec_lo, s6
	v_dual_mov_b32 v19, v61 :: v_dual_mov_b32 v20, v60
	v_dual_mov_b32 v71, v66 :: v_dual_mov_b32 v72, v65
	;; [unrolled: 1-line block ×3, first 2 shown]
	v_mov_b32_e32 v75, v62
	s_mov_b32 s1, 12
	s_waitcnt lgkmcnt(0)
	s_barrier
	buffer_gl0_inv
.LBB184_20:                             ;   Parent Loop BB184_5 Depth=1
                                        ; =>  This Inner Loop Header: Depth=2
	v_add_nc_u32_e32 v92, 0x2080, v71
	v_add_nc_u32_e32 v94, 0x4100, v71
	;; [unrolled: 1-line block ×3, first 2 shown]
	ds_load_b128 v[76:79], v20
	ds_load_b32 v116, v19
	ds_load_b128 v[80:83], v20 offset:16
	ds_load_2addr_b32 v[84:85], v71 offset1:1
	ds_load_2addr_b32 v[86:87], v71 offset0:2 offset1:3
	ds_load_2addr_b32 v[88:89], v71 offset0:4 offset1:5
	ds_load_b32 v117, v72
	ds_load_2addr_b32 v[90:91], v71 offset0:6 offset1:7
	ds_load_b32 v118, v73
	ds_load_2addr_b32 v[92:93], v92 offset1:1
	ds_load_2addr_b32 v[94:95], v94 offset1:1
	;; [unrolled: 1-line block ×3, first 2 shown]
	ds_load_b32 v119, v74
	ds_load_b32 v120, v75
	v_add_nc_u32_e32 v98, 0x2088, v71
	v_add_nc_u32_e32 v100, 0x4108, v71
	;; [unrolled: 1-line block ×9, first 2 shown]
	ds_load_2addr_b32 v[98:99], v98 offset1:1
	ds_load_2addr_b32 v[100:101], v100 offset1:1
	;; [unrolled: 1-line block ×9, first 2 shown]
	v_add_nc_u32_e32 v74, 4, v74
	v_add_nc_u32_e32 v72, 4, v72
	;; [unrolled: 1-line block ×4, first 2 shown]
	s_waitcnt lgkmcnt(19)
	v_dot4_i32_iu8 v84, v84, v76, 0 neg_lo:[1,1,0]
	s_waitcnt lgkmcnt(13)
	v_dot4_i32_iu8 v92, v92, v76, 0 neg_lo:[1,1,0]
	;; [unrolled: 2-line block ×4, first 2 shown]
	v_add_nc_u32_e32 v19, 4, v19
	v_dot4_i32_iu8 v84, v85, v80, v84 neg_lo:[1,1,0]
	v_dot4_i32_iu8 v85, v93, v80, v92 neg_lo:[1,1,0]
	v_dot4_i32_iu8 v92, v95, v80, v94 neg_lo:[1,1,0]
	v_dot4_i32_iu8 v76, v97, v80, v76 neg_lo:[1,1,0]
	s_add_i32 s1, s1, 4
	v_dot4_i32_iu8 v80, v86, v77, v84 neg_lo:[1,1,0]
	s_waitcnt lgkmcnt(8)
	v_dot4_i32_iu8 v84, v98, v77, v85 neg_lo:[1,1,0]
	s_waitcnt lgkmcnt(7)
	;; [unrolled: 2-line block ×3, first 2 shown]
	v_dot4_i32_iu8 v76, v102, v77, v76 neg_lo:[1,1,0]
	s_cmp_lt_u32 s1, 28
	v_dot4_i32_iu8 v77, v87, v81, v80 neg_lo:[1,1,0]
	v_dot4_i32_iu8 v80, v99, v81, v84 neg_lo:[1,1,0]
	;; [unrolled: 1-line block ×4, first 2 shown]
	s_delay_alu instid0(VALU_DEP_4)
	v_dot4_i32_iu8 v77, v88, v78, v77 neg_lo:[1,1,0]
	s_waitcnt lgkmcnt(5)
	v_dot4_i32_iu8 v80, v104, v78, v80 neg_lo:[1,1,0]
	s_waitcnt lgkmcnt(3)
	;; [unrolled: 2-line block ×3, first 2 shown]
	v_dot4_i32_iu8 v76, v112, v78, v76 neg_lo:[1,1,0]
	v_pk_mul_f16 v78, v116, v117
	v_dot4_i32_iu8 v77, v89, v82, v77 neg_lo:[1,1,0]
	v_dot4_i32_iu8 v80, v105, v82, v80 neg_lo:[1,1,0]
	;; [unrolled: 1-line block ×4, first 2 shown]
	v_pk_mul_f16 v82, v116, v118
	v_dot4_i32_iu8 v77, v90, v79, v77 neg_lo:[1,1,0]
	v_dot4_i32_iu8 v80, v106, v79, v80 neg_lo:[1,1,0]
	;; [unrolled: 1-line block ×3, first 2 shown]
	s_waitcnt lgkmcnt(0)
	v_dot4_i32_iu8 v76, v114, v79, v76 neg_lo:[1,1,0]
	v_pk_mul_f16 v79, v116, v119
	v_dot4_i32_iu8 v77, v91, v83, v77 neg_lo:[1,1,0]
	v_dot4_i32_iu8 v80, v107, v83, v80 neg_lo:[1,1,0]
	;; [unrolled: 1-line block ×4, first 2 shown]
	v_pk_mul_f16 v83, v116, v120
	v_cvt_f32_i32_e32 v77, v77
	v_cvt_f32_i32_e32 v80, v80
	;; [unrolled: 1-line block ×4, first 2 shown]
	s_delay_alu instid0(VALU_DEP_4) | instskip(NEXT) | instid1(VALU_DEP_4)
	v_fma_mix_f32 v77, v78, v77, v78 op_sel:[0,0,1] op_sel_hi:[1,0,1]
	v_fma_mix_f32 v78, v82, v80, v82 op_sel:[0,0,1] op_sel_hi:[1,0,1]
	s_delay_alu instid0(VALU_DEP_4) | instskip(NEXT) | instid1(VALU_DEP_4)
	v_fma_mix_f32 v79, v79, v81, v79 op_sel:[0,0,1] op_sel_hi:[1,0,1]
	v_fma_mix_f32 v76, v83, v76, v83 op_sel:[0,0,1] op_sel_hi:[1,0,1]
	v_add_nc_u32_e32 v75, 4, v75
	v_add_nc_u32_e32 v73, 4, v73
	s_delay_alu instid0(VALU_DEP_4) | instskip(NEXT) | instid1(VALU_DEP_4)
	v_dual_add_f32 v23, v23, v77 :: v_dual_add_f32 v46, v46, v79
	v_dual_add_f32 v49, v49, v78 :: v_dual_add_f32 v14, v14, v76
	s_cbranch_scc1 .LBB184_20
; %bb.21:                               ;   in Loop: Header=BB184_5 Depth=1
	s_barrier
	buffer_gl0_inv
	s_branch .LBB184_4
.LBB184_22:
	s_mul_i32 s0, s10, s7
	s_waitcnt vmcnt(0)
	v_cmp_gt_i32_e32 vcc_lo, s0, v21
	s_and_saveexec_b32 s0, vcc_lo
	s_cbranch_execz .LBB184_31
; %bb.23:
	v_mul_lo_u32 v0, v21, s9
	v_add_nc_u32_e32 v1, s11, v22
	s_mov_b32 s0, exec_lo
	s_delay_alu instid0(VALU_DEP_1)
	v_cmpx_gt_u32_e64 s9, v1
	s_cbranch_execz .LBB184_25
; %bb.24:
	s_delay_alu instid0(VALU_DEP_3) | instskip(NEXT) | instid1(VALU_DEP_1)
	v_dual_mov_b32 v3, 0 :: v_dual_add_nc_u32 v2, v0, v1
	v_lshlrev_b64 v[2:3], 2, v[2:3]
	s_delay_alu instid0(VALU_DEP_1) | instskip(NEXT) | instid1(VALU_DEP_2)
	v_add_co_u32 v2, vcc_lo, s12, v2
	v_add_co_ci_u32_e32 v3, vcc_lo, s13, v3, vcc_lo
	global_store_b32 v[2:3], v23, off
.LBB184_25:
	s_or_b32 exec_lo, exec_lo, s0
	v_add_nc_u32_e32 v2, 32, v1
	s_mov_b32 s0, exec_lo
	s_delay_alu instid0(VALU_DEP_1)
	v_cmpx_gt_u32_e64 s9, v2
	s_cbranch_execz .LBB184_27
; %bb.26:
	v_dual_mov_b32 v3, 0 :: v_dual_add_nc_u32 v2, v0, v2
	s_delay_alu instid0(VALU_DEP_1) | instskip(NEXT) | instid1(VALU_DEP_1)
	v_lshlrev_b64 v[2:3], 2, v[2:3]
	v_add_co_u32 v2, vcc_lo, s12, v2
	s_delay_alu instid0(VALU_DEP_2)
	v_add_co_ci_u32_e32 v3, vcc_lo, s13, v3, vcc_lo
	global_store_b32 v[2:3], v49, off
.LBB184_27:
	s_or_b32 exec_lo, exec_lo, s0
	v_add_nc_u32_e32 v2, 64, v1
	s_mov_b32 s0, exec_lo
	s_delay_alu instid0(VALU_DEP_1)
	v_cmpx_gt_u32_e64 s9, v2
	s_cbranch_execz .LBB184_29
; %bb.28:
	v_dual_mov_b32 v3, 0 :: v_dual_add_nc_u32 v2, v0, v2
	s_delay_alu instid0(VALU_DEP_1) | instskip(NEXT) | instid1(VALU_DEP_1)
	v_lshlrev_b64 v[2:3], 2, v[2:3]
	v_add_co_u32 v2, vcc_lo, s12, v2
	s_delay_alu instid0(VALU_DEP_2)
	v_add_co_ci_u32_e32 v3, vcc_lo, s13, v3, vcc_lo
	global_store_b32 v[2:3], v46, off
.LBB184_29:
	s_or_b32 exec_lo, exec_lo, s0
	v_add_nc_u32_e32 v1, 0x60, v1
	s_delay_alu instid0(VALU_DEP_1)
	v_cmp_gt_u32_e32 vcc_lo, s9, v1
	s_and_b32 exec_lo, exec_lo, vcc_lo
	s_cbranch_execz .LBB184_31
; %bb.30:
	v_dual_mov_b32 v1, 0 :: v_dual_add_nc_u32 v0, v0, v1
	s_delay_alu instid0(VALU_DEP_1) | instskip(NEXT) | instid1(VALU_DEP_1)
	v_lshlrev_b64 v[0:1], 2, v[0:1]
	v_add_co_u32 v0, vcc_lo, s12, v0
	s_delay_alu instid0(VALU_DEP_2)
	v_add_co_ci_u32_e32 v1, vcc_lo, s13, v1, vcc_lo
	global_store_b32 v[0:1], v14, off
.LBB184_31:
	s_nop 0
	s_sendmsg sendmsg(MSG_DEALLOC_VGPRS)
	s_endpgm
	.section	.rodata,"a",@progbits
	.p2align	6, 0x0
	.amdhsa_kernel _ZL8moe_q5_1IfLb1EEvPKvS1_PT_PKiS5_S5_iiiiiii
		.amdhsa_group_segment_fixed_size 38656
		.amdhsa_private_segment_fixed_size 0
		.amdhsa_kernarg_size 76
		.amdhsa_user_sgpr_count 14
		.amdhsa_user_sgpr_dispatch_ptr 0
		.amdhsa_user_sgpr_queue_ptr 0
		.amdhsa_user_sgpr_kernarg_segment_ptr 1
		.amdhsa_user_sgpr_dispatch_id 0
		.amdhsa_user_sgpr_private_segment_size 0
		.amdhsa_wavefront_size32 1
		.amdhsa_uses_dynamic_stack 0
		.amdhsa_enable_private_segment 0
		.amdhsa_system_sgpr_workgroup_id_x 1
		.amdhsa_system_sgpr_workgroup_id_y 1
		.amdhsa_system_sgpr_workgroup_id_z 0
		.amdhsa_system_sgpr_workgroup_info 0
		.amdhsa_system_vgpr_workitem_id 1
		.amdhsa_next_free_vgpr 177
		.amdhsa_next_free_sgpr 21
		.amdhsa_reserve_vcc 1
		.amdhsa_float_round_mode_32 0
		.amdhsa_float_round_mode_16_64 0
		.amdhsa_float_denorm_mode_32 3
		.amdhsa_float_denorm_mode_16_64 3
		.amdhsa_dx10_clamp 1
		.amdhsa_ieee_mode 1
		.amdhsa_fp16_overflow 0
		.amdhsa_workgroup_processor_mode 1
		.amdhsa_memory_ordered 1
		.amdhsa_forward_progress 0
		.amdhsa_shared_vgpr_count 0
		.amdhsa_exception_fp_ieee_invalid_op 0
		.amdhsa_exception_fp_denorm_src 0
		.amdhsa_exception_fp_ieee_div_zero 0
		.amdhsa_exception_fp_ieee_overflow 0
		.amdhsa_exception_fp_ieee_underflow 0
		.amdhsa_exception_fp_ieee_inexact 0
		.amdhsa_exception_int_div_zero 0
	.end_amdhsa_kernel
	.section	.text._ZL8moe_q5_1IfLb1EEvPKvS1_PT_PKiS5_S5_iiiiiii,"axG",@progbits,_ZL8moe_q5_1IfLb1EEvPKvS1_PT_PKiS5_S5_iiiiiii,comdat
.Lfunc_end184:
	.size	_ZL8moe_q5_1IfLb1EEvPKvS1_PT_PKiS5_S5_iiiiiii, .Lfunc_end184-_ZL8moe_q5_1IfLb1EEvPKvS1_PT_PKiS5_S5_iiiiiii
                                        ; -- End function
	.section	.AMDGPU.csdata,"",@progbits
; Kernel info:
; codeLenInByte = 7128
; NumSgprs: 23
; NumVgprs: 177
; ScratchSize: 0
; MemoryBound: 0
; FloatMode: 240
; IeeeMode: 1
; LDSByteSize: 38656 bytes/workgroup (compile time only)
; SGPRBlocks: 2
; VGPRBlocks: 22
; NumSGPRsForWavesPerEU: 23
; NumVGPRsForWavesPerEU: 177
; Occupancy: 6
; WaveLimiterHint : 1
; COMPUTE_PGM_RSRC2:SCRATCH_EN: 0
; COMPUTE_PGM_RSRC2:USER_SGPR: 14
; COMPUTE_PGM_RSRC2:TRAP_HANDLER: 0
; COMPUTE_PGM_RSRC2:TGID_X_EN: 1
; COMPUTE_PGM_RSRC2:TGID_Y_EN: 1
; COMPUTE_PGM_RSRC2:TGID_Z_EN: 0
; COMPUTE_PGM_RSRC2:TIDIG_COMP_CNT: 1
	.section	.text._ZL8moe_q8_0IfLb0EEvPKvS1_PT_PKiS5_S5_iiiiiii,"axG",@progbits,_ZL8moe_q8_0IfLb0EEvPKvS1_PT_PKiS5_S5_iiiiiii,comdat
	.globl	_ZL8moe_q8_0IfLb0EEvPKvS1_PT_PKiS5_S5_iiiiiii ; -- Begin function _ZL8moe_q8_0IfLb0EEvPKvS1_PT_PKiS5_S5_iiiiiii
	.p2align	8
	.type	_ZL8moe_q8_0IfLb0EEvPKvS1_PT_PKiS5_S5_iiiiiii,@function
_ZL8moe_q8_0IfLb0EEvPKvS1_PT_PKiS5_S5_iiiiiii: ; @_ZL8moe_q8_0IfLb0EEvPKvS1_PT_PKiS5_S5_iiiiiii
; %bb.0:
	s_load_b128 s[4:7], s[0:1], 0x18
	s_mov_b32 s2, s15
	s_mov_b32 s3, 0
	s_delay_alu instid0(SALU_CYCLE_1)
	s_lshl_b64 s[8:9], s[2:3], 2
	s_waitcnt lgkmcnt(0)
	s_add_u32 s6, s6, s8
	s_addc_u32 s7, s7, s9
	s_load_b32 s15, s[6:7], 0x0
	s_waitcnt lgkmcnt(0)
	s_cmpk_gt_u32 s15, 0xff
	s_cbranch_scc1 .LBB185_22
; %bb.1:
	s_load_b64 s[6:7], s[0:1], 0x28
	s_lshl_b32 s2, s2, 3
	s_waitcnt lgkmcnt(0)
	s_load_b32 s3, s[6:7], 0x0
	s_waitcnt lgkmcnt(0)
	s_cmp_gt_u32 s2, s3
	s_cbranch_scc1 .LBB185_22
; %bb.2:
	v_bfe_u32 v53, v0, 10, 10
	v_mov_b32_e32 v2, 0
	s_lshl_b32 s12, s14, 7
	s_mov_b32 s13, 0
	s_delay_alu instid0(VALU_DEP_1) | instskip(SKIP_2) | instid1(VALU_DEP_3)
	v_dual_mov_b32 v14, v2 :: v_dual_add_nc_u32 v1, s2, v53
	v_mov_b32_e32 v6, v2
	v_mov_b32_e32 v21, v2
	v_lshlrev_b64 v[3:4], 2, v[1:2]
	s_delay_alu instid0(VALU_DEP_1) | instskip(NEXT) | instid1(VALU_DEP_2)
	v_add_co_u32 v3, vcc_lo, s4, v3
	v_add_co_ci_u32_e32 v4, vcc_lo, s5, v4, vcc_lo
	global_load_b32 v3, v[3:4], off
	s_clause 0x2
	s_load_b64 s[10:11], s[0:1], 0x30
	s_load_b64 s[8:9], s[0:1], 0x10
	s_load_b128 s[4:7], s[0:1], 0x3c
	v_and_b32_e32 v4, 0x3ff, v0
	s_waitcnt lgkmcnt(0)
	s_cmp_lt_i32 s11, 32
	s_cbranch_scc1 .LBB185_13
; %bb.3:
	s_load_b128 s[0:3], s[0:1], 0x0
	s_ashr_i32 s14, s11, 31
	s_mul_i32 s15, s15, s10
	s_lshr_b32 s10, s14, 27
	s_ashr_i32 s16, s5, 31
	s_add_i32 s10, s11, s10
	s_lshr_b32 s14, s16, 27
	s_ashr_i32 s10, s10, 5
	s_add_i32 s5, s5, s14
	s_mul_i32 s14, s10, s12
	s_ashr_i32 s16, s15, 31
	s_ashr_i32 s5, s5, 5
	s_mul_hi_i32 s17, s14, 34
	s_mul_i32 s14, s14, 34
	v_mul_lo_u32 v8, s10, v53
	s_waitcnt vmcnt(0)
	v_sub_nc_u32_e32 v23, 0, v3
	v_and_b32_e32 v16, 31, v4
	v_lshl_add_u32 v17, v53, 2, v4
	v_add_nc_u32_e32 v18, 32, v4
	v_dual_mov_b32 v6, 0 :: v_dual_lshlrev_b32 v1, 2, v4
	s_waitcnt lgkmcnt(0)
	s_add_u32 s0, s0, s15
	s_addc_u32 s1, s1, s16
	s_add_u32 s14, s0, s14
	s_addc_u32 s15, s1, s17
	s_abs_i32 s1, s7
	s_lshl_b32 s16, s10, 3
	v_cvt_f32_u32_e32 v0, s1
	s_sub_i32 s0, 0, s1
	v_add_nc_u32_e32 v10, s16, v8
	v_max_i32_e32 v38, v3, v23
	v_lshrrev_b32_e32 v50, 1, v18
	v_rcp_iflag_f32_e32 v0, v0
	v_lshlrev_b32_e32 v21, 7, v53
	v_add_nc_u32_e32 v12, s16, v10
	v_lshlrev_b32_e32 v2, 3, v53
	v_lshrrev_b32_e32 v14, 2, v4
	v_and_b32_e32 v11, 28, v1
	v_mad_u32_u24 v13, 0x84, v53, v1
	v_add_nc_u32_e32 v15, s16, v12
	v_and_b32_e32 v7, 3, v4
	s_delay_alu instid0(TRANS32_DEP_1)
	v_dual_mul_f32 v0, 0x4f7ffffe, v0 :: v_dual_add_nc_u32 v1, v14, v2
	v_lshl_or_b32 v42, v16, 2, v21
	v_lshl_add_u32 v16, v17, 2, 0x4e40
	v_add_nc_u32_e32 v17, s16, v15
	v_add_nc_u16 v2, v14, v2
	v_cvt_u32_f32_e32 v0, v0
	v_xor_b32_e32 v22, s7, v3
	v_lshlrev_b32_e32 v14, 2, v7
	v_add_nc_u32_e32 v18, s16, v17
	v_lshrrev_b16 v2, 1, v2
	v_mul_lo_u32 v24, s0, v0
	v_lshlrev_b32_e32 v55, 4, v1
	v_ashrrev_i32_e32 v47, 31, v22
	v_add_nc_u32_e32 v23, s16, v18
	v_and_b32_e32 v2, 0x1ffc, v2
	v_add_nc_u32_e32 v19, 64, v4
	v_add_nc_u32_e32 v20, 0x60, v4
	v_lshrrev_b32_e32 v5, 3, v4
	v_mul_hi_u32 v24, v0, v24
	v_add_nc_u32_e32 v28, s16, v23
	v_add3_u32 v2, v2, v14, 0x4200
	v_lshrrev_b32_e32 v48, 1, v20
	v_lshlrev_b32_e32 v52, 4, v4
	v_and_b32_e32 v58, 0xfc, v50
	v_add_nc_u32_e32 v32, s16, v28
	v_dual_mov_b32 v2, 0 :: v_dual_add_nc_u32 v55, v2, v55
	v_add_nc_u32_e32 v0, v0, v24
	v_lshrrev_b32_e32 v49, 1, v19
	s_delay_alu instid0(VALU_DEP_4)
	v_add_nc_u32_e32 v37, s16, v32
	v_lshlrev_b32_e32 v59, 2, v5
	v_cmp_gt_u32_e32 vcc_lo, 4, v4
	v_mul_hi_u32 v0, v38, v0
	v_and_b32_e32 v57, 0xfc, v49
	v_add_nc_u32_e32 v40, s16, v37
	v_mul_u32_u24_e32 v9, 0x84, v4
	v_add_nc_u32_e32 v19, 0x420, v13
	v_add_nc_u32_e32 v20, 0x840, v13
	;; [unrolled: 1-line block ×4, first 2 shown]
	v_mul_lo_u32 v39, v0, s1
	v_add_nc_u32_e32 v41, 1, v0
	v_add_nc_u32_e32 v25, 0x14a0, v13
	;; [unrolled: 1-line block ×7, first 2 shown]
	v_sub_nc_u32_e32 v43, v38, v39
	v_mul_lo_u32 v39, s10, v1
	v_add_nc_u32_e32 v1, 64, v1
	v_add_nc_u32_e32 v33, 0x2d60, v13
	;; [unrolled: 1-line block ×3, first 2 shown]
	v_subrev_nc_u32_e32 v44, s1, v43
	v_cmp_le_u32_e64 s0, s1, v43
	v_lshrrev_b32_e32 v46, 1, v1
	v_lshlrev_b32_e32 v56, 4, v1
	v_add_nc_u32_e32 v35, 0x35a0, v13
	v_add_nc_u32_e32 v36, 0x39c0, v13
	v_cndmask_b32_e64 v0, v0, v41, s0
	v_cndmask_b32_e64 v44, v43, v44, s0
	v_add_nc_u32_e32 v41, s16, v40
	v_and_b32_e32 v51, 0x3ffc, v46
	v_add_nc_u32_e32 v38, 0x3de0, v13
	v_add_nc_u32_e32 v45, 1, v0
	v_cmp_le_u32_e64 s0, s1, v44
	v_add_nc_u32_e32 v43, s16, v41
	v_add3_u32 v14, v51, v14, 0x4200
	v_and_b32_e32 v51, 0xfc, v48
	v_add_nc_u32_e32 v42, 0x4a40, v42
	v_cndmask_b32_e64 v0, v0, v45, s0
	v_add_nc_u32_e32 v44, s16, v43
	v_lshl_add_u32 v45, s10, 6, v39
	v_add3_u32 v49, v52, v51, 0x4800
	v_add3_u32 v50, v52, v57, 0x4600
	v_xor_b32_e32 v0, v0, v47
	v_add_nc_u32_e32 v46, s16, v44
	v_add3_u32 v51, v52, v58, 0x4400
	v_add3_u32 v52, v52, v59, 0x4200
	v_lshl_add_u32 v53, v53, 4, 0x4e40
	v_sub_nc_u32_e32 v54, v0, v47
	v_add_co_u32 v0, s0, s2, v11
	s_delay_alu instid0(VALU_DEP_1) | instskip(NEXT) | instid1(VALU_DEP_3)
	v_add_co_ci_u32_e64 v1, null, s3, 0, s0
	v_mul_lo_u32 v48, v54, s5
	v_add_nc_u32_e32 v47, s16, v46
	v_cmp_gt_i32_e64 s0, s4, v54
	v_add_nc_u32_e32 v54, 0x4a40, v21
	v_dual_mov_b32 v21, 0 :: v_dual_add_nc_u32 v56, v14, v56
	v_mov_b32_e32 v14, 0
	s_branch .LBB185_5
.LBB185_4:                              ;   in Loop: Header=BB185_5 Depth=1
	s_add_i32 s13, s13, 4
	s_delay_alu instid0(SALU_CYCLE_1)
	s_cmp_ge_i32 s13, s10
	s_cbranch_scc1 .LBB185_13
.LBB185_5:                              ; =>This Loop Header: Depth=1
                                        ;     Child Loop BB185_11 Depth 2
	s_mul_i32 s1, s13, 34
	s_mul_hi_u32 s17, s13, 34
	s_add_u32 s16, s14, s1
	s_addc_u32 s17, s15, s17
	s_delay_alu instid0(SALU_CYCLE_1) | instskip(SKIP_1) | instid1(VALU_DEP_2)
	v_mad_u64_u32 v[57:58], null, v5, 34, s[16:17]
	v_mad_u64_u32 v[75:76], null, v7, 34, s[16:17]
	v_add_co_u32 v57, s1, v57, v11
	s_delay_alu instid0(VALU_DEP_1) | instskip(NEXT) | instid1(VALU_DEP_2)
	v_add_co_ci_u32_e64 v58, s1, 0, v58, s1
	v_add_co_u32 v57, s1, v57, 2
	s_delay_alu instid0(VALU_DEP_1) | instskip(SKIP_1) | instid1(SALU_CYCLE_1)
	v_add_co_ci_u32_e64 v58, s1, 0, v58, s1
	s_lshl_b32 s1, s13, 5
	s_cmp_lt_i32 s1, s11
	s_delay_alu instid0(VALU_DEP_1)
	v_mad_u64_u32 v[59:60], null, v8, 34, v[57:58]
	v_mad_u64_u32 v[61:62], null, v10, 34, v[57:58]
	;; [unrolled: 1-line block ×8, first 2 shown]
	s_clause 0x7
	global_load_b32 v77, v[59:60], off
	global_load_b32 v78, v[61:62], off
	global_load_b32 v79, v[63:64], off
	global_load_b32 v80, v[65:66], off
	global_load_b32 v81, v[67:68], off
	global_load_b32 v82, v[69:70], off
	global_load_b32 v83, v[71:72], off
	global_load_b32 v84, v[73:74], off
	v_mad_u64_u32 v[61:62], null, v39, 34, v[75:76]
	v_mad_u64_u32 v[63:64], null, v45, 34, v[75:76]
	;; [unrolled: 1-line block ×6, first 2 shown]
	s_clause 0x1
	global_load_u16 v75, v[61:62], off
	global_load_u16 v76, v[63:64], off
	v_mad_u64_u32 v[61:62], null, v43, 34, v[57:58]
	v_mad_u64_u32 v[63:64], null, v44, 34, v[57:58]
	;; [unrolled: 1-line block ×4, first 2 shown]
	s_clause 0x7
	global_load_b32 v57, v[59:60], off
	global_load_b32 v58, v[65:66], off
	global_load_b32 v59, v[67:68], off
	global_load_b32 v60, v[69:70], off
	global_load_b32 v61, v[61:62], off
	global_load_b32 v62, v[63:64], off
	global_load_b32 v63, v[71:72], off
	global_load_b32 v64, v[73:74], off
	s_waitcnt vmcnt(9)
	v_cvt_f32_f16_e32 v65, v75
	s_waitcnt vmcnt(8)
	v_cvt_f32_f16_e32 v66, v76
	ds_store_b32 v13, v77
	ds_store_b32 v19, v78
	;; [unrolled: 1-line block ×8, first 2 shown]
	s_waitcnt vmcnt(7)
	ds_store_b32 v29, v57
	s_waitcnt vmcnt(6)
	ds_store_b32 v30, v58
	;; [unrolled: 2-line block ×8, first 2 shown]
	ds_store_b32 v55, v65
	ds_store_b32 v56, v66
	s_cbranch_scc0 .LBB185_4
; %bb.6:                                ;   in Loop: Header=BB185_5 Depth=1
	v_add_nc_u32_e32 v57, s13, v5
	s_delay_alu instid0(VALU_DEP_1) | instskip(NEXT) | instid1(VALU_DEP_1)
	v_cmp_gt_i32_e64 s1, s5, v57
	s_and_b32 s16, s0, s1
	s_delay_alu instid0(SALU_CYCLE_1)
	s_and_saveexec_b32 s1, s16
	s_cbranch_execz .LBB185_8
; %bb.7:                                ;   in Loop: Header=BB185_5 Depth=1
	v_add_nc_u32_e32 v59, v48, v57
	s_delay_alu instid0(VALU_DEP_1)
	v_mad_i64_i32 v[57:58], null, v59, 36, v[0:1]
	global_load_b32 v57, v[57:58], off offset:4
	s_waitcnt vmcnt(0)
	ds_store_b32 v42, v57
.LBB185_8:                              ;   in Loop: Header=BB185_5 Depth=1
	s_or_b32 exec_lo, exec_lo, s1
	v_or_b32_e32 v57, s13, v4
	s_delay_alu instid0(VALU_DEP_1) | instskip(NEXT) | instid1(VALU_DEP_1)
	v_cmp_gt_i32_e64 s1, s5, v57
	s_and_b32 s1, s0, s1
	s_delay_alu instid0(SALU_CYCLE_1) | instskip(NEXT) | instid1(SALU_CYCLE_1)
	s_and_b32 s16, vcc_lo, s1
	s_and_saveexec_b32 s1, s16
	s_cbranch_execz .LBB185_10
; %bb.9:                                ;   in Loop: Header=BB185_5 Depth=1
	v_add_nc_u32_e32 v59, v48, v57
	s_delay_alu instid0(VALU_DEP_1)
	v_mad_i64_i32 v[57:58], null, v59, 36, s[2:3]
	global_load_b32 v57, v[57:58], off
	s_waitcnt vmcnt(0)
	v_cvt_f32_f16_e32 v57, v57
	ds_store_b32 v16, v57
.LBB185_10:                             ;   in Loop: Header=BB185_5 Depth=1
	s_or_b32 exec_lo, exec_lo, s1
	v_dual_mov_b32 v57, v54 :: v_dual_mov_b32 v58, v53
	v_dual_mov_b32 v59, v52 :: v_dual_mov_b32 v60, v51
	;; [unrolled: 1-line block ×3, first 2 shown]
	v_mov_b32_e32 v63, v9
	s_mov_b32 s1, -8
	s_waitcnt lgkmcnt(0)
	s_barrier
	buffer_gl0_inv
.LBB185_11:                             ;   Parent Loop BB185_5 Depth=1
                                        ; =>  This Inner Loop Header: Depth=2
	ds_load_b128 v[64:67], v57
	ds_load_b128 v[68:71], v57 offset:16
	ds_load_2addr_b32 v[72:73], v63 offset0:2 offset1:3
	ds_load_2addr_b32 v[74:75], v63 offset0:4 offset1:5
	;; [unrolled: 1-line block ×3, first 2 shown]
	ds_load_b32 v104, v58
	ds_load_b32 v105, v59
	;; [unrolled: 1-line block ×4, first 2 shown]
	v_add_nc_u32_e32 v80, 0x1080, v63
	v_add_nc_u32_e32 v82, 0x2100, v63
	;; [unrolled: 1-line block ×3, first 2 shown]
	ds_load_2addr_b32 v[78:79], v63 offset1:1
	ds_load_2addr_b32 v[80:81], v80 offset1:1
	;; [unrolled: 1-line block ×4, first 2 shown]
	ds_load_b32 v108, v62
	v_add_nc_u32_e32 v86, 0x1088, v63
	v_add_nc_u32_e32 v88, 0x2108, v63
	;; [unrolled: 1-line block ×9, first 2 shown]
	ds_load_2addr_b32 v[86:87], v86 offset1:1
	ds_load_2addr_b32 v[88:89], v88 offset1:1
	;; [unrolled: 1-line block ×9, first 2 shown]
	v_add_nc_u32_e32 v63, 32, v63
	v_add_nc_u32_e32 v61, 4, v61
	;; [unrolled: 1-line block ×5, first 2 shown]
	s_waitcnt lgkmcnt(13)
	v_dot4_i32_iu8 v78, v78, v64, 0 neg_lo:[1,1,0]
	s_waitcnt lgkmcnt(12)
	v_dot4_i32_iu8 v80, v80, v64, 0 neg_lo:[1,1,0]
	;; [unrolled: 2-line block ×4, first 2 shown]
	s_add_i32 s1, s1, 8
	v_dot4_i32_iu8 v78, v79, v65, v78 neg_lo:[1,1,0]
	v_dot4_i32_iu8 v79, v81, v65, v80 neg_lo:[1,1,0]
	;; [unrolled: 1-line block ×4, first 2 shown]
	s_cmp_lt_u32 s1, 24
	v_dot4_i32_iu8 v65, v72, v66, v78 neg_lo:[1,1,0]
	s_waitcnt lgkmcnt(8)
	v_dot4_i32_iu8 v72, v86, v66, v79 neg_lo:[1,1,0]
	s_waitcnt lgkmcnt(7)
	;; [unrolled: 2-line block ×3, first 2 shown]
	v_dot4_i32_iu8 v64, v90, v66, v64 neg_lo:[1,1,0]
	v_dot4_i32_iu8 v65, v73, v67, v65 neg_lo:[1,1,0]
	;; [unrolled: 1-line block ×4, first 2 shown]
	s_delay_alu instid0(VALU_DEP_4) | instskip(NEXT) | instid1(VALU_DEP_4)
	v_dot4_i32_iu8 v64, v91, v67, v64 neg_lo:[1,1,0]
	v_dot4_i32_iu8 v65, v74, v68, v65 neg_lo:[1,1,0]
	s_waitcnt lgkmcnt(5)
	v_dot4_i32_iu8 v66, v92, v68, v66 neg_lo:[1,1,0]
	s_waitcnt lgkmcnt(3)
	;; [unrolled: 2-line block ×3, first 2 shown]
	v_dot4_i32_iu8 v64, v100, v68, v64 neg_lo:[1,1,0]
	v_mul_f32_e32 v68, v104, v105
	v_dot4_i32_iu8 v65, v75, v69, v65 neg_lo:[1,1,0]
	v_dot4_i32_iu8 v66, v93, v69, v66 neg_lo:[1,1,0]
	;; [unrolled: 1-line block ×4, first 2 shown]
	v_mul_f32_e32 v69, v104, v106
	v_dot4_i32_iu8 v65, v76, v70, v65 neg_lo:[1,1,0]
	v_dot4_i32_iu8 v66, v94, v70, v66 neg_lo:[1,1,0]
	;; [unrolled: 1-line block ×3, first 2 shown]
	s_waitcnt lgkmcnt(0)
	v_dot4_i32_iu8 v64, v102, v70, v64 neg_lo:[1,1,0]
	v_mul_f32_e32 v70, v104, v107
	v_dot4_i32_iu8 v65, v77, v71, v65 neg_lo:[1,1,0]
	v_dot4_i32_iu8 v66, v95, v71, v66 neg_lo:[1,1,0]
	;; [unrolled: 1-line block ×4, first 2 shown]
	v_mul_f32_e32 v71, v104, v108
	v_cvt_f32_i32_e32 v65, v65
	v_cvt_f32_i32_e32 v66, v66
	;; [unrolled: 1-line block ×4, first 2 shown]
	s_delay_alu instid0(VALU_DEP_4) | instskip(NEXT) | instid1(VALU_DEP_3)
	v_dual_fmac_f32 v6, v68, v65 :: v_dual_add_nc_u32 v59, 4, v59
	v_dual_fmac_f32 v14, v70, v67 :: v_dual_add_nc_u32 v57, 32, v57
	s_delay_alu instid0(VALU_DEP_3)
	v_dual_fmac_f32 v21, v69, v66 :: v_dual_fmac_f32 v2, v71, v64
	s_cbranch_scc1 .LBB185_11
; %bb.12:                               ;   in Loop: Header=BB185_5 Depth=1
	s_barrier
	buffer_gl0_inv
	s_branch .LBB185_4
.LBB185_13:
	s_mul_i32 s0, s7, s4
	s_waitcnt vmcnt(0)
	v_cmp_gt_i32_e32 vcc_lo, s0, v3
	s_and_saveexec_b32 s0, vcc_lo
	s_cbranch_execz .LBB185_22
; %bb.14:
	v_mul_lo_u32 v0, v3, s6
	v_add_nc_u32_e32 v1, s12, v4
	s_mov_b32 s0, exec_lo
	s_delay_alu instid0(VALU_DEP_1)
	v_cmpx_gt_u32_e64 s6, v1
	s_cbranch_execz .LBB185_16
; %bb.15:
	s_delay_alu instid0(VALU_DEP_3) | instskip(NEXT) | instid1(VALU_DEP_1)
	v_dual_mov_b32 v4, 0 :: v_dual_add_nc_u32 v3, v0, v1
	v_lshlrev_b64 v[3:4], 2, v[3:4]
	s_delay_alu instid0(VALU_DEP_1) | instskip(NEXT) | instid1(VALU_DEP_2)
	v_add_co_u32 v3, vcc_lo, s8, v3
	v_add_co_ci_u32_e32 v4, vcc_lo, s9, v4, vcc_lo
	global_store_b32 v[3:4], v6, off
.LBB185_16:
	s_or_b32 exec_lo, exec_lo, s0
	v_add_nc_u32_e32 v3, 32, v1
	s_mov_b32 s0, exec_lo
	s_delay_alu instid0(VALU_DEP_1)
	v_cmpx_gt_u32_e64 s6, v3
	s_cbranch_execz .LBB185_18
; %bb.17:
	v_dual_mov_b32 v4, 0 :: v_dual_add_nc_u32 v3, v0, v3
	s_delay_alu instid0(VALU_DEP_1) | instskip(NEXT) | instid1(VALU_DEP_1)
	v_lshlrev_b64 v[3:4], 2, v[3:4]
	v_add_co_u32 v3, vcc_lo, s8, v3
	s_delay_alu instid0(VALU_DEP_2)
	v_add_co_ci_u32_e32 v4, vcc_lo, s9, v4, vcc_lo
	global_store_b32 v[3:4], v21, off
.LBB185_18:
	s_or_b32 exec_lo, exec_lo, s0
	v_add_nc_u32_e32 v3, 64, v1
	s_mov_b32 s0, exec_lo
	s_delay_alu instid0(VALU_DEP_1)
	v_cmpx_gt_u32_e64 s6, v3
	s_cbranch_execz .LBB185_20
; %bb.19:
	v_dual_mov_b32 v4, 0 :: v_dual_add_nc_u32 v3, v0, v3
	s_delay_alu instid0(VALU_DEP_1) | instskip(NEXT) | instid1(VALU_DEP_1)
	v_lshlrev_b64 v[3:4], 2, v[3:4]
	v_add_co_u32 v3, vcc_lo, s8, v3
	s_delay_alu instid0(VALU_DEP_2)
	v_add_co_ci_u32_e32 v4, vcc_lo, s9, v4, vcc_lo
	global_store_b32 v[3:4], v14, off
.LBB185_20:
	s_or_b32 exec_lo, exec_lo, s0
	v_add_nc_u32_e32 v1, 0x60, v1
	s_delay_alu instid0(VALU_DEP_1)
	v_cmp_gt_u32_e32 vcc_lo, s6, v1
	s_and_b32 exec_lo, exec_lo, vcc_lo
	s_cbranch_execz .LBB185_22
; %bb.21:
	v_dual_mov_b32 v1, 0 :: v_dual_add_nc_u32 v0, v0, v1
	s_delay_alu instid0(VALU_DEP_1) | instskip(NEXT) | instid1(VALU_DEP_1)
	v_lshlrev_b64 v[0:1], 2, v[0:1]
	v_add_co_u32 v0, vcc_lo, s8, v0
	s_delay_alu instid0(VALU_DEP_2)
	v_add_co_ci_u32_e32 v1, vcc_lo, s9, v1, vcc_lo
	global_store_b32 v[0:1], v2, off
.LBB185_22:
	s_nop 0
	s_sendmsg sendmsg(MSG_DEALLOC_VGPRS)
	s_endpgm
	.section	.rodata,"a",@progbits
	.p2align	6, 0x0
	.amdhsa_kernel _ZL8moe_q8_0IfLb0EEvPKvS1_PT_PKiS5_S5_iiiiiii
		.amdhsa_group_segment_fixed_size 20160
		.amdhsa_private_segment_fixed_size 0
		.amdhsa_kernarg_size 76
		.amdhsa_user_sgpr_count 14
		.amdhsa_user_sgpr_dispatch_ptr 0
		.amdhsa_user_sgpr_queue_ptr 0
		.amdhsa_user_sgpr_kernarg_segment_ptr 1
		.amdhsa_user_sgpr_dispatch_id 0
		.amdhsa_user_sgpr_private_segment_size 0
		.amdhsa_wavefront_size32 1
		.amdhsa_uses_dynamic_stack 0
		.amdhsa_enable_private_segment 0
		.amdhsa_system_sgpr_workgroup_id_x 1
		.amdhsa_system_sgpr_workgroup_id_y 1
		.amdhsa_system_sgpr_workgroup_id_z 0
		.amdhsa_system_sgpr_workgroup_info 0
		.amdhsa_system_vgpr_workitem_id 1
		.amdhsa_next_free_vgpr 109
		.amdhsa_next_free_sgpr 18
		.amdhsa_reserve_vcc 1
		.amdhsa_float_round_mode_32 0
		.amdhsa_float_round_mode_16_64 0
		.amdhsa_float_denorm_mode_32 3
		.amdhsa_float_denorm_mode_16_64 3
		.amdhsa_dx10_clamp 1
		.amdhsa_ieee_mode 1
		.amdhsa_fp16_overflow 0
		.amdhsa_workgroup_processor_mode 1
		.amdhsa_memory_ordered 1
		.amdhsa_forward_progress 0
		.amdhsa_shared_vgpr_count 0
		.amdhsa_exception_fp_ieee_invalid_op 0
		.amdhsa_exception_fp_denorm_src 0
		.amdhsa_exception_fp_ieee_div_zero 0
		.amdhsa_exception_fp_ieee_overflow 0
		.amdhsa_exception_fp_ieee_underflow 0
		.amdhsa_exception_fp_ieee_inexact 0
		.amdhsa_exception_int_div_zero 0
	.end_amdhsa_kernel
	.section	.text._ZL8moe_q8_0IfLb0EEvPKvS1_PT_PKiS5_S5_iiiiiii,"axG",@progbits,_ZL8moe_q8_0IfLb0EEvPKvS1_PT_PKiS5_S5_iiiiiii,comdat
.Lfunc_end185:
	.size	_ZL8moe_q8_0IfLb0EEvPKvS1_PT_PKiS5_S5_iiiiiii, .Lfunc_end185-_ZL8moe_q8_0IfLb0EEvPKvS1_PT_PKiS5_S5_iiiiiii
                                        ; -- End function
	.section	.AMDGPU.csdata,"",@progbits
; Kernel info:
; codeLenInByte = 2840
; NumSgprs: 20
; NumVgprs: 109
; ScratchSize: 0
; MemoryBound: 0
; FloatMode: 240
; IeeeMode: 1
; LDSByteSize: 20160 bytes/workgroup (compile time only)
; SGPRBlocks: 2
; VGPRBlocks: 13
; NumSGPRsForWavesPerEU: 20
; NumVGPRsForWavesPerEU: 109
; Occupancy: 12
; WaveLimiterHint : 1
; COMPUTE_PGM_RSRC2:SCRATCH_EN: 0
; COMPUTE_PGM_RSRC2:USER_SGPR: 14
; COMPUTE_PGM_RSRC2:TRAP_HANDLER: 0
; COMPUTE_PGM_RSRC2:TGID_X_EN: 1
; COMPUTE_PGM_RSRC2:TGID_Y_EN: 1
; COMPUTE_PGM_RSRC2:TGID_Z_EN: 0
; COMPUTE_PGM_RSRC2:TIDIG_COMP_CNT: 1
	.section	.text._ZL8moe_q8_0IfLb1EEvPKvS1_PT_PKiS5_S5_iiiiiii,"axG",@progbits,_ZL8moe_q8_0IfLb1EEvPKvS1_PT_PKiS5_S5_iiiiiii,comdat
	.globl	_ZL8moe_q8_0IfLb1EEvPKvS1_PT_PKiS5_S5_iiiiiii ; -- Begin function _ZL8moe_q8_0IfLb1EEvPKvS1_PT_PKiS5_S5_iiiiiii
	.p2align	8
	.type	_ZL8moe_q8_0IfLb1EEvPKvS1_PT_PKiS5_S5_iiiiiii,@function
_ZL8moe_q8_0IfLb1EEvPKvS1_PT_PKiS5_S5_iiiiiii: ; @_ZL8moe_q8_0IfLb1EEvPKvS1_PT_PKiS5_S5_iiiiiii
; %bb.0:
	s_load_b128 s[4:7], s[0:1], 0x18
	s_mov_b32 s2, s15
	s_mov_b32 s3, 0
	s_delay_alu instid0(SALU_CYCLE_1)
	s_lshl_b64 s[8:9], s[2:3], 2
	s_waitcnt lgkmcnt(0)
	s_add_u32 s6, s6, s8
	s_addc_u32 s7, s7, s9
	s_load_b32 s15, s[6:7], 0x0
	s_waitcnt lgkmcnt(0)
	s_cmpk_gt_u32 s15, 0xff
	s_cbranch_scc1 .LBB186_22
; %bb.1:
	s_load_b64 s[6:7], s[0:1], 0x28
	s_lshl_b32 s2, s2, 3
	s_waitcnt lgkmcnt(0)
	s_load_b32 s3, s[6:7], 0x0
	s_waitcnt lgkmcnt(0)
	s_cmp_gt_u32 s2, s3
	s_cbranch_scc1 .LBB186_22
; %bb.2:
	v_bfe_u32 v53, v0, 10, 10
	s_delay_alu instid0(VALU_DEP_1) | instskip(NEXT) | instid1(VALU_DEP_1)
	v_dual_mov_b32 v8, 0 :: v_dual_add_nc_u32 v7, s2, v53
	v_dual_mov_b32 v21, v8 :: v_dual_and_b32 v20, 0x3ff, v0
	v_mov_b32_e32 v38, v8
	v_mov_b32_e32 v42, v8
	s_delay_alu instid0(VALU_DEP_4) | instskip(NEXT) | instid1(VALU_DEP_1)
	v_lshlrev_b64 v[1:2], 2, v[7:8]
	v_add_co_u32 v1, vcc_lo, s4, v1
	s_delay_alu instid0(VALU_DEP_2)
	v_add_co_ci_u32_e32 v2, vcc_lo, s5, v2, vcc_lo
	global_load_b32 v19, v[1:2], off
	s_clause 0x1
	s_load_b256 s[4:11], s[0:1], 0x30
	s_load_b64 s[12:13], s[0:1], 0x10
	s_waitcnt lgkmcnt(0)
	s_lshl_b32 s11, s14, 7
	s_mov_b32 s14, 0
	s_cmp_lt_i32 s5, 32
	s_cbranch_scc1 .LBB186_13
; %bb.3:
	s_load_b128 s[0:3], s[0:1], 0x0
	s_ashr_i32 s16, s5, 31
	s_mul_i32 s15, s15, s4
	s_lshr_b32 s4, s16, 27
	s_ashr_i32 s17, s8, 31
	s_add_i32 s4, s5, s4
	s_lshr_b32 s16, s17, 27
	s_ashr_i32 s4, s4, 5
	s_add_i32 s8, s8, s16
	s_mul_i32 s16, s4, s11
	s_ashr_i32 s17, s15, 31
	s_ashr_i32 s8, s8, 5
	s_mul_hi_i32 s18, s16, 34
	s_mul_i32 s16, s16, 34
	v_dual_mov_b32 v21, 0 :: v_dual_lshlrev_b32 v18, 2, v20
	s_waitcnt vmcnt(0)
	v_sub_nc_u32_e32 v40, 0, v19
	v_add_nc_u32_e32 v1, 16, v53
	v_add_nc_u32_e32 v3, 24, v53
	;; [unrolled: 1-line block ×3, first 2 shown]
	s_waitcnt lgkmcnt(0)
	s_add_u32 s0, s0, s15
	s_addc_u32 s1, s1, s17
	s_add_u32 s15, s0, s16
	s_addc_u32 s16, s1, s18
	s_abs_i32 s1, s10
	s_not_b32 s0, s11
	v_cvt_f32_u32_e32 v13, s1
	s_add_i32 s0, s0, s6
	s_sub_i32 s6, 0, s1
	v_max_i32_e32 v44, v19, v40
	v_min_i32_e32 v2, s0, v53
	v_rcp_iflag_f32_e32 v13, v13
	v_and_b32_e32 v23, 28, v18
	v_min_i32_e32 v5, s0, v1
	v_min_i32_e32 v6, s0, v3
	v_mul_lo_u32 v24, v2, s4
	v_add_nc_u32_e32 v14, 0x58, v53
	v_min_i32_e32 v15, s0, v12
	v_mul_lo_u32 v26, v5, s4
	v_mul_lo_u32 v27, v6, s4
	v_add_nc_u32_e32 v39, 0x70, v53
	v_mul_f32_e32 v16, 0x4f7ffffe, v13
	v_mul_lo_u32 v34, v15, s4
	v_add_nc_u32_e32 v41, 0x78, v53
	v_and_b32_e32 v40, 3, v20
	v_lshlrev_b32_e32 v54, 7, v53
	v_cvt_u32_f32_e32 v16, v16
	v_add_nc_u32_e32 v51, 32, v20
	v_lshrrev_b32_e32 v22, 3, v20
	v_lshlrev_b32_e32 v47, 2, v40
	v_lshlrev_b32_e32 v52, 4, v20
	v_mul_lo_u32 v38, s6, v16
	v_lshrrev_b32_e32 v51, 1, v51
	v_lshlrev_b32_e32 v58, 2, v22
	s_delay_alu instid0(VALU_DEP_2) | instskip(NEXT) | instid1(VALU_DEP_4)
	v_and_b32_e32 v51, 0xfc, v51
	v_mul_hi_u32 v38, v16, v38
	s_delay_alu instid0(VALU_DEP_2) | instskip(NEXT) | instid1(VALU_DEP_2)
	v_add3_u32 v51, v52, v51, 0x4400
	v_add_nc_u32_e32 v16, v16, v38
	v_min_i32_e32 v38, s0, v41
	s_delay_alu instid0(VALU_DEP_2) | instskip(SKIP_1) | instid1(VALU_DEP_1)
	v_mul_hi_u32 v45, v44, v16
	v_add_nc_u32_e32 v0, 8, v53
	v_min_i32_e32 v4, s0, v0
	v_mad_u64_u32 v[0:1], null, 0x84, v2, v[18:19]
	s_delay_alu instid0(VALU_DEP_4) | instskip(NEXT) | instid1(VALU_DEP_3)
	v_mul_lo_u32 v48, v45, s1
	v_mul_lo_u32 v25, v4, s4
	v_mad_u64_u32 v[1:2], null, 0x84, v4, v[18:19]
	v_add_nc_u32_e32 v4, 32, v53
	v_mad_u64_u32 v[2:3], null, 0x84, v5, v[18:19]
	v_add_nc_u32_e32 v5, 40, v53
	s_delay_alu instid0(VALU_DEP_3) | instskip(SKIP_2) | instid1(VALU_DEP_4)
	v_min_i32_e32 v7, s0, v4
	v_mad_u64_u32 v[3:4], null, 0x84, v6, v[18:19]
	v_add_nc_u32_e32 v6, 48, v53
	v_min_i32_e32 v8, s0, v5
	s_delay_alu instid0(VALU_DEP_4)
	v_mul_lo_u32 v28, v7, s4
	v_mad_u64_u32 v[4:5], null, 0x84, v7, v[18:19]
	v_add_nc_u32_e32 v7, 56, v53
	v_min_i32_e32 v9, s0, v6
	v_mul_lo_u32 v29, v8, s4
	v_mad_u64_u32 v[5:6], null, 0x84, v8, v[18:19]
	v_add_nc_u32_e32 v8, 64, v53
	v_min_i32_e32 v10, s0, v7
	v_mul_lo_u32 v30, v9, s4
	v_mad_u64_u32 v[6:7], null, 0x84, v9, v[18:19]
	v_add_nc_u32_e32 v9, 0x48, v53
	v_min_i32_e32 v11, s0, v8
	v_mad_u64_u32 v[7:8], null, 0x84, v10, v[18:19]
	v_mul_lo_u32 v31, v10, s4
	s_delay_alu instid0(VALU_DEP_4) | instskip(NEXT) | instid1(VALU_DEP_4)
	v_min_i32_e32 v8, s0, v9
	v_mad_u64_u32 v[9:10], null, 0x84, v11, v[18:19]
	v_mul_lo_u32 v32, v11, s4
	s_delay_alu instid0(VALU_DEP_3) | instskip(SKIP_4) | instid1(VALU_DEP_3)
	v_mul_lo_u32 v33, v8, s4
	v_mad_u64_u32 v[10:11], null, 0x84, v8, v[18:19]
	v_min_i32_e32 v8, s0, v14
	v_add_nc_u32_e32 v14, 0x60, v53
	v_mad_u64_u32 v[11:12], null, 0x84, v15, v[18:19]
	v_mul_lo_u32 v35, v8, s4
	v_mad_u64_u32 v[12:13], null, 0x84, v8, v[18:19]
	v_lshrrev_b32_e32 v8, 2, v20
	v_min_i32_e32 v15, s0, v14
	v_add_nc_u32_e32 v14, 0x68, v53
	s_delay_alu instid0(VALU_DEP_3) | instskip(NEXT) | instid1(VALU_DEP_3)
	v_lshl_add_u32 v8, v53, 3, v8
	v_mul_lo_u32 v36, v15, s4
	s_delay_alu instid0(VALU_DEP_3) | instskip(SKIP_1) | instid1(VALU_DEP_4)
	v_min_i32_e32 v17, s0, v14
	v_mad_u64_u32 v[13:14], null, 0x84, v15, v[18:19]
	v_min_i32_e32 v42, s0, v8
	v_add_nc_u32_e32 v8, 64, v8
	s_delay_alu instid0(VALU_DEP_4) | instskip(SKIP_1) | instid1(VALU_DEP_4)
	v_mad_u64_u32 v[14:15], null, 0x84, v17, v[18:19]
	v_mul_lo_u32 v37, v17, s4
	v_ashrrev_i32_e32 v15, 31, v42
	s_delay_alu instid0(VALU_DEP_4) | instskip(SKIP_1) | instid1(VALU_DEP_3)
	v_min_i32_e32 v8, s0, v8
	v_min_i32_e32 v17, s0, v39
	v_lshrrev_b32_e32 v15, 29, v15
	s_delay_alu instid0(VALU_DEP_3) | instskip(NEXT) | instid1(VALU_DEP_3)
	v_ashrrev_i32_e32 v43, 31, v8
	v_mul_lo_u32 v39, v17, s4
	s_delay_alu instid0(VALU_DEP_3) | instskip(NEXT) | instid1(VALU_DEP_3)
	v_add_nc_u32_e32 v15, v42, v15
	v_lshrrev_b32_e32 v41, 29, v43
	s_delay_alu instid0(VALU_DEP_2) | instskip(SKIP_1) | instid1(VALU_DEP_3)
	v_ashrrev_i32_e32 v43, 3, v15
	v_mad_u64_u32 v[15:16], null, 0x84, v17, v[18:19]
	v_add_nc_u32_e32 v16, v8, v41
	v_mul_lo_u32 v41, v38, s4
	s_delay_alu instid0(VALU_DEP_4)
	v_lshlrev_b32_e32 v46, 2, v43
	v_mul_lo_u32 v43, v42, s4
	v_lshlrev_b32_e32 v42, 4, v42
	v_ashrrev_i32_e32 v49, 3, v16
	v_mad_u64_u32 v[16:17], null, 0x84, v38, v[18:19]
	v_sub_nc_u32_e32 v18, v44, v48
	v_add3_u32 v38, v46, v47, 0x4200
	s_delay_alu instid0(VALU_DEP_4)
	v_lshlrev_b32_e32 v17, 2, v49
	v_add_nc_u32_e32 v46, 1, v45
	v_lshl_add_u32 v49, v53, 2, v20
	v_cmp_le_u32_e32 vcc_lo, s1, v18
	v_mul_lo_u32 v44, v8, s4
	v_add3_u32 v56, v17, v47, 0x4200
	v_subrev_nc_u32_e32 v47, s1, v18
	v_and_b32_e32 v17, 31, v20
	v_cndmask_b32_e32 v45, v45, v46, vcc_lo
	v_xor_b32_e32 v46, s10, v19
	v_lshlrev_b32_e32 v8, 4, v8
	v_cndmask_b32_e32 v18, v18, v47, vcc_lo
	v_lshl_or_b32 v48, v17, 2, v54
	v_add_nc_u32_e32 v47, 1, v45
	v_ashrrev_i32_e32 v50, 31, v46
	v_add_co_u32 v17, s0, s2, v23
	v_cmp_le_u32_e32 vcc_lo, s1, v18
	v_add_co_ci_u32_e64 v18, null, s3, 0, s0
	v_lshl_add_u32 v53, v53, 4, 0x4e40
	v_add_nc_u32_e32 v54, 0x4a40, v54
	v_dual_cndmask_b32 v46, v45, v47 :: v_dual_add_nc_u32 v45, 0x4a40, v48
	v_add_nc_u32_e32 v48, 0x60, v20
	v_cmp_gt_u32_e32 vcc_lo, 4, v20
	v_add_nc_u32_e32 v56, v56, v8
	v_mov_b32_e32 v8, 0
	v_xor_b32_e32 v47, v46, v50
	v_lshl_add_u32 v46, v49, 2, 0x4e40
	v_add_nc_u32_e32 v49, 64, v20
	v_lshrrev_b32_e32 v48, 1, v48
	s_delay_alu instid0(VALU_DEP_4) | instskip(SKIP_1) | instid1(VALU_DEP_4)
	v_sub_nc_u32_e32 v50, v47, v50
	v_mul_u32_u24_e32 v47, 0x84, v20
	v_lshrrev_b32_e32 v49, 1, v49
	s_delay_alu instid0(VALU_DEP_4) | instskip(NEXT) | instid1(VALU_DEP_4)
	v_and_b32_e32 v55, 0xfc, v48
	v_mul_lo_u32 v48, v50, s8
	v_cmp_gt_i32_e64 s0, s7, v50
	s_delay_alu instid0(VALU_DEP_4) | instskip(NEXT) | instid1(VALU_DEP_4)
	v_and_b32_e32 v57, 0xfc, v49
	v_add3_u32 v49, v52, v55, 0x4800
	v_dual_mov_b32 v42, 0 :: v_dual_add_nc_u32 v55, v38, v42
	v_mov_b32_e32 v38, 0
	s_delay_alu instid0(VALU_DEP_4)
	v_add3_u32 v50, v52, v57, 0x4600
	v_add3_u32 v52, v52, v58, 0x4200
	s_branch .LBB186_5
.LBB186_4:                              ;   in Loop: Header=BB186_5 Depth=1
	s_add_i32 s14, s14, 4
	s_delay_alu instid0(SALU_CYCLE_1)
	s_cmp_ge_i32 s14, s4
	s_cbranch_scc1 .LBB186_13
.LBB186_5:                              ; =>This Loop Header: Depth=1
                                        ;     Child Loop BB186_11 Depth 2
	s_mul_i32 s1, s14, 34
	s_mul_hi_u32 s6, s14, 34
	s_add_u32 s18, s15, s1
	s_addc_u32 s19, s16, s6
	s_delay_alu instid0(SALU_CYCLE_1) | instskip(SKIP_1) | instid1(VALU_DEP_2)
	v_mad_u64_u32 v[57:58], null, v22, 34, s[18:19]
	v_mad_u64_u32 v[69:70], null, v40, 34, s[18:19]
	v_add_co_u32 v57, s1, v57, v23
	s_delay_alu instid0(VALU_DEP_1) | instskip(NEXT) | instid1(VALU_DEP_3)
	v_add_co_ci_u32_e64 v58, s1, 0, v58, s1
	v_mad_i64_i32 v[77:78], null, v43, 34, v[69:70]
	s_delay_alu instid0(VALU_DEP_3) | instskip(NEXT) | instid1(VALU_DEP_1)
	v_add_co_u32 v57, s1, v57, 2
	v_add_co_ci_u32_e64 v58, s1, 0, v58, s1
	s_lshl_b32 s1, s14, 5
	s_delay_alu instid0(SALU_CYCLE_1) | instskip(NEXT) | instid1(VALU_DEP_1)
	s_cmp_lt_i32 s1, s5
	v_mad_i64_i32 v[59:60], null, v24, 34, v[57:58]
	v_mad_i64_i32 v[61:62], null, v25, 34, v[57:58]
	;; [unrolled: 1-line block ×8, first 2 shown]
	s_clause 0x7
	global_load_b32 v79, v[59:60], off
	global_load_b32 v80, v[61:62], off
	;; [unrolled: 1-line block ×8, first 2 shown]
	v_mad_i64_i32 v[59:60], null, v44, 34, v[69:70]
	v_mad_i64_i32 v[61:62], null, v32, 34, v[57:58]
	;; [unrolled: 1-line block ×4, first 2 shown]
	s_clause 0x1
	global_load_u16 v76, v[77:78], off
	global_load_u16 v77, v[59:60], off
	v_mad_i64_i32 v[59:60], null, v35, 34, v[57:58]
	v_mad_i64_i32 v[67:68], null, v36, 34, v[57:58]
	;; [unrolled: 1-line block ×5, first 2 shown]
	s_clause 0x7
	global_load_b32 v57, v[61:62], off
	global_load_b32 v58, v[63:64], off
	;; [unrolled: 1-line block ×8, first 2 shown]
	s_waitcnt vmcnt(9)
	v_cvt_f32_f16_e32 v65, v76
	s_waitcnt vmcnt(8)
	v_cvt_f32_f16_e32 v66, v77
	ds_store_b32 v0, v79
	ds_store_b32 v55, v65
	;; [unrolled: 1-line block ×9, first 2 shown]
	s_waitcnt vmcnt(7)
	ds_store_b32 v9, v57
	s_waitcnt vmcnt(6)
	ds_store_b32 v10, v58
	;; [unrolled: 2-line block ×8, first 2 shown]
	ds_store_b32 v56, v66
	s_cbranch_scc0 .LBB186_4
; %bb.6:                                ;   in Loop: Header=BB186_5 Depth=1
	v_add_nc_u32_e32 v57, s14, v22
	s_delay_alu instid0(VALU_DEP_1) | instskip(NEXT) | instid1(VALU_DEP_1)
	v_cmp_gt_i32_e64 s1, s8, v57
	s_and_b32 s6, s0, s1
	s_delay_alu instid0(SALU_CYCLE_1)
	s_and_saveexec_b32 s1, s6
	s_cbranch_execz .LBB186_8
; %bb.7:                                ;   in Loop: Header=BB186_5 Depth=1
	v_add_nc_u32_e32 v59, v48, v57
	s_delay_alu instid0(VALU_DEP_1)
	v_mad_i64_i32 v[57:58], null, v59, 36, v[17:18]
	global_load_b32 v57, v[57:58], off offset:4
	s_waitcnt vmcnt(0)
	ds_store_b32 v45, v57
.LBB186_8:                              ;   in Loop: Header=BB186_5 Depth=1
	s_or_b32 exec_lo, exec_lo, s1
	v_or_b32_e32 v57, s14, v20
	s_delay_alu instid0(VALU_DEP_1) | instskip(NEXT) | instid1(VALU_DEP_1)
	v_cmp_gt_i32_e64 s1, s8, v57
	s_and_b32 s1, s0, s1
	s_delay_alu instid0(SALU_CYCLE_1) | instskip(NEXT) | instid1(SALU_CYCLE_1)
	s_and_b32 s6, vcc_lo, s1
	s_and_saveexec_b32 s1, s6
	s_cbranch_execz .LBB186_10
; %bb.9:                                ;   in Loop: Header=BB186_5 Depth=1
	v_add_nc_u32_e32 v59, v48, v57
	s_delay_alu instid0(VALU_DEP_1)
	v_mad_i64_i32 v[57:58], null, v59, 36, s[2:3]
	global_load_b32 v57, v[57:58], off
	s_waitcnt vmcnt(0)
	v_cvt_f32_f16_e32 v57, v57
	ds_store_b32 v46, v57
.LBB186_10:                             ;   in Loop: Header=BB186_5 Depth=1
	s_or_b32 exec_lo, exec_lo, s1
	v_dual_mov_b32 v57, v54 :: v_dual_mov_b32 v58, v53
	v_dual_mov_b32 v59, v52 :: v_dual_mov_b32 v60, v51
	;; [unrolled: 1-line block ×3, first 2 shown]
	v_mov_b32_e32 v63, v47
	s_mov_b32 s1, -8
	s_waitcnt lgkmcnt(0)
	s_barrier
	buffer_gl0_inv
.LBB186_11:                             ;   Parent Loop BB186_5 Depth=1
                                        ; =>  This Inner Loop Header: Depth=2
	ds_load_b128 v[64:67], v57
	ds_load_b128 v[68:71], v57 offset:16
	ds_load_2addr_b32 v[72:73], v63 offset0:2 offset1:3
	ds_load_2addr_b32 v[74:75], v63 offset0:4 offset1:5
	;; [unrolled: 1-line block ×3, first 2 shown]
	ds_load_b32 v104, v58
	ds_load_b32 v105, v59
	;; [unrolled: 1-line block ×4, first 2 shown]
	v_add_nc_u32_e32 v80, 0x1080, v63
	v_add_nc_u32_e32 v82, 0x2100, v63
	;; [unrolled: 1-line block ×3, first 2 shown]
	ds_load_2addr_b32 v[78:79], v63 offset1:1
	ds_load_2addr_b32 v[80:81], v80 offset1:1
	;; [unrolled: 1-line block ×4, first 2 shown]
	ds_load_b32 v108, v62
	v_add_nc_u32_e32 v86, 0x1088, v63
	v_add_nc_u32_e32 v88, 0x2108, v63
	;; [unrolled: 1-line block ×12, first 2 shown]
	s_add_i32 s1, s1, 8
	s_delay_alu instid0(SALU_CYCLE_1)
	s_cmp_lt_u32 s1, 24
	s_waitcnt lgkmcnt(4)
	v_dot4_i32_iu8 v78, v78, v64, 0 neg_lo:[1,1,0]
	s_waitcnt lgkmcnt(3)
	v_dot4_i32_iu8 v80, v80, v64, 0 neg_lo:[1,1,0]
	;; [unrolled: 2-line block ×4, first 2 shown]
	v_dot4_i32_iu8 v78, v79, v65, v78 neg_lo:[1,1,0]
	v_dot4_i32_iu8 v79, v81, v65, v80 neg_lo:[1,1,0]
	;; [unrolled: 1-line block ×3, first 2 shown]
	s_delay_alu instid0(VALU_DEP_4) | instskip(NEXT) | instid1(VALU_DEP_4)
	v_dot4_i32_iu8 v64, v85, v65, v64 neg_lo:[1,1,0]
	v_dot4_i32_iu8 v65, v72, v66, v78 neg_lo:[1,1,0]
	s_delay_alu instid0(VALU_DEP_1) | instskip(NEXT) | instid1(VALU_DEP_1)
	v_dot4_i32_iu8 v65, v73, v67, v65 neg_lo:[1,1,0]
	v_dot4_i32_iu8 v65, v74, v68, v65 neg_lo:[1,1,0]
	s_delay_alu instid0(VALU_DEP_1) | instskip(NEXT) | instid1(VALU_DEP_1)
	;; [unrolled: 3-line block ×3, first 2 shown]
	v_dot4_i32_iu8 v65, v77, v71, v65 neg_lo:[1,1,0]
	v_cvt_f32_i32_e32 v65, v65
	v_add_nc_u32_e32 v92, 0x1090, v63
	ds_load_2addr_b32 v[86:87], v86 offset1:1
	ds_load_2addr_b32 v[88:89], v88 offset1:1
	;; [unrolled: 1-line block ×9, first 2 shown]
	v_add_nc_u32_e32 v63, 32, v63
	s_waitcnt lgkmcnt(8)
	v_dot4_i32_iu8 v72, v86, v66, v79 neg_lo:[1,1,0]
	s_waitcnt lgkmcnt(7)
	v_dot4_i32_iu8 v78, v88, v66, v80 neg_lo:[1,1,0]
	;; [unrolled: 2-line block ×3, first 2 shown]
	v_dot4_i32_iu8 v66, v87, v67, v72 neg_lo:[1,1,0]
	s_delay_alu instid0(VALU_DEP_3) | instskip(NEXT) | instid1(VALU_DEP_3)
	v_dot4_i32_iu8 v72, v89, v67, v78 neg_lo:[1,1,0]
	v_dot4_i32_iu8 v64, v91, v67, v64 neg_lo:[1,1,0]
	s_waitcnt lgkmcnt(5)
	s_delay_alu instid0(VALU_DEP_3)
	v_dot4_i32_iu8 v66, v92, v68, v66 neg_lo:[1,1,0]
	s_waitcnt lgkmcnt(3)
	v_dot4_i32_iu8 v67, v96, v68, v72 neg_lo:[1,1,0]
	s_waitcnt lgkmcnt(1)
	v_dot4_i32_iu8 v64, v100, v68, v64 neg_lo:[1,1,0]
	v_mul_f32_e32 v68, v104, v105
	v_dot4_i32_iu8 v66, v93, v69, v66 neg_lo:[1,1,0]
	v_dot4_i32_iu8 v67, v97, v69, v67 neg_lo:[1,1,0]
	s_delay_alu instid0(VALU_DEP_4)
	v_dot4_i32_iu8 v64, v101, v69, v64 neg_lo:[1,1,0]
	v_mul_f32_e32 v69, v104, v106
	v_fmac_f32_e32 v21, v68, v65
	v_dot4_i32_iu8 v66, v94, v70, v66 neg_lo:[1,1,0]
	v_dot4_i32_iu8 v67, v98, v70, v67 neg_lo:[1,1,0]
	s_waitcnt lgkmcnt(0)
	v_dot4_i32_iu8 v64, v102, v70, v64 neg_lo:[1,1,0]
	v_mul_f32_e32 v70, v104, v107
	v_dot4_i32_iu8 v66, v95, v71, v66 neg_lo:[1,1,0]
	v_dot4_i32_iu8 v67, v99, v71, v67 neg_lo:[1,1,0]
	s_delay_alu instid0(VALU_DEP_4) | instskip(SKIP_1) | instid1(VALU_DEP_4)
	v_dot4_i32_iu8 v64, v103, v71, v64 neg_lo:[1,1,0]
	v_mul_f32_e32 v71, v104, v108
	v_cvt_f32_i32_e32 v66, v66
	s_delay_alu instid0(VALU_DEP_4) | instskip(NEXT) | instid1(VALU_DEP_4)
	v_cvt_f32_i32_e32 v67, v67
	v_cvt_f32_i32_e32 v64, v64
	v_add_nc_u32_e32 v59, 4, v59
	s_delay_alu instid0(VALU_DEP_4) | instskip(NEXT) | instid1(VALU_DEP_4)
	v_dual_fmac_f32 v42, v69, v66 :: v_dual_add_nc_u32 v57, 32, v57
	v_fmac_f32_e32 v38, v70, v67
	s_delay_alu instid0(VALU_DEP_4)
	v_fmac_f32_e32 v8, v71, v64
	s_cbranch_scc1 .LBB186_11
; %bb.12:                               ;   in Loop: Header=BB186_5 Depth=1
	s_barrier
	buffer_gl0_inv
	s_branch .LBB186_4
.LBB186_13:
	s_mul_i32 s0, s10, s7
	s_waitcnt vmcnt(0)
	v_cmp_gt_i32_e32 vcc_lo, s0, v19
	s_and_saveexec_b32 s0, vcc_lo
	s_cbranch_execz .LBB186_22
; %bb.14:
	v_mul_lo_u32 v0, v19, s9
	v_add_nc_u32_e32 v1, s11, v20
	s_mov_b32 s0, exec_lo
	s_delay_alu instid0(VALU_DEP_1)
	v_cmpx_gt_u32_e64 s9, v1
	s_cbranch_execz .LBB186_16
; %bb.15:
	s_delay_alu instid0(VALU_DEP_3) | instskip(NEXT) | instid1(VALU_DEP_1)
	v_dual_mov_b32 v3, 0 :: v_dual_add_nc_u32 v2, v0, v1
	v_lshlrev_b64 v[2:3], 2, v[2:3]
	s_delay_alu instid0(VALU_DEP_1) | instskip(NEXT) | instid1(VALU_DEP_2)
	v_add_co_u32 v2, vcc_lo, s12, v2
	v_add_co_ci_u32_e32 v3, vcc_lo, s13, v3, vcc_lo
	global_store_b32 v[2:3], v21, off
.LBB186_16:
	s_or_b32 exec_lo, exec_lo, s0
	v_add_nc_u32_e32 v2, 32, v1
	s_mov_b32 s0, exec_lo
	s_delay_alu instid0(VALU_DEP_1)
	v_cmpx_gt_u32_e64 s9, v2
	s_cbranch_execz .LBB186_18
; %bb.17:
	v_dual_mov_b32 v3, 0 :: v_dual_add_nc_u32 v2, v0, v2
	s_delay_alu instid0(VALU_DEP_1) | instskip(NEXT) | instid1(VALU_DEP_1)
	v_lshlrev_b64 v[2:3], 2, v[2:3]
	v_add_co_u32 v2, vcc_lo, s12, v2
	s_delay_alu instid0(VALU_DEP_2)
	v_add_co_ci_u32_e32 v3, vcc_lo, s13, v3, vcc_lo
	global_store_b32 v[2:3], v42, off
.LBB186_18:
	s_or_b32 exec_lo, exec_lo, s0
	v_add_nc_u32_e32 v2, 64, v1
	s_mov_b32 s0, exec_lo
	s_delay_alu instid0(VALU_DEP_1)
	v_cmpx_gt_u32_e64 s9, v2
	s_cbranch_execz .LBB186_20
; %bb.19:
	v_dual_mov_b32 v3, 0 :: v_dual_add_nc_u32 v2, v0, v2
	s_delay_alu instid0(VALU_DEP_1) | instskip(NEXT) | instid1(VALU_DEP_1)
	v_lshlrev_b64 v[2:3], 2, v[2:3]
	v_add_co_u32 v2, vcc_lo, s12, v2
	s_delay_alu instid0(VALU_DEP_2)
	v_add_co_ci_u32_e32 v3, vcc_lo, s13, v3, vcc_lo
	global_store_b32 v[2:3], v38, off
.LBB186_20:
	s_or_b32 exec_lo, exec_lo, s0
	v_add_nc_u32_e32 v1, 0x60, v1
	s_delay_alu instid0(VALU_DEP_1)
	v_cmp_gt_u32_e32 vcc_lo, s9, v1
	s_and_b32 exec_lo, exec_lo, vcc_lo
	s_cbranch_execz .LBB186_22
; %bb.21:
	v_dual_mov_b32 v1, 0 :: v_dual_add_nc_u32 v0, v0, v1
	s_delay_alu instid0(VALU_DEP_1) | instskip(NEXT) | instid1(VALU_DEP_1)
	v_lshlrev_b64 v[0:1], 2, v[0:1]
	v_add_co_u32 v0, vcc_lo, s12, v0
	s_delay_alu instid0(VALU_DEP_2)
	v_add_co_ci_u32_e32 v1, vcc_lo, s13, v1, vcc_lo
	global_store_b32 v[0:1], v8, off
.LBB186_22:
	s_nop 0
	s_sendmsg sendmsg(MSG_DEALLOC_VGPRS)
	s_endpgm
	.section	.rodata,"a",@progbits
	.p2align	6, 0x0
	.amdhsa_kernel _ZL8moe_q8_0IfLb1EEvPKvS1_PT_PKiS5_S5_iiiiiii
		.amdhsa_group_segment_fixed_size 20160
		.amdhsa_private_segment_fixed_size 0
		.amdhsa_kernarg_size 76
		.amdhsa_user_sgpr_count 14
		.amdhsa_user_sgpr_dispatch_ptr 0
		.amdhsa_user_sgpr_queue_ptr 0
		.amdhsa_user_sgpr_kernarg_segment_ptr 1
		.amdhsa_user_sgpr_dispatch_id 0
		.amdhsa_user_sgpr_private_segment_size 0
		.amdhsa_wavefront_size32 1
		.amdhsa_uses_dynamic_stack 0
		.amdhsa_enable_private_segment 0
		.amdhsa_system_sgpr_workgroup_id_x 1
		.amdhsa_system_sgpr_workgroup_id_y 1
		.amdhsa_system_sgpr_workgroup_id_z 0
		.amdhsa_system_sgpr_workgroup_info 0
		.amdhsa_system_vgpr_workitem_id 1
		.amdhsa_next_free_vgpr 109
		.amdhsa_next_free_sgpr 20
		.amdhsa_reserve_vcc 1
		.amdhsa_float_round_mode_32 0
		.amdhsa_float_round_mode_16_64 0
		.amdhsa_float_denorm_mode_32 3
		.amdhsa_float_denorm_mode_16_64 3
		.amdhsa_dx10_clamp 1
		.amdhsa_ieee_mode 1
		.amdhsa_fp16_overflow 0
		.amdhsa_workgroup_processor_mode 1
		.amdhsa_memory_ordered 1
		.amdhsa_forward_progress 0
		.amdhsa_shared_vgpr_count 0
		.amdhsa_exception_fp_ieee_invalid_op 0
		.amdhsa_exception_fp_denorm_src 0
		.amdhsa_exception_fp_ieee_div_zero 0
		.amdhsa_exception_fp_ieee_overflow 0
		.amdhsa_exception_fp_ieee_underflow 0
		.amdhsa_exception_fp_ieee_inexact 0
		.amdhsa_exception_int_div_zero 0
	.end_amdhsa_kernel
	.section	.text._ZL8moe_q8_0IfLb1EEvPKvS1_PT_PKiS5_S5_iiiiiii,"axG",@progbits,_ZL8moe_q8_0IfLb1EEvPKvS1_PT_PKiS5_S5_iiiiiii,comdat
.Lfunc_end186:
	.size	_ZL8moe_q8_0IfLb1EEvPKvS1_PT_PKiS5_S5_iiiiiii, .Lfunc_end186-_ZL8moe_q8_0IfLb1EEvPKvS1_PT_PKiS5_S5_iiiiiii
                                        ; -- End function
	.section	.AMDGPU.csdata,"",@progbits
; Kernel info:
; codeLenInByte = 3212
; NumSgprs: 22
; NumVgprs: 109
; ScratchSize: 0
; MemoryBound: 0
; FloatMode: 240
; IeeeMode: 1
; LDSByteSize: 20160 bytes/workgroup (compile time only)
; SGPRBlocks: 2
; VGPRBlocks: 13
; NumSGPRsForWavesPerEU: 22
; NumVGPRsForWavesPerEU: 109
; Occupancy: 12
; WaveLimiterHint : 1
; COMPUTE_PGM_RSRC2:SCRATCH_EN: 0
; COMPUTE_PGM_RSRC2:USER_SGPR: 14
; COMPUTE_PGM_RSRC2:TRAP_HANDLER: 0
; COMPUTE_PGM_RSRC2:TGID_X_EN: 1
; COMPUTE_PGM_RSRC2:TGID_Y_EN: 1
; COMPUTE_PGM_RSRC2:TGID_Z_EN: 0
; COMPUTE_PGM_RSRC2:TIDIG_COMP_CNT: 1
	.section	.text._ZL8moe_q2_KIfLb0EEvPKvS1_PT_PKiS5_S5_iiiiiii,"axG",@progbits,_ZL8moe_q2_KIfLb0EEvPKvS1_PT_PKiS5_S5_iiiiiii,comdat
	.globl	_ZL8moe_q2_KIfLb0EEvPKvS1_PT_PKiS5_S5_iiiiiii ; -- Begin function _ZL8moe_q2_KIfLb0EEvPKvS1_PT_PKiS5_S5_iiiiiii
	.p2align	8
	.type	_ZL8moe_q2_KIfLb0EEvPKvS1_PT_PKiS5_S5_iiiiiii,@function
_ZL8moe_q2_KIfLb0EEvPKvS1_PT_PKiS5_S5_iiiiiii: ; @_ZL8moe_q2_KIfLb0EEvPKvS1_PT_PKiS5_S5_iiiiiii
; %bb.0:
	s_load_b128 s[4:7], s[0:1], 0x18
	s_mov_b32 s2, s15
	s_mov_b32 s3, 0
	s_delay_alu instid0(SALU_CYCLE_1)
	s_lshl_b64 s[8:9], s[2:3], 2
	s_waitcnt lgkmcnt(0)
	s_add_u32 s6, s6, s8
	s_addc_u32 s7, s7, s9
	s_load_b32 s12, s[6:7], 0x0
	s_waitcnt lgkmcnt(0)
	s_cmpk_gt_u32 s12, 0xff
	s_cbranch_scc1 .LBB187_51
; %bb.1:
	s_load_b64 s[6:7], s[0:1], 0x28
	s_lshl_b32 s2, s2, 3
	s_waitcnt lgkmcnt(0)
	s_load_b32 s3, s[6:7], 0x0
	s_waitcnt lgkmcnt(0)
	s_cmp_gt_u32 s2, s3
	s_cbranch_scc1 .LBB187_51
; %bb.2:
	v_bfe_u32 v1, v0, 10, 10
	v_mov_b32_e32 v8, 0
	s_lshl_b32 s18, s14, 7
	s_mov_b32 s19, 0
	s_delay_alu instid0(VALU_DEP_2) | instskip(NEXT) | instid1(VALU_DEP_2)
	v_add_nc_u32_e32 v7, s2, v1
	v_dual_mov_b32 v61, v8 :: v_dual_and_b32 v156, 0x3ff, v0
	v_mov_b32_e32 v58, v8
	v_mov_b32_e32 v13, v8
	s_delay_alu instid0(VALU_DEP_4) | instskip(NEXT) | instid1(VALU_DEP_1)
	v_lshlrev_b64 v[2:3], 2, v[7:8]
	v_add_co_u32 v2, vcc_lo, s4, v2
	s_delay_alu instid0(VALU_DEP_2)
	v_add_co_ci_u32_e32 v3, vcc_lo, s5, v3, vcc_lo
	global_load_b32 v11, v[2:3], off
	s_clause 0x2
	s_load_b64 s[10:11], s[0:1], 0x30
	s_load_b64 s[8:9], s[0:1], 0x10
	s_load_b128 s[4:7], s[0:1], 0x3c
	s_waitcnt lgkmcnt(0)
	s_cmpk_lt_i32 s11, 0x100
	s_cbranch_scc1 .LBB187_42
; %bb.3:
	s_load_b128 s[0:3], s[0:1], 0x0
	s_ashr_i32 s14, s11, 31
	s_mul_i32 s16, s12, s10
	s_lshr_b32 s10, s14, 24
	s_ashr_i32 s15, s5, 31
	s_add_i32 s10, s11, s10
	s_lshr_b32 s14, s15, 27
	s_ashr_i32 s10, s10, 8
	s_add_i32 s5, s5, s14
	s_mul_i32 s14, s10, s18
	s_ashr_i32 s15, s16, 31
	s_ashr_i32 s5, s5, 5
	s_mul_hi_i32 s17, s14, 0x54
	s_mulk_i32 s14, 0x54
	v_lshlrev_b32_e32 v2, 4, v1
	v_lshrrev_b32_e32 v3, 1, v156
	v_and_b32_e32 v17, 1, v156
	v_lshlrev_b32_e32 v4, 2, v1
	v_lshrrev_b32_e32 v8, 3, v156
	v_and_b32_e32 v5, 7, v156
	s_waitcnt lgkmcnt(0)
	s_add_u32 s0, s0, s16
	s_addc_u32 s1, s1, s15
	s_add_u32 s20, s0, s14
	s_addc_u32 s21, s1, s17
	s_abs_i32 s14, s7
	s_lshl_b32 s0, s10, 3
	v_cvt_f32_u32_e32 v9, s14
	v_mad_i32_i24 v90, s10, v1, s0
	v_add_nc_u32_e32 v3, v3, v2
	v_lshlrev_b32_e32 v7, 2, v17
	s_sub_i32 s15, 0, s14
	v_rcp_iflag_f32_e32 v9, v9
	v_add_nc_u32_e32 v20, s0, v90
	v_and_b32_e32 v10, 0x7f, v3
	v_lshrrev_b32_e32 v3, 2, v3
	v_add_nc_u32_e32 v8, v8, v4
	s_waitcnt vmcnt(0)
	v_sub_nc_u32_e32 v6, 0, v11
	v_dual_mov_b32 v13, 0 :: v_dual_lshlrev_b32 v0, 2, v156
	v_mul_i32_i24_e32 v21, s10, v10
	v_lshl_or_b32 v7, v10, 3, v7
	v_dual_mul_f32 v9, 0x4f7ffffe, v9 :: v_dual_add_nc_u32 v22, s0, v20
	v_and_b32_e32 v3, 28, v3
	v_mul_i32_i24_e32 v12, s10, v8
	v_add_nc_u32_e32 v57, 64, v8
	s_delay_alu instid0(VALU_DEP_4)
	v_cvt_u32_f32_e32 v9, v9
	v_add_nc_u32_e32 v25, s0, v22
	v_add3_u32 v36, v7, v3, 0x5280
	s_clause 0x1
	scratch_store_b32 off, v12, off
	scratch_store_b32 off, v11, off offset:92
	v_mul_lo_u32 v10, s15, v9
	v_add_nc_u32_e32 v30, s0, v25
	v_cmp_lt_u32_e32 vcc_lo, 3, v5
	v_lshlrev_b32_e32 v5, 2, v5
	s_lshl_b32 s15, s10, 5
	v_and_b32_e32 v52, 0x1ffc, v8
	v_add_nc_u32_e32 v35, s0, v30
	v_lshlrev_b32_e32 v58, 5, v8
	v_mul_hi_u32 v3, v9, v10
	v_and_b32_e32 v10, 0x3ffc, v57
	v_add_nc_u32_e32 v56, 32, v8
	v_add_nc_u32_e32 v38, s0, v35
	v_mad_i32_i24 v33, s10, v8, s15
	v_add_nc_u32_e32 v8, 0x60, v8
	v_max_i32_e32 v6, v11, v6
	v_mad_u32_u24 v31, 0x84, v1, v0
	v_add_nc_u32_e32 v42, s0, v38
	v_add_nc_u32_e32 v3, v9, v3
	v_mul_i32_i24_e32 v44, s10, v1
	v_add3_u32 v92, v10, v5, 0x4200
	v_and_b32_e32 v10, 31, v156
	v_add_nc_u32_e32 v46, s0, v42
	v_lshlrev_b32_e32 v1, 7, v1
	v_and_b32_e32 v40, 60, v0
	v_and_b32_e32 v43, 12, v0
	;; [unrolled: 1-line block ×3, first 2 shown]
	v_add_nc_u32_e32 v48, s0, v46
	v_and_b32_e32 v9, 0x3ffc, v8
	v_and_b32_e32 v0, 28, v0
	v_mul_hi_u32 v3, v6, v3
	v_lshl_or_b32 v59, v10, 2, v1
	v_add_nc_u32_e32 v51, s0, v48
	v_add3_u32 v61, v52, v5, 0x4200
	v_add3_u32 v7, v55, v5, 0x4200
	;; [unrolled: 1-line block ×3, first 2 shown]
	v_or_b32_e32 v4, v4, v156
	v_add_nc_u32_e32 v12, s0, v51
	v_mul_lo_u32 v62, v3, s14
	v_xor_b32_e32 v63, s7, v11
	v_add_nc_u32_e32 v78, 32, v156
	v_add_nc_u32_e32 v75, 0x60, v156
	v_add_nc_u32_e32 v29, s0, v12
	v_lshrrev_b32_e32 v15, 4, v156
	v_ashrrev_i32_e32 v65, 31, v63
	v_lshrrev_b32_e32 v66, 2, v78
	v_lshrrev_b32_e32 v67, 2, v75
	v_add_nc_u32_e32 v32, s0, v29
	v_add_nc_u32_e32 v77, 64, v156
	v_lshlrev_b32_e32 v64, 2, v15
	v_and_b32_e32 v66, 0x7c, v66
	v_lshlrev_b32_e32 v91, 5, v56
	v_add_nc_u32_e32 v37, s0, v32
	v_add_co_u32 v9, s0, s2, v0
	s_delay_alu instid0(VALU_DEP_1)
	v_add_co_ci_u32_e64 v10, null, s3, 0, s0
	v_add_nc_u32_e32 v0, 0x56a0, v59
	v_add_nc_u32_e32 v34, s15, v33
	v_lshlrev_b32_e32 v93, 5, v57
	scratch_store_b64 off, v[9:10], off offset:60 ; 8-byte Folded Spill
	v_add_nc_u32_e32 v10, v61, v58
	scratch_store_b32 off, v0, off offset:68 ; 4-byte Folded Spill
	v_lshl_add_u32 v0, v4, 2, 0x5aa0
	v_dual_mov_b32 v61, 0 :: v_dual_lshlrev_b32 v4, 3, v156
	v_lshlrev_b32_e32 v8, 5, v8
	v_lshlrev_b32_e32 v68, 3, v77
	scratch_store_b32 off, v0, off offset:76 ; 4-byte Folded Spill
	v_sub_nc_u32_e32 v0, v6, v62
	v_add_nc_u32_e32 v6, 1, v3
	v_add3_u32 v63, v64, v4, 0x5280
	v_lshrrev_b32_e32 v4, 2, v77
	v_lshlrev_b32_e32 v76, 5, v156
	v_subrev_nc_u32_e32 v62, s14, v0
	v_cmp_le_u32_e64 s0, s14, v0
	v_and_b32_e32 v79, 0xfc, v156
	v_and_b32_e32 v4, 0x7c, v4
	s_movk_i32 s12, 0x1080
	s_movk_i32 s13, 0x2100
	v_cndmask_b32_e64 v3, v3, v6, s0
	v_cndmask_b32_e64 v0, v0, v62, s0
	v_lshlrev_b32_e32 v6, 3, v78
	s_movk_i32 s1, 0x3180
	v_mad_u32_u24 v64, 0x84, v156, s12
	v_add_nc_u32_e32 v62, 1, v3
	v_cmp_le_u32_e64 s0, s14, v0
	s_add_u32 s12, s2, 0x90
	v_cndmask_b32_e64 v41, 0, 1, vcc_lo
	v_add_nc_u32_e32 v45, 0x420, v31
	v_add_nc_u32_e32 v47, 0x840, v31
	v_cndmask_b32_e64 v0, v3, v62, s0
	v_lshlrev_b32_e32 v3, 3, v75
	v_add_nc_u32_e32 v50, 0xc60, v31
	v_add_nc_u32_e32 v53, 0x1080, v31
	;; [unrolled: 1-line block ×3, first 2 shown]
	v_xor_b32_e32 v0, v0, v65
	v_add_nc_u32_e32 v19, 0x18c0, v31
	v_add_nc_u32_e32 v14, 0x1ce0, v31
	;; [unrolled: 1-line block ×4, first 2 shown]
	v_sub_nc_u32_e32 v0, v0, v65
	v_add3_u32 v65, v6, v66, 0x5280
	v_and_b32_e32 v6, 0x7c, v67
	v_mad_u32_u24 v66, 0x84, v156, s13
	s_addc_u32 s13, s3, 0
	v_mul_lo_u32 v9, v0, s5
	v_cmp_gt_i32_e64 s0, s4, v0
	v_add3_u32 v70, v3, v6, 0x5280
	v_lshrrev_b32_e32 v3, 3, v78
	v_and_b32_e32 v78, 0x1fc, v78
	v_add_nc_u32_e32 v26, 0x2940, v31
	v_add_nc_u32_e32 v16, 0x2d60, v31
	;; [unrolled: 1-line block ×3, first 2 shown]
	v_ashrrev_i32_e32 v0, 31, v9
	v_add_nc_u32_e32 v27, 0x35a0, v31
	v_add_nc_u32_e32 v54, 0x39c0, v31
	;; [unrolled: 1-line block ×4, first 2 shown]
	scratch_store_b32 off, v0, off offset:84 ; 4-byte Folded Spill
	v_add_nc_u32_e32 v0, 0x56a0, v1
	scratch_store_b32 off, v9, off offset:12 ; 4-byte Folded Spill
	v_cmp_gt_u32_e32 vcc_lo, 4, v156
	v_mul_u32_u24_e32 v62, 0x84, v156
	v_add3_u32 v68, v68, v4, 0x5280
	scratch_store_b32 off, v0, off offset:4 ; 4-byte Folded Spill
	v_add_nc_u32_e32 v0, 0x5aa0, v2
	scratch_store_b32 off, v3, off offset:72 ; 4-byte Folded Spill
	v_lshrrev_b32_e32 v3, 3, v77
	v_and_b32_e32 v77, 0x1fc, v77
	v_mad_u32_u24 v69, 0x84, v156, s1
	scratch_store_b32 off, v0, off offset:8 ; 4-byte Folded Spill
	s_add_u32 s14, s2, 0x120
	scratch_store_b32 off, v3, off offset:80 ; 4-byte Folded Spill
	v_lshrrev_b32_e32 v3, 3, v75
	v_and_b32_e32 v75, 0x1fc, v75
	v_add_nc_u32_e32 v83, 0x4a08, v77
	v_add_nc_u32_e32 v84, 0x4608, v78
	;; [unrolled: 1-line block ×10, first 2 shown]
	v_dual_mov_b32 v58, 0 :: v_dual_add_nc_u32 v55, v5, v8
	v_mov_b32_e32 v8, 0
	s_addc_u32 s15, s3, 0
	s_add_u32 s16, s2, 0x1b0
	s_addc_u32 s17, s3, 0
	s_clause 0xb
	scratch_store_b32 off, v3, off offset:88
	scratch_store_b32 off, v31, off offset:16
	;; [unrolled: 1-line block ×12, first 2 shown]
	s_branch .LBB187_7
.LBB187_4:                              ;   in Loop: Header=BB187_7 Depth=1
	v_dual_mov_b32 v18, v55 :: v_dual_mov_b32 v19, v57
	v_dual_mov_b32 v23, v91 :: v_dual_mov_b32 v24, v92
	;; [unrolled: 1-line block ×3, first 2 shown]
	v_mov_b32_e32 v28, v56
.LBB187_5:                              ;   in Loop: Header=BB187_7 Depth=1
	v_mov_b32_e32 v29, v10
	s_clause 0xa
	scratch_load_b32 v31, off, off offset:16
	scratch_load_b32 v32, off, off offset:20
	;; [unrolled: 1-line block ×11, first 2 shown]
.LBB187_6:                              ;   in Loop: Header=BB187_7 Depth=1
	s_add_i32 s19, s19, 2
	s_delay_alu instid0(SALU_CYCLE_1)
	s_cmp_ge_i32 s19, s10
	s_cbranch_scc1 .LBB187_41
.LBB187_7:                              ; =>This Loop Header: Depth=1
                                        ;     Child Loop BB187_14 Depth 2
                                        ;     Child Loop BB187_22 Depth 2
	;; [unrolled: 1-line block ×4, first 2 shown]
	s_mul_i32 s1, s19, 0x54
	s_mul_hi_u32 s23, s19, 0x54
	s_add_u32 s22, s20, s1
	s_addc_u32 s23, s21, s23
	s_delay_alu instid0(SALU_CYCLE_1) | instskip(SKIP_1) | instid1(VALU_DEP_2)
	v_mad_u64_u32 v[0:1], null, 0x54, v15, s[22:23]
	v_mad_u64_u32 v[104:105], null, 0x54, v21, s[22:23]
	v_add_co_u32 v0, s1, v0, v40
	s_delay_alu instid0(VALU_DEP_1) | instskip(NEXT) | instid1(VALU_DEP_2)
	v_add_co_ci_u32_e64 v1, s1, 0, v1, s1
	v_add_co_u32 v0, s1, v0, 16
	s_delay_alu instid0(VALU_DEP_1) | instskip(NEXT) | instid1(VALU_DEP_1)
	v_add_co_ci_u32_e64 v1, s1, 0, v1, s1
	v_mad_u64_u32 v[2:3], null, 0x54, v44, v[0:1]
	v_mad_u64_u32 v[4:5], null, 0x54, v90, v[0:1]
	;; [unrolled: 1-line block ×8, first 2 shown]
	s_clause 0x7
	global_load_b32 v114, v[2:3], off
	global_load_b32 v115, v[4:5], off
	;; [unrolled: 1-line block ×8, first 2 shown]
	scratch_load_b32 v9, off, off           ; 4-byte Folded Reload
	v_mad_u64_u32 v[98:99], null, 0x54, v41, s[22:23]
	v_mad_u64_u32 v[2:3], null, 0x54, v42, v[0:1]
	;; [unrolled: 1-line block ×4, first 2 shown]
	s_delay_alu instid0(VALU_DEP_4)
	v_add_co_u32 v98, s1, v98, v43
	v_mad_u64_u32 v[94:95], null, 0x54, v51, v[0:1]
	v_add_co_ci_u32_e64 v99, s1, 0, v99, s1
	v_mad_u64_u32 v[96:97], null, 0x54, v12, v[0:1]
	v_mad_u64_u32 v[100:101], null, 0x54, v29, v[0:1]
	s_waitcnt vmcnt(18)
	v_mad_u64_u32 v[102:103], null, 0x54, v32, v[0:1]
	s_waitcnt vmcnt(14)
	v_mad_u64_u32 v[106:107], null, 0x54, v37, v[0:1]
	v_mad_u64_u32 v[0:1], null, 0x54, v17, v[104:105]
	;; [unrolled: 1-line block ×4, first 2 shown]
	s_waitcnt vmcnt(13)
	v_mad_u64_u32 v[112:113], null, 0x54, v39, v[98:99]
	s_lshl_b32 s23, s19, 8
	s_delay_alu instid0(SALU_CYCLE_1)
	s_cmp_lt_i32 s23, s11
	s_waitcnt vmcnt(0)
	v_mad_u64_u32 v[104:105], null, 0x54, v9, v[98:99]
	s_clause 0xc
	global_load_b32 v2, v[2:3], off
	global_load_b32 v3, v[4:5], off
	;; [unrolled: 1-line block ×8, first 2 shown]
	global_load_b32 v0, v[0:1], off offset:80
	global_load_b32 v1, v[104:105], off
	global_load_b32 v96, v[108:109], off
	;; [unrolled: 1-line block ×4, first 2 shown]
	ds_store_b32 v31, v114
	ds_store_b32 v45, v115
	;; [unrolled: 1-line block ×8, first 2 shown]
	s_waitcnt vmcnt(12)
	ds_store_b32 v23, v2
	s_waitcnt vmcnt(11)
	ds_store_b32 v24, v3
	;; [unrolled: 2-line block ×13, first 2 shown]
	s_cbranch_scc0 .LBB187_6
; %bb.8:                                ;   in Loop: Header=BB187_7 Depth=1
	v_lshrrev_b32_e32 v0, 3, v156
	s_lshl_b32 s22, s19, 3
	s_delay_alu instid0(VALU_DEP_1) | instid1(SALU_CYCLE_1)
	v_add_nc_u32_e32 v0, s22, v0
	s_delay_alu instid0(VALU_DEP_1) | instskip(NEXT) | instid1(VALU_DEP_1)
	v_cmp_gt_i32_e64 s1, s5, v0
	s_and_b32 s24, s0, s1
	s_delay_alu instid0(SALU_CYCLE_1)
	s_and_saveexec_b32 s1, s24
	s_cbranch_execz .LBB187_10
; %bb.9:                                ;   in Loop: Header=BB187_7 Depth=1
	s_clause 0x1
	scratch_load_b32 v1, off, off offset:12
	scratch_load_b64 v[3:4], off, off offset:60
	s_waitcnt vmcnt(1)
	v_add_nc_u32_e32 v2, v1, v0
	s_waitcnt vmcnt(0)
	s_delay_alu instid0(VALU_DEP_1)
	v_mad_i64_i32 v[0:1], null, v2, 36, v[3:4]
	global_load_b32 v0, v[0:1], off offset:4
	scratch_load_b32 v1, off, off offset:68 ; 4-byte Folded Reload
	s_waitcnt vmcnt(0)
	ds_store_b32 v1, v0
.LBB187_10:                             ;   in Loop: Header=BB187_7 Depth=1
	s_or_b32 exec_lo, exec_lo, s1
	v_dual_mov_b32 v10, v29 :: v_dual_mov_b32 v93, v26
	v_dual_mov_b32 v56, v28 :: v_dual_mov_b32 v91, v23
	;; [unrolled: 1-line block ×4, first 2 shown]
	s_and_saveexec_b32 s24, vcc_lo
	s_cbranch_execz .LBB187_13
; %bb.11:                               ;   in Loop: Header=BB187_7 Depth=1
	v_or_b32_e32 v0, s22, v156
	s_delay_alu instid0(VALU_DEP_1) | instskip(NEXT) | instid1(VALU_DEP_1)
	v_cmp_gt_i32_e64 s1, s5, v0
	s_and_b32 s1, s0, s1
	s_delay_alu instid0(SALU_CYCLE_1)
	s_and_b32 exec_lo, exec_lo, s1
	s_cbranch_execz .LBB187_13
; %bb.12:                               ;   in Loop: Header=BB187_7 Depth=1
	scratch_load_b32 v1, off, off offset:12 ; 4-byte Folded Reload
	s_waitcnt vmcnt(0)
	v_add_nc_u32_e32 v2, v1, v0
	s_delay_alu instid0(VALU_DEP_1)
	v_mad_i64_i32 v[0:1], null, v2, 36, s[2:3]
	global_load_b32 v0, v[0:1], off
	scratch_load_b32 v1, off, off offset:76 ; 4-byte Folded Reload
	s_waitcnt vmcnt(1)
	v_cvt_f32_f16_e32 v0, v0
	s_waitcnt vmcnt(0)
	ds_store_b32 v1, v0
.LBB187_13:                             ;   in Loop: Header=BB187_7 Depth=1
	s_or_b32 exec_lo, exec_lo, s24
	s_waitcnt lgkmcnt(0)
	s_waitcnt_vscnt null, 0x0
	s_clause 0x1
	scratch_load_b32 v94, off, off offset:8
	scratch_load_b32 v95, off, off offset:4
	v_mov_b32_e32 v9, v156
	s_mov_b32 s1, 0
	s_mov_b32 s25, -2
	s_waitcnt vmcnt(0)
	s_barrier
	buffer_gl0_inv
.LBB187_14:                             ;   Parent Loop BB187_7 Depth=1
                                        ; =>  This Inner Loop Header: Depth=2
	ds_load_b32 v96, v94
	ds_load_b128 v[4:7], v95
	ds_load_b128 v[0:3], v95 offset:16
	s_and_b32 s26, s1, -16
	s_add_i32 s24, s25, 2
	v_add_nc_u32_e32 v97, s26, v76
	s_and_b32 s26, s24, 0x3ffffff8
	s_lshr_b32 s27, s24, 2
	s_lshl_b32 s26, s26, 2
	s_and_b32 s27, s27, 0x3ffffffc
	v_add_nc_u32_e32 v98, s26, v62
	v_add_nc_u32_e32 v100, s27, v63
	v_add_nc_u32_e32 v101, s26, v64
	v_add_nc_u32_e32 v99, s27, v65
	v_add_nc_u32_e32 v102, s26, v66
	v_add_nc_u32_e32 v103, s27, v68
	v_add_nc_u32_e32 v104, s26, v69
	v_add_nc_u32_e32 v105, s27, v70
	v_add3_u32 v106, v79, s25, v97
	v_add3_u32 v107, v78, s25, v97
	;; [unrolled: 1-line block ×4, first 2 shown]
	ds_load_2addr_b32 v[133:134], v98 offset1:1
	ds_load_2addr_b32 v[135:136], v98 offset0:2 offset1:3
	ds_load_2addr_b32 v[137:138], v98 offset0:4 offset1:5
	ds_load_2addr_b32 v[139:140], v98 offset0:6 offset1:7
	ds_load_2addr_b32 v[141:142], v101 offset0:2 offset1:3
	ds_load_2addr_b32 v[143:144], v101 offset0:4 offset1:5
	ds_load_2addr_b32 v[145:146], v101 offset0:6 offset1:7
	ds_load_b32 v97, v99
	ds_load_2addr_b32 v[147:148], v102 offset1:1
	ds_load_2addr_b32 v[149:150], v102 offset0:2 offset1:3
	ds_load_2addr_b32 v[151:152], v102 offset0:4 offset1:5
	;; [unrolled: 1-line block ×3, first 2 shown]
	ds_load_b32 v98, v103
	ds_load_2addr_b32 v[155:156], v104 offset1:1
	ds_load_2addr_b32 v[157:158], v104 offset0:2 offset1:3
	ds_load_2addr_b32 v[159:160], v104 offset0:4 offset1:5
	;; [unrolled: 1-line block ×3, first 2 shown]
	ds_load_b32 v99, v105
	ds_load_2addr_b32 v[163:164], v101 offset1:1
	ds_load_b32 v100, v100
	ds_load_u16 v165, v106 offset:16898
	ds_load_u16 v166, v107 offset:17922
	;; [unrolled: 1-line block ×4, first 2 shown]
	s_waitcnt lgkmcnt(25)
	v_bfe_i32 v129, v4, 0, 8
	v_bfe_i32 v126, v4, 8, 8
	;; [unrolled: 1-line block ×3, first 2 shown]
	v_ashrrev_i32_e32 v123, 24, v4
	v_bfe_i32 v4, v5, 0, 8
	v_bfe_i32 v121, v5, 8, 8
	;; [unrolled: 1-line block ×3, first 2 shown]
	v_ashrrev_i32_e32 v119, 24, v5
	s_waitcnt lgkmcnt(24)
	v_bfe_i32 v131, v0, 0, 8
	v_bfe_i32 v128, v0, 8, 8
	v_ashrrev_i32_e32 v125, 24, v0
	v_bfe_i32 v5, v1, 0, 8
	v_bfe_i32 v112, v1, 8, 8
	v_ashrrev_i32_e32 v109, 24, v1
	v_bfe_i32 v127, v6, 0, 8
	v_bfe_i32 v118, v6, 8, 8
	v_bfe_i32 v117, v6, 16, 8
	v_ashrrev_i32_e32 v116, 24, v6
	v_bfe_i32 v115, v7, 0, 8
	;; [unrolled: 4-line block ×4, first 2 shown]
	v_bfe_i32 v104, v3, 8, 8
	v_bfe_i32 v103, v3, 16, 8
	v_ashrrev_i32_e32 v102, 24, v3
	v_add_nc_u32_e32 v0, v109, v125
	v_add_nc_u32_e32 v3, v112, v128
	;; [unrolled: 1-line block ×7, first 2 shown]
	v_bfe_i32 v107, v2, 16, 8
	v_add3_u32 v2, v0, v106, v102
	v_add3_u32 v0, v3, v108, v104
	;; [unrolled: 1-line block ×7, first 2 shown]
	s_waitcnt lgkmcnt(23)
	v_ashrrev_i32_e32 v169, s24, v133
	v_ashrrev_i32_e32 v170, s24, v134
	s_waitcnt lgkmcnt(21)
	v_ashrrev_i32_e32 v137, s24, v137
	s_waitcnt lgkmcnt(20)
	;; [unrolled: 2-line block ×3, first 2 shown]
	v_ashrrev_i32_e32 v140, s24, v163
	v_ashrrev_i32_e32 v147, s24, v147
	;; [unrolled: 1-line block ×3, first 2 shown]
	v_bfe_i32 v110, v1, 16, 8
	v_ashrrev_i32_e32 v135, s24, v135
	v_ashrrev_i32_e32 v136, s24, v136
	;; [unrolled: 1-line block ×25, first 2 shown]
	s_waitcnt lgkmcnt(3)
	v_lshrrev_b16 v173, 8, v165
	v_bfe_u32 v174, v165, 4, 4
	s_waitcnt lgkmcnt(2)
	v_lshrrev_b16 v175, 8, v166
	v_bfe_u32 v176, v166, 4, 4
	;; [unrolled: 3-line block ×4, first 2 shown]
	v_and_b32_e32 v181, 3, v169
	v_and_b32_e32 v193, 3, v137
	;; [unrolled: 1-line block ×5, first 2 shown]
	v_add_nc_u32_e32 v1, v110, v124
	v_bfe_u32 v182, v169, 8, 2
	v_bfe_u32 v183, v169, 16, 2
	v_bfe_u32 v169, v169, 24, 2
	v_and_b32_e32 v184, 3, v170
	v_bfe_u32 v185, v170, 8, 2
	v_bfe_u32 v186, v170, 16, 2
	v_bfe_u32 v170, v170, 24, 2
	v_and_b32_e32 v187, 3, v135
	;; [unrolled: 4-line block ×3, first 2 shown]
	v_bfe_u32 v191, v136, 8, 2
	v_bfe_u32 v192, v136, 16, 2
	;; [unrolled: 1-line block ×6, first 2 shown]
	v_and_b32_e32 v196, 3, v138
	v_bfe_u32 v197, v138, 8, 2
	v_bfe_u32 v198, v138, 16, 2
	v_bfe_u32 v138, v138, 24, 2
	v_and_b32_e32 v199, 3, v139
	v_bfe_u32 v200, v139, 8, 2
	v_bfe_u32 v201, v139, 16, 2
	v_bfe_u32 v139, v139, 24, 2
	;; [unrolled: 4-line block ×3, first 2 shown]
	v_bfe_u32 v207, v140, 16, 2
	v_bfe_u32 v140, v140, 24, 2
	v_and_b32_e32 v210, 3, v163
	v_and_b32_e32 v211, 3, v148
	;; [unrolled: 1-line block ×9, first 2 shown]
	v_bfe_u32 v219, v163, 8, 2
	v_bfe_u32 v220, v163, 16, 2
	v_bfe_u32 v163, v163, 24, 2
	v_and_b32_e32 v221, 3, v141
	v_bfe_u32 v222, v141, 8, 2
	v_bfe_u32 v223, v141, 16, 2
	;; [unrolled: 1-line block ×3, first 2 shown]
	v_and_b32_e32 v224, 3, v142
	v_bfe_u32 v225, v143, 8, 2
	v_and_b32_e32 v226, 3, v145
	v_bfe_u32 v227, v147, 8, 2
	;; [unrolled: 2-line block ×6, first 2 shown]
	v_bfe_u32 v236, v142, 16, 2
	v_bfe_u32 v142, v142, 24, 2
	;; [unrolled: 1-line block ×10, first 2 shown]
	v_and_b32_e32 v242, 3, v146
	v_bfe_u32 v243, v146, 8, 2
	v_bfe_u32 v244, v147, 16, 2
	;; [unrolled: 1-line block ×15, first 2 shown]
	v_and_b32_e32 v253, 3, v150
	v_bfe_u32 v159, v159, 24, 2
	v_bfe_u32 v254, v150, 8, 2
	;; [unrolled: 1-line block ×14, first 2 shown]
	v_and_b32_e32 v18, 3, v158
	v_bfe_u32 v67, v153, 16, 2
	v_bfe_u32 v80, v158, 8, 2
	v_bfe_u32 v153, v153, 24, 2
	v_bfe_u32 v81, v158, 16, 2
	v_bfe_u32 v158, v158, 24, 2
	v_bfe_u32 v19, v160, 8, 2
	v_and_b32_e32 v23, 3, v154
	v_bfe_u32 v24, v160, 16, 2
	v_bfe_u32 v160, v160, 24, 2
	v_bfe_u32 v26, v161, 8, 2
	v_bfe_u32 v27, v154, 8, 2
	v_bfe_u32 v28, v161, 16, 2
	v_bfe_u32 v161, v161, 24, 2
	;; [unrolled: 7-line block ×3, first 2 shown]
	v_bfe_u32 v162, v162, 24, 2
	v_mul_lo_u32 v34, 0x1010101, v174
	v_and_b32_e32 v173, 0xffff, v173
	v_mul_lo_u32 v36, 0x1010101, v176
	v_and_b32_e32 v175, 0xffff, v175
	;; [unrolled: 2-line block ×3, first 2 shown]
	v_and_b32_e32 v179, 0xffff, v179
	v_mul_lo_u32 v39, 0x1010101, v180
	v_mul_i32_i24_e32 v174, v174, v132
	v_mul_i32_i24_e32 v176, v176, v132
	;; [unrolled: 1-line block ×9, first 2 shown]
	v_add3_u32 v1, v1, v107, v103
	v_mul_i32_i24_e32 v208, v213, v131
	v_mul_i32_i24_e32 v209, v214, v131
	;; [unrolled: 1-line block ×91, first 2 shown]
	v_lshrrev_b32_e32 v154, 4, v173
	v_lshrrev_b32_e32 v162, 4, v175
	;; [unrolled: 1-line block ×4, first 2 shown]
	v_mul_i32_i24_e32 v182, v182, v126
	v_mul_i32_i24_e32 v187, v187, v127
	;; [unrolled: 1-line block ×16, first 2 shown]
	v_lshrrev_b32_e32 v204, 24, v34
	v_bfe_i32 v224, v34, 16, 8
	v_lshrrev_b32_e32 v231, 24, v36
	v_bfe_i32 v232, v36, 16, 8
	;; [unrolled: 2-line block ×4, first 2 shown]
	v_bfe_i32 v34, v34, 8, 8
	v_bfe_i32 v36, v36, 8, 8
	;; [unrolled: 1-line block ×4, first 2 shown]
	v_mad_i32_i24 v180, v184, v4, v180
	v_mad_i32_i24 v181, v210, v4, v181
	;; [unrolled: 1-line block ×12, first 2 shown]
	v_mul_lo_u32 v132, 0x1010101, v154
	v_mul_lo_u32 v154, 0x1010101, v162
	;; [unrolled: 1-line block ×4, first 2 shown]
	v_mul_i32_i24_e32 v183, v183, v122
	v_mul_i32_i24_e32 v195, v195, v124
	;; [unrolled: 1-line block ×15, first 2 shown]
	v_add3_u32 v39, v180, v187, v182
	v_add3_u32 v129, v129, v199, v194
	;; [unrolled: 1-line block ×3, first 2 shown]
	v_mul_i32_i24_e32 v228, v237, v124
	v_mul_i32_i24_e32 v229, v244, v122
	;; [unrolled: 1-line block ×4, first 2 shown]
	v_add3_u32 v181, v193, v215, v214
	v_add3_u32 v182, v184, v225, v221
	;; [unrolled: 1-line block ×9, first 2 shown]
	v_lshrrev_b32_e32 v101, 24, v132
	v_lshrrev_b32_e32 v131, 24, v154
	;; [unrolled: 1-line block ×4, first 2 shown]
	v_add3_u32 v39, v39, v183, v169
	v_add3_u32 v129, v129, v195, v137
	v_add3_u32 v137, v180, v207, v140
	v_mul_i32_i24_e32 v124, v252, v124
	v_bfe_i32 v7, v132, 16, 8
	v_bfe_i32 v130, v154, 16, 8
	;; [unrolled: 1-line block ×8, first 2 shown]
	v_add3_u32 v140, v181, v228, v143
	v_add3_u32 v143, v182, v229, v147
	;; [unrolled: 1-line block ×4, first 2 shown]
	v_mul_i32_i24_e32 v101, v2, v101
	v_mul_i32_i24_e32 v122, v2, v131
	;; [unrolled: 1-line block ×4, first 2 shown]
	v_add3_u32 v39, v39, v149, v155
	v_add3_u32 v129, v129, v153, v150
	;; [unrolled: 1-line block ×4, first 2 shown]
	v_mul_i32_i24_e32 v7, v1, v7
	v_mul_i32_i24_e32 v124, v1, v130
	;; [unrolled: 1-line block ×8, first 2 shown]
	v_add3_u32 v140, v140, v161, v158
	v_add3_u32 v143, v143, v190, v185
	;; [unrolled: 1-line block ×24, first 2 shown]
	v_cvt_f32_i32_e32 v23, v0
	v_add3_u32 v0, v1, v117, v115
	v_add3_u32 v1, v2, v107, v105
	;; [unrolled: 1-line block ×4, first 2 shown]
	v_and_b32_e32 v165, 15, v165
	v_and_b32_e32 v166, 15, v166
	v_add3_u32 v3, v6, v139, v200
	v_add3_u32 v6, v24, v141, v222
	;; [unrolled: 1-line block ×7, first 2 shown]
	v_mul_lo_u32 v0, v0, v165
	v_and_b32_e32 v167, 15, v167
	v_mul_lo_u32 v1, v1, v166
	v_and_b32_e32 v168, 15, v168
	v_add3_u32 v26, v3, v201, v134
	v_add3_u32 v2, v6, v223, v142
	;; [unrolled: 1-line block ×3, first 2 shown]
	v_and_b32_e32 v173, 15, v173
	v_add3_u32 v5, v5, v106, v31
	v_add3_u32 v11, v11, v145, v27
	v_mul_lo_u32 v2, v2, v167
	v_mul_lo_u32 v3, v3, v168
	v_and_b32_e32 v175, 15, v175
	v_add3_u32 v27, v5, v33, v102
	v_mad_u64_u32 v[4:5], null, v24, v173, v[0:1]
	v_and_b32_e32 v177, 15, v177
	v_add3_u32 v11, v11, v32, v146
	v_and_b32_e32 v179, 15, v179
	v_lshrrev_b32_e32 v133, 16, v100
	v_lshrrev_b32_e32 v164, 16, v97
	;; [unrolled: 1-line block ×4, first 2 shown]
	v_add3_u32 v7, v18, v7, v130
	v_add3_u32 v18, v19, v124, v131
	v_add3_u32 v19, v29, v125, v132
	v_mad_u64_u32 v[5:6], null, v26, v175, v[1:2]
	v_mad_u64_u32 v[0:1], null, v11, v177, v[2:3]
	;; [unrolled: 1-line block ×3, first 2 shown]
	v_cvt_f32_f16_e64 v133, v133
	v_cvt_f32_f16_e64 v164, v164
	;; [unrolled: 1-line block ×4, first 2 shown]
	v_cvt_f32_i32_e32 v7, v7
	v_cvt_f32_i32_e32 v18, v18
	;; [unrolled: 1-line block ×5, first 2 shown]
	s_delay_alu instid0(VALU_DEP_4) | instskip(NEXT) | instid1(VALU_DEP_4)
	v_dual_mul_f32 v2, v133, v7 :: v_dual_mul_f32 v3, v164, v18
	v_mul_f32_e32 v6, v171, v19
	v_mul_f32_e32 v7, v172, v23
	v_cvt_f32_i32_e32 v0, v0
	v_cvt_f32_i32_e32 v1, v1
	v_fma_mix_f32 v2, v100, v4, -v2 op_sel_hi:[1,0,0]
	v_fma_mix_f32 v3, v97, v5, -v3 op_sel_hi:[1,0,0]
	v_add_nc_u32_e32 v95, 32, v95
	v_fma_mix_f32 v0, v98, v0, -v6 op_sel_hi:[1,0,0]
	v_fma_mix_f32 v1, v99, v1, -v7 op_sel_hi:[1,0,0]
	v_fmac_f32_e32 v13, v96, v2
	v_dual_fmac_f32 v61, v96, v3 :: v_dual_add_nc_u32 v94, 4, v94
	s_delay_alu instid0(VALU_DEP_4) | instskip(NEXT) | instid1(VALU_DEP_4)
	v_fmac_f32_e32 v58, v96, v0
	v_fmac_f32_e32 v8, v96, v1
	s_add_i32 s1, s1, 2
	s_cmp_lt_u32 s24, 6
	s_mov_b32 s25, s24
	s_cbranch_scc1 .LBB187_14
; %bb.15:                               ;   in Loop: Header=BB187_7 Depth=1
	s_or_b32 s1, s23, 0x80
	s_delay_alu instid0(SALU_CYCLE_1)
	s_cmp_ge_i32 s1, s11
	s_barrier
	buffer_gl0_inv
	s_cbranch_scc1 .LBB187_40
; %bb.16:                               ;   in Loop: Header=BB187_7 Depth=1
	scratch_load_b32 v0, off, off offset:72 ; 4-byte Folded Reload
	s_waitcnt vmcnt(0)
	v_add_nc_u32_e32 v0, s22, v0
	s_delay_alu instid0(VALU_DEP_1) | instskip(NEXT) | instid1(VALU_DEP_1)
	v_cmp_gt_i32_e64 s1, s5, v0
	s_and_b32 s24, s0, s1
	s_mov_b32 s1, exec_lo
	v_mov_b32_e32 v156, v9
	s_and_b32 s24, s1, s24
	s_delay_alu instid0(SALU_CYCLE_1)
	s_mov_b32 exec_lo, s24
	s_cbranch_execz .LBB187_18
; %bb.17:                               ;   in Loop: Header=BB187_7 Depth=1
	s_clause 0x1
	scratch_load_b32 v1, off, off offset:12
	scratch_load_b64 v[3:4], off, off offset:60
	s_waitcnt vmcnt(1)
	v_add_nc_u32_e32 v2, v1, v0
	s_waitcnt vmcnt(0)
	s_delay_alu instid0(VALU_DEP_1)
	v_mad_i64_i32 v[0:1], null, v2, 36, v[3:4]
	global_load_b32 v0, v[0:1], off offset:4
	scratch_load_b32 v1, off, off offset:68 ; 4-byte Folded Reload
	s_waitcnt vmcnt(0)
	ds_store_b32 v1, v0
.LBB187_18:                             ;   in Loop: Header=BB187_7 Depth=1
	s_or_b32 exec_lo, exec_lo, s1
	s_and_saveexec_b32 s24, vcc_lo
	s_cbranch_execz .LBB187_21
; %bb.19:                               ;   in Loop: Header=BB187_7 Depth=1
	v_or_b32_e32 v0, s22, v156
	s_delay_alu instid0(VALU_DEP_1) | instskip(NEXT) | instid1(VALU_DEP_1)
	v_or_b32_e32 v1, 4, v0
	v_cmp_gt_i32_e64 s1, s5, v1
	s_delay_alu instid0(VALU_DEP_1) | instskip(NEXT) | instid1(SALU_CYCLE_1)
	s_and_b32 s1, s0, s1
	s_and_b32 exec_lo, exec_lo, s1
	s_cbranch_execz .LBB187_21
; %bb.20:                               ;   in Loop: Header=BB187_7 Depth=1
	scratch_load_b32 v2, off, off offset:12 ; 4-byte Folded Reload
	v_ashrrev_i32_e32 v1, 31, v0
	s_waitcnt vmcnt(0)
	v_add_co_u32 v2, s1, v2, v0
	scratch_load_b32 v0, off, off offset:84 ; 4-byte Folded Reload
	s_waitcnt vmcnt(0)
	v_add_co_ci_u32_e64 v3, s1, v0, v1, s1
	v_mad_u64_u32 v[0:1], null, v2, 36, s[12:13]
	s_delay_alu instid0(VALU_DEP_1)
	v_mad_i32_i24 v1, v3, 36, v1
	global_load_b32 v0, v[0:1], off
	scratch_load_b32 v1, off, off offset:76 ; 4-byte Folded Reload
	s_waitcnt vmcnt(1)
	v_cvt_f32_f16_e32 v0, v0
	s_waitcnt vmcnt(0)
	ds_store_b32 v1, v0
.LBB187_21:                             ;   in Loop: Header=BB187_7 Depth=1
	s_or_b32 exec_lo, exec_lo, s24
	s_waitcnt lgkmcnt(0)
	s_clause 0x1
	scratch_load_b32 v4, off, off offset:4
	scratch_load_b32 v5, off, off offset:8
	s_mov_b32 s1, 8
	s_mov_b32 s24, 0
	s_waitcnt vmcnt(0)
	s_barrier
	buffer_gl0_inv
.LBB187_22:                             ;   Parent Loop BB187_7 Depth=1
                                        ; =>  This Inner Loop Header: Depth=2
	ds_load_b128 v[0:3], v4
	ds_load_b128 v[122:125], v4 offset:16
	s_add_i32 s25, s24, 8
	s_and_b32 s28, s1, -16
	s_and_b32 s26, s25, 0x3ffffff8
	s_lshr_b32 s27, s25, 2
	s_lshl_b32 s26, s26, 2
	s_and_b32 s27, s27, 0x3ffffffc
	v_add_nc_u32_e32 v4, 32, v4
	v_add_nc_u32_e32 v28, s27, v65
	s_add_i32 s1, s1, 2
	s_waitcnt lgkmcnt(1)
	v_bfe_i32 v120, v2, 0, 8
	v_bfe_i32 v101, v2, 8, 8
	;; [unrolled: 1-line block ×3, first 2 shown]
	v_ashrrev_i32_e32 v96, 24, v2
	v_add_nc_u32_e32 v2, s26, v62
	v_bfe_i32 v118, v0, 0, 8
	v_bfe_i32 v111, v0, 8, 8
	v_bfe_i32 v117, v0, 16, 8
	v_ashrrev_i32_e32 v116, 24, v0
	v_bfe_i32 v119, v1, 0, 8
	v_bfe_i32 v112, v1, 8, 8
	v_bfe_i32 v105, v1, 16, 8
	v_ashrrev_i32_e32 v104, 24, v1
	;; [unrolled: 4-line block ×3, first 2 shown]
	s_waitcnt lgkmcnt(0)
	v_bfe_i32 v121, v122, 0, 8
	v_bfe_i32 v106, v122, 8, 8
	v_bfe_i32 v107, v122, 16, 8
	v_ashrrev_i32_e32 v113, 24, v122
	v_bfe_i32 v122, v123, 0, 8
	v_bfe_i32 v108, v123, 8, 8
	v_bfe_i32 v109, v123, 16, 8
	v_ashrrev_i32_e32 v110, 24, v123
	;; [unrolled: 4-line block ×4, first 2 shown]
	ds_load_2addr_b32 v[124:125], v2 offset1:1
	ds_load_2addr_b32 v[0:1], v2 offset0:2 offset1:3
	ds_load_2addr_b32 v[129:130], v2 offset0:4 offset1:5
	;; [unrolled: 1-line block ×3, first 2 shown]
	s_waitcnt lgkmcnt(3)
	v_ashrrev_i32_e32 v126, s24, v124
	v_ashrrev_i32_e32 v124, s24, v125
	s_waitcnt lgkmcnt(2)
	v_ashrrev_i32_e32 v0, s24, v0
	s_waitcnt lgkmcnt(1)
	v_ashrrev_i32_e32 v127, s24, v129
	v_ashrrev_i32_e32 v125, s24, v130
	v_and_b32_e32 v11, 3, v126
	v_and_b32_e32 v18, 3, v124
	;; [unrolled: 1-line block ×3, first 2 shown]
	s_waitcnt lgkmcnt(0)
	v_ashrrev_i32_e32 v2, s24, v2
	v_ashrrev_i32_e32 v1, s24, v1
	v_mul_i32_i24_e32 v11, v11, v118
	v_ashrrev_i32_e32 v3, s24, v3
	v_mul_i32_i24_e32 v19, v19, v120
	s_delay_alu instid0(VALU_DEP_3) | instskip(SKIP_1) | instid1(VALU_DEP_1)
	v_mad_i32_i24 v11, v18, v119, v11
	v_bfe_u32 v18, v126, 8, 2
	v_mul_i32_i24_e32 v18, v18, v111
	s_delay_alu instid0(VALU_DEP_1) | instskip(SKIP_3) | instid1(VALU_DEP_3)
	v_add3_u32 v128, v11, v19, v18
	v_and_b32_e32 v11, 3, v127
	v_and_b32_e32 v18, 3, v125
	;; [unrolled: 1-line block ×3, first 2 shown]
	v_mul_i32_i24_e32 v11, v11, v121
	s_delay_alu instid0(VALU_DEP_2) | instskip(NEXT) | instid1(VALU_DEP_2)
	v_mul_i32_i24_e32 v19, v19, v123
	v_mad_i32_i24 v11, v18, v122, v11
	v_bfe_u32 v18, v127, 8, 2
	s_delay_alu instid0(VALU_DEP_1) | instskip(NEXT) | instid1(VALU_DEP_1)
	v_mul_i32_i24_e32 v18, v18, v106
	v_add3_u32 v129, v11, v19, v18
	v_add_nc_u32_e32 v11, s26, v64
	v_add_nc_u32_e32 v18, s27, v63
	ds_load_2addr_b32 v[131:132], v11 offset0:2 offset1:3
	ds_load_b32 v130, v18
	ds_load_2addr_b32 v[133:134], v11 offset1:1
	s_waitcnt lgkmcnt(2)
	v_ashrrev_i32_e32 v26, s24, v131
	s_waitcnt lgkmcnt(0)
	v_ashrrev_i32_e32 v18, s24, v133
	v_ashrrev_i32_e32 v19, s24, v134
	s_delay_alu instid0(VALU_DEP_3) | instskip(NEXT) | instid1(VALU_DEP_3)
	v_and_b32_e32 v27, 3, v26
	v_and_b32_e32 v23, 3, v18
	s_delay_alu instid0(VALU_DEP_3) | instskip(NEXT) | instid1(VALU_DEP_3)
	v_and_b32_e32 v24, 3, v19
	v_mul_i32_i24_e32 v27, v27, v120
	s_delay_alu instid0(VALU_DEP_3) | instskip(NEXT) | instid1(VALU_DEP_1)
	v_mul_i32_i24_e32 v23, v23, v118
	v_mad_i32_i24 v23, v24, v119, v23
	v_bfe_u32 v24, v18, 8, 2
	s_delay_alu instid0(VALU_DEP_1) | instskip(NEXT) | instid1(VALU_DEP_1)
	v_mul_i32_i24_e32 v24, v24, v111
	v_add3_u32 v23, v23, v27, v24
	v_add_nc_u32_e32 v24, s24, v76
	s_delay_alu instid0(VALU_DEP_1)
	v_add3_u32 v27, v84, s28, v24
	ds_load_u16 v27, v27
	ds_load_b32 v28, v28
	ds_load_2addr_b32 v[133:134], v11 offset0:4 offset1:5
	ds_load_2addr_b32 v[135:136], v11 offset0:6 offset1:7
	s_waitcnt lgkmcnt(1)
	v_ashrrev_i32_e32 v11, s24, v133
	v_ashrrev_i32_e32 v29, s24, v134
	s_waitcnt lgkmcnt(0)
	v_ashrrev_i32_e32 v33, s24, v135
	s_delay_alu instid0(VALU_DEP_3) | instskip(NEXT) | instid1(VALU_DEP_3)
	v_and_b32_e32 v31, 3, v11
	v_and_b32_e32 v32, 3, v29
	s_delay_alu instid0(VALU_DEP_3) | instskip(NEXT) | instid1(VALU_DEP_3)
	v_and_b32_e32 v34, 3, v33
	v_mul_i32_i24_e32 v31, v31, v121
	s_delay_alu instid0(VALU_DEP_2) | instskip(NEXT) | instid1(VALU_DEP_2)
	v_mul_i32_i24_e32 v34, v34, v123
	v_mad_i32_i24 v31, v32, v122, v31
	v_bfe_u32 v32, v11, 8, 2
	s_delay_alu instid0(VALU_DEP_1) | instskip(NEXT) | instid1(VALU_DEP_1)
	v_mul_i32_i24_e32 v32, v32, v106
	v_add3_u32 v31, v31, v34, v32
	v_add_nc_u32_e32 v32, s26, v66
	ds_load_2addr_b32 v[133:134], v32 offset1:1
	ds_load_2addr_b32 v[137:138], v32 offset0:2 offset1:3
	ds_load_2addr_b32 v[139:140], v32 offset0:4 offset1:5
	;; [unrolled: 1-line block ×3, first 2 shown]
	s_waitcnt lgkmcnt(3)
	v_ashrrev_i32_e32 v32, s24, v133
	v_ashrrev_i32_e32 v34, s24, v134
	s_waitcnt lgkmcnt(2)
	v_ashrrev_i32_e32 v39, s24, v137
	s_waitcnt lgkmcnt(0)
	v_ashrrev_i32_e32 v71, s24, v141
	v_and_b32_e32 v36, 3, v32
	v_and_b32_e32 v37, 3, v34
	;; [unrolled: 1-line block ×3, first 2 shown]
	s_delay_alu instid0(VALU_DEP_4) | instskip(NEXT) | instid1(VALU_DEP_4)
	v_and_b32_e32 v72, 3, v71
	v_mul_i32_i24_e32 v36, v36, v118
	s_delay_alu instid0(VALU_DEP_3) | instskip(NEXT) | instid1(VALU_DEP_3)
	v_mul_i32_i24_e32 v59, v59, v120
	v_mul_i32_i24_e32 v72, v72, v123
	s_delay_alu instid0(VALU_DEP_3) | instskip(SKIP_1) | instid1(VALU_DEP_1)
	v_mad_i32_i24 v36, v37, v119, v36
	v_bfe_u32 v37, v32, 8, 2
	v_mul_i32_i24_e32 v37, v37, v111
	s_delay_alu instid0(VALU_DEP_1) | instskip(SKIP_2) | instid1(VALU_DEP_2)
	v_add3_u32 v36, v36, v59, v37
	v_ashrrev_i32_e32 v37, s24, v139
	v_ashrrev_i32_e32 v59, s24, v140
	v_and_b32_e32 v60, 3, v37
	s_delay_alu instid0(VALU_DEP_2) | instskip(NEXT) | instid1(VALU_DEP_2)
	v_and_b32_e32 v67, 3, v59
	v_mul_i32_i24_e32 v60, v60, v121
	s_delay_alu instid0(VALU_DEP_1) | instskip(SKIP_1) | instid1(VALU_DEP_1)
	v_mad_i32_i24 v60, v67, v122, v60
	v_bfe_u32 v67, v37, 8, 2
	v_mul_i32_i24_e32 v67, v67, v106
	s_delay_alu instid0(VALU_DEP_1)
	v_add3_u32 v60, v60, v72, v67
	v_add_nc_u32_e32 v67, s26, v69
	v_add_nc_u32_e32 v72, s27, v68
	ds_load_2addr_b32 v[133:134], v67 offset0:2 offset1:3
	ds_load_b32 v72, v72
	ds_load_2addr_b32 v[139:140], v67 offset1:1
	s_waitcnt lgkmcnt(2)
	v_ashrrev_i32_e32 v131, s24, v133
	s_waitcnt lgkmcnt(0)
	v_ashrrev_i32_e32 v73, s24, v139
	v_ashrrev_i32_e32 v74, s24, v140
	s_delay_alu instid0(VALU_DEP_3) | instskip(NEXT) | instid1(VALU_DEP_3)
	v_and_b32_e32 v133, 3, v131
	v_and_b32_e32 v80, 3, v73
	s_delay_alu instid0(VALU_DEP_3) | instskip(NEXT) | instid1(VALU_DEP_3)
	v_and_b32_e32 v81, 3, v74
	v_mul_i32_i24_e32 v133, v133, v120
	s_delay_alu instid0(VALU_DEP_3) | instskip(SKIP_1) | instid1(VALU_DEP_2)
	v_mul_i32_i24_e32 v80, v80, v118
	v_add_nc_u32_e32 v118, v119, v118
	v_mad_i32_i24 v80, v81, v119, v80
	v_bfe_u32 v81, v73, 8, 2
	s_delay_alu instid0(VALU_DEP_3) | instskip(SKIP_1) | instid1(VALU_DEP_3)
	v_add3_u32 v118, v118, v120, v114
	v_add3_u32 v120, v85, s28, v24
	v_mul_i32_i24_e32 v81, v81, v111
	v_add_nc_u32_e32 v111, v112, v111
	s_delay_alu instid0(VALU_DEP_2)
	v_add3_u32 v80, v80, v133, v81
	v_add3_u32 v81, v82, s28, v24
	v_add_nc_u32_e32 v133, s27, v70
	v_add3_u32 v24, v83, s28, v24
	v_add3_u32 v111, v111, v101, v97
	ds_load_u16 v81, v81
	ds_load_b32 v133, v133
	ds_load_2addr_b32 v[139:140], v67 offset0:4 offset1:5
	ds_load_2addr_b32 v[143:144], v67 offset0:6 offset1:7
	ds_load_u16 v120, v120
	ds_load_u16 v24, v24
	s_waitcnt lgkmcnt(3)
	v_ashrrev_i32_e32 v67, s24, v139
	v_ashrrev_i32_e32 v135, s24, v140
	s_waitcnt lgkmcnt(2)
	v_ashrrev_i32_e32 v140, s24, v143
	s_delay_alu instid0(VALU_DEP_3) | instskip(NEXT) | instid1(VALU_DEP_3)
	v_and_b32_e32 v137, 3, v67
	v_and_b32_e32 v139, 3, v135
	s_delay_alu instid0(VALU_DEP_3) | instskip(NEXT) | instid1(VALU_DEP_3)
	v_and_b32_e32 v141, 3, v140
	v_mul_i32_i24_e32 v137, v137, v121
	v_add_nc_u32_e32 v121, v122, v121
	s_delay_alu instid0(VALU_DEP_3) | instskip(NEXT) | instid1(VALU_DEP_3)
	v_mul_i32_i24_e32 v141, v141, v123
	v_mad_i32_i24 v137, v139, v122, v137
	v_bfe_u32 v139, v67, 8, 2
	s_delay_alu instid0(VALU_DEP_4)
	v_add3_u32 v119, v121, v123, v115
	s_waitcnt lgkmcnt(1)
	v_lshrrev_b16 v123, 8, v120
	v_add_nc_u32_e32 v121, v104, v116
	v_add_nc_u32_e32 v122, v105, v117
	v_mul_i32_i24_e32 v139, v139, v106
	s_delay_alu instid0(VALU_DEP_4) | instskip(NEXT) | instid1(VALU_DEP_4)
	v_and_b32_e32 v123, 0xffff, v123
	v_add3_u32 v121, v121, v96, v6
	s_delay_alu instid0(VALU_DEP_4) | instskip(NEXT) | instid1(VALU_DEP_4)
	v_add3_u32 v122, v122, v100, v7
	v_add3_u32 v137, v137, v141, v139
	v_bfe_u32 v139, v120, 4, 4
	v_lshrrev_b32_e32 v143, 4, v123
	s_delay_alu instid0(VALU_DEP_2) | instskip(SKIP_1) | instid1(VALU_DEP_1)
	v_mul_lo_u32 v141, 0x1010101, v139
	v_mul_i32_i24_e32 v139, v139, v118
	v_mad_i32_i24 v139, v143, v119, v139
	s_delay_alu instid0(VALU_DEP_3) | instskip(SKIP_1) | instid1(VALU_DEP_2)
	v_lshrrev_b32_e32 v145, 24, v141
	v_bfe_i32 v146, v141, 16, 8
	v_mul_i32_i24_e32 v145, v121, v145
	s_delay_alu instid0(VALU_DEP_2) | instskip(NEXT) | instid1(VALU_DEP_1)
	v_mul_i32_i24_e32 v146, v122, v146
	v_add3_u32 v139, v139, v145, v146
	s_waitcnt lgkmcnt(0)
	v_bfe_u32 v146, v24, 4, 4
	v_lshrrev_b16 v145, 8, v24
	s_delay_alu instid0(VALU_DEP_2) | instskip(NEXT) | instid1(VALU_DEP_2)
	v_mul_lo_u32 v147, 0x1010101, v146
	v_and_b32_e32 v145, 0xffff, v145
	v_mul_i32_i24_e32 v146, v146, v118
	s_delay_alu instid0(VALU_DEP_2) | instskip(NEXT) | instid1(VALU_DEP_4)
	v_lshrrev_b32_e32 v148, 4, v145
	v_lshrrev_b32_e32 v149, 24, v147
	v_bfe_i32 v150, v147, 16, 8
	s_delay_alu instid0(VALU_DEP_3) | instskip(NEXT) | instid1(VALU_DEP_3)
	v_mad_i32_i24 v146, v148, v119, v146
	v_mul_i32_i24_e32 v149, v121, v149
	s_delay_alu instid0(VALU_DEP_3) | instskip(NEXT) | instid1(VALU_DEP_1)
	v_mul_i32_i24_e32 v150, v122, v150
	v_add3_u32 v146, v146, v149, v150
	v_bfe_u32 v150, v27, 4, 4
	v_lshrrev_b16 v149, 8, v27
	s_delay_alu instid0(VALU_DEP_2) | instskip(NEXT) | instid1(VALU_DEP_2)
	v_mul_lo_u32 v151, 0x1010101, v150
	v_and_b32_e32 v149, 0xffff, v149
	v_mul_i32_i24_e32 v150, v150, v118
	s_delay_alu instid0(VALU_DEP_2) | instskip(NEXT) | instid1(VALU_DEP_4)
	v_lshrrev_b32_e32 v152, 4, v149
	v_lshrrev_b32_e32 v153, 24, v151
	v_bfe_i32 v154, v151, 16, 8
	s_delay_alu instid0(VALU_DEP_3) | instskip(NEXT) | instid1(VALU_DEP_3)
	v_mad_i32_i24 v150, v152, v119, v150
	v_mul_i32_i24_e32 v153, v121, v153
	s_delay_alu instid0(VALU_DEP_3) | instskip(NEXT) | instid1(VALU_DEP_1)
	v_mul_i32_i24_e32 v154, v122, v154
	v_add3_u32 v150, v150, v153, v154
	v_lshrrev_b16 v153, 8, v81
	v_bfe_u32 v154, v81, 4, 4
	s_delay_alu instid0(VALU_DEP_2) | instskip(NEXT) | instid1(VALU_DEP_2)
	v_and_b32_e32 v153, 0xffff, v153
	v_mul_i32_i24_e32 v118, v154, v118
	s_delay_alu instid0(VALU_DEP_2) | instskip(NEXT) | instid1(VALU_DEP_1)
	v_lshrrev_b32_e32 v155, 4, v153
	v_mad_i32_i24 v118, v155, v119, v118
	v_mul_lo_u32 v119, 0x1010101, v154
	s_delay_alu instid0(VALU_DEP_1) | instskip(NEXT) | instid1(VALU_DEP_1)
	v_lshrrev_b32_e32 v154, 24, v119
	v_mul_i32_i24_e32 v121, v121, v154
	v_bfe_i32 v154, v119, 16, 8
	v_bfe_i32 v119, v119, 8, 8
	s_delay_alu instid0(VALU_DEP_2) | instskip(NEXT) | instid1(VALU_DEP_1)
	v_mul_i32_i24_e32 v122, v122, v154
	v_add3_u32 v118, v118, v121, v122
	v_bfe_u32 v121, v126, 16, 2
	v_bfe_u32 v122, v126, 24, 2
	;; [unrolled: 1-line block ×3, first 2 shown]
	s_delay_alu instid0(VALU_DEP_3) | instskip(NEXT) | instid1(VALU_DEP_3)
	v_mul_i32_i24_e32 v121, v121, v117
	v_mul_i32_i24_e32 v122, v122, v116
	s_delay_alu instid0(VALU_DEP_3) | instskip(NEXT) | instid1(VALU_DEP_2)
	v_mul_i32_i24_e32 v126, v126, v113
	v_add3_u32 v121, v128, v121, v122
	v_bfe_u32 v122, v127, 16, 2
	v_mul_lo_u32 v127, 0x1010101, v152
	s_delay_alu instid0(VALU_DEP_2) | instskip(NEXT) | instid1(VALU_DEP_2)
	v_mul_i32_i24_e32 v122, v122, v107
	v_lshrrev_b32_e32 v128, 24, v127
	s_delay_alu instid0(VALU_DEP_2) | instskip(SKIP_2) | instid1(VALU_DEP_2)
	v_add3_u32 v122, v129, v122, v126
	v_bfe_u32 v126, v18, 16, 2
	v_bfe_u32 v18, v18, 24, 2
	v_mul_i32_i24_e32 v126, v126, v117
	s_delay_alu instid0(VALU_DEP_2) | instskip(NEXT) | instid1(VALU_DEP_1)
	v_mul_i32_i24_e32 v18, v18, v116
	v_add3_u32 v18, v23, v126, v18
	v_bfe_u32 v23, v11, 16, 2
	v_bfe_u32 v11, v11, 24, 2
	s_delay_alu instid0(VALU_DEP_2) | instskip(NEXT) | instid1(VALU_DEP_2)
	v_mul_i32_i24_e32 v23, v23, v107
	v_mul_i32_i24_e32 v11, v11, v113
	s_delay_alu instid0(VALU_DEP_1) | instskip(SKIP_3) | instid1(VALU_DEP_3)
	v_add3_u32 v11, v31, v23, v11
	v_bfe_u32 v23, v32, 16, 2
	v_bfe_u32 v31, v32, 24, 2
	;; [unrolled: 1-line block ×3, first 2 shown]
	v_mul_i32_i24_e32 v23, v23, v117
	s_delay_alu instid0(VALU_DEP_3) | instskip(NEXT) | instid1(VALU_DEP_3)
	v_mul_i32_i24_e32 v31, v31, v116
	v_mul_i32_i24_e32 v32, v32, v113
	s_delay_alu instid0(VALU_DEP_2) | instskip(SKIP_3) | instid1(VALU_DEP_3)
	v_add3_u32 v23, v36, v23, v31
	v_bfe_u32 v31, v37, 16, 2
	v_bfe_u32 v36, v73, 24, 2
	;; [unrolled: 1-line block ×3, first 2 shown]
	v_mul_i32_i24_e32 v31, v31, v107
	s_delay_alu instid0(VALU_DEP_3) | instskip(NEXT) | instid1(VALU_DEP_3)
	v_mul_i32_i24_e32 v36, v36, v116
	v_mul_i32_i24_e32 v37, v37, v113
	s_delay_alu instid0(VALU_DEP_3) | instskip(SKIP_3) | instid1(VALU_DEP_3)
	v_add3_u32 v31, v60, v31, v32
	v_bfe_u32 v32, v73, 16, 2
	v_and_b32_e32 v60, 3, v1
	v_bfe_u32 v73, v19, 8, 2
	v_mul_i32_i24_e32 v32, v32, v117
	s_delay_alu instid0(VALU_DEP_3) | instskip(NEXT) | instid1(VALU_DEP_3)
	v_mul_i32_i24_e32 v60, v60, v114
	v_mul_i32_i24_e32 v73, v73, v112
	s_delay_alu instid0(VALU_DEP_3) | instskip(SKIP_2) | instid1(VALU_DEP_2)
	v_add3_u32 v32, v80, v32, v36
	v_bfe_u32 v36, v67, 16, 2
	v_and_b32_e32 v67, 3, v3
	v_mul_i32_i24_e32 v36, v36, v107
	s_delay_alu instid0(VALU_DEP_2) | instskip(NEXT) | instid1(VALU_DEP_2)
	v_mul_i32_i24_e32 v67, v67, v115
	v_add3_u32 v36, v137, v36, v37
	v_bfe_u32 v37, v124, 8, 2
	s_delay_alu instid0(VALU_DEP_1) | instskip(NEXT) | instid1(VALU_DEP_1)
	v_mul_i32_i24_e32 v37, v37, v112
	v_add3_u32 v37, v121, v60, v37
	v_bfe_u32 v60, v125, 8, 2
	s_delay_alu instid0(VALU_DEP_1) | instskip(NEXT) | instid1(VALU_DEP_1)
	v_mul_i32_i24_e32 v60, v60, v108
	v_add3_u32 v60, v122, v67, v60
	v_ashrrev_i32_e32 v67, s24, v132
	v_mul_lo_u32 v122, 0x1010101, v148
	s_delay_alu instid0(VALU_DEP_2) | instskip(NEXT) | instid1(VALU_DEP_2)
	v_and_b32_e32 v80, 3, v67
	v_lshrrev_b32_e32 v126, 24, v122
	s_delay_alu instid0(VALU_DEP_2) | instskip(NEXT) | instid1(VALU_DEP_1)
	v_mul_i32_i24_e32 v80, v80, v114
	v_add3_u32 v18, v18, v80, v73
	v_ashrrev_i32_e32 v73, s24, v136
	v_bfe_u32 v80, v29, 8, 2
	s_delay_alu instid0(VALU_DEP_2) | instskip(NEXT) | instid1(VALU_DEP_2)
	v_and_b32_e32 v116, 3, v73
	v_mul_i32_i24_e32 v80, v80, v108
	s_delay_alu instid0(VALU_DEP_2) | instskip(NEXT) | instid1(VALU_DEP_1)
	v_mul_i32_i24_e32 v116, v116, v115
	v_add3_u32 v11, v11, v116, v80
	v_ashrrev_i32_e32 v80, s24, v138
	v_bfe_u32 v116, v34, 8, 2
	s_delay_alu instid0(VALU_DEP_2) | instskip(NEXT) | instid1(VALU_DEP_2)
	v_and_b32_e32 v117, 3, v80
	v_mul_i32_i24_e32 v116, v116, v112
	;; [unrolled: 8-line block ×3, first 2 shown]
	s_delay_alu instid0(VALU_DEP_2) | instskip(NEXT) | instid1(VALU_DEP_1)
	v_mul_i32_i24_e32 v121, v121, v115
	v_add3_u32 v31, v31, v121, v117
	v_ashrrev_i32_e32 v117, s24, v134
	s_delay_alu instid0(VALU_DEP_1) | instskip(NEXT) | instid1(VALU_DEP_1)
	v_and_b32_e32 v121, 3, v117
	v_mul_i32_i24_e32 v114, v121, v114
	v_bfe_u32 v121, v74, 8, 2
	s_delay_alu instid0(VALU_DEP_1) | instskip(SKIP_2) | instid1(VALU_DEP_3)
	v_mul_i32_i24_e32 v121, v121, v112
	v_add_nc_u32_e32 v112, v110, v113
	v_bfe_i32 v113, v141, 8, 8
	v_add3_u32 v32, v32, v114, v121
	v_ashrrev_i32_e32 v114, s24, v144
	s_delay_alu instid0(VALU_DEP_4) | instskip(NEXT) | instid1(VALU_DEP_4)
	v_add3_u32 v112, v112, v98, v94
	v_mul_i32_i24_e32 v113, v111, v113
	s_add_i32 s24, s24, 2
	s_cmp_lt_u32 s25, 14
	v_and_b32_e32 v121, 3, v114
	v_mul_i32_i24_e32 v126, v112, v126
	v_mul_i32_i24_e32 v128, v112, v128
	s_delay_alu instid0(VALU_DEP_3) | instskip(SKIP_1) | instid1(VALU_DEP_1)
	v_mul_i32_i24_e32 v115, v121, v115
	v_bfe_u32 v121, v135, 8, 2
	v_mul_i32_i24_e32 v121, v121, v108
	s_delay_alu instid0(VALU_DEP_1) | instskip(SKIP_1) | instid1(VALU_DEP_1)
	v_add3_u32 v36, v36, v115, v121
	v_mul_lo_u32 v115, 0x1010101, v143
	v_lshrrev_b32_e32 v121, 24, v115
	s_delay_alu instid0(VALU_DEP_1) | instskip(NEXT) | instid1(VALU_DEP_1)
	v_mul_i32_i24_e32 v121, v112, v121
	v_add3_u32 v113, v139, v113, v121
	v_bfe_i32 v121, v147, 8, 8
	s_delay_alu instid0(VALU_DEP_1) | instskip(NEXT) | instid1(VALU_DEP_1)
	v_mul_i32_i24_e32 v121, v111, v121
	v_add3_u32 v121, v146, v121, v126
	v_bfe_i32 v126, v151, 8, 8
	s_delay_alu instid0(VALU_DEP_1) | instskip(SKIP_2) | instid1(VALU_DEP_3)
	v_mul_i32_i24_e32 v126, v111, v126
	v_mul_i32_i24_e32 v111, v111, v119
	v_mul_lo_u32 v119, 0x1010101, v155
	v_add3_u32 v126, v150, v126, v128
	s_delay_alu instid0(VALU_DEP_2) | instskip(NEXT) | instid1(VALU_DEP_1)
	v_lshrrev_b32_e32 v128, 24, v119
	v_mul_i32_i24_e32 v112, v112, v128
	s_delay_alu instid0(VALU_DEP_1) | instskip(SKIP_2) | instid1(VALU_DEP_2)
	v_add3_u32 v111, v118, v111, v112
	v_bfe_u32 v112, v124, 16, 2
	v_bfe_u32 v118, v124, 24, 2
	v_mul_i32_i24_e32 v112, v112, v105
	s_delay_alu instid0(VALU_DEP_2) | instskip(NEXT) | instid1(VALU_DEP_1)
	v_mul_i32_i24_e32 v118, v118, v104
	v_add3_u32 v37, v37, v112, v118
	v_bfe_u32 v112, v125, 16, 2
	v_bfe_u32 v118, v125, 24, 2
	s_delay_alu instid0(VALU_DEP_2) | instskip(NEXT) | instid1(VALU_DEP_2)
	v_mul_i32_i24_e32 v112, v112, v109
	v_mul_i32_i24_e32 v118, v118, v110
	s_delay_alu instid0(VALU_DEP_1) | instskip(SKIP_2) | instid1(VALU_DEP_2)
	v_add3_u32 v60, v60, v112, v118
	v_bfe_u32 v112, v19, 16, 2
	v_bfe_u32 v19, v19, 24, 2
	v_mul_i32_i24_e32 v112, v112, v105
	s_delay_alu instid0(VALU_DEP_2) | instskip(NEXT) | instid1(VALU_DEP_1)
	v_mul_i32_i24_e32 v19, v19, v104
	v_add3_u32 v18, v18, v112, v19
	v_bfe_u32 v19, v29, 16, 2
	v_bfe_u32 v29, v29, 24, 2
	s_delay_alu instid0(VALU_DEP_2) | instskip(NEXT) | instid1(VALU_DEP_2)
	v_mul_i32_i24_e32 v19, v19, v109
	v_mul_i32_i24_e32 v29, v29, v110
	s_delay_alu instid0(VALU_DEP_1) | instskip(SKIP_3) | instid1(VALU_DEP_3)
	v_add3_u32 v11, v11, v19, v29
	v_bfe_u32 v19, v34, 16, 2
	v_bfe_u32 v29, v34, 24, 2
	v_add_nc_u32_e32 v34, v108, v106
	v_mul_i32_i24_e32 v19, v19, v105
	s_delay_alu instid0(VALU_DEP_3) | instskip(NEXT) | instid1(VALU_DEP_3)
	v_mul_i32_i24_e32 v29, v29, v104
	v_add3_u32 v34, v34, v103, v99
	s_delay_alu instid0(VALU_DEP_2) | instskip(SKIP_3) | instid1(VALU_DEP_3)
	v_add3_u32 v19, v23, v19, v29
	v_bfe_u32 v23, v59, 16, 2
	v_bfe_u32 v29, v59, 24, 2
	v_bfe_i32 v59, v115, 8, 8
	v_mul_i32_i24_e32 v23, v23, v109
	s_delay_alu instid0(VALU_DEP_3) | instskip(NEXT) | instid1(VALU_DEP_3)
	v_mul_i32_i24_e32 v29, v29, v110
	v_mul_i32_i24_e32 v59, v34, v59
	s_delay_alu instid0(VALU_DEP_2) | instskip(SKIP_3) | instid1(VALU_DEP_3)
	v_add3_u32 v23, v31, v23, v29
	v_bfe_u32 v29, v74, 16, 2
	v_bfe_u32 v31, v74, 24, 2
	v_bfe_i32 v74, v122, 8, 8
	v_mul_i32_i24_e32 v29, v29, v105
	s_delay_alu instid0(VALU_DEP_3) | instskip(NEXT) | instid1(VALU_DEP_3)
	v_mul_i32_i24_e32 v31, v31, v104
	v_mul_i32_i24_e32 v74, v34, v74
	v_bfe_i32 v104, v127, 8, 8
	s_delay_alu instid0(VALU_DEP_3) | instskip(SKIP_2) | instid1(VALU_DEP_4)
	v_add3_u32 v29, v32, v29, v31
	v_bfe_u32 v31, v135, 24, 2
	v_bfe_u32 v32, v135, 16, 2
	v_mul_i32_i24_e32 v104, v34, v104
	s_delay_alu instid0(VALU_DEP_3) | instskip(NEXT) | instid1(VALU_DEP_3)
	v_mul_i32_i24_e32 v31, v31, v110
	v_mul_i32_i24_e32 v32, v32, v109
	s_delay_alu instid0(VALU_DEP_1) | instskip(SKIP_2) | instid1(VALU_DEP_2)
	v_add3_u32 v31, v36, v32, v31
	v_add_nc_u32_e32 v32, v109, v107
	v_bfe_i32 v36, v115, 16, 8
	v_add3_u32 v32, v32, v102, v95
	s_delay_alu instid0(VALU_DEP_1) | instskip(NEXT) | instid1(VALU_DEP_1)
	v_mul_i32_i24_e32 v36, v32, v36
	v_add3_u32 v36, v113, v36, v59
	v_bfe_i32 v59, v122, 16, 8
	s_delay_alu instid0(VALU_DEP_1) | instskip(NEXT) | instid1(VALU_DEP_1)
	v_mul_i32_i24_e32 v59, v32, v59
	v_add3_u32 v59, v121, v59, v74
	v_bfe_i32 v74, v127, 16, 8
	;; [unrolled: 4-line block ×3, first 2 shown]
	s_delay_alu instid0(VALU_DEP_1) | instskip(SKIP_1) | instid1(VALU_DEP_1)
	v_mul_i32_i24_e32 v32, v32, v104
	v_bfe_i32 v104, v119, 8, 8
	v_mul_i32_i24_e32 v34, v34, v104
	v_bfe_u32 v104, v0, 16, 2
	s_delay_alu instid0(VALU_DEP_2) | instskip(SKIP_1) | instid1(VALU_DEP_3)
	v_add3_u32 v32, v111, v32, v34
	v_bfe_u32 v34, v0, 8, 2
	v_mul_i32_i24_e32 v104, v104, v100
	v_bfe_u32 v0, v0, 24, 2
	s_delay_alu instid0(VALU_DEP_3) | instskip(NEXT) | instid1(VALU_DEP_2)
	v_mul_i32_i24_e32 v34, v34, v101
	v_mul_i32_i24_e32 v0, v0, v96
	s_delay_alu instid0(VALU_DEP_2) | instskip(SKIP_3) | instid1(VALU_DEP_3)
	v_add3_u32 v34, v37, v34, v104
	v_bfe_u32 v37, v2, 8, 2
	v_bfe_u32 v104, v2, 16, 2
	;; [unrolled: 1-line block ×3, first 2 shown]
	v_mul_i32_i24_e32 v37, v37, v103
	s_delay_alu instid0(VALU_DEP_3) | instskip(NEXT) | instid1(VALU_DEP_3)
	v_mul_i32_i24_e32 v104, v104, v102
	v_mul_i32_i24_e32 v2, v2, v98
	s_delay_alu instid0(VALU_DEP_2) | instskip(SKIP_3) | instid1(VALU_DEP_3)
	v_add3_u32 v37, v60, v37, v104
	v_bfe_u32 v60, v26, 8, 2
	v_bfe_u32 v104, v26, 16, 2
	;; [unrolled: 1-line block ×3, first 2 shown]
	v_mul_i32_i24_e32 v60, v60, v101
	s_delay_alu instid0(VALU_DEP_3) | instskip(NEXT) | instid1(VALU_DEP_3)
	v_mul_i32_i24_e32 v104, v104, v100
	v_mul_i32_i24_e32 v26, v26, v96
	s_delay_alu instid0(VALU_DEP_2) | instskip(SKIP_2) | instid1(VALU_DEP_2)
	v_add3_u32 v18, v18, v60, v104
	v_bfe_u32 v60, v33, 8, 2
	v_bfe_u32 v104, v33, 16, 2
	v_mul_i32_i24_e32 v60, v60, v103
	s_delay_alu instid0(VALU_DEP_2) | instskip(NEXT) | instid1(VALU_DEP_1)
	v_mul_i32_i24_e32 v104, v104, v102
	v_add3_u32 v11, v11, v60, v104
	v_bfe_u32 v60, v39, 8, 2
	v_bfe_u32 v104, v39, 16, 2
	s_delay_alu instid0(VALU_DEP_2) | instskip(NEXT) | instid1(VALU_DEP_2)
	v_mul_i32_i24_e32 v60, v60, v101
	v_mul_i32_i24_e32 v104, v104, v100
	s_delay_alu instid0(VALU_DEP_1) | instskip(SKIP_2) | instid1(VALU_DEP_2)
	v_add3_u32 v19, v19, v60, v104
	v_bfe_u32 v60, v71, 8, 2
	v_bfe_u32 v104, v71, 16, 2
	v_mul_i32_i24_e32 v60, v60, v103
	s_delay_alu instid0(VALU_DEP_2) | instskip(NEXT) | instid1(VALU_DEP_1)
	v_mul_i32_i24_e32 v104, v104, v102
	v_add3_u32 v23, v23, v60, v104
	v_bfe_u32 v60, v131, 8, 2
	s_delay_alu instid0(VALU_DEP_1) | instskip(SKIP_1) | instid1(VALU_DEP_1)
	v_mul_i32_i24_e32 v60, v60, v101
	v_bfe_u32 v101, v131, 16, 2
	v_mul_i32_i24_e32 v100, v101, v100
	s_delay_alu instid0(VALU_DEP_1) | instskip(SKIP_2) | instid1(VALU_DEP_2)
	v_add3_u32 v29, v29, v60, v100
	v_bfe_u32 v60, v140, 8, 2
	v_bfe_u32 v100, v140, 16, 2
	v_mul_i32_i24_e32 v60, v60, v103
	s_delay_alu instid0(VALU_DEP_2) | instskip(NEXT) | instid1(VALU_DEP_1)
	v_mul_i32_i24_e32 v100, v100, v102
	v_add3_u32 v31, v31, v60, v100
	v_bfe_u32 v60, v1, 8, 2
	s_delay_alu instid0(VALU_DEP_1) | instskip(NEXT) | instid1(VALU_DEP_1)
	v_mul_i32_i24_e32 v60, v60, v97
	v_add3_u32 v0, v34, v0, v60
	v_bfe_u32 v34, v3, 8, 2
	s_delay_alu instid0(VALU_DEP_1) | instskip(NEXT) | instid1(VALU_DEP_1)
	;; [unrolled: 4-line block ×3, first 2 shown]
	v_mul_i32_i24_e32 v34, v34, v97
	v_add3_u32 v18, v18, v26, v34
	v_bfe_u32 v26, v33, 24, 2
	v_bfe_u32 v33, v73, 8, 2
	s_delay_alu instid0(VALU_DEP_2) | instskip(NEXT) | instid1(VALU_DEP_2)
	v_mul_i32_i24_e32 v26, v26, v98
	v_mul_i32_i24_e32 v33, v33, v99
	s_delay_alu instid0(VALU_DEP_1) | instskip(SKIP_2) | instid1(VALU_DEP_2)
	v_add3_u32 v11, v11, v26, v33
	v_bfe_u32 v26, v39, 24, 2
	v_bfe_u32 v33, v80, 8, 2
	v_mul_i32_i24_e32 v26, v26, v96
	s_delay_alu instid0(VALU_DEP_2) | instskip(NEXT) | instid1(VALU_DEP_1)
	v_mul_i32_i24_e32 v33, v33, v97
	v_add3_u32 v19, v19, v26, v33
	v_bfe_u32 v26, v71, 24, 2
	v_bfe_u32 v33, v116, 8, 2
	s_delay_alu instid0(VALU_DEP_2) | instskip(NEXT) | instid1(VALU_DEP_2)
	v_mul_i32_i24_e32 v26, v26, v98
	v_mul_i32_i24_e32 v33, v33, v99
	s_delay_alu instid0(VALU_DEP_1) | instskip(SKIP_2) | instid1(VALU_DEP_2)
	v_add3_u32 v23, v23, v26, v33
	v_bfe_u32 v26, v131, 24, 2
	v_bfe_u32 v33, v117, 8, 2
	v_mul_i32_i24_e32 v26, v26, v96
	s_delay_alu instid0(VALU_DEP_2) | instskip(NEXT) | instid1(VALU_DEP_1)
	;; [unrolled: 13-line block ×3, first 2 shown]
	v_mul_i32_i24_e32 v1, v1, v6
	v_add3_u32 v0, v0, v31, v1
	v_bfe_u32 v1, v3, 16, 2
	v_bfe_u32 v3, v3, 24, 2
	ds_load_b32 v31, v5
	v_add_nc_u32_e32 v5, 4, v5
	v_mul_i32_i24_e32 v1, v1, v95
	v_mul_i32_i24_e32 v3, v3, v94
	s_delay_alu instid0(VALU_DEP_1) | instskip(SKIP_2) | instid1(VALU_DEP_2)
	v_add3_u32 v3, v2, v1, v3
	v_bfe_u32 v1, v67, 16, 2
	v_bfe_u32 v2, v67, 24, 2
	v_mul_i32_i24_e32 v1, v1, v7
	s_delay_alu instid0(VALU_DEP_2) | instskip(NEXT) | instid1(VALU_DEP_1)
	v_mul_i32_i24_e32 v2, v2, v6
	v_add3_u32 v18, v18, v1, v2
	v_bfe_u32 v1, v73, 16, 2
	v_bfe_u32 v2, v73, 24, 2
	s_delay_alu instid0(VALU_DEP_2) | instskip(NEXT) | instid1(VALU_DEP_2)
	v_mul_i32_i24_e32 v1, v1, v95
	v_mul_i32_i24_e32 v2, v2, v94
	s_delay_alu instid0(VALU_DEP_1) | instskip(SKIP_2) | instid1(VALU_DEP_2)
	v_add3_u32 v11, v11, v1, v2
	v_bfe_u32 v1, v80, 16, 2
	v_bfe_u32 v2, v80, 24, 2
	v_mul_i32_i24_e32 v1, v1, v7
	s_delay_alu instid0(VALU_DEP_2) | instskip(NEXT) | instid1(VALU_DEP_1)
	v_mul_i32_i24_e32 v2, v2, v6
	v_add3_u32 v19, v19, v1, v2
	v_bfe_u32 v1, v116, 16, 2
	v_bfe_u32 v2, v116, 24, 2
	s_delay_alu instid0(VALU_DEP_2) | instskip(NEXT) | instid1(VALU_DEP_2)
	v_mul_i32_i24_e32 v1, v1, v95
	v_mul_i32_i24_e32 v2, v2, v94
	s_delay_alu instid0(VALU_DEP_1) | instskip(SKIP_2) | instid1(VALU_DEP_2)
	v_add3_u32 v23, v23, v1, v2
	v_bfe_u32 v1, v117, 16, 2
	v_bfe_u32 v2, v117, 24, 2
	v_mul_i32_i24_e32 v1, v1, v7
	s_delay_alu instid0(VALU_DEP_2) | instskip(SKIP_2) | instid1(VALU_DEP_3)
	v_mul_i32_i24_e32 v2, v2, v6
	v_and_b32_e32 v6, 15, v123
	v_and_b32_e32 v7, 15, v149
	v_add3_u32 v26, v26, v1, v2
	v_bfe_u32 v1, v114, 16, 2
	v_bfe_u32 v2, v114, 24, 2
	s_delay_alu instid0(VALU_DEP_2) | instskip(NEXT) | instid1(VALU_DEP_2)
	v_mul_i32_i24_e32 v1, v1, v95
	v_mul_i32_i24_e32 v2, v2, v94
	s_delay_alu instid0(VALU_DEP_1) | instskip(SKIP_1) | instid1(VALU_DEP_1)
	v_add3_u32 v29, v29, v1, v2
	v_and_b32_e32 v1, 15, v120
	v_mul_lo_u32 v0, v0, v1
	s_delay_alu instid0(VALU_DEP_1) | instskip(SKIP_4) | instid1(VALU_DEP_4)
	v_mad_u64_u32 v[1:2], null, v3, v6, v[0:1]
	v_and_b32_e32 v0, 15, v27
	v_and_b32_e32 v6, 15, v24
	;; [unrolled: 1-line block ×3, first 2 shown]
	v_lshrrev_b32_e32 v27, 16, v130
	v_mul_lo_u32 v0, v18, v0
	v_and_b32_e32 v18, 15, v145
	s_delay_alu instid0(VALU_DEP_2)
	v_mad_u64_u32 v[2:3], null, v11, v7, v[0:1]
	v_mul_lo_u32 v0, v19, v6
	v_and_b32_e32 v19, 15, v153
	v_lshrrev_b32_e32 v3, 16, v28
	v_lshrrev_b32_e32 v11, 16, v72
	v_cvt_f32_i32_e32 v2, v2
	s_delay_alu instid0(VALU_DEP_3)
	v_cvt_f32_f16_e32 v3, v3
	v_mad_u64_u32 v[6:7], null, v23, v18, v[0:1]
	v_mul_lo_u32 v0, v26, v24
	v_lshrrev_b32_e32 v7, 16, v133
	v_cvt_f32_f16_e32 v18, v27
	v_cvt_f32_f16_e32 v11, v11
	v_cvt_f32_i32_e32 v23, v36
	v_cvt_f32_i32_e32 v24, v59
	v_cvt_f32_f16_e32 v7, v7
	v_cvt_f32_i32_e32 v26, v74
	v_mad_u64_u32 v[94:95], null, v29, v19, v[0:1]
	v_cvt_f32_i32_e32 v27, v32
	v_dual_mul_f32 v0, v18, v23 :: v_dual_mul_f32 v11, v11, v24
	s_delay_alu instid0(VALU_DEP_4) | instskip(SKIP_1) | instid1(VALU_DEP_4)
	v_mul_f32_e32 v3, v3, v26
	v_cvt_f32_i32_e32 v1, v1
	v_mul_f32_e32 v7, v7, v27
	v_cvt_f32_i32_e32 v6, v6
	v_cvt_f32_i32_e32 v18, v94
	s_delay_alu instid0(VALU_DEP_4) | instskip(SKIP_1) | instid1(VALU_DEP_4)
	v_fma_mix_f32 v0, v130, v1, -v0 op_sel_hi:[1,0,0]
	v_fma_mix_f32 v1, v28, v2, -v3 op_sel_hi:[1,0,0]
	;; [unrolled: 1-line block ×3, first 2 shown]
	s_delay_alu instid0(VALU_DEP_4)
	v_fma_mix_f32 v3, v133, v18, -v7 op_sel_hi:[1,0,0]
	s_waitcnt lgkmcnt(0)
	v_fmac_f32_e32 v13, v31, v0
	v_fmac_f32_e32 v61, v31, v1
	v_fmac_f32_e32 v58, v31, v2
	v_fmac_f32_e32 v8, v31, v3
	s_cbranch_scc1 .LBB187_22
; %bb.23:                               ;   in Loop: Header=BB187_7 Depth=1
	s_or_b32 s1, s23, 0x100
	s_delay_alu instid0(SALU_CYCLE_1)
	s_cmp_ge_i32 s1, s11
	s_barrier
	buffer_gl0_inv
	s_cbranch_scc1 .LBB187_4
; %bb.24:                               ;   in Loop: Header=BB187_7 Depth=1
	scratch_load_b32 v0, off, off offset:80 ; 4-byte Folded Reload
	s_waitcnt vmcnt(0)
	v_add_nc_u32_e32 v0, s22, v0
	s_delay_alu instid0(VALU_DEP_1) | instskip(NEXT) | instid1(VALU_DEP_1)
	v_cmp_gt_i32_e64 s1, s5, v0
	s_and_b32 s24, s0, s1
	s_delay_alu instid0(SALU_CYCLE_1)
	s_and_saveexec_b32 s1, s24
	s_cbranch_execz .LBB187_26
; %bb.25:                               ;   in Loop: Header=BB187_7 Depth=1
	s_clause 0x1
	scratch_load_b32 v1, off, off offset:12
	scratch_load_b64 v[3:4], off, off offset:60
	s_waitcnt vmcnt(1)
	v_add_nc_u32_e32 v2, v1, v0
	s_waitcnt vmcnt(0)
	s_delay_alu instid0(VALU_DEP_1)
	v_mad_i64_i32 v[0:1], null, v2, 36, v[3:4]
	global_load_b32 v0, v[0:1], off offset:4
	scratch_load_b32 v1, off, off offset:68 ; 4-byte Folded Reload
	s_waitcnt vmcnt(0)
	ds_store_b32 v1, v0
.LBB187_26:                             ;   in Loop: Header=BB187_7 Depth=1
	s_or_b32 exec_lo, exec_lo, s1
	s_and_saveexec_b32 s24, vcc_lo
	s_cbranch_execz .LBB187_29
; %bb.27:                               ;   in Loop: Header=BB187_7 Depth=1
	v_or_b32_e32 v0, s22, v156
	s_delay_alu instid0(VALU_DEP_1) | instskip(NEXT) | instid1(VALU_DEP_1)
	v_or_b32_e32 v1, 8, v0
	v_cmp_gt_i32_e64 s1, s5, v1
	s_delay_alu instid0(VALU_DEP_1) | instskip(NEXT) | instid1(SALU_CYCLE_1)
	s_and_b32 s1, s0, s1
	s_and_b32 exec_lo, exec_lo, s1
	s_cbranch_execz .LBB187_29
; %bb.28:                               ;   in Loop: Header=BB187_7 Depth=1
	scratch_load_b32 v2, off, off offset:12 ; 4-byte Folded Reload
	v_ashrrev_i32_e32 v1, 31, v0
	s_waitcnt vmcnt(0)
	v_add_co_u32 v2, s1, v2, v0
	scratch_load_b32 v0, off, off offset:84 ; 4-byte Folded Reload
	s_waitcnt vmcnt(0)
	v_add_co_ci_u32_e64 v3, s1, v0, v1, s1
	v_mad_u64_u32 v[0:1], null, v2, 36, s[14:15]
	s_delay_alu instid0(VALU_DEP_1)
	v_mad_i32_i24 v1, v3, 36, v1
	global_load_b32 v0, v[0:1], off
	scratch_load_b32 v1, off, off offset:76 ; 4-byte Folded Reload
	s_waitcnt vmcnt(1)
	v_cvt_f32_f16_e32 v0, v0
	s_waitcnt vmcnt(0)
	ds_store_b32 v1, v0
.LBB187_29:                             ;   in Loop: Header=BB187_7 Depth=1
	s_or_b32 exec_lo, exec_lo, s24
	s_waitcnt lgkmcnt(0)
	s_clause 0x1
	scratch_load_b32 v4, off, off offset:4
	scratch_load_b32 v5, off, off offset:8
	s_mov_b32 s1, 16
	s_mov_b32 s24, 14
	s_waitcnt vmcnt(0)
	s_barrier
	buffer_gl0_inv
.LBB187_30:                             ;   Parent Loop BB187_7 Depth=1
                                        ; =>  This Inner Loop Header: Depth=2
	ds_load_b128 v[0:3], v4
	ds_load_b128 v[122:125], v4 offset:16
	s_add_i32 s25, s24, 2
	s_add_i32 s26, s24, -14
	s_and_b32 s27, s25, 0x3ffffff8
	s_lshr_b32 s28, s25, 2
	s_lshl_b32 s27, s27, 2
	s_and_b32 s28, s28, 0x3ffffffc
	s_and_b32 s29, s1, -16
	s_add_i32 s1, s1, 2
	s_add_i32 s24, s24, s29
	s_cmp_lt_u32 s25, 22
	s_waitcnt lgkmcnt(1)
	v_bfe_i32 v120, v2, 0, 8
	v_bfe_i32 v101, v2, 8, 8
	;; [unrolled: 1-line block ×3, first 2 shown]
	v_ashrrev_i32_e32 v96, 24, v2
	v_add_nc_u32_e32 v2, s27, v62
	v_bfe_i32 v118, v0, 0, 8
	v_bfe_i32 v111, v0, 8, 8
	v_bfe_i32 v117, v0, 16, 8
	v_ashrrev_i32_e32 v116, 24, v0
	v_bfe_i32 v119, v1, 0, 8
	v_bfe_i32 v112, v1, 8, 8
	v_bfe_i32 v105, v1, 16, 8
	v_ashrrev_i32_e32 v104, 24, v1
	;; [unrolled: 4-line block ×3, first 2 shown]
	s_waitcnt lgkmcnt(0)
	v_bfe_i32 v121, v122, 0, 8
	v_bfe_i32 v106, v122, 8, 8
	v_bfe_i32 v107, v122, 16, 8
	v_ashrrev_i32_e32 v113, 24, v122
	v_bfe_i32 v122, v123, 0, 8
	v_bfe_i32 v108, v123, 8, 8
	v_bfe_i32 v109, v123, 16, 8
	v_ashrrev_i32_e32 v110, 24, v123
	;; [unrolled: 4-line block ×4, first 2 shown]
	ds_load_2addr_b32 v[124:125], v2 offset1:1
	ds_load_2addr_b32 v[0:1], v2 offset0:2 offset1:3
	ds_load_2addr_b32 v[129:130], v2 offset0:4 offset1:5
	;; [unrolled: 1-line block ×3, first 2 shown]
	s_waitcnt lgkmcnt(3)
	v_ashrrev_i32_e32 v126, s26, v124
	v_ashrrev_i32_e32 v124, s26, v125
	s_waitcnt lgkmcnt(2)
	v_ashrrev_i32_e32 v0, s26, v0
	s_waitcnt lgkmcnt(1)
	v_ashrrev_i32_e32 v127, s26, v129
	v_ashrrev_i32_e32 v125, s26, v130
	v_and_b32_e32 v11, 3, v126
	v_and_b32_e32 v18, 3, v124
	;; [unrolled: 1-line block ×3, first 2 shown]
	s_waitcnt lgkmcnt(0)
	v_ashrrev_i32_e32 v2, s26, v2
	v_ashrrev_i32_e32 v1, s26, v1
	v_mul_i32_i24_e32 v11, v11, v118
	v_ashrrev_i32_e32 v3, s26, v3
	v_mul_i32_i24_e32 v19, v19, v120
	s_delay_alu instid0(VALU_DEP_3) | instskip(SKIP_1) | instid1(VALU_DEP_1)
	v_mad_i32_i24 v11, v18, v119, v11
	v_bfe_u32 v18, v126, 8, 2
	v_mul_i32_i24_e32 v18, v18, v111
	s_delay_alu instid0(VALU_DEP_1) | instskip(SKIP_3) | instid1(VALU_DEP_3)
	v_add3_u32 v128, v11, v19, v18
	v_and_b32_e32 v11, 3, v127
	v_and_b32_e32 v18, 3, v125
	;; [unrolled: 1-line block ×3, first 2 shown]
	v_mul_i32_i24_e32 v11, v11, v121
	s_delay_alu instid0(VALU_DEP_2) | instskip(NEXT) | instid1(VALU_DEP_2)
	v_mul_i32_i24_e32 v19, v19, v123
	v_mad_i32_i24 v11, v18, v122, v11
	v_bfe_u32 v18, v127, 8, 2
	s_delay_alu instid0(VALU_DEP_1) | instskip(NEXT) | instid1(VALU_DEP_1)
	v_mul_i32_i24_e32 v18, v18, v106
	v_add3_u32 v129, v11, v19, v18
	v_add_nc_u32_e32 v11, s27, v64
	v_add_nc_u32_e32 v18, s28, v63
	ds_load_2addr_b32 v[131:132], v11 offset0:2 offset1:3
	ds_load_b32 v130, v18
	ds_load_2addr_b32 v[133:134], v11 offset1:1
	s_waitcnt lgkmcnt(2)
	v_ashrrev_i32_e32 v26, s26, v131
	s_waitcnt lgkmcnt(0)
	v_ashrrev_i32_e32 v18, s26, v133
	v_ashrrev_i32_e32 v19, s26, v134
	s_delay_alu instid0(VALU_DEP_3) | instskip(NEXT) | instid1(VALU_DEP_3)
	v_and_b32_e32 v27, 3, v26
	v_and_b32_e32 v23, 3, v18
	s_delay_alu instid0(VALU_DEP_3) | instskip(NEXT) | instid1(VALU_DEP_3)
	v_and_b32_e32 v24, 3, v19
	v_mul_i32_i24_e32 v27, v27, v120
	s_delay_alu instid0(VALU_DEP_3) | instskip(NEXT) | instid1(VALU_DEP_1)
	v_mul_i32_i24_e32 v23, v23, v118
	v_mad_i32_i24 v23, v24, v119, v23
	v_bfe_u32 v24, v18, 8, 2
	s_delay_alu instid0(VALU_DEP_1) | instskip(NEXT) | instid1(VALU_DEP_1)
	v_mul_i32_i24_e32 v24, v24, v111
	v_add3_u32 v23, v23, v27, v24
	v_add_nc_u32_e32 v24, s24, v88
	v_add_nc_u32_e32 v27, s28, v65
	ds_load_u16 v24, v24 offset:17906
	ds_load_b32 v27, v27
	ds_load_2addr_b32 v[133:134], v11 offset0:4 offset1:5
	ds_load_2addr_b32 v[135:136], v11 offset0:6 offset1:7
	s_waitcnt lgkmcnt(1)
	v_ashrrev_i32_e32 v11, s26, v133
	v_ashrrev_i32_e32 v28, s26, v134
	s_waitcnt lgkmcnt(0)
	v_ashrrev_i32_e32 v32, s26, v135
	s_delay_alu instid0(VALU_DEP_3) | instskip(NEXT) | instid1(VALU_DEP_3)
	v_and_b32_e32 v29, 3, v11
	v_and_b32_e32 v31, 3, v28
	s_delay_alu instid0(VALU_DEP_3) | instskip(NEXT) | instid1(VALU_DEP_3)
	v_and_b32_e32 v33, 3, v32
	v_mul_i32_i24_e32 v29, v29, v121
	s_delay_alu instid0(VALU_DEP_2) | instskip(NEXT) | instid1(VALU_DEP_2)
	v_mul_i32_i24_e32 v33, v33, v123
	v_mad_i32_i24 v29, v31, v122, v29
	v_bfe_u32 v31, v11, 8, 2
	s_delay_alu instid0(VALU_DEP_1) | instskip(NEXT) | instid1(VALU_DEP_1)
	v_mul_i32_i24_e32 v31, v31, v106
	v_add3_u32 v29, v29, v33, v31
	v_add_nc_u32_e32 v31, s27, v66
	ds_load_2addr_b32 v[133:134], v31 offset1:1
	ds_load_2addr_b32 v[137:138], v31 offset0:2 offset1:3
	ds_load_2addr_b32 v[139:140], v31 offset0:4 offset1:5
	;; [unrolled: 1-line block ×3, first 2 shown]
	s_waitcnt lgkmcnt(3)
	v_ashrrev_i32_e32 v31, s26, v133
	v_ashrrev_i32_e32 v33, s26, v134
	s_waitcnt lgkmcnt(2)
	v_ashrrev_i32_e32 v37, s26, v137
	s_waitcnt lgkmcnt(0)
	v_ashrrev_i32_e32 v67, s26, v141
	v_and_b32_e32 v34, 3, v31
	v_and_b32_e32 v36, 3, v33
	;; [unrolled: 1-line block ×3, first 2 shown]
	s_delay_alu instid0(VALU_DEP_4) | instskip(NEXT) | instid1(VALU_DEP_4)
	v_and_b32_e32 v71, 3, v67
	v_mul_i32_i24_e32 v34, v34, v118
	s_delay_alu instid0(VALU_DEP_3) | instskip(NEXT) | instid1(VALU_DEP_3)
	v_mul_i32_i24_e32 v39, v39, v120
	v_mul_i32_i24_e32 v71, v71, v123
	s_delay_alu instid0(VALU_DEP_3) | instskip(SKIP_1) | instid1(VALU_DEP_1)
	v_mad_i32_i24 v34, v36, v119, v34
	v_bfe_u32 v36, v31, 8, 2
	v_mul_i32_i24_e32 v36, v36, v111
	s_delay_alu instid0(VALU_DEP_1) | instskip(SKIP_2) | instid1(VALU_DEP_2)
	v_add3_u32 v34, v34, v39, v36
	v_ashrrev_i32_e32 v36, s26, v139
	v_ashrrev_i32_e32 v39, s26, v140
	v_and_b32_e32 v59, 3, v36
	s_delay_alu instid0(VALU_DEP_2) | instskip(NEXT) | instid1(VALU_DEP_2)
	v_and_b32_e32 v60, 3, v39
	v_mul_i32_i24_e32 v59, v59, v121
	s_delay_alu instid0(VALU_DEP_1) | instskip(SKIP_1) | instid1(VALU_DEP_1)
	v_mad_i32_i24 v59, v60, v122, v59
	v_bfe_u32 v60, v36, 8, 2
	v_mul_i32_i24_e32 v60, v60, v106
	s_delay_alu instid0(VALU_DEP_1)
	v_add3_u32 v59, v59, v71, v60
	v_add_nc_u32_e32 v60, s27, v69
	v_add_nc_u32_e32 v71, s28, v68
	ds_load_2addr_b32 v[133:134], v60 offset0:2 offset1:3
	ds_load_b32 v71, v71
	ds_load_2addr_b32 v[139:140], v60 offset1:1
	s_waitcnt lgkmcnt(2)
	v_ashrrev_i32_e32 v81, s26, v133
	s_waitcnt lgkmcnt(0)
	v_ashrrev_i32_e32 v72, s26, v139
	v_ashrrev_i32_e32 v73, s26, v140
	s_delay_alu instid0(VALU_DEP_3) | instskip(NEXT) | instid1(VALU_DEP_3)
	v_and_b32_e32 v131, 3, v81
	v_and_b32_e32 v74, 3, v72
	s_delay_alu instid0(VALU_DEP_3) | instskip(NEXT) | instid1(VALU_DEP_3)
	v_and_b32_e32 v80, 3, v73
	v_mul_i32_i24_e32 v131, v131, v120
	s_delay_alu instid0(VALU_DEP_3) | instskip(SKIP_1) | instid1(VALU_DEP_2)
	v_mul_i32_i24_e32 v74, v74, v118
	v_add_nc_u32_e32 v118, v119, v118
	v_mad_i32_i24 v74, v80, v119, v74
	v_bfe_u32 v80, v72, 8, 2
	s_delay_alu instid0(VALU_DEP_3) | instskip(SKIP_1) | instid1(VALU_DEP_3)
	v_add3_u32 v118, v118, v120, v114
	v_add_nc_u32_e32 v120, s24, v89
	v_mul_i32_i24_e32 v80, v80, v111
	v_add_nc_u32_e32 v111, v112, v111
	s_delay_alu instid0(VALU_DEP_2) | instskip(SKIP_2) | instid1(VALU_DEP_4)
	v_add3_u32 v74, v74, v131, v80
	v_add_nc_u32_e32 v80, s24, v86
	v_add_nc_u32_e32 v131, s28, v70
	v_add3_u32 v111, v111, v101, v97
	ds_load_u16 v80, v80 offset:19954
	ds_load_b32 v131, v131
	ds_load_2addr_b32 v[139:140], v60 offset0:4 offset1:5
	ds_load_2addr_b32 v[143:144], v60 offset0:6 offset1:7
	ds_load_u16 v120, v120 offset:16882
	s_waitcnt lgkmcnt(2)
	v_ashrrev_i32_e32 v60, s26, v139
	v_ashrrev_i32_e32 v133, s26, v140
	s_waitcnt lgkmcnt(1)
	v_ashrrev_i32_e32 v139, s26, v143
	s_delay_alu instid0(VALU_DEP_3) | instskip(NEXT) | instid1(VALU_DEP_3)
	v_and_b32_e32 v135, 3, v60
	v_and_b32_e32 v137, 3, v133
	s_delay_alu instid0(VALU_DEP_3) | instskip(NEXT) | instid1(VALU_DEP_3)
	v_and_b32_e32 v140, 3, v139
	v_mul_i32_i24_e32 v135, v135, v121
	v_add_nc_u32_e32 v121, v122, v121
	s_delay_alu instid0(VALU_DEP_3) | instskip(NEXT) | instid1(VALU_DEP_3)
	v_mul_i32_i24_e32 v140, v140, v123
	v_mad_i32_i24 v135, v137, v122, v135
	v_bfe_u32 v137, v60, 8, 2
	s_delay_alu instid0(VALU_DEP_4)
	v_add3_u32 v119, v121, v123, v115
	s_waitcnt lgkmcnt(0)
	v_lshrrev_b16 v123, 8, v120
	v_add_nc_u32_e32 v121, v104, v116
	v_add_nc_u32_e32 v122, v105, v117
	v_mul_i32_i24_e32 v137, v137, v106
	s_delay_alu instid0(VALU_DEP_4) | instskip(NEXT) | instid1(VALU_DEP_4)
	v_and_b32_e32 v123, 0xffff, v123
	v_add3_u32 v121, v121, v96, v6
	s_delay_alu instid0(VALU_DEP_4) | instskip(NEXT) | instid1(VALU_DEP_4)
	v_add3_u32 v122, v122, v100, v7
	v_add3_u32 v135, v135, v140, v137
	v_bfe_u32 v137, v120, 4, 4
	v_lshrrev_b32_e32 v141, 4, v123
	s_delay_alu instid0(VALU_DEP_2) | instskip(SKIP_1) | instid1(VALU_DEP_1)
	v_mul_lo_u32 v140, 0x1010101, v137
	v_mul_i32_i24_e32 v137, v137, v118
	v_mad_i32_i24 v137, v141, v119, v137
	s_delay_alu instid0(VALU_DEP_3) | instskip(SKIP_1) | instid1(VALU_DEP_2)
	v_lshrrev_b32_e32 v143, 24, v140
	v_bfe_i32 v145, v140, 16, 8
	v_mul_i32_i24_e32 v143, v121, v143
	s_delay_alu instid0(VALU_DEP_2) | instskip(NEXT) | instid1(VALU_DEP_1)
	v_mul_i32_i24_e32 v145, v122, v145
	v_add3_u32 v137, v137, v143, v145
	v_add_nc_u32_e32 v143, s24, v87
	s_mov_b32 s24, s25
	ds_load_u16 v143, v143 offset:18930
	s_waitcnt lgkmcnt(0)
	v_bfe_u32 v146, v143, 4, 4
	v_lshrrev_b16 v145, 8, v143
	s_delay_alu instid0(VALU_DEP_2) | instskip(NEXT) | instid1(VALU_DEP_2)
	v_mul_lo_u32 v147, 0x1010101, v146
	v_and_b32_e32 v145, 0xffff, v145
	v_mul_i32_i24_e32 v146, v146, v118
	s_delay_alu instid0(VALU_DEP_2) | instskip(NEXT) | instid1(VALU_DEP_4)
	v_lshrrev_b32_e32 v148, 4, v145
	v_lshrrev_b32_e32 v149, 24, v147
	v_bfe_i32 v150, v147, 16, 8
	s_delay_alu instid0(VALU_DEP_3) | instskip(NEXT) | instid1(VALU_DEP_3)
	v_mad_i32_i24 v146, v148, v119, v146
	v_mul_i32_i24_e32 v149, v121, v149
	s_delay_alu instid0(VALU_DEP_3) | instskip(NEXT) | instid1(VALU_DEP_1)
	v_mul_i32_i24_e32 v150, v122, v150
	v_add3_u32 v146, v146, v149, v150
	v_bfe_u32 v150, v24, 4, 4
	v_lshrrev_b16 v149, 8, v24
	v_and_b32_e32 v24, 15, v24
	s_delay_alu instid0(VALU_DEP_3) | instskip(NEXT) | instid1(VALU_DEP_3)
	v_mul_lo_u32 v151, 0x1010101, v150
	v_and_b32_e32 v149, 0xffff, v149
	v_mul_i32_i24_e32 v150, v150, v118
	s_delay_alu instid0(VALU_DEP_2) | instskip(NEXT) | instid1(VALU_DEP_4)
	v_lshrrev_b32_e32 v152, 4, v149
	v_lshrrev_b32_e32 v153, 24, v151
	v_bfe_i32 v154, v151, 16, 8
	s_delay_alu instid0(VALU_DEP_3) | instskip(NEXT) | instid1(VALU_DEP_3)
	v_mad_i32_i24 v150, v152, v119, v150
	v_mul_i32_i24_e32 v153, v121, v153
	s_delay_alu instid0(VALU_DEP_3) | instskip(NEXT) | instid1(VALU_DEP_1)
	v_mul_i32_i24_e32 v154, v122, v154
	v_add3_u32 v150, v150, v153, v154
	v_lshrrev_b16 v153, 8, v80
	v_bfe_u32 v154, v80, 4, 4
	s_delay_alu instid0(VALU_DEP_2) | instskip(NEXT) | instid1(VALU_DEP_2)
	v_and_b32_e32 v153, 0xffff, v153
	v_mul_i32_i24_e32 v118, v154, v118
	s_delay_alu instid0(VALU_DEP_2) | instskip(NEXT) | instid1(VALU_DEP_1)
	v_lshrrev_b32_e32 v155, 4, v153
	v_mad_i32_i24 v118, v155, v119, v118
	v_mul_lo_u32 v119, 0x1010101, v154
	s_delay_alu instid0(VALU_DEP_1) | instskip(NEXT) | instid1(VALU_DEP_1)
	v_lshrrev_b32_e32 v154, 24, v119
	v_mul_i32_i24_e32 v121, v121, v154
	v_bfe_i32 v154, v119, 16, 8
	v_bfe_i32 v119, v119, 8, 8
	s_delay_alu instid0(VALU_DEP_2) | instskip(NEXT) | instid1(VALU_DEP_1)
	v_mul_i32_i24_e32 v122, v122, v154
	v_add3_u32 v118, v118, v121, v122
	v_bfe_u32 v121, v126, 16, 2
	v_bfe_u32 v122, v126, 24, 2
	;; [unrolled: 1-line block ×3, first 2 shown]
	s_delay_alu instid0(VALU_DEP_3) | instskip(NEXT) | instid1(VALU_DEP_3)
	v_mul_i32_i24_e32 v121, v121, v117
	v_mul_i32_i24_e32 v122, v122, v116
	s_delay_alu instid0(VALU_DEP_3) | instskip(NEXT) | instid1(VALU_DEP_2)
	v_mul_i32_i24_e32 v126, v126, v113
	v_add3_u32 v121, v128, v121, v122
	v_bfe_u32 v122, v127, 16, 2
	v_mul_lo_u32 v127, 0x1010101, v152
	s_delay_alu instid0(VALU_DEP_2) | instskip(NEXT) | instid1(VALU_DEP_2)
	v_mul_i32_i24_e32 v122, v122, v107
	v_lshrrev_b32_e32 v128, 24, v127
	s_delay_alu instid0(VALU_DEP_2) | instskip(SKIP_2) | instid1(VALU_DEP_2)
	v_add3_u32 v122, v129, v122, v126
	v_bfe_u32 v126, v18, 16, 2
	v_bfe_u32 v18, v18, 24, 2
	v_mul_i32_i24_e32 v126, v126, v117
	s_delay_alu instid0(VALU_DEP_2) | instskip(NEXT) | instid1(VALU_DEP_1)
	v_mul_i32_i24_e32 v18, v18, v116
	v_add3_u32 v18, v23, v126, v18
	v_bfe_u32 v23, v11, 16, 2
	v_bfe_u32 v11, v11, 24, 2
	s_delay_alu instid0(VALU_DEP_2) | instskip(NEXT) | instid1(VALU_DEP_2)
	v_mul_i32_i24_e32 v23, v23, v107
	v_mul_i32_i24_e32 v11, v11, v113
	s_delay_alu instid0(VALU_DEP_1) | instskip(SKIP_3) | instid1(VALU_DEP_3)
	v_add3_u32 v11, v29, v23, v11
	v_bfe_u32 v23, v31, 16, 2
	v_bfe_u32 v29, v31, 24, 2
	;; [unrolled: 1-line block ×3, first 2 shown]
	v_mul_i32_i24_e32 v23, v23, v117
	s_delay_alu instid0(VALU_DEP_3) | instskip(NEXT) | instid1(VALU_DEP_3)
	v_mul_i32_i24_e32 v29, v29, v116
	v_mul_i32_i24_e32 v31, v31, v113
	s_delay_alu instid0(VALU_DEP_2) | instskip(SKIP_3) | instid1(VALU_DEP_3)
	v_add3_u32 v23, v34, v23, v29
	v_bfe_u32 v29, v36, 16, 2
	v_bfe_u32 v34, v72, 24, 2
	v_bfe_u32 v36, v60, 24, 2
	v_mul_i32_i24_e32 v29, v29, v107
	s_delay_alu instid0(VALU_DEP_3) | instskip(NEXT) | instid1(VALU_DEP_3)
	v_mul_i32_i24_e32 v34, v34, v116
	v_mul_i32_i24_e32 v36, v36, v113
	s_delay_alu instid0(VALU_DEP_3) | instskip(SKIP_3) | instid1(VALU_DEP_3)
	v_add3_u32 v29, v59, v29, v31
	v_bfe_u32 v31, v72, 16, 2
	v_and_b32_e32 v59, 3, v1
	v_bfe_u32 v72, v19, 8, 2
	v_mul_i32_i24_e32 v31, v31, v117
	s_delay_alu instid0(VALU_DEP_3) | instskip(NEXT) | instid1(VALU_DEP_3)
	v_mul_i32_i24_e32 v59, v59, v114
	v_mul_i32_i24_e32 v72, v72, v112
	s_delay_alu instid0(VALU_DEP_3) | instskip(SKIP_2) | instid1(VALU_DEP_2)
	v_add3_u32 v31, v74, v31, v34
	v_bfe_u32 v34, v60, 16, 2
	v_and_b32_e32 v60, 3, v3
	v_mul_i32_i24_e32 v34, v34, v107
	s_delay_alu instid0(VALU_DEP_2) | instskip(NEXT) | instid1(VALU_DEP_2)
	v_mul_i32_i24_e32 v60, v60, v115
	v_add3_u32 v34, v135, v34, v36
	v_bfe_u32 v36, v124, 8, 2
	s_delay_alu instid0(VALU_DEP_1) | instskip(NEXT) | instid1(VALU_DEP_1)
	v_mul_i32_i24_e32 v36, v36, v112
	v_add3_u32 v36, v121, v59, v36
	v_bfe_u32 v59, v125, 8, 2
	s_delay_alu instid0(VALU_DEP_1) | instskip(NEXT) | instid1(VALU_DEP_1)
	v_mul_i32_i24_e32 v59, v59, v108
	v_add3_u32 v59, v122, v60, v59
	v_ashrrev_i32_e32 v60, s26, v132
	v_mul_lo_u32 v122, 0x1010101, v148
	s_delay_alu instid0(VALU_DEP_2) | instskip(NEXT) | instid1(VALU_DEP_2)
	v_and_b32_e32 v74, 3, v60
	v_lshrrev_b32_e32 v126, 24, v122
	s_delay_alu instid0(VALU_DEP_2) | instskip(NEXT) | instid1(VALU_DEP_1)
	v_mul_i32_i24_e32 v74, v74, v114
	v_add3_u32 v18, v18, v74, v72
	v_ashrrev_i32_e32 v72, s26, v136
	v_bfe_u32 v74, v28, 8, 2
	s_delay_alu instid0(VALU_DEP_2) | instskip(NEXT) | instid1(VALU_DEP_2)
	v_and_b32_e32 v116, 3, v72
	v_mul_i32_i24_e32 v74, v74, v108
	s_delay_alu instid0(VALU_DEP_2) | instskip(NEXT) | instid1(VALU_DEP_1)
	v_mul_i32_i24_e32 v116, v116, v115
	v_add3_u32 v11, v11, v116, v74
	v_ashrrev_i32_e32 v74, s26, v138
	v_bfe_u32 v116, v33, 8, 2
	s_delay_alu instid0(VALU_DEP_2) | instskip(NEXT) | instid1(VALU_DEP_2)
	v_and_b32_e32 v117, 3, v74
	v_mul_i32_i24_e32 v116, v116, v112
	;; [unrolled: 8-line block ×3, first 2 shown]
	s_delay_alu instid0(VALU_DEP_2) | instskip(NEXT) | instid1(VALU_DEP_1)
	v_mul_i32_i24_e32 v121, v121, v115
	v_add3_u32 v29, v29, v121, v117
	v_ashrrev_i32_e32 v117, s26, v134
	s_delay_alu instid0(VALU_DEP_1) | instskip(NEXT) | instid1(VALU_DEP_1)
	v_and_b32_e32 v121, 3, v117
	v_mul_i32_i24_e32 v114, v121, v114
	v_bfe_u32 v121, v73, 8, 2
	s_delay_alu instid0(VALU_DEP_1) | instskip(SKIP_2) | instid1(VALU_DEP_3)
	v_mul_i32_i24_e32 v121, v121, v112
	v_add_nc_u32_e32 v112, v110, v113
	v_bfe_i32 v113, v140, 8, 8
	v_add3_u32 v31, v31, v114, v121
	v_ashrrev_i32_e32 v114, s26, v144
	s_delay_alu instid0(VALU_DEP_4) | instskip(NEXT) | instid1(VALU_DEP_4)
	v_add3_u32 v112, v112, v98, v94
	v_mul_i32_i24_e32 v113, v111, v113
	s_delay_alu instid0(VALU_DEP_3) | instskip(NEXT) | instid1(VALU_DEP_3)
	v_and_b32_e32 v121, 3, v114
	v_mul_i32_i24_e32 v126, v112, v126
	v_mul_i32_i24_e32 v128, v112, v128
	s_delay_alu instid0(VALU_DEP_3) | instskip(SKIP_1) | instid1(VALU_DEP_1)
	v_mul_i32_i24_e32 v115, v121, v115
	v_bfe_u32 v121, v133, 8, 2
	v_mul_i32_i24_e32 v121, v121, v108
	s_delay_alu instid0(VALU_DEP_1) | instskip(SKIP_1) | instid1(VALU_DEP_1)
	v_add3_u32 v34, v34, v115, v121
	v_mul_lo_u32 v115, 0x1010101, v141
	v_lshrrev_b32_e32 v121, 24, v115
	s_delay_alu instid0(VALU_DEP_1) | instskip(NEXT) | instid1(VALU_DEP_1)
	v_mul_i32_i24_e32 v121, v112, v121
	v_add3_u32 v113, v137, v113, v121
	v_bfe_i32 v121, v147, 8, 8
	s_delay_alu instid0(VALU_DEP_1) | instskip(NEXT) | instid1(VALU_DEP_1)
	v_mul_i32_i24_e32 v121, v111, v121
	v_add3_u32 v121, v146, v121, v126
	v_bfe_i32 v126, v151, 8, 8
	s_delay_alu instid0(VALU_DEP_1) | instskip(SKIP_2) | instid1(VALU_DEP_3)
	v_mul_i32_i24_e32 v126, v111, v126
	v_mul_i32_i24_e32 v111, v111, v119
	v_mul_lo_u32 v119, 0x1010101, v155
	v_add3_u32 v126, v150, v126, v128
	s_delay_alu instid0(VALU_DEP_2) | instskip(NEXT) | instid1(VALU_DEP_1)
	v_lshrrev_b32_e32 v128, 24, v119
	v_mul_i32_i24_e32 v112, v112, v128
	s_delay_alu instid0(VALU_DEP_1) | instskip(SKIP_2) | instid1(VALU_DEP_2)
	v_add3_u32 v111, v118, v111, v112
	v_bfe_u32 v112, v124, 16, 2
	v_bfe_u32 v118, v124, 24, 2
	v_mul_i32_i24_e32 v112, v112, v105
	s_delay_alu instid0(VALU_DEP_2) | instskip(NEXT) | instid1(VALU_DEP_1)
	v_mul_i32_i24_e32 v118, v118, v104
	v_add3_u32 v36, v36, v112, v118
	v_bfe_u32 v112, v125, 16, 2
	v_bfe_u32 v118, v125, 24, 2
	s_delay_alu instid0(VALU_DEP_2) | instskip(NEXT) | instid1(VALU_DEP_2)
	v_mul_i32_i24_e32 v112, v112, v109
	v_mul_i32_i24_e32 v118, v118, v110
	s_delay_alu instid0(VALU_DEP_1) | instskip(SKIP_2) | instid1(VALU_DEP_2)
	v_add3_u32 v59, v59, v112, v118
	v_bfe_u32 v112, v19, 16, 2
	v_bfe_u32 v19, v19, 24, 2
	v_mul_i32_i24_e32 v112, v112, v105
	s_delay_alu instid0(VALU_DEP_2) | instskip(NEXT) | instid1(VALU_DEP_1)
	v_mul_i32_i24_e32 v19, v19, v104
	v_add3_u32 v18, v18, v112, v19
	v_bfe_u32 v19, v28, 16, 2
	v_bfe_u32 v28, v28, 24, 2
	s_delay_alu instid0(VALU_DEP_2) | instskip(NEXT) | instid1(VALU_DEP_2)
	v_mul_i32_i24_e32 v19, v19, v109
	v_mul_i32_i24_e32 v28, v28, v110
	s_delay_alu instid0(VALU_DEP_1) | instskip(SKIP_3) | instid1(VALU_DEP_3)
	v_add3_u32 v11, v11, v19, v28
	v_bfe_u32 v19, v33, 16, 2
	v_bfe_u32 v28, v33, 24, 2
	v_add_nc_u32_e32 v33, v108, v106
	v_mul_i32_i24_e32 v19, v19, v105
	s_delay_alu instid0(VALU_DEP_3) | instskip(NEXT) | instid1(VALU_DEP_3)
	v_mul_i32_i24_e32 v28, v28, v104
	v_add3_u32 v33, v33, v103, v99
	s_delay_alu instid0(VALU_DEP_2) | instskip(SKIP_3) | instid1(VALU_DEP_3)
	v_add3_u32 v19, v23, v19, v28
	v_bfe_u32 v23, v39, 16, 2
	v_bfe_u32 v28, v39, 24, 2
	v_bfe_i32 v39, v115, 8, 8
	v_mul_i32_i24_e32 v23, v23, v109
	s_delay_alu instid0(VALU_DEP_3) | instskip(NEXT) | instid1(VALU_DEP_3)
	v_mul_i32_i24_e32 v28, v28, v110
	v_mul_i32_i24_e32 v39, v33, v39
	s_delay_alu instid0(VALU_DEP_2) | instskip(SKIP_3) | instid1(VALU_DEP_3)
	v_add3_u32 v23, v29, v23, v28
	v_bfe_u32 v28, v73, 16, 2
	v_bfe_u32 v29, v73, 24, 2
	v_bfe_i32 v73, v122, 8, 8
	v_mul_i32_i24_e32 v28, v28, v105
	s_delay_alu instid0(VALU_DEP_3) | instskip(NEXT) | instid1(VALU_DEP_3)
	v_mul_i32_i24_e32 v29, v29, v104
	v_mul_i32_i24_e32 v73, v33, v73
	v_bfe_i32 v104, v127, 8, 8
	s_delay_alu instid0(VALU_DEP_3) | instskip(SKIP_2) | instid1(VALU_DEP_4)
	v_add3_u32 v28, v31, v28, v29
	v_bfe_u32 v29, v133, 24, 2
	v_bfe_u32 v31, v133, 16, 2
	v_mul_i32_i24_e32 v104, v33, v104
	s_delay_alu instid0(VALU_DEP_3) | instskip(NEXT) | instid1(VALU_DEP_3)
	v_mul_i32_i24_e32 v29, v29, v110
	v_mul_i32_i24_e32 v31, v31, v109
	s_delay_alu instid0(VALU_DEP_1) | instskip(SKIP_2) | instid1(VALU_DEP_2)
	v_add3_u32 v29, v34, v31, v29
	v_add_nc_u32_e32 v31, v109, v107
	v_bfe_i32 v34, v115, 16, 8
	v_add3_u32 v31, v31, v102, v95
	s_delay_alu instid0(VALU_DEP_1) | instskip(NEXT) | instid1(VALU_DEP_1)
	v_mul_i32_i24_e32 v34, v31, v34
	v_add3_u32 v34, v113, v34, v39
	v_bfe_i32 v39, v122, 16, 8
	s_delay_alu instid0(VALU_DEP_1) | instskip(NEXT) | instid1(VALU_DEP_1)
	v_mul_i32_i24_e32 v39, v31, v39
	v_add3_u32 v39, v121, v39, v73
	v_bfe_i32 v73, v127, 16, 8
	s_delay_alu instid0(VALU_DEP_1) | instskip(NEXT) | instid1(VALU_DEP_1)
	v_mul_i32_i24_e32 v73, v31, v73
	v_add3_u32 v73, v126, v73, v104
	v_bfe_i32 v104, v119, 16, 8
	s_delay_alu instid0(VALU_DEP_1) | instskip(SKIP_1) | instid1(VALU_DEP_1)
	v_mul_i32_i24_e32 v31, v31, v104
	v_bfe_i32 v104, v119, 8, 8
	v_mul_i32_i24_e32 v33, v33, v104
	v_bfe_u32 v104, v0, 16, 2
	s_delay_alu instid0(VALU_DEP_2) | instskip(SKIP_1) | instid1(VALU_DEP_3)
	v_add3_u32 v31, v111, v31, v33
	v_bfe_u32 v33, v0, 8, 2
	v_mul_i32_i24_e32 v104, v104, v100
	v_bfe_u32 v0, v0, 24, 2
	s_delay_alu instid0(VALU_DEP_4) | instskip(NEXT) | instid1(VALU_DEP_4)
	v_cvt_f32_i32_e32 v31, v31
	v_mul_i32_i24_e32 v33, v33, v101
	s_delay_alu instid0(VALU_DEP_3) | instskip(NEXT) | instid1(VALU_DEP_2)
	v_mul_i32_i24_e32 v0, v0, v96
	v_add3_u32 v33, v36, v33, v104
	v_bfe_u32 v36, v2, 8, 2
	v_bfe_u32 v104, v2, 16, 2
	;; [unrolled: 1-line block ×3, first 2 shown]
	s_delay_alu instid0(VALU_DEP_3) | instskip(NEXT) | instid1(VALU_DEP_3)
	v_mul_i32_i24_e32 v36, v36, v103
	v_mul_i32_i24_e32 v104, v104, v102
	s_delay_alu instid0(VALU_DEP_3) | instskip(NEXT) | instid1(VALU_DEP_2)
	v_mul_i32_i24_e32 v2, v2, v98
	v_add3_u32 v36, v59, v36, v104
	v_bfe_u32 v59, v26, 8, 2
	v_bfe_u32 v104, v26, 16, 2
	;; [unrolled: 1-line block ×3, first 2 shown]
	s_delay_alu instid0(VALU_DEP_3) | instskip(NEXT) | instid1(VALU_DEP_3)
	v_mul_i32_i24_e32 v59, v59, v101
	v_mul_i32_i24_e32 v104, v104, v100
	s_delay_alu instid0(VALU_DEP_3) | instskip(NEXT) | instid1(VALU_DEP_2)
	v_mul_i32_i24_e32 v26, v26, v96
	v_add3_u32 v18, v18, v59, v104
	v_bfe_u32 v59, v32, 8, 2
	v_bfe_u32 v104, v32, 16, 2
	s_delay_alu instid0(VALU_DEP_2) | instskip(NEXT) | instid1(VALU_DEP_2)
	v_mul_i32_i24_e32 v59, v59, v103
	v_mul_i32_i24_e32 v104, v104, v102
	s_delay_alu instid0(VALU_DEP_1) | instskip(SKIP_2) | instid1(VALU_DEP_2)
	v_add3_u32 v11, v11, v59, v104
	v_bfe_u32 v59, v37, 8, 2
	v_bfe_u32 v104, v37, 16, 2
	v_mul_i32_i24_e32 v59, v59, v101
	s_delay_alu instid0(VALU_DEP_2) | instskip(NEXT) | instid1(VALU_DEP_1)
	v_mul_i32_i24_e32 v104, v104, v100
	v_add3_u32 v19, v19, v59, v104
	v_bfe_u32 v59, v67, 8, 2
	v_bfe_u32 v104, v67, 16, 2
	s_delay_alu instid0(VALU_DEP_2) | instskip(NEXT) | instid1(VALU_DEP_2)
	v_mul_i32_i24_e32 v59, v59, v103
	v_mul_i32_i24_e32 v104, v104, v102
	s_delay_alu instid0(VALU_DEP_1) | instskip(SKIP_1) | instid1(VALU_DEP_1)
	v_add3_u32 v23, v23, v59, v104
	v_bfe_u32 v59, v81, 8, 2
	v_mul_i32_i24_e32 v59, v59, v101
	v_bfe_u32 v101, v81, 16, 2
	s_delay_alu instid0(VALU_DEP_1) | instskip(NEXT) | instid1(VALU_DEP_1)
	v_mul_i32_i24_e32 v100, v101, v100
	v_add3_u32 v28, v28, v59, v100
	v_bfe_u32 v59, v139, 8, 2
	v_bfe_u32 v100, v139, 16, 2
	s_delay_alu instid0(VALU_DEP_2) | instskip(NEXT) | instid1(VALU_DEP_2)
	v_mul_i32_i24_e32 v59, v59, v103
	v_mul_i32_i24_e32 v100, v100, v102
	s_delay_alu instid0(VALU_DEP_1) | instskip(SKIP_1) | instid1(VALU_DEP_1)
	v_add3_u32 v29, v29, v59, v100
	v_bfe_u32 v59, v1, 8, 2
	v_mul_i32_i24_e32 v59, v59, v97
	s_delay_alu instid0(VALU_DEP_1) | instskip(SKIP_1) | instid1(VALU_DEP_1)
	v_add3_u32 v0, v33, v0, v59
	v_bfe_u32 v33, v3, 8, 2
	v_mul_i32_i24_e32 v33, v33, v99
	s_delay_alu instid0(VALU_DEP_1) | instskip(SKIP_2) | instid1(VALU_DEP_2)
	v_add3_u32 v2, v36, v2, v33
	v_bfe_u32 v33, v60, 8, 2
	v_and_b32_e32 v36, 15, v153
	v_mul_i32_i24_e32 v33, v33, v97
	s_delay_alu instid0(VALU_DEP_1) | instskip(SKIP_3) | instid1(VALU_DEP_3)
	v_add3_u32 v18, v18, v26, v33
	v_bfe_u32 v26, v32, 24, 2
	v_bfe_u32 v32, v72, 8, 2
	v_and_b32_e32 v33, 15, v149
	v_mul_i32_i24_e32 v26, v26, v98
	s_delay_alu instid0(VALU_DEP_3) | instskip(NEXT) | instid1(VALU_DEP_1)
	v_mul_i32_i24_e32 v32, v32, v99
	v_add3_u32 v11, v11, v26, v32
	v_bfe_u32 v26, v37, 24, 2
	v_bfe_u32 v32, v74, 8, 2
	s_delay_alu instid0(VALU_DEP_2) | instskip(NEXT) | instid1(VALU_DEP_2)
	v_mul_i32_i24_e32 v26, v26, v96
	v_mul_i32_i24_e32 v32, v32, v97
	s_delay_alu instid0(VALU_DEP_1) | instskip(SKIP_2) | instid1(VALU_DEP_2)
	v_add3_u32 v19, v19, v26, v32
	v_bfe_u32 v26, v67, 24, 2
	v_bfe_u32 v32, v116, 8, 2
	v_mul_i32_i24_e32 v26, v26, v98
	s_delay_alu instid0(VALU_DEP_2) | instskip(NEXT) | instid1(VALU_DEP_1)
	v_mul_i32_i24_e32 v32, v32, v99
	v_add3_u32 v23, v23, v26, v32
	v_bfe_u32 v26, v81, 24, 2
	v_bfe_u32 v32, v117, 8, 2
	s_delay_alu instid0(VALU_DEP_2) | instskip(NEXT) | instid1(VALU_DEP_2)
	v_mul_i32_i24_e32 v26, v26, v96
	v_mul_i32_i24_e32 v32, v32, v97
	s_delay_alu instid0(VALU_DEP_1) | instskip(SKIP_2) | instid1(VALU_DEP_2)
	v_add3_u32 v26, v28, v26, v32
	v_bfe_u32 v28, v139, 24, 2
	v_bfe_u32 v32, v114, 8, 2
	v_mul_i32_i24_e32 v28, v28, v98
	s_delay_alu instid0(VALU_DEP_2) | instskip(NEXT) | instid1(VALU_DEP_1)
	v_mul_i32_i24_e32 v32, v32, v99
	v_add3_u32 v28, v29, v28, v32
	v_bfe_u32 v29, v1, 16, 2
	v_bfe_u32 v1, v1, 24, 2
	v_lshrrev_b32_e32 v32, 16, v27
	s_delay_alu instid0(VALU_DEP_3) | instskip(NEXT) | instid1(VALU_DEP_3)
	v_mul_i32_i24_e32 v29, v29, v7
	v_mul_i32_i24_e32 v1, v1, v6
	s_delay_alu instid0(VALU_DEP_1) | instskip(SKIP_3) | instid1(VALU_DEP_3)
	v_add3_u32 v0, v0, v29, v1
	v_bfe_u32 v1, v3, 16, 2
	v_bfe_u32 v3, v3, 24, 2
	v_and_b32_e32 v29, 15, v123
	v_mul_i32_i24_e32 v1, v1, v95
	s_delay_alu instid0(VALU_DEP_3) | instskip(NEXT) | instid1(VALU_DEP_1)
	v_mul_i32_i24_e32 v3, v3, v94
	v_add3_u32 v3, v2, v1, v3
	v_bfe_u32 v1, v60, 16, 2
	v_bfe_u32 v2, v60, 24, 2
	s_delay_alu instid0(VALU_DEP_2) | instskip(NEXT) | instid1(VALU_DEP_2)
	v_mul_i32_i24_e32 v1, v1, v7
	v_mul_i32_i24_e32 v2, v2, v6
	s_delay_alu instid0(VALU_DEP_1) | instskip(SKIP_2) | instid1(VALU_DEP_2)
	v_add3_u32 v18, v18, v1, v2
	v_bfe_u32 v1, v72, 16, 2
	v_bfe_u32 v2, v72, 24, 2
	v_mul_i32_i24_e32 v1, v1, v95
	s_delay_alu instid0(VALU_DEP_2) | instskip(NEXT) | instid1(VALU_DEP_1)
	v_mul_i32_i24_e32 v2, v2, v94
	v_add3_u32 v11, v11, v1, v2
	v_bfe_u32 v1, v74, 16, 2
	v_bfe_u32 v2, v74, 24, 2
	s_delay_alu instid0(VALU_DEP_2) | instskip(NEXT) | instid1(VALU_DEP_2)
	v_mul_i32_i24_e32 v1, v1, v7
	v_mul_i32_i24_e32 v2, v2, v6
	s_delay_alu instid0(VALU_DEP_1) | instskip(SKIP_2) | instid1(VALU_DEP_2)
	v_add3_u32 v19, v19, v1, v2
	v_bfe_u32 v1, v116, 16, 2
	v_bfe_u32 v2, v116, 24, 2
	v_mul_i32_i24_e32 v1, v1, v95
	s_delay_alu instid0(VALU_DEP_2) | instskip(NEXT) | instid1(VALU_DEP_1)
	v_mul_i32_i24_e32 v2, v2, v94
	v_add3_u32 v23, v23, v1, v2
	v_bfe_u32 v1, v117, 16, 2
	v_bfe_u32 v2, v117, 24, 2
	s_delay_alu instid0(VALU_DEP_2) | instskip(NEXT) | instid1(VALU_DEP_2)
	v_mul_i32_i24_e32 v1, v1, v7
	v_mul_i32_i24_e32 v2, v2, v6
	v_and_b32_e32 v7, 15, v143
	s_delay_alu instid0(VALU_DEP_2) | instskip(SKIP_2) | instid1(VALU_DEP_2)
	v_add3_u32 v6, v26, v1, v2
	v_bfe_u32 v1, v114, 16, 2
	v_bfe_u32 v2, v114, 24, 2
	v_mul_i32_i24_e32 v1, v1, v95
	s_delay_alu instid0(VALU_DEP_2) | instskip(NEXT) | instid1(VALU_DEP_1)
	v_mul_i32_i24_e32 v2, v2, v94
	v_add3_u32 v26, v28, v1, v2
	v_and_b32_e32 v1, 15, v120
	ds_load_b32 v28, v5
	v_add_nc_u32_e32 v5, 4, v5
	v_mul_lo_u32 v0, v0, v1
	s_delay_alu instid0(VALU_DEP_1) | instskip(SKIP_3) | instid1(VALU_DEP_2)
	v_mad_u64_u32 v[1:2], null, v3, v29, v[0:1]
	v_mul_lo_u32 v0, v18, v24
	v_lshrrev_b32_e32 v29, 16, v130
	v_cvt_f32_f16_e32 v24, v32
	v_cvt_f32_f16_e32 v18, v29
	s_delay_alu instid0(VALU_DEP_4) | instskip(SKIP_4) | instid1(VALU_DEP_4)
	v_mad_u64_u32 v[2:3], null, v11, v33, v[0:1]
	v_lshrrev_b32_e32 v0, 16, v71
	v_lshrrev_b32_e32 v3, 16, v131
	v_and_b32_e32 v11, 15, v80
	v_and_b32_e32 v33, 15, v145
	v_cvt_f32_f16_e32 v29, v0
	s_delay_alu instid0(VALU_DEP_4)
	v_cvt_f32_f16_e32 v32, v3
	v_mul_lo_u32 v0, v19, v7
	v_mul_lo_u32 v3, v6, v11
	v_cvt_f32_i32_e32 v11, v34
	v_cvt_f32_i32_e32 v19, v39
	v_cvt_f32_i32_e32 v34, v73
	v_cvt_f32_i32_e32 v2, v2
	v_mad_u64_u32 v[6:7], null, v23, v33, v[0:1]
	v_mad_u64_u32 v[94:95], null, v26, v36, v[3:4]
	v_mul_f32_e32 v0, v18, v11
	v_mul_f32_e32 v3, v29, v19
	;; [unrolled: 1-line block ×4, first 2 shown]
	v_cvt_f32_i32_e32 v1, v1
	v_cvt_f32_i32_e32 v6, v6
	;; [unrolled: 1-line block ×3, first 2 shown]
	v_add_nc_u32_e32 v4, 32, v4
	s_delay_alu instid0(VALU_DEP_4)
	v_fma_mix_f32 v0, v130, v1, -v0 op_sel_hi:[1,0,0]
	v_fma_mix_f32 v1, v27, v2, -v7 op_sel_hi:[1,0,0]
	;; [unrolled: 1-line block ×4, first 2 shown]
	s_waitcnt lgkmcnt(0)
	v_fmac_f32_e32 v13, v28, v0
	v_fmac_f32_e32 v61, v28, v1
	;; [unrolled: 1-line block ×4, first 2 shown]
	s_cbranch_scc1 .LBB187_30
; %bb.31:                               ;   in Loop: Header=BB187_7 Depth=1
	s_or_b32 s1, s23, 0x180
	s_delay_alu instid0(SALU_CYCLE_1)
	s_cmp_ge_i32 s1, s11
	s_barrier
	buffer_gl0_inv
	s_cbranch_scc1 .LBB187_4
; %bb.32:                               ;   in Loop: Header=BB187_7 Depth=1
	scratch_load_b32 v0, off, off offset:88 ; 4-byte Folded Reload
	s_waitcnt vmcnt(0)
	v_add_nc_u32_e32 v0, s22, v0
	s_delay_alu instid0(VALU_DEP_1) | instskip(NEXT) | instid1(VALU_DEP_1)
	v_cmp_gt_i32_e64 s1, s5, v0
	s_and_b32 s23, s0, s1
	s_delay_alu instid0(SALU_CYCLE_1)
	s_and_saveexec_b32 s1, s23
	s_cbranch_execz .LBB187_34
; %bb.33:                               ;   in Loop: Header=BB187_7 Depth=1
	s_clause 0x1
	scratch_load_b32 v1, off, off offset:12
	scratch_load_b64 v[3:4], off, off offset:60
	s_waitcnt vmcnt(1)
	v_add_nc_u32_e32 v2, v1, v0
	s_waitcnt vmcnt(0)
	s_delay_alu instid0(VALU_DEP_1)
	v_mad_i64_i32 v[0:1], null, v2, 36, v[3:4]
	global_load_b32 v0, v[0:1], off offset:4
	scratch_load_b32 v1, off, off offset:68 ; 4-byte Folded Reload
	s_waitcnt vmcnt(0)
	ds_store_b32 v1, v0
.LBB187_34:                             ;   in Loop: Header=BB187_7 Depth=1
	s_or_b32 exec_lo, exec_lo, s1
	s_and_saveexec_b32 s23, vcc_lo
	s_cbranch_execz .LBB187_37
; %bb.35:                               ;   in Loop: Header=BB187_7 Depth=1
	v_or_b32_e32 v0, s22, v156
	s_delay_alu instid0(VALU_DEP_1) | instskip(NEXT) | instid1(VALU_DEP_1)
	v_or_b32_e32 v1, 12, v0
	v_cmp_gt_i32_e64 s1, s5, v1
	s_delay_alu instid0(VALU_DEP_1) | instskip(NEXT) | instid1(SALU_CYCLE_1)
	s_and_b32 s1, s0, s1
	s_and_b32 exec_lo, exec_lo, s1
	s_cbranch_execz .LBB187_37
; %bb.36:                               ;   in Loop: Header=BB187_7 Depth=1
	scratch_load_b32 v2, off, off offset:12 ; 4-byte Folded Reload
	v_ashrrev_i32_e32 v1, 31, v0
	s_waitcnt vmcnt(0)
	v_add_co_u32 v2, s1, v2, v0
	scratch_load_b32 v0, off, off offset:84 ; 4-byte Folded Reload
	s_waitcnt vmcnt(0)
	v_add_co_ci_u32_e64 v3, s1, v0, v1, s1
	v_mad_u64_u32 v[0:1], null, v2, 36, s[16:17]
	s_delay_alu instid0(VALU_DEP_1)
	v_mad_i32_i24 v1, v3, 36, v1
	global_load_b32 v0, v[0:1], off
	scratch_load_b32 v1, off, off offset:76 ; 4-byte Folded Reload
	s_waitcnt vmcnt(1)
	v_cvt_f32_f16_e32 v0, v0
	s_waitcnt vmcnt(0)
	ds_store_b32 v1, v0
.LBB187_37:                             ;   in Loop: Header=BB187_7 Depth=1
	s_or_b32 exec_lo, exec_lo, s23
	s_waitcnt lgkmcnt(0)
	s_clause 0x1
	scratch_load_b32 v4, off, off offset:4
	scratch_load_b32 v5, off, off offset:8
	s_mov_b32 s1, 24
	s_mov_b32 s22, 22
	s_waitcnt vmcnt(0)
	s_barrier
	buffer_gl0_inv
.LBB187_38:                             ;   Parent Loop BB187_7 Depth=1
                                        ; =>  This Inner Loop Header: Depth=2
	ds_load_b128 v[0:3], v4
	ds_load_b128 v[122:125], v4 offset:16
	s_add_i32 s23, s22, 2
	s_sub_i32 s24, s22, 22
	s_and_b32 s25, s23, 0x3ffffff8
	s_lshr_b32 s26, s23, 2
	s_lshl_b32 s25, s25, 2
	s_and_b32 s26, s26, 0x3ffffffc
	s_and_b32 s27, s1, -16
	s_add_i32 s1, s1, 2
	s_add_i32 s22, s22, s27
	s_cmp_lt_u32 s23, 30
	s_waitcnt lgkmcnt(1)
	v_bfe_i32 v120, v2, 0, 8
	v_bfe_i32 v101, v2, 8, 8
	;; [unrolled: 1-line block ×3, first 2 shown]
	v_ashrrev_i32_e32 v96, 24, v2
	v_add_nc_u32_e32 v2, s25, v62
	v_bfe_i32 v118, v0, 0, 8
	v_bfe_i32 v111, v0, 8, 8
	v_bfe_i32 v117, v0, 16, 8
	v_ashrrev_i32_e32 v116, 24, v0
	v_bfe_i32 v119, v1, 0, 8
	v_bfe_i32 v112, v1, 8, 8
	v_bfe_i32 v105, v1, 16, 8
	v_ashrrev_i32_e32 v104, 24, v1
	v_bfe_i32 v114, v3, 0, 8
	v_bfe_i32 v97, v3, 8, 8
	v_bfe_i32 v7, v3, 16, 8
	v_ashrrev_i32_e32 v6, 24, v3
	s_waitcnt lgkmcnt(0)
	v_bfe_i32 v121, v122, 0, 8
	v_bfe_i32 v106, v122, 8, 8
	v_bfe_i32 v107, v122, 16, 8
	v_ashrrev_i32_e32 v113, 24, v122
	v_bfe_i32 v122, v123, 0, 8
	v_bfe_i32 v108, v123, 8, 8
	v_bfe_i32 v109, v123, 16, 8
	v_ashrrev_i32_e32 v110, 24, v123
	;; [unrolled: 4-line block ×4, first 2 shown]
	ds_load_2addr_b32 v[124:125], v2 offset1:1
	ds_load_2addr_b32 v[0:1], v2 offset0:2 offset1:3
	ds_load_2addr_b32 v[129:130], v2 offset0:4 offset1:5
	;; [unrolled: 1-line block ×3, first 2 shown]
	s_waitcnt lgkmcnt(3)
	v_ashrrev_i32_e32 v126, s24, v124
	v_ashrrev_i32_e32 v124, s24, v125
	s_waitcnt lgkmcnt(2)
	v_ashrrev_i32_e32 v0, s24, v0
	s_waitcnt lgkmcnt(1)
	v_ashrrev_i32_e32 v127, s24, v129
	v_ashrrev_i32_e32 v125, s24, v130
	v_and_b32_e32 v11, 3, v126
	v_and_b32_e32 v18, 3, v124
	;; [unrolled: 1-line block ×3, first 2 shown]
	s_waitcnt lgkmcnt(0)
	v_ashrrev_i32_e32 v2, s24, v2
	v_ashrrev_i32_e32 v1, s24, v1
	v_mul_i32_i24_e32 v11, v11, v118
	v_ashrrev_i32_e32 v3, s24, v3
	v_mul_i32_i24_e32 v19, v19, v120
	s_delay_alu instid0(VALU_DEP_3) | instskip(SKIP_1) | instid1(VALU_DEP_1)
	v_mad_i32_i24 v11, v18, v119, v11
	v_bfe_u32 v18, v126, 8, 2
	v_mul_i32_i24_e32 v18, v18, v111
	s_delay_alu instid0(VALU_DEP_1) | instskip(SKIP_3) | instid1(VALU_DEP_3)
	v_add3_u32 v128, v11, v19, v18
	v_and_b32_e32 v11, 3, v127
	v_and_b32_e32 v18, 3, v125
	;; [unrolled: 1-line block ×3, first 2 shown]
	v_mul_i32_i24_e32 v11, v11, v121
	s_delay_alu instid0(VALU_DEP_2) | instskip(NEXT) | instid1(VALU_DEP_2)
	v_mul_i32_i24_e32 v19, v19, v123
	v_mad_i32_i24 v11, v18, v122, v11
	v_bfe_u32 v18, v127, 8, 2
	s_delay_alu instid0(VALU_DEP_1) | instskip(NEXT) | instid1(VALU_DEP_1)
	v_mul_i32_i24_e32 v18, v18, v106
	v_add3_u32 v129, v11, v19, v18
	v_add_nc_u32_e32 v11, s25, v64
	v_add_nc_u32_e32 v18, s26, v63
	ds_load_2addr_b32 v[131:132], v11 offset0:2 offset1:3
	ds_load_b32 v130, v18
	ds_load_2addr_b32 v[133:134], v11 offset1:1
	s_waitcnt lgkmcnt(2)
	v_ashrrev_i32_e32 v26, s24, v131
	s_waitcnt lgkmcnt(0)
	v_ashrrev_i32_e32 v18, s24, v133
	v_ashrrev_i32_e32 v19, s24, v134
	s_delay_alu instid0(VALU_DEP_3) | instskip(NEXT) | instid1(VALU_DEP_3)
	v_and_b32_e32 v27, 3, v26
	v_and_b32_e32 v23, 3, v18
	s_delay_alu instid0(VALU_DEP_3) | instskip(NEXT) | instid1(VALU_DEP_3)
	v_and_b32_e32 v24, 3, v19
	v_mul_i32_i24_e32 v27, v27, v120
	s_delay_alu instid0(VALU_DEP_3) | instskip(NEXT) | instid1(VALU_DEP_1)
	v_mul_i32_i24_e32 v23, v23, v118
	v_mad_i32_i24 v23, v24, v119, v23
	v_bfe_u32 v24, v18, 8, 2
	s_delay_alu instid0(VALU_DEP_1) | instskip(NEXT) | instid1(VALU_DEP_1)
	v_mul_i32_i24_e32 v24, v24, v111
	v_add3_u32 v23, v23, v27, v24
	v_add_nc_u32_e32 v24, s22, v88
	v_add_nc_u32_e32 v27, s26, v65
	ds_load_u16 v24, v24 offset:17906
	ds_load_b32 v27, v27
	ds_load_2addr_b32 v[133:134], v11 offset0:4 offset1:5
	ds_load_2addr_b32 v[135:136], v11 offset0:6 offset1:7
	s_waitcnt lgkmcnt(1)
	v_ashrrev_i32_e32 v11, s24, v133
	v_ashrrev_i32_e32 v28, s24, v134
	s_waitcnt lgkmcnt(0)
	v_ashrrev_i32_e32 v32, s24, v135
	s_delay_alu instid0(VALU_DEP_3) | instskip(NEXT) | instid1(VALU_DEP_3)
	v_and_b32_e32 v29, 3, v11
	v_and_b32_e32 v31, 3, v28
	s_delay_alu instid0(VALU_DEP_3) | instskip(NEXT) | instid1(VALU_DEP_3)
	v_and_b32_e32 v33, 3, v32
	v_mul_i32_i24_e32 v29, v29, v121
	s_delay_alu instid0(VALU_DEP_2) | instskip(NEXT) | instid1(VALU_DEP_2)
	v_mul_i32_i24_e32 v33, v33, v123
	v_mad_i32_i24 v29, v31, v122, v29
	v_bfe_u32 v31, v11, 8, 2
	s_delay_alu instid0(VALU_DEP_1) | instskip(NEXT) | instid1(VALU_DEP_1)
	v_mul_i32_i24_e32 v31, v31, v106
	v_add3_u32 v29, v29, v33, v31
	v_add_nc_u32_e32 v31, s25, v66
	ds_load_2addr_b32 v[133:134], v31 offset1:1
	ds_load_2addr_b32 v[137:138], v31 offset0:2 offset1:3
	ds_load_2addr_b32 v[139:140], v31 offset0:4 offset1:5
	;; [unrolled: 1-line block ×3, first 2 shown]
	s_waitcnt lgkmcnt(3)
	v_ashrrev_i32_e32 v31, s24, v133
	v_ashrrev_i32_e32 v33, s24, v134
	s_waitcnt lgkmcnt(2)
	v_ashrrev_i32_e32 v37, s24, v137
	s_waitcnt lgkmcnt(0)
	v_ashrrev_i32_e32 v67, s24, v141
	v_and_b32_e32 v34, 3, v31
	v_and_b32_e32 v36, 3, v33
	;; [unrolled: 1-line block ×3, first 2 shown]
	s_delay_alu instid0(VALU_DEP_4) | instskip(NEXT) | instid1(VALU_DEP_4)
	v_and_b32_e32 v71, 3, v67
	v_mul_i32_i24_e32 v34, v34, v118
	s_delay_alu instid0(VALU_DEP_3) | instskip(NEXT) | instid1(VALU_DEP_3)
	v_mul_i32_i24_e32 v39, v39, v120
	v_mul_i32_i24_e32 v71, v71, v123
	s_delay_alu instid0(VALU_DEP_3) | instskip(SKIP_1) | instid1(VALU_DEP_1)
	v_mad_i32_i24 v34, v36, v119, v34
	v_bfe_u32 v36, v31, 8, 2
	v_mul_i32_i24_e32 v36, v36, v111
	s_delay_alu instid0(VALU_DEP_1) | instskip(SKIP_2) | instid1(VALU_DEP_2)
	v_add3_u32 v34, v34, v39, v36
	v_ashrrev_i32_e32 v36, s24, v139
	v_ashrrev_i32_e32 v39, s24, v140
	v_and_b32_e32 v59, 3, v36
	s_delay_alu instid0(VALU_DEP_2) | instskip(NEXT) | instid1(VALU_DEP_2)
	v_and_b32_e32 v60, 3, v39
	v_mul_i32_i24_e32 v59, v59, v121
	s_delay_alu instid0(VALU_DEP_1) | instskip(SKIP_1) | instid1(VALU_DEP_1)
	v_mad_i32_i24 v59, v60, v122, v59
	v_bfe_u32 v60, v36, 8, 2
	v_mul_i32_i24_e32 v60, v60, v106
	s_delay_alu instid0(VALU_DEP_1)
	v_add3_u32 v59, v59, v71, v60
	v_add_nc_u32_e32 v60, s25, v69
	v_add_nc_u32_e32 v71, s26, v68
	ds_load_2addr_b32 v[133:134], v60 offset0:2 offset1:3
	ds_load_b32 v71, v71
	ds_load_2addr_b32 v[139:140], v60 offset1:1
	s_waitcnt lgkmcnt(2)
	v_ashrrev_i32_e32 v81, s24, v133
	s_waitcnt lgkmcnt(0)
	v_ashrrev_i32_e32 v72, s24, v139
	v_ashrrev_i32_e32 v73, s24, v140
	s_delay_alu instid0(VALU_DEP_3) | instskip(NEXT) | instid1(VALU_DEP_3)
	v_and_b32_e32 v131, 3, v81
	v_and_b32_e32 v74, 3, v72
	s_delay_alu instid0(VALU_DEP_3) | instskip(NEXT) | instid1(VALU_DEP_3)
	v_and_b32_e32 v80, 3, v73
	v_mul_i32_i24_e32 v131, v131, v120
	s_delay_alu instid0(VALU_DEP_3) | instskip(SKIP_1) | instid1(VALU_DEP_2)
	v_mul_i32_i24_e32 v74, v74, v118
	v_add_nc_u32_e32 v118, v119, v118
	v_mad_i32_i24 v74, v80, v119, v74
	v_bfe_u32 v80, v72, 8, 2
	s_delay_alu instid0(VALU_DEP_3) | instskip(SKIP_1) | instid1(VALU_DEP_3)
	v_add3_u32 v118, v118, v120, v114
	v_add_nc_u32_e32 v120, s22, v89
	v_mul_i32_i24_e32 v80, v80, v111
	v_add_nc_u32_e32 v111, v112, v111
	s_delay_alu instid0(VALU_DEP_2) | instskip(SKIP_2) | instid1(VALU_DEP_4)
	v_add3_u32 v74, v74, v131, v80
	v_add_nc_u32_e32 v80, s22, v86
	v_add_nc_u32_e32 v131, s26, v70
	v_add3_u32 v111, v111, v101, v97
	ds_load_u16 v80, v80 offset:19954
	ds_load_b32 v131, v131
	ds_load_2addr_b32 v[139:140], v60 offset0:4 offset1:5
	ds_load_2addr_b32 v[143:144], v60 offset0:6 offset1:7
	ds_load_u16 v120, v120 offset:16882
	s_waitcnt lgkmcnt(2)
	v_ashrrev_i32_e32 v60, s24, v139
	v_ashrrev_i32_e32 v133, s24, v140
	s_waitcnt lgkmcnt(1)
	v_ashrrev_i32_e32 v139, s24, v143
	s_delay_alu instid0(VALU_DEP_3) | instskip(NEXT) | instid1(VALU_DEP_3)
	v_and_b32_e32 v135, 3, v60
	v_and_b32_e32 v137, 3, v133
	s_delay_alu instid0(VALU_DEP_3) | instskip(NEXT) | instid1(VALU_DEP_3)
	v_and_b32_e32 v140, 3, v139
	v_mul_i32_i24_e32 v135, v135, v121
	v_add_nc_u32_e32 v121, v122, v121
	s_delay_alu instid0(VALU_DEP_3) | instskip(NEXT) | instid1(VALU_DEP_3)
	v_mul_i32_i24_e32 v140, v140, v123
	v_mad_i32_i24 v135, v137, v122, v135
	v_bfe_u32 v137, v60, 8, 2
	s_delay_alu instid0(VALU_DEP_4)
	v_add3_u32 v119, v121, v123, v115
	s_waitcnt lgkmcnt(0)
	v_lshrrev_b16 v123, 8, v120
	v_add_nc_u32_e32 v121, v104, v116
	v_add_nc_u32_e32 v122, v105, v117
	v_mul_i32_i24_e32 v137, v137, v106
	s_delay_alu instid0(VALU_DEP_4) | instskip(NEXT) | instid1(VALU_DEP_4)
	v_and_b32_e32 v123, 0xffff, v123
	v_add3_u32 v121, v121, v96, v6
	s_delay_alu instid0(VALU_DEP_4) | instskip(NEXT) | instid1(VALU_DEP_4)
	v_add3_u32 v122, v122, v100, v7
	v_add3_u32 v135, v135, v140, v137
	v_bfe_u32 v137, v120, 4, 4
	v_lshrrev_b32_e32 v141, 4, v123
	s_delay_alu instid0(VALU_DEP_2) | instskip(SKIP_1) | instid1(VALU_DEP_1)
	v_mul_lo_u32 v140, 0x1010101, v137
	v_mul_i32_i24_e32 v137, v137, v118
	v_mad_i32_i24 v137, v141, v119, v137
	s_delay_alu instid0(VALU_DEP_3) | instskip(SKIP_1) | instid1(VALU_DEP_2)
	v_lshrrev_b32_e32 v143, 24, v140
	v_bfe_i32 v145, v140, 16, 8
	v_mul_i32_i24_e32 v143, v121, v143
	s_delay_alu instid0(VALU_DEP_2) | instskip(NEXT) | instid1(VALU_DEP_1)
	v_mul_i32_i24_e32 v145, v122, v145
	v_add3_u32 v137, v137, v143, v145
	v_add_nc_u32_e32 v143, s22, v87
	s_mov_b32 s22, s23
	ds_load_u16 v143, v143 offset:18930
	s_waitcnt lgkmcnt(0)
	v_bfe_u32 v146, v143, 4, 4
	v_lshrrev_b16 v145, 8, v143
	s_delay_alu instid0(VALU_DEP_2) | instskip(NEXT) | instid1(VALU_DEP_2)
	v_mul_lo_u32 v147, 0x1010101, v146
	v_and_b32_e32 v145, 0xffff, v145
	v_mul_i32_i24_e32 v146, v146, v118
	s_delay_alu instid0(VALU_DEP_2) | instskip(NEXT) | instid1(VALU_DEP_4)
	v_lshrrev_b32_e32 v148, 4, v145
	v_lshrrev_b32_e32 v149, 24, v147
	v_bfe_i32 v150, v147, 16, 8
	s_delay_alu instid0(VALU_DEP_3) | instskip(NEXT) | instid1(VALU_DEP_3)
	v_mad_i32_i24 v146, v148, v119, v146
	v_mul_i32_i24_e32 v149, v121, v149
	s_delay_alu instid0(VALU_DEP_3) | instskip(NEXT) | instid1(VALU_DEP_1)
	v_mul_i32_i24_e32 v150, v122, v150
	v_add3_u32 v146, v146, v149, v150
	v_bfe_u32 v150, v24, 4, 4
	v_lshrrev_b16 v149, 8, v24
	v_and_b32_e32 v24, 15, v24
	s_delay_alu instid0(VALU_DEP_3) | instskip(NEXT) | instid1(VALU_DEP_3)
	v_mul_lo_u32 v151, 0x1010101, v150
	v_and_b32_e32 v149, 0xffff, v149
	v_mul_i32_i24_e32 v150, v150, v118
	s_delay_alu instid0(VALU_DEP_2) | instskip(NEXT) | instid1(VALU_DEP_4)
	v_lshrrev_b32_e32 v152, 4, v149
	v_lshrrev_b32_e32 v153, 24, v151
	v_bfe_i32 v154, v151, 16, 8
	s_delay_alu instid0(VALU_DEP_3) | instskip(NEXT) | instid1(VALU_DEP_3)
	v_mad_i32_i24 v150, v152, v119, v150
	v_mul_i32_i24_e32 v153, v121, v153
	s_delay_alu instid0(VALU_DEP_3) | instskip(NEXT) | instid1(VALU_DEP_1)
	v_mul_i32_i24_e32 v154, v122, v154
	v_add3_u32 v150, v150, v153, v154
	v_lshrrev_b16 v153, 8, v80
	v_bfe_u32 v154, v80, 4, 4
	s_delay_alu instid0(VALU_DEP_2) | instskip(NEXT) | instid1(VALU_DEP_2)
	v_and_b32_e32 v153, 0xffff, v153
	v_mul_i32_i24_e32 v118, v154, v118
	s_delay_alu instid0(VALU_DEP_2) | instskip(NEXT) | instid1(VALU_DEP_1)
	v_lshrrev_b32_e32 v155, 4, v153
	v_mad_i32_i24 v118, v155, v119, v118
	v_mul_lo_u32 v119, 0x1010101, v154
	s_delay_alu instid0(VALU_DEP_1) | instskip(NEXT) | instid1(VALU_DEP_1)
	v_lshrrev_b32_e32 v154, 24, v119
	v_mul_i32_i24_e32 v121, v121, v154
	v_bfe_i32 v154, v119, 16, 8
	v_bfe_i32 v119, v119, 8, 8
	s_delay_alu instid0(VALU_DEP_2) | instskip(NEXT) | instid1(VALU_DEP_1)
	v_mul_i32_i24_e32 v122, v122, v154
	v_add3_u32 v118, v118, v121, v122
	v_bfe_u32 v121, v126, 16, 2
	v_bfe_u32 v122, v126, 24, 2
	;; [unrolled: 1-line block ×3, first 2 shown]
	s_delay_alu instid0(VALU_DEP_3) | instskip(NEXT) | instid1(VALU_DEP_3)
	v_mul_i32_i24_e32 v121, v121, v117
	v_mul_i32_i24_e32 v122, v122, v116
	s_delay_alu instid0(VALU_DEP_3) | instskip(NEXT) | instid1(VALU_DEP_2)
	v_mul_i32_i24_e32 v126, v126, v113
	v_add3_u32 v121, v128, v121, v122
	v_bfe_u32 v122, v127, 16, 2
	v_mul_lo_u32 v127, 0x1010101, v152
	s_delay_alu instid0(VALU_DEP_2) | instskip(NEXT) | instid1(VALU_DEP_2)
	v_mul_i32_i24_e32 v122, v122, v107
	v_lshrrev_b32_e32 v128, 24, v127
	s_delay_alu instid0(VALU_DEP_2) | instskip(SKIP_2) | instid1(VALU_DEP_2)
	v_add3_u32 v122, v129, v122, v126
	v_bfe_u32 v126, v18, 16, 2
	v_bfe_u32 v18, v18, 24, 2
	v_mul_i32_i24_e32 v126, v126, v117
	s_delay_alu instid0(VALU_DEP_2) | instskip(NEXT) | instid1(VALU_DEP_1)
	v_mul_i32_i24_e32 v18, v18, v116
	v_add3_u32 v18, v23, v126, v18
	v_bfe_u32 v23, v11, 16, 2
	v_bfe_u32 v11, v11, 24, 2
	s_delay_alu instid0(VALU_DEP_2) | instskip(NEXT) | instid1(VALU_DEP_2)
	v_mul_i32_i24_e32 v23, v23, v107
	v_mul_i32_i24_e32 v11, v11, v113
	s_delay_alu instid0(VALU_DEP_1) | instskip(SKIP_3) | instid1(VALU_DEP_3)
	v_add3_u32 v11, v29, v23, v11
	v_bfe_u32 v23, v31, 16, 2
	v_bfe_u32 v29, v31, 24, 2
	;; [unrolled: 1-line block ×3, first 2 shown]
	v_mul_i32_i24_e32 v23, v23, v117
	s_delay_alu instid0(VALU_DEP_3) | instskip(NEXT) | instid1(VALU_DEP_3)
	v_mul_i32_i24_e32 v29, v29, v116
	v_mul_i32_i24_e32 v31, v31, v113
	s_delay_alu instid0(VALU_DEP_2) | instskip(SKIP_3) | instid1(VALU_DEP_3)
	v_add3_u32 v23, v34, v23, v29
	v_bfe_u32 v29, v36, 16, 2
	v_bfe_u32 v34, v72, 24, 2
	;; [unrolled: 1-line block ×3, first 2 shown]
	v_mul_i32_i24_e32 v29, v29, v107
	s_delay_alu instid0(VALU_DEP_3) | instskip(NEXT) | instid1(VALU_DEP_3)
	v_mul_i32_i24_e32 v34, v34, v116
	v_mul_i32_i24_e32 v36, v36, v113
	s_delay_alu instid0(VALU_DEP_3) | instskip(SKIP_3) | instid1(VALU_DEP_3)
	v_add3_u32 v29, v59, v29, v31
	v_bfe_u32 v31, v72, 16, 2
	v_and_b32_e32 v59, 3, v1
	v_bfe_u32 v72, v19, 8, 2
	v_mul_i32_i24_e32 v31, v31, v117
	s_delay_alu instid0(VALU_DEP_3) | instskip(NEXT) | instid1(VALU_DEP_3)
	v_mul_i32_i24_e32 v59, v59, v114
	v_mul_i32_i24_e32 v72, v72, v112
	s_delay_alu instid0(VALU_DEP_3) | instskip(SKIP_2) | instid1(VALU_DEP_2)
	v_add3_u32 v31, v74, v31, v34
	v_bfe_u32 v34, v60, 16, 2
	v_and_b32_e32 v60, 3, v3
	v_mul_i32_i24_e32 v34, v34, v107
	s_delay_alu instid0(VALU_DEP_2) | instskip(NEXT) | instid1(VALU_DEP_2)
	v_mul_i32_i24_e32 v60, v60, v115
	v_add3_u32 v34, v135, v34, v36
	v_bfe_u32 v36, v124, 8, 2
	s_delay_alu instid0(VALU_DEP_1) | instskip(NEXT) | instid1(VALU_DEP_1)
	v_mul_i32_i24_e32 v36, v36, v112
	v_add3_u32 v36, v121, v59, v36
	v_bfe_u32 v59, v125, 8, 2
	s_delay_alu instid0(VALU_DEP_1) | instskip(NEXT) | instid1(VALU_DEP_1)
	v_mul_i32_i24_e32 v59, v59, v108
	v_add3_u32 v59, v122, v60, v59
	v_ashrrev_i32_e32 v60, s24, v132
	v_mul_lo_u32 v122, 0x1010101, v148
	s_delay_alu instid0(VALU_DEP_2) | instskip(NEXT) | instid1(VALU_DEP_2)
	v_and_b32_e32 v74, 3, v60
	v_lshrrev_b32_e32 v126, 24, v122
	s_delay_alu instid0(VALU_DEP_2) | instskip(NEXT) | instid1(VALU_DEP_1)
	v_mul_i32_i24_e32 v74, v74, v114
	v_add3_u32 v18, v18, v74, v72
	v_ashrrev_i32_e32 v72, s24, v136
	v_bfe_u32 v74, v28, 8, 2
	s_delay_alu instid0(VALU_DEP_2) | instskip(NEXT) | instid1(VALU_DEP_2)
	v_and_b32_e32 v116, 3, v72
	v_mul_i32_i24_e32 v74, v74, v108
	s_delay_alu instid0(VALU_DEP_2) | instskip(NEXT) | instid1(VALU_DEP_1)
	v_mul_i32_i24_e32 v116, v116, v115
	v_add3_u32 v11, v11, v116, v74
	v_ashrrev_i32_e32 v74, s24, v138
	v_bfe_u32 v116, v33, 8, 2
	s_delay_alu instid0(VALU_DEP_2) | instskip(NEXT) | instid1(VALU_DEP_2)
	v_and_b32_e32 v117, 3, v74
	v_mul_i32_i24_e32 v116, v116, v112
	;; [unrolled: 8-line block ×3, first 2 shown]
	s_delay_alu instid0(VALU_DEP_2) | instskip(NEXT) | instid1(VALU_DEP_1)
	v_mul_i32_i24_e32 v121, v121, v115
	v_add3_u32 v29, v29, v121, v117
	v_ashrrev_i32_e32 v117, s24, v134
	s_delay_alu instid0(VALU_DEP_1) | instskip(NEXT) | instid1(VALU_DEP_1)
	v_and_b32_e32 v121, 3, v117
	v_mul_i32_i24_e32 v114, v121, v114
	v_bfe_u32 v121, v73, 8, 2
	s_delay_alu instid0(VALU_DEP_1) | instskip(SKIP_2) | instid1(VALU_DEP_3)
	v_mul_i32_i24_e32 v121, v121, v112
	v_add_nc_u32_e32 v112, v110, v113
	v_bfe_i32 v113, v140, 8, 8
	v_add3_u32 v31, v31, v114, v121
	v_ashrrev_i32_e32 v114, s24, v144
	s_delay_alu instid0(VALU_DEP_4) | instskip(NEXT) | instid1(VALU_DEP_4)
	v_add3_u32 v112, v112, v98, v94
	v_mul_i32_i24_e32 v113, v111, v113
	s_delay_alu instid0(VALU_DEP_3) | instskip(NEXT) | instid1(VALU_DEP_3)
	v_and_b32_e32 v121, 3, v114
	v_mul_i32_i24_e32 v126, v112, v126
	v_mul_i32_i24_e32 v128, v112, v128
	s_delay_alu instid0(VALU_DEP_3) | instskip(SKIP_1) | instid1(VALU_DEP_1)
	v_mul_i32_i24_e32 v115, v121, v115
	v_bfe_u32 v121, v133, 8, 2
	v_mul_i32_i24_e32 v121, v121, v108
	s_delay_alu instid0(VALU_DEP_1) | instskip(SKIP_1) | instid1(VALU_DEP_1)
	v_add3_u32 v34, v34, v115, v121
	v_mul_lo_u32 v115, 0x1010101, v141
	v_lshrrev_b32_e32 v121, 24, v115
	s_delay_alu instid0(VALU_DEP_1) | instskip(NEXT) | instid1(VALU_DEP_1)
	v_mul_i32_i24_e32 v121, v112, v121
	v_add3_u32 v113, v137, v113, v121
	v_bfe_i32 v121, v147, 8, 8
	s_delay_alu instid0(VALU_DEP_1) | instskip(NEXT) | instid1(VALU_DEP_1)
	v_mul_i32_i24_e32 v121, v111, v121
	v_add3_u32 v121, v146, v121, v126
	v_bfe_i32 v126, v151, 8, 8
	s_delay_alu instid0(VALU_DEP_1) | instskip(SKIP_2) | instid1(VALU_DEP_3)
	v_mul_i32_i24_e32 v126, v111, v126
	v_mul_i32_i24_e32 v111, v111, v119
	v_mul_lo_u32 v119, 0x1010101, v155
	v_add3_u32 v126, v150, v126, v128
	s_delay_alu instid0(VALU_DEP_2) | instskip(NEXT) | instid1(VALU_DEP_1)
	v_lshrrev_b32_e32 v128, 24, v119
	v_mul_i32_i24_e32 v112, v112, v128
	s_delay_alu instid0(VALU_DEP_1) | instskip(SKIP_2) | instid1(VALU_DEP_2)
	v_add3_u32 v111, v118, v111, v112
	v_bfe_u32 v112, v124, 16, 2
	v_bfe_u32 v118, v124, 24, 2
	v_mul_i32_i24_e32 v112, v112, v105
	s_delay_alu instid0(VALU_DEP_2) | instskip(NEXT) | instid1(VALU_DEP_1)
	v_mul_i32_i24_e32 v118, v118, v104
	v_add3_u32 v36, v36, v112, v118
	v_bfe_u32 v112, v125, 16, 2
	v_bfe_u32 v118, v125, 24, 2
	s_delay_alu instid0(VALU_DEP_2) | instskip(NEXT) | instid1(VALU_DEP_2)
	v_mul_i32_i24_e32 v112, v112, v109
	v_mul_i32_i24_e32 v118, v118, v110
	s_delay_alu instid0(VALU_DEP_1) | instskip(SKIP_2) | instid1(VALU_DEP_2)
	v_add3_u32 v59, v59, v112, v118
	v_bfe_u32 v112, v19, 16, 2
	v_bfe_u32 v19, v19, 24, 2
	v_mul_i32_i24_e32 v112, v112, v105
	s_delay_alu instid0(VALU_DEP_2) | instskip(NEXT) | instid1(VALU_DEP_1)
	v_mul_i32_i24_e32 v19, v19, v104
	v_add3_u32 v18, v18, v112, v19
	v_bfe_u32 v19, v28, 16, 2
	v_bfe_u32 v28, v28, 24, 2
	s_delay_alu instid0(VALU_DEP_2) | instskip(NEXT) | instid1(VALU_DEP_2)
	v_mul_i32_i24_e32 v19, v19, v109
	v_mul_i32_i24_e32 v28, v28, v110
	s_delay_alu instid0(VALU_DEP_1) | instskip(SKIP_3) | instid1(VALU_DEP_3)
	v_add3_u32 v11, v11, v19, v28
	v_bfe_u32 v19, v33, 16, 2
	v_bfe_u32 v28, v33, 24, 2
	v_add_nc_u32_e32 v33, v108, v106
	v_mul_i32_i24_e32 v19, v19, v105
	s_delay_alu instid0(VALU_DEP_3) | instskip(NEXT) | instid1(VALU_DEP_3)
	v_mul_i32_i24_e32 v28, v28, v104
	v_add3_u32 v33, v33, v103, v99
	s_delay_alu instid0(VALU_DEP_2) | instskip(SKIP_3) | instid1(VALU_DEP_3)
	v_add3_u32 v19, v23, v19, v28
	v_bfe_u32 v23, v39, 16, 2
	v_bfe_u32 v28, v39, 24, 2
	v_bfe_i32 v39, v115, 8, 8
	v_mul_i32_i24_e32 v23, v23, v109
	s_delay_alu instid0(VALU_DEP_3) | instskip(NEXT) | instid1(VALU_DEP_3)
	v_mul_i32_i24_e32 v28, v28, v110
	v_mul_i32_i24_e32 v39, v33, v39
	s_delay_alu instid0(VALU_DEP_2) | instskip(SKIP_3) | instid1(VALU_DEP_3)
	v_add3_u32 v23, v29, v23, v28
	v_bfe_u32 v28, v73, 16, 2
	v_bfe_u32 v29, v73, 24, 2
	v_bfe_i32 v73, v122, 8, 8
	v_mul_i32_i24_e32 v28, v28, v105
	s_delay_alu instid0(VALU_DEP_3) | instskip(NEXT) | instid1(VALU_DEP_3)
	v_mul_i32_i24_e32 v29, v29, v104
	v_mul_i32_i24_e32 v73, v33, v73
	v_bfe_i32 v104, v127, 8, 8
	s_delay_alu instid0(VALU_DEP_3) | instskip(SKIP_2) | instid1(VALU_DEP_4)
	v_add3_u32 v28, v31, v28, v29
	v_bfe_u32 v29, v133, 24, 2
	v_bfe_u32 v31, v133, 16, 2
	v_mul_i32_i24_e32 v104, v33, v104
	s_delay_alu instid0(VALU_DEP_3) | instskip(NEXT) | instid1(VALU_DEP_3)
	v_mul_i32_i24_e32 v29, v29, v110
	v_mul_i32_i24_e32 v31, v31, v109
	s_delay_alu instid0(VALU_DEP_1) | instskip(SKIP_2) | instid1(VALU_DEP_2)
	v_add3_u32 v29, v34, v31, v29
	v_add_nc_u32_e32 v31, v109, v107
	v_bfe_i32 v34, v115, 16, 8
	v_add3_u32 v31, v31, v102, v95
	s_delay_alu instid0(VALU_DEP_1) | instskip(NEXT) | instid1(VALU_DEP_1)
	v_mul_i32_i24_e32 v34, v31, v34
	v_add3_u32 v34, v113, v34, v39
	v_bfe_i32 v39, v122, 16, 8
	s_delay_alu instid0(VALU_DEP_1) | instskip(NEXT) | instid1(VALU_DEP_1)
	v_mul_i32_i24_e32 v39, v31, v39
	v_add3_u32 v39, v121, v39, v73
	v_bfe_i32 v73, v127, 16, 8
	;; [unrolled: 4-line block ×3, first 2 shown]
	s_delay_alu instid0(VALU_DEP_1) | instskip(SKIP_1) | instid1(VALU_DEP_1)
	v_mul_i32_i24_e32 v31, v31, v104
	v_bfe_i32 v104, v119, 8, 8
	v_mul_i32_i24_e32 v33, v33, v104
	v_bfe_u32 v104, v0, 16, 2
	s_delay_alu instid0(VALU_DEP_2) | instskip(SKIP_1) | instid1(VALU_DEP_3)
	v_add3_u32 v31, v111, v31, v33
	v_bfe_u32 v33, v0, 8, 2
	v_mul_i32_i24_e32 v104, v104, v100
	v_bfe_u32 v0, v0, 24, 2
	s_delay_alu instid0(VALU_DEP_4) | instskip(NEXT) | instid1(VALU_DEP_4)
	v_cvt_f32_i32_e32 v31, v31
	v_mul_i32_i24_e32 v33, v33, v101
	s_delay_alu instid0(VALU_DEP_3) | instskip(NEXT) | instid1(VALU_DEP_2)
	v_mul_i32_i24_e32 v0, v0, v96
	v_add3_u32 v33, v36, v33, v104
	v_bfe_u32 v36, v2, 8, 2
	v_bfe_u32 v104, v2, 16, 2
	;; [unrolled: 1-line block ×3, first 2 shown]
	s_delay_alu instid0(VALU_DEP_3) | instskip(NEXT) | instid1(VALU_DEP_3)
	v_mul_i32_i24_e32 v36, v36, v103
	v_mul_i32_i24_e32 v104, v104, v102
	s_delay_alu instid0(VALU_DEP_3) | instskip(NEXT) | instid1(VALU_DEP_2)
	v_mul_i32_i24_e32 v2, v2, v98
	v_add3_u32 v36, v59, v36, v104
	v_bfe_u32 v59, v26, 8, 2
	v_bfe_u32 v104, v26, 16, 2
	v_bfe_u32 v26, v26, 24, 2
	s_delay_alu instid0(VALU_DEP_3) | instskip(NEXT) | instid1(VALU_DEP_3)
	v_mul_i32_i24_e32 v59, v59, v101
	v_mul_i32_i24_e32 v104, v104, v100
	s_delay_alu instid0(VALU_DEP_3) | instskip(NEXT) | instid1(VALU_DEP_2)
	v_mul_i32_i24_e32 v26, v26, v96
	v_add3_u32 v18, v18, v59, v104
	v_bfe_u32 v59, v32, 8, 2
	v_bfe_u32 v104, v32, 16, 2
	s_delay_alu instid0(VALU_DEP_2) | instskip(NEXT) | instid1(VALU_DEP_2)
	v_mul_i32_i24_e32 v59, v59, v103
	v_mul_i32_i24_e32 v104, v104, v102
	s_delay_alu instid0(VALU_DEP_1) | instskip(SKIP_2) | instid1(VALU_DEP_2)
	v_add3_u32 v11, v11, v59, v104
	v_bfe_u32 v59, v37, 8, 2
	v_bfe_u32 v104, v37, 16, 2
	v_mul_i32_i24_e32 v59, v59, v101
	s_delay_alu instid0(VALU_DEP_2) | instskip(NEXT) | instid1(VALU_DEP_1)
	v_mul_i32_i24_e32 v104, v104, v100
	v_add3_u32 v19, v19, v59, v104
	v_bfe_u32 v59, v67, 8, 2
	v_bfe_u32 v104, v67, 16, 2
	s_delay_alu instid0(VALU_DEP_2) | instskip(NEXT) | instid1(VALU_DEP_2)
	v_mul_i32_i24_e32 v59, v59, v103
	v_mul_i32_i24_e32 v104, v104, v102
	s_delay_alu instid0(VALU_DEP_1) | instskip(SKIP_1) | instid1(VALU_DEP_1)
	v_add3_u32 v23, v23, v59, v104
	v_bfe_u32 v59, v81, 8, 2
	v_mul_i32_i24_e32 v59, v59, v101
	v_bfe_u32 v101, v81, 16, 2
	s_delay_alu instid0(VALU_DEP_1) | instskip(NEXT) | instid1(VALU_DEP_1)
	v_mul_i32_i24_e32 v100, v101, v100
	v_add3_u32 v28, v28, v59, v100
	v_bfe_u32 v59, v139, 8, 2
	v_bfe_u32 v100, v139, 16, 2
	s_delay_alu instid0(VALU_DEP_2) | instskip(NEXT) | instid1(VALU_DEP_2)
	v_mul_i32_i24_e32 v59, v59, v103
	v_mul_i32_i24_e32 v100, v100, v102
	s_delay_alu instid0(VALU_DEP_1) | instskip(SKIP_1) | instid1(VALU_DEP_1)
	v_add3_u32 v29, v29, v59, v100
	v_bfe_u32 v59, v1, 8, 2
	v_mul_i32_i24_e32 v59, v59, v97
	s_delay_alu instid0(VALU_DEP_1) | instskip(SKIP_1) | instid1(VALU_DEP_1)
	v_add3_u32 v0, v33, v0, v59
	v_bfe_u32 v33, v3, 8, 2
	v_mul_i32_i24_e32 v33, v33, v99
	s_delay_alu instid0(VALU_DEP_1) | instskip(SKIP_2) | instid1(VALU_DEP_2)
	v_add3_u32 v2, v36, v2, v33
	v_bfe_u32 v33, v60, 8, 2
	v_and_b32_e32 v36, 15, v153
	v_mul_i32_i24_e32 v33, v33, v97
	s_delay_alu instid0(VALU_DEP_1) | instskip(SKIP_3) | instid1(VALU_DEP_3)
	v_add3_u32 v18, v18, v26, v33
	v_bfe_u32 v26, v32, 24, 2
	v_bfe_u32 v32, v72, 8, 2
	v_and_b32_e32 v33, 15, v149
	v_mul_i32_i24_e32 v26, v26, v98
	s_delay_alu instid0(VALU_DEP_3) | instskip(NEXT) | instid1(VALU_DEP_1)
	v_mul_i32_i24_e32 v32, v32, v99
	v_add3_u32 v11, v11, v26, v32
	v_bfe_u32 v26, v37, 24, 2
	v_bfe_u32 v32, v74, 8, 2
	s_delay_alu instid0(VALU_DEP_2) | instskip(NEXT) | instid1(VALU_DEP_2)
	v_mul_i32_i24_e32 v26, v26, v96
	v_mul_i32_i24_e32 v32, v32, v97
	s_delay_alu instid0(VALU_DEP_1) | instskip(SKIP_2) | instid1(VALU_DEP_2)
	v_add3_u32 v19, v19, v26, v32
	v_bfe_u32 v26, v67, 24, 2
	v_bfe_u32 v32, v116, 8, 2
	v_mul_i32_i24_e32 v26, v26, v98
	s_delay_alu instid0(VALU_DEP_2) | instskip(NEXT) | instid1(VALU_DEP_1)
	v_mul_i32_i24_e32 v32, v32, v99
	v_add3_u32 v23, v23, v26, v32
	v_bfe_u32 v26, v81, 24, 2
	v_bfe_u32 v32, v117, 8, 2
	s_delay_alu instid0(VALU_DEP_2) | instskip(NEXT) | instid1(VALU_DEP_2)
	v_mul_i32_i24_e32 v26, v26, v96
	v_mul_i32_i24_e32 v32, v32, v97
	s_delay_alu instid0(VALU_DEP_1) | instskip(SKIP_2) | instid1(VALU_DEP_2)
	v_add3_u32 v26, v28, v26, v32
	v_bfe_u32 v28, v139, 24, 2
	v_bfe_u32 v32, v114, 8, 2
	v_mul_i32_i24_e32 v28, v28, v98
	s_delay_alu instid0(VALU_DEP_2) | instskip(NEXT) | instid1(VALU_DEP_1)
	v_mul_i32_i24_e32 v32, v32, v99
	v_add3_u32 v28, v29, v28, v32
	v_bfe_u32 v29, v1, 16, 2
	v_bfe_u32 v1, v1, 24, 2
	v_lshrrev_b32_e32 v32, 16, v27
	s_delay_alu instid0(VALU_DEP_3) | instskip(NEXT) | instid1(VALU_DEP_3)
	v_mul_i32_i24_e32 v29, v29, v7
	v_mul_i32_i24_e32 v1, v1, v6
	s_delay_alu instid0(VALU_DEP_1) | instskip(SKIP_3) | instid1(VALU_DEP_3)
	v_add3_u32 v0, v0, v29, v1
	v_bfe_u32 v1, v3, 16, 2
	v_bfe_u32 v3, v3, 24, 2
	v_and_b32_e32 v29, 15, v123
	v_mul_i32_i24_e32 v1, v1, v95
	s_delay_alu instid0(VALU_DEP_3) | instskip(NEXT) | instid1(VALU_DEP_1)
	v_mul_i32_i24_e32 v3, v3, v94
	v_add3_u32 v3, v2, v1, v3
	v_bfe_u32 v1, v60, 16, 2
	v_bfe_u32 v2, v60, 24, 2
	s_delay_alu instid0(VALU_DEP_2) | instskip(NEXT) | instid1(VALU_DEP_2)
	v_mul_i32_i24_e32 v1, v1, v7
	v_mul_i32_i24_e32 v2, v2, v6
	s_delay_alu instid0(VALU_DEP_1) | instskip(SKIP_2) | instid1(VALU_DEP_2)
	v_add3_u32 v18, v18, v1, v2
	v_bfe_u32 v1, v72, 16, 2
	v_bfe_u32 v2, v72, 24, 2
	v_mul_i32_i24_e32 v1, v1, v95
	s_delay_alu instid0(VALU_DEP_2) | instskip(NEXT) | instid1(VALU_DEP_1)
	v_mul_i32_i24_e32 v2, v2, v94
	v_add3_u32 v11, v11, v1, v2
	v_bfe_u32 v1, v74, 16, 2
	v_bfe_u32 v2, v74, 24, 2
	s_delay_alu instid0(VALU_DEP_2) | instskip(NEXT) | instid1(VALU_DEP_2)
	v_mul_i32_i24_e32 v1, v1, v7
	v_mul_i32_i24_e32 v2, v2, v6
	s_delay_alu instid0(VALU_DEP_1) | instskip(SKIP_2) | instid1(VALU_DEP_2)
	v_add3_u32 v19, v19, v1, v2
	v_bfe_u32 v1, v116, 16, 2
	v_bfe_u32 v2, v116, 24, 2
	v_mul_i32_i24_e32 v1, v1, v95
	s_delay_alu instid0(VALU_DEP_2) | instskip(NEXT) | instid1(VALU_DEP_1)
	v_mul_i32_i24_e32 v2, v2, v94
	v_add3_u32 v23, v23, v1, v2
	v_bfe_u32 v1, v117, 16, 2
	v_bfe_u32 v2, v117, 24, 2
	s_delay_alu instid0(VALU_DEP_2) | instskip(NEXT) | instid1(VALU_DEP_2)
	v_mul_i32_i24_e32 v1, v1, v7
	v_mul_i32_i24_e32 v2, v2, v6
	v_and_b32_e32 v7, 15, v143
	s_delay_alu instid0(VALU_DEP_2) | instskip(SKIP_2) | instid1(VALU_DEP_2)
	v_add3_u32 v6, v26, v1, v2
	v_bfe_u32 v1, v114, 16, 2
	v_bfe_u32 v2, v114, 24, 2
	v_mul_i32_i24_e32 v1, v1, v95
	s_delay_alu instid0(VALU_DEP_2) | instskip(NEXT) | instid1(VALU_DEP_1)
	v_mul_i32_i24_e32 v2, v2, v94
	v_add3_u32 v26, v28, v1, v2
	v_and_b32_e32 v1, 15, v120
	ds_load_b32 v28, v5
	v_add_nc_u32_e32 v5, 4, v5
	v_mul_lo_u32 v0, v0, v1
	s_delay_alu instid0(VALU_DEP_1) | instskip(SKIP_3) | instid1(VALU_DEP_2)
	v_mad_u64_u32 v[1:2], null, v3, v29, v[0:1]
	v_mul_lo_u32 v0, v18, v24
	v_lshrrev_b32_e32 v29, 16, v130
	v_cvt_f32_f16_e32 v24, v32
	v_cvt_f32_f16_e32 v18, v29
	s_delay_alu instid0(VALU_DEP_4) | instskip(SKIP_4) | instid1(VALU_DEP_4)
	v_mad_u64_u32 v[2:3], null, v11, v33, v[0:1]
	v_lshrrev_b32_e32 v0, 16, v71
	v_lshrrev_b32_e32 v3, 16, v131
	v_and_b32_e32 v11, 15, v80
	v_and_b32_e32 v33, 15, v145
	v_cvt_f32_f16_e32 v29, v0
	s_delay_alu instid0(VALU_DEP_4)
	v_cvt_f32_f16_e32 v32, v3
	v_mul_lo_u32 v0, v19, v7
	v_mul_lo_u32 v3, v6, v11
	v_cvt_f32_i32_e32 v11, v34
	v_cvt_f32_i32_e32 v19, v39
	;; [unrolled: 1-line block ×4, first 2 shown]
	v_mad_u64_u32 v[6:7], null, v23, v33, v[0:1]
	v_mad_u64_u32 v[94:95], null, v26, v36, v[3:4]
	v_mul_f32_e32 v0, v18, v11
	v_mul_f32_e32 v3, v29, v19
	;; [unrolled: 1-line block ×4, first 2 shown]
	v_cvt_f32_i32_e32 v1, v1
	v_cvt_f32_i32_e32 v6, v6
	v_cvt_f32_i32_e32 v18, v94
	v_add_nc_u32_e32 v4, 32, v4
	s_delay_alu instid0(VALU_DEP_4)
	v_fma_mix_f32 v0, v130, v1, -v0 op_sel_hi:[1,0,0]
	v_fma_mix_f32 v1, v27, v2, -v7 op_sel_hi:[1,0,0]
	;; [unrolled: 1-line block ×4, first 2 shown]
	s_waitcnt lgkmcnt(0)
	v_fmac_f32_e32 v13, v28, v0
	v_fmac_f32_e32 v61, v28, v1
	;; [unrolled: 1-line block ×4, first 2 shown]
	s_cbranch_scc1 .LBB187_38
; %bb.39:                               ;   in Loop: Header=BB187_7 Depth=1
	s_barrier
	buffer_gl0_inv
	s_branch .LBB187_4
.LBB187_40:                             ;   in Loop: Header=BB187_7 Depth=1
	v_dual_mov_b32 v18, v55 :: v_dual_mov_b32 v19, v57
	v_dual_mov_b32 v23, v91 :: v_dual_mov_b32 v24, v92
	;; [unrolled: 1-line block ×3, first 2 shown]
	v_mov_b32_e32 v28, v56
	v_mov_b32_e32 v156, v9
	s_branch .LBB187_5
.LBB187_41:
	scratch_load_b32 v11, off, off offset:92 ; 4-byte Folded Reload
.LBB187_42:
	s_mul_i32 s0, s7, s4
	s_waitcnt vmcnt(0)
	v_cmp_gt_i32_e32 vcc_lo, s0, v11
	s_and_saveexec_b32 s0, vcc_lo
	s_cbranch_execz .LBB187_51
; %bb.43:
	v_mul_lo_u32 v0, v11, s6
	v_add_nc_u32_e32 v1, s18, v156
	s_mov_b32 s0, exec_lo
	s_delay_alu instid0(VALU_DEP_1)
	v_cmpx_gt_u32_e64 s6, v1
	s_cbranch_execz .LBB187_45
; %bb.44:
	s_delay_alu instid0(VALU_DEP_3) | instskip(NEXT) | instid1(VALU_DEP_1)
	v_dual_mov_b32 v3, 0 :: v_dual_add_nc_u32 v2, v0, v1
	v_lshlrev_b64 v[2:3], 2, v[2:3]
	s_delay_alu instid0(VALU_DEP_1) | instskip(NEXT) | instid1(VALU_DEP_2)
	v_add_co_u32 v2, vcc_lo, s8, v2
	v_add_co_ci_u32_e32 v3, vcc_lo, s9, v3, vcc_lo
	global_store_b32 v[2:3], v13, off
.LBB187_45:
	s_or_b32 exec_lo, exec_lo, s0
	v_add_nc_u32_e32 v2, 32, v1
	s_mov_b32 s0, exec_lo
	s_delay_alu instid0(VALU_DEP_1)
	v_cmpx_gt_u32_e64 s6, v2
	s_cbranch_execz .LBB187_47
; %bb.46:
	v_dual_mov_b32 v3, 0 :: v_dual_add_nc_u32 v2, v0, v2
	s_delay_alu instid0(VALU_DEP_1) | instskip(NEXT) | instid1(VALU_DEP_1)
	v_lshlrev_b64 v[2:3], 2, v[2:3]
	v_add_co_u32 v2, vcc_lo, s8, v2
	s_delay_alu instid0(VALU_DEP_2)
	v_add_co_ci_u32_e32 v3, vcc_lo, s9, v3, vcc_lo
	global_store_b32 v[2:3], v61, off
.LBB187_47:
	s_or_b32 exec_lo, exec_lo, s0
	v_add_nc_u32_e32 v2, 64, v1
	s_mov_b32 s0, exec_lo
	s_delay_alu instid0(VALU_DEP_1)
	v_cmpx_gt_u32_e64 s6, v2
	s_cbranch_execz .LBB187_49
; %bb.48:
	v_dual_mov_b32 v3, 0 :: v_dual_add_nc_u32 v2, v0, v2
	s_delay_alu instid0(VALU_DEP_1) | instskip(NEXT) | instid1(VALU_DEP_1)
	v_lshlrev_b64 v[2:3], 2, v[2:3]
	v_add_co_u32 v2, vcc_lo, s8, v2
	s_delay_alu instid0(VALU_DEP_2)
	v_add_co_ci_u32_e32 v3, vcc_lo, s9, v3, vcc_lo
	global_store_b32 v[2:3], v58, off
.LBB187_49:
	s_or_b32 exec_lo, exec_lo, s0
	v_add_nc_u32_e32 v1, 0x60, v1
	s_delay_alu instid0(VALU_DEP_1)
	v_cmp_gt_u32_e32 vcc_lo, s6, v1
	s_and_b32 exec_lo, exec_lo, vcc_lo
	s_cbranch_execz .LBB187_51
; %bb.50:
	v_dual_mov_b32 v1, 0 :: v_dual_add_nc_u32 v0, v0, v1
	s_delay_alu instid0(VALU_DEP_1) | instskip(NEXT) | instid1(VALU_DEP_1)
	v_lshlrev_b64 v[0:1], 2, v[0:1]
	v_add_co_u32 v0, vcc_lo, s8, v0
	s_delay_alu instid0(VALU_DEP_2)
	v_add_co_ci_u32_e32 v1, vcc_lo, s9, v1, vcc_lo
	global_store_b32 v[0:1], v8, off
.LBB187_51:
	s_endpgm
	.section	.rodata,"a",@progbits
	.p2align	6, 0x0
	.amdhsa_kernel _ZL8moe_q2_KIfLb0EEvPKvS1_PT_PKiS5_S5_iiiiiii
		.amdhsa_group_segment_fixed_size 23328
		.amdhsa_private_segment_fixed_size 100
		.amdhsa_kernarg_size 76
		.amdhsa_user_sgpr_count 14
		.amdhsa_user_sgpr_dispatch_ptr 0
		.amdhsa_user_sgpr_queue_ptr 0
		.amdhsa_user_sgpr_kernarg_segment_ptr 1
		.amdhsa_user_sgpr_dispatch_id 0
		.amdhsa_user_sgpr_private_segment_size 0
		.amdhsa_wavefront_size32 1
		.amdhsa_uses_dynamic_stack 0
		.amdhsa_enable_private_segment 1
		.amdhsa_system_sgpr_workgroup_id_x 1
		.amdhsa_system_sgpr_workgroup_id_y 1
		.amdhsa_system_sgpr_workgroup_id_z 0
		.amdhsa_system_sgpr_workgroup_info 0
		.amdhsa_system_vgpr_workitem_id 1
		.amdhsa_next_free_vgpr 256
		.amdhsa_next_free_sgpr 30
		.amdhsa_reserve_vcc 1
		.amdhsa_float_round_mode_32 0
		.amdhsa_float_round_mode_16_64 0
		.amdhsa_float_denorm_mode_32 3
		.amdhsa_float_denorm_mode_16_64 3
		.amdhsa_dx10_clamp 1
		.amdhsa_ieee_mode 1
		.amdhsa_fp16_overflow 0
		.amdhsa_workgroup_processor_mode 1
		.amdhsa_memory_ordered 1
		.amdhsa_forward_progress 0
		.amdhsa_shared_vgpr_count 0
		.amdhsa_exception_fp_ieee_invalid_op 0
		.amdhsa_exception_fp_denorm_src 0
		.amdhsa_exception_fp_ieee_div_zero 0
		.amdhsa_exception_fp_ieee_overflow 0
		.amdhsa_exception_fp_ieee_underflow 0
		.amdhsa_exception_fp_ieee_inexact 0
		.amdhsa_exception_int_div_zero 0
	.end_amdhsa_kernel
	.section	.text._ZL8moe_q2_KIfLb0EEvPKvS1_PT_PKiS5_S5_iiiiiii,"axG",@progbits,_ZL8moe_q2_KIfLb0EEvPKvS1_PT_PKiS5_S5_iiiiiii,comdat
.Lfunc_end187:
	.size	_ZL8moe_q2_KIfLb0EEvPKvS1_PT_PKiS5_S5_iiiiiii, .Lfunc_end187-_ZL8moe_q2_KIfLb0EEvPKvS1_PT_PKiS5_S5_iiiiiii
                                        ; -- End function
	.section	.AMDGPU.csdata,"",@progbits
; Kernel info:
; codeLenInByte = 20224
; NumSgprs: 32
; NumVgprs: 256
; ScratchSize: 100
; MemoryBound: 0
; FloatMode: 240
; IeeeMode: 1
; LDSByteSize: 23328 bytes/workgroup (compile time only)
; SGPRBlocks: 3
; VGPRBlocks: 31
; NumSGPRsForWavesPerEU: 32
; NumVGPRsForWavesPerEU: 256
; Occupancy: 5
; WaveLimiterHint : 1
; COMPUTE_PGM_RSRC2:SCRATCH_EN: 1
; COMPUTE_PGM_RSRC2:USER_SGPR: 14
; COMPUTE_PGM_RSRC2:TRAP_HANDLER: 0
; COMPUTE_PGM_RSRC2:TGID_X_EN: 1
; COMPUTE_PGM_RSRC2:TGID_Y_EN: 1
; COMPUTE_PGM_RSRC2:TGID_Z_EN: 0
; COMPUTE_PGM_RSRC2:TIDIG_COMP_CNT: 1
	.section	.text._ZL8moe_q2_KIfLb1EEvPKvS1_PT_PKiS5_S5_iiiiiii,"axG",@progbits,_ZL8moe_q2_KIfLb1EEvPKvS1_PT_PKiS5_S5_iiiiiii,comdat
	.globl	_ZL8moe_q2_KIfLb1EEvPKvS1_PT_PKiS5_S5_iiiiiii ; -- Begin function _ZL8moe_q2_KIfLb1EEvPKvS1_PT_PKiS5_S5_iiiiiii
	.p2align	8
	.type	_ZL8moe_q2_KIfLb1EEvPKvS1_PT_PKiS5_S5_iiiiiii,@function
_ZL8moe_q2_KIfLb1EEvPKvS1_PT_PKiS5_S5_iiiiiii: ; @_ZL8moe_q2_KIfLb1EEvPKvS1_PT_PKiS5_S5_iiiiiii
; %bb.0:
	s_load_b128 s[4:7], s[0:1], 0x18
	s_mov_b32 s2, s15
	s_mov_b32 s3, 0
	s_delay_alu instid0(SALU_CYCLE_1)
	s_lshl_b64 s[8:9], s[2:3], 2
	s_waitcnt lgkmcnt(0)
	s_add_u32 s6, s6, s8
	s_addc_u32 s7, s7, s9
	s_load_b32 s15, s[6:7], 0x0
	s_waitcnt lgkmcnt(0)
	s_cmpk_gt_u32 s15, 0xff
	s_cbranch_scc1 .LBB188_53
; %bb.1:
	s_load_b64 s[6:7], s[0:1], 0x28
	s_lshl_b32 s2, s2, 3
	s_waitcnt lgkmcnt(0)
	s_load_b32 s3, s[6:7], 0x0
	s_waitcnt lgkmcnt(0)
	s_cmp_gt_u32 s2, s3
	s_cbranch_scc1 .LBB188_53
; %bb.2:
	v_bfe_u32 v1, v0, 10, 10
	v_mov_b32_e32 v24, 0
	s_mov_b32 s20, 0
	s_delay_alu instid0(VALU_DEP_2) | instskip(NEXT) | instid1(VALU_DEP_2)
	v_add_nc_u32_e32 v23, s2, v1
	v_dual_mov_b32 v61, v24 :: v_dual_and_b32 v156, 0x3ff, v0
	v_mov_b32_e32 v58, v24
	v_mov_b32_e32 v29, v24
	s_delay_alu instid0(VALU_DEP_4) | instskip(NEXT) | instid1(VALU_DEP_1)
	v_lshlrev_b64 v[2:3], 2, v[23:24]
	v_add_co_u32 v2, vcc_lo, s4, v2
	s_delay_alu instid0(VALU_DEP_2)
	v_add_co_ci_u32_e32 v3, vcc_lo, s5, v3, vcc_lo
	global_load_b32 v27, v[2:3], off
	s_clause 0x1
	s_load_b256 s[4:11], s[0:1], 0x30
	s_load_b64 s[12:13], s[0:1], 0x10
	s_waitcnt lgkmcnt(0)
	s_lshl_b32 s11, s14, 7
	s_cmpk_lt_i32 s5, 0x100
	s_cbranch_scc1 .LBB188_44
; %bb.3:
	s_load_b128 s[0:3], s[0:1], 0x0
	s_ashr_i32 s14, s5, 31
	s_mul_i32 s15, s15, s4
	s_lshr_b32 s4, s14, 24
	s_ashr_i32 s16, s8, 31
	s_add_i32 s4, s5, s4
	s_lshr_b32 s14, s16, 27
	s_ashr_i32 s4, s4, 8
	s_add_i32 s8, s8, s14
	s_mul_i32 s14, s4, s11
	s_ashr_i32 s16, s15, 31
	s_ashr_i32 s8, s8, 5
	s_mul_hi_i32 s17, s14, 0x54
	s_mulk_i32 s14, 0x54
	v_dual_mov_b32 v29, 0 :: v_dual_lshlrev_b32 v0, 2, v156
	v_add_nc_u32_e32 v2, 8, v1
	v_add_nc_u32_e32 v3, 16, v1
	v_lshlrev_b32_e32 v5, 4, v1
	v_lshrrev_b32_e32 v6, 1, v156
	s_waitcnt lgkmcnt(0)
	s_add_u32 s0, s0, s15
	s_addc_u32 s1, s1, s16
	s_add_u32 s21, s0, s14
	s_addc_u32 s22, s1, s17
	s_not_b32 s0, s11
	v_add_nc_u32_e32 v6, v6, v5
	s_add_i32 s0, s0, s6
	v_lshrrev_b32_e32 v24, 3, v156
	v_min_i32_e32 v4, s0, v1
	v_min_i32_e32 v2, s0, v2
	v_min_i32_e32 v3, s0, v3
	v_and_b32_e32 v6, 0x7f, v6
	v_add_nc_u32_e32 v23, 0x78, v1
	v_mul_lo_u32 v47, v4, s4
	v_mad_u64_u32 v[9:10], null, 0x84, v4, v[0:1]
	v_add_nc_u32_e32 v4, 24, v1
	v_mul_lo_u32 v49, v2, s4
	v_mad_u64_u32 v[42:43], null, 0x84, v2, v[0:1]
	v_mul_lo_u32 v50, v3, s4
	s_delay_alu instid0(VALU_DEP_4) | instskip(SKIP_3) | instid1(VALU_DEP_4)
	v_min_i32_e32 v2, s0, v4
	v_add_nc_u32_e32 v4, 32, v1
	v_mad_u64_u32 v[40:41], null, 0x84, v3, v[0:1]
	v_add_nc_u32_e32 v3, 40, v1
	v_mul_lo_u32 v30, v2, s4
	s_delay_alu instid0(VALU_DEP_4) | instskip(SKIP_1) | instid1(VALU_DEP_4)
	v_min_i32_e32 v4, s0, v4
	v_mad_u64_u32 v[10:11], null, 0x84, v2, v[0:1]
	v_min_i32_e32 v2, s0, v3
	v_add_nc_u32_e32 v3, 48, v1
	s_delay_alu instid0(VALU_DEP_4) | instskip(SKIP_2) | instid1(VALU_DEP_4)
	v_mul_lo_u32 v52, v4, s4
	v_mad_u64_u32 v[11:12], null, 0x84, v4, v[0:1]
	v_add_nc_u32_e32 v4, 56, v1
	v_min_i32_e32 v3, s0, v3
	v_mul_lo_u32 v32, v2, s4
	v_mad_u64_u32 v[12:13], null, 0x84, v2, v[0:1]
	v_add_nc_u32_e32 v2, 64, v1
	v_min_i32_e32 v4, s0, v4
	v_mad_u64_u32 v[13:14], null, 0x84, v3, v[0:1]
	v_mul_lo_u32 v33, v3, s4
	s_delay_alu instid0(VALU_DEP_4)
	v_min_i32_e32 v2, s0, v2
	v_add_nc_u32_e32 v3, 0x48, v1
	v_mul_lo_u32 v34, v4, s4
	v_mad_u64_u32 v[14:15], null, 0x84, v4, v[0:1]
	v_add_nc_u32_e32 v4, 0x50, v1
	v_mul_lo_u32 v35, v2, s4
	v_min_i32_e32 v3, s0, v3
	v_mad_u64_u32 v[15:16], null, 0x84, v2, v[0:1]
	s_delay_alu instid0(VALU_DEP_4) | instskip(SKIP_1) | instid1(VALU_DEP_4)
	v_min_i32_e32 v2, s0, v4
	v_add_nc_u32_e32 v4, 0x58, v1
	v_mul_lo_u32 v89, v3, s4
	v_mad_u64_u32 v[16:17], null, 0x84, v3, v[0:1]
	s_delay_alu instid0(VALU_DEP_4) | instskip(NEXT) | instid1(VALU_DEP_4)
	v_mul_lo_u32 v90, v2, s4
	v_min_i32_e32 v3, s0, v4
	v_add_nc_u32_e32 v4, 0x60, v1
	v_mad_u64_u32 v[17:18], null, 0x84, v2, v[0:1]
	v_min_i32_e32 v6, s0, v6
	s_delay_alu instid0(VALU_DEP_4) | instskip(NEXT) | instid1(VALU_DEP_4)
	v_mul_lo_u32 v36, v3, s4
	v_min_i32_e32 v2, s0, v4
	v_add_nc_u32_e32 v4, 0x68, v1
	v_mad_u64_u32 v[18:19], null, 0x84, v3, v[0:1]
	v_ashrrev_i32_e32 v7, 31, v6
	s_delay_alu instid0(VALU_DEP_4) | instskip(NEXT) | instid1(VALU_DEP_4)
	v_mul_lo_u32 v37, v2, s4
	v_min_i32_e32 v3, s0, v4
	v_add_nc_u32_e32 v4, 0x70, v1
	v_mad_u64_u32 v[19:20], null, 0x84, v2, v[0:1]
	s_abs_i32 s1, s10
	s_delay_alu instid0(VALU_DEP_3) | instskip(NEXT) | instid1(VALU_DEP_3)
	v_mul_lo_u32 v38, v3, s4
	v_min_i32_e32 v2, s0, v4
	v_lshrrev_b32_e32 v4, 28, v7
	v_lshlrev_b32_e32 v7, 2, v1
	v_mad_u64_u32 v[20:21], null, 0x84, v3, v[0:1]
	v_min_i32_e32 v25, s0, v23
	s_delay_alu instid0(VALU_DEP_4) | instskip(NEXT) | instid1(VALU_DEP_4)
	v_add_nc_u32_e32 v3, v6, v4
	v_add_nc_u32_e32 v4, v24, v7
	v_cvt_f32_u32_e32 v24, s1
	v_mul_lo_u32 v48, v2, s4
	v_mad_u64_u32 v[22:23], null, 0x84, v2, v[0:1]
	v_mul_lo_u32 v2, v25, s4
	s_delay_alu instid0(VALU_DEP_4)
	v_rcp_iflag_f32_e32 v24, v24
	v_mad_u64_u32 v[43:44], null, 0x84, v25, v[0:1]
	v_add_nc_u32_e32 v25, 32, v4
	s_sub_i32 s6, 0, s1
	v_and_b32_e32 v53, 7, v156
	v_and_b32_e32 v28, 1, v156
	v_ashrrev_i32_e32 v3, 4, v3
	v_min_i32_e32 v25, s0, v25
	v_min_i32_e32 v26, s0, v4
	s_delay_alu instid0(TRANS32_DEP_1)
	v_mul_f32_e32 v24, 0x4f7ffffe, v24
	v_add_nc_u32_e32 v55, 64, v4
	v_or_b32_e32 v7, v7, v156
	v_ashrrev_i32_e32 v54, 31, v25
	v_lshlrev_b32_e32 v57, 2, v53
	v_cvt_u32_f32_e32 v24, v24
	v_ashrrev_i32_e32 v51, 31, v26
	v_min_i32_e32 v56, s0, v55
	v_lshrrev_b32_e32 v54, 30, v54
	v_add_nc_u32_e32 v4, 0x60, v4
	v_mul_lo_u32 v58, s6, v24
	v_lshl_add_u32 v7, v7, 2, 0x5aa0
	scratch_store_b32 off, v2, off          ; 4-byte Folded Spill
	v_add_nc_u32_e32 v54, v25, v54
	v_lshlrev_b32_e32 v2, 2, v3
	v_lshlrev_b32_e32 v3, 2, v28
	scratch_store_b32 off, v7, off offset:84 ; 4-byte Folded Spill
	v_ashrrev_i32_e32 v55, 31, v56
	v_and_b32_e32 v59, -4, v54
	v_mul_hi_u32 v58, v24, v58
	v_add3_u32 v2, v2, v3, 0x5280
	v_lshrrev_b32_e32 v3, 30, v51
	v_min_i32_e32 v4, s0, v4
	v_add3_u32 v91, v59, v57, 0x4200
	s_waitcnt vmcnt(0)
	v_sub_nc_u32_e32 v59, 0, v27
	v_mul_lo_u32 v21, v26, s4
	v_add_nc_u32_e32 v3, v26, v3
	v_add_nc_u32_e32 v24, v24, v58
	v_lshrrev_b32_e32 v55, 30, v55
	v_max_i32_e32 v60, v27, v59
	v_lshlrev_b32_e32 v61, 5, v26
	v_ashrrev_i32_e32 v26, 31, v4
	v_mul_lo_u32 v41, v25, s4
	v_add_nc_u32_e32 v55, v56, v55
	v_mul_hi_u32 v24, v60, v24
	v_lshlrev_b32_e32 v92, 5, v25
	v_lshrrev_b32_e32 v26, 30, v26
	v_and_b32_e32 v45, 60, v0
	v_and_b32_e32 v25, -4, v55
	v_and_b32_e32 v23, 12, v0
	v_and_b32_e32 v0, 28, v0
	v_add_nc_u32_e32 v26, v4, v26
	v_mul_lo_u32 v62, v24, s1
	v_add3_u32 v58, v25, v57, 0x4200
	v_and_b32_e32 v3, -4, v3
	v_lshlrev_b32_e32 v1, 7, v1
	v_and_b32_e32 v25, -4, v26
	v_and_b32_e32 v26, 31, v156
	v_lshrrev_b32_e32 v31, 4, v156
	v_add3_u32 v3, v3, v57, 0x4200
	v_sub_nc_u32_e32 v62, v60, v62
	v_add3_u32 v94, v25, v57, 0x4200
	v_add_co_u32 v25, s0, s2, v0
	v_lshl_or_b32 v57, v26, 2, v1
	v_add_co_ci_u32_e64 v26, null, s3, 0, s0
	v_add_nc_u32_e32 v60, 1, v24
	v_subrev_nc_u32_e32 v63, s1, v62
	v_cmp_le_u32_e64 s0, s1, v62
	v_xor_b32_e32 v65, s10, v27
	v_lshlrev_b32_e32 v7, 3, v156
	v_lshlrev_b32_e32 v66, 2, v31
	v_add_nc_u32_e32 v0, 0x56a0, v57
	v_cndmask_b32_e64 v24, v24, v60, s0
	v_cndmask_b32_e64 v62, v62, v63, s0
	v_ashrrev_i32_e32 v65, 31, v65
	v_add_nc_u32_e32 v76, 64, v156
	s_clause 0x2
	scratch_store_b64 off, v[25:26], off offset:68
	scratch_store_b32 off, v0, off offset:76
	scratch_store_b32 off, v27, off offset:100
	v_add_nc_u32_e32 v63, 1, v24
	v_cmp_le_u32_e64 s0, s1, v62
	v_add3_u32 v62, v66, v7, 0x5280
	v_add_nc_u32_e32 v0, 32, v156
	v_lshlrev_b32_e32 v67, 3, v76
	v_add_nc_u32_e32 v74, 0x60, v156
	v_cndmask_b32_e64 v24, v24, v63, s0
	s_movk_i32 s0, 0x1080
	v_lshrrev_b32_e32 v68, 2, v0
	v_lshlrev_b32_e32 v64, 3, v0
	v_and_b32_e32 v77, 0x1fc, v0
	v_xor_b32_e32 v7, v24, v65
	v_lshrrev_b32_e32 v24, 2, v76
	v_and_b32_e32 v68, 0x7c, v68
	v_mad_u32_u24 v63, 0x84, v156, s0
	s_movk_i32 s0, 0x2100
	v_sub_nc_u32_e32 v7, v7, v65
	v_and_b32_e32 v24, 0x7c, v24
	v_mad_u32_u24 v65, 0x84, v156, s0
	s_movk_i32 s0, 0x3180
	v_add3_u32 v64, v64, v68, 0x5280
	v_mul_lo_u32 v25, v7, s8
	v_add3_u32 v67, v67, v24, 0x5280
	v_lshrrev_b32_e32 v24, 3, v0
	v_add_nc_u32_e32 v0, 0x56a0, v1
	v_lshrrev_b32_e32 v66, 2, v74
	v_mad_u32_u24 v68, 0x84, v156, s0
	v_cmp_gt_i32_e64 s0, s7, v7
	v_mul_lo_u32 v39, v6, s4
	v_ashrrev_i32_e32 v7, 31, v25
	s_clause 0x1
	scratch_store_b32 off, v25, off offset:12
	scratch_store_b32 off, v0, off offset:4
	v_add_nc_u32_e32 v0, 0x5aa0, v5
	scratch_store_b32 off, v24, off offset:80 ; 4-byte Folded Spill
	v_lshrrev_b32_e32 v24, 3, v76
	v_lshlrev_b32_e32 v6, 3, v6
	v_cmp_lt_u32_e32 vcc_lo, 3, v53
	scratch_store_b32 off, v0, off offset:8 ; 4-byte Folded Spill
	v_lshlrev_b32_e32 v93, 5, v56
	v_mul_lo_u32 v46, v4, s4
	v_lshlrev_b32_e32 v4, 5, v4
	v_lshlrev_b32_e32 v69, 3, v74
	v_and_b32_e32 v70, 0x7c, v66
	scratch_store_b32 off, v24, off offset:88 ; 4-byte Folded Spill
	v_lshrrev_b32_e32 v24, 3, v74
	v_and_b32_e32 v74, 0x1fc, v74
	v_lshlrev_b32_e32 v75, 5, v156
	v_and_b32_e32 v76, 0x1fc, v76
	v_and_b32_e32 v78, 0xfc, v156
	v_mul_lo_u32 v44, v56, s4
	s_add_u32 s14, s2, 0x90
	s_addc_u32 s15, s3, 0
	v_cndmask_b32_e64 v8, 0, 1, vcc_lo
	v_cmp_gt_u32_e32 vcc_lo, 4, v156
	v_mul_u32_u24_e32 v60, 0x84, v156
	v_add3_u32 v69, v69, v70, 0x5280
	s_clause 0x1
	scratch_store_b32 off, v24, off offset:96
	scratch_store_b32 off, v7, off offset:92
	s_add_u32 s16, s2, 0x120
	v_add_nc_u32_e32 v81, 0x4e08, v74
	v_add_nc_u32_e32 v82, 0x4a08, v76
	;; [unrolled: 1-line block ×12, first 2 shown]
	v_dual_mov_b32 v61, 0 :: v_dual_add_nc_u32 v54, v94, v4
	v_mov_b32_e32 v58, 0
	v_mov_b32_e32 v24, 0
	s_addc_u32 s17, s3, 0
	s_add_u32 s18, s2, 0x1b0
	s_addc_u32 s19, s3, 0
	s_clause 0xa
	scratch_store_b64 off, v[42:43], off offset:16
	scratch_store_b64 off, v[43:44], off offset:24
	scratch_store_b32 off, v21, off offset:32
	scratch_store_b32 off, v41, off offset:36
	;; [unrolled: 1-line block ×9, first 2 shown]
	s_branch .LBB188_7
.LBB188_4:                              ;   in Loop: Header=BB188_7 Depth=1
	scratch_load_b64 v[42:43], off, off offset:16 ; 8-byte Folded Reload
	v_mov_b32_e32 v40, v10
	v_dual_mov_b32 v10, v11 :: v_dual_mov_b32 v11, v12
	v_dual_mov_b32 v12, v13 :: v_dual_mov_b32 v13, v14
	;; [unrolled: 1-line block ×5, first 2 shown]
	v_mov_b32_e32 v20, v21
	s_clause 0x2
	scratch_load_b64 v[43:44], off, off offset:24
	scratch_load_b32 v21, off, off offset:32
	scratch_load_b32 v41, off, off offset:36
	v_dual_mov_b32 v31, v51 :: v_dual_mov_b32 v32, v53
	v_dual_mov_b32 v33, v54 :: v_dual_mov_b32 v34, v55
	;; [unrolled: 1-line block ×3, first 2 shown]
	s_clause 0x6
	scratch_load_b32 v44, off, off offset:40
	scratch_load_b32 v46, off, off offset:44
	scratch_load_b32 v26, off, off offset:48
	scratch_load_b32 v27, off, off offset:52
	scratch_load_b32 v51, off, off offset:56
	scratch_load_b32 v53, off, off offset:60
	scratch_load_b32 v54, off, off offset:64
.LBB188_5:                              ;   in Loop: Header=BB188_7 Depth=1
	v_dual_mov_b32 v35, v56 :: v_dual_mov_b32 v36, v91
	v_dual_mov_b32 v37, v92 :: v_dual_mov_b32 v38, v93
.LBB188_6:                              ;   in Loop: Header=BB188_7 Depth=1
	s_add_i32 s20, s20, 2
	s_delay_alu instid0(SALU_CYCLE_1)
	s_cmp_ge_i32 s20, s4
	s_cbranch_scc1 .LBB188_43
.LBB188_7:                              ; =>This Loop Header: Depth=1
                                        ;     Child Loop BB188_14 Depth 2
                                        ;     Child Loop BB188_22 Depth 2
	;; [unrolled: 1-line block ×4, first 2 shown]
	s_mul_i32 s1, s20, 0x54
	s_mul_hi_u32 s6, s20, 0x54
	s_add_u32 s24, s21, s1
	s_addc_u32 s25, s22, s6
	s_lshl_b32 s23, s20, 8
	v_mad_u64_u32 v[0:1], null, 0x54, v31, s[24:25]
	v_mad_i64_i32 v[104:105], null, 0x54, v39, s[24:25]
	s_cmp_lt_i32 s23, s5
	s_delay_alu instid0(VALU_DEP_2) | instskip(NEXT) | instid1(VALU_DEP_1)
	v_add_co_u32 v0, s1, v0, v45
	v_add_co_ci_u32_e64 v1, s1, 0, v1, s1
	s_delay_alu instid0(VALU_DEP_2) | instskip(NEXT) | instid1(VALU_DEP_1)
	v_add_co_u32 v0, s1, v0, 16
	v_add_co_ci_u32_e64 v1, s1, 0, v1, s1
	s_delay_alu instid0(VALU_DEP_1)
	v_mad_i64_i32 v[2:3], null, 0x54, v47, v[0:1]
	v_mad_i64_i32 v[4:5], null, 0x54, v49, v[0:1]
	;; [unrolled: 1-line block ×8, first 2 shown]
	s_clause 0x7
	global_load_b32 v114, v[2:3], off
	global_load_b32 v115, v[4:5], off
	;; [unrolled: 1-line block ×8, first 2 shown]
	scratch_load_b32 v25, off, off          ; 4-byte Folded Reload
	v_mad_u64_u32 v[98:99], null, 0x54, v8, s[24:25]
	v_mad_i64_i32 v[2:3], null, 0x54, v35, v[0:1]
	v_mad_i64_i32 v[4:5], null, 0x54, v89, v[0:1]
	;; [unrolled: 1-line block ×3, first 2 shown]
	s_delay_alu instid0(VALU_DEP_4)
	v_add_co_u32 v98, s1, v98, v23
	v_mad_i64_i32 v[94:95], null, 0x54, v36, v[0:1]
	v_add_co_ci_u32_e64 v99, s1, 0, v99, s1
	v_mad_i64_i32 v[96:97], null, 0x54, v37, v[0:1]
	v_mad_i64_i32 v[100:101], null, 0x54, v38, v[0:1]
	;; [unrolled: 1-line block ×3, first 2 shown]
	s_waitcnt vmcnt(16)
	v_mad_i64_i32 v[108:109], null, 0x54, v41, v[98:99]
	s_waitcnt vmcnt(9)
	v_mad_i64_i32 v[110:111], null, 0x54, v44, v[98:99]
	v_mad_i64_i32 v[112:113], null, 0x54, v46, v[98:99]
	s_waitcnt vmcnt(0)
	v_mad_i64_i32 v[106:107], null, 0x54, v25, v[0:1]
	v_mad_u64_u32 v[0:1], null, 0x54, v28, v[104:105]
	v_mad_i64_i32 v[104:105], null, 0x54, v21, v[98:99]
	s_clause 0xc
	global_load_b32 v2, v[2:3], off
	global_load_b32 v3, v[4:5], off
	;; [unrolled: 1-line block ×8, first 2 shown]
	global_load_b32 v0, v[0:1], off offset:80
	global_load_b32 v1, v[104:105], off
	global_load_b32 v96, v[108:109], off
	;; [unrolled: 1-line block ×4, first 2 shown]
	ds_store_b32 v9, v114
	ds_store_b32 v42, v115
	;; [unrolled: 1-line block ×8, first 2 shown]
	s_waitcnt vmcnt(12)
	ds_store_b32 v15, v2
	s_waitcnt vmcnt(11)
	ds_store_b32 v16, v3
	;; [unrolled: 2-line block ×13, first 2 shown]
	s_cbranch_scc0 .LBB188_6
; %bb.8:                                ;   in Loop: Header=BB188_7 Depth=1
	v_lshrrev_b32_e32 v0, 3, v156
	s_lshl_b32 s6, s20, 3
	s_delay_alu instid0(VALU_DEP_1) | instid1(SALU_CYCLE_1)
	v_add_nc_u32_e32 v0, s6, v0
	s_delay_alu instid0(VALU_DEP_1) | instskip(NEXT) | instid1(VALU_DEP_1)
	v_cmp_gt_i32_e64 s1, s8, v0
	s_and_b32 s24, s0, s1
	s_delay_alu instid0(SALU_CYCLE_1)
	s_and_saveexec_b32 s1, s24
	s_cbranch_execz .LBB188_10
; %bb.9:                                ;   in Loop: Header=BB188_7 Depth=1
	s_clause 0x1
	scratch_load_b32 v1, off, off offset:12
	scratch_load_b64 v[3:4], off, off offset:68
	s_waitcnt vmcnt(1)
	v_add_nc_u32_e32 v2, v1, v0
	s_waitcnt vmcnt(0)
	s_delay_alu instid0(VALU_DEP_1)
	v_mad_i64_i32 v[0:1], null, v2, 36, v[3:4]
	global_load_b32 v0, v[0:1], off offset:4
	scratch_load_b32 v1, off, off offset:76 ; 4-byte Folded Reload
	s_waitcnt vmcnt(0)
	ds_store_b32 v1, v0
.LBB188_10:                             ;   in Loop: Header=BB188_7 Depth=1
	s_or_b32 exec_lo, exec_lo, s1
	v_dual_mov_b32 v21, v20 :: v_dual_mov_b32 v20, v19
	v_dual_mov_b32 v19, v18 :: v_dual_mov_b32 v18, v17
	;; [unrolled: 1-line block ×10, first 2 shown]
	v_mov_b32_e32 v51, v31
	s_and_saveexec_b32 s24, vcc_lo
	s_cbranch_execz .LBB188_13
; %bb.11:                               ;   in Loop: Header=BB188_7 Depth=1
	v_or_b32_e32 v0, s6, v156
	s_delay_alu instid0(VALU_DEP_1) | instskip(NEXT) | instid1(VALU_DEP_1)
	v_cmp_gt_i32_e64 s1, s8, v0
	s_and_b32 s1, s0, s1
	s_delay_alu instid0(SALU_CYCLE_1)
	s_and_b32 exec_lo, exec_lo, s1
	s_cbranch_execz .LBB188_13
; %bb.12:                               ;   in Loop: Header=BB188_7 Depth=1
	scratch_load_b32 v1, off, off offset:12 ; 4-byte Folded Reload
	s_waitcnt vmcnt(0)
	v_add_nc_u32_e32 v2, v1, v0
	s_delay_alu instid0(VALU_DEP_1)
	v_mad_i64_i32 v[0:1], null, v2, 36, s[2:3]
	global_load_b32 v0, v[0:1], off
	scratch_load_b32 v1, off, off offset:84 ; 4-byte Folded Reload
	s_waitcnt vmcnt(1)
	v_cvt_f32_f16_e32 v0, v0
	s_waitcnt vmcnt(0)
	ds_store_b32 v1, v0
.LBB188_13:                             ;   in Loop: Header=BB188_7 Depth=1
	s_or_b32 exec_lo, exec_lo, s24
	s_waitcnt lgkmcnt(0)
	s_waitcnt_vscnt null, 0x0
	s_clause 0x1
	scratch_load_b32 v94, off, off offset:8
	scratch_load_b32 v95, off, off offset:4
	v_mov_b32_e32 v25, v156
	s_mov_b32 s1, 0
	s_mov_b32 s25, -2
	s_waitcnt vmcnt(0)
	s_barrier
	buffer_gl0_inv
.LBB188_14:                             ;   Parent Loop BB188_7 Depth=1
                                        ; =>  This Inner Loop Header: Depth=2
	ds_load_b32 v96, v94
	ds_load_b128 v[4:7], v95
	ds_load_b128 v[0:3], v95 offset:16
	s_and_b32 s26, s1, -16
	s_add_i32 s24, s25, 2
	v_add_nc_u32_e32 v97, s26, v75
	s_and_b32 s26, s24, 0x3ffffff8
	s_lshr_b32 s27, s24, 2
	s_lshl_b32 s26, s26, 2
	s_and_b32 s27, s27, 0x3ffffffc
	v_add_nc_u32_e32 v98, s26, v60
	v_add_nc_u32_e32 v100, s27, v62
	;; [unrolled: 1-line block ×8, first 2 shown]
	v_add3_u32 v106, v78, s25, v97
	v_add3_u32 v107, v77, s25, v97
	;; [unrolled: 1-line block ×4, first 2 shown]
	ds_load_2addr_b32 v[133:134], v98 offset1:1
	ds_load_2addr_b32 v[135:136], v98 offset0:2 offset1:3
	ds_load_2addr_b32 v[137:138], v98 offset0:4 offset1:5
	ds_load_2addr_b32 v[139:140], v98 offset0:6 offset1:7
	ds_load_2addr_b32 v[141:142], v101 offset0:2 offset1:3
	ds_load_2addr_b32 v[143:144], v101 offset0:4 offset1:5
	ds_load_2addr_b32 v[145:146], v101 offset0:6 offset1:7
	ds_load_b32 v97, v99
	ds_load_2addr_b32 v[147:148], v102 offset1:1
	ds_load_2addr_b32 v[149:150], v102 offset0:2 offset1:3
	ds_load_2addr_b32 v[151:152], v102 offset0:4 offset1:5
	;; [unrolled: 1-line block ×3, first 2 shown]
	ds_load_b32 v98, v103
	ds_load_2addr_b32 v[155:156], v104 offset1:1
	ds_load_2addr_b32 v[157:158], v104 offset0:2 offset1:3
	ds_load_2addr_b32 v[159:160], v104 offset0:4 offset1:5
	;; [unrolled: 1-line block ×3, first 2 shown]
	ds_load_b32 v99, v105
	ds_load_2addr_b32 v[163:164], v101 offset1:1
	ds_load_b32 v100, v100
	ds_load_u16 v165, v106 offset:16898
	ds_load_u16 v166, v107 offset:17922
	;; [unrolled: 1-line block ×4, first 2 shown]
	s_waitcnt lgkmcnt(25)
	v_bfe_i32 v129, v4, 0, 8
	v_bfe_i32 v126, v4, 8, 8
	;; [unrolled: 1-line block ×3, first 2 shown]
	v_ashrrev_i32_e32 v123, 24, v4
	v_bfe_i32 v4, v5, 0, 8
	v_bfe_i32 v121, v5, 8, 8
	;; [unrolled: 1-line block ×3, first 2 shown]
	v_ashrrev_i32_e32 v119, 24, v5
	s_waitcnt lgkmcnt(24)
	v_bfe_i32 v131, v0, 0, 8
	v_bfe_i32 v128, v0, 8, 8
	v_ashrrev_i32_e32 v125, 24, v0
	v_bfe_i32 v5, v1, 0, 8
	v_bfe_i32 v112, v1, 8, 8
	v_ashrrev_i32_e32 v109, 24, v1
	v_bfe_i32 v127, v6, 0, 8
	v_bfe_i32 v118, v6, 8, 8
	v_bfe_i32 v117, v6, 16, 8
	v_ashrrev_i32_e32 v116, 24, v6
	v_bfe_i32 v115, v7, 0, 8
	;; [unrolled: 4-line block ×4, first 2 shown]
	v_bfe_i32 v104, v3, 8, 8
	v_bfe_i32 v103, v3, 16, 8
	v_ashrrev_i32_e32 v102, 24, v3
	v_add_nc_u32_e32 v0, v109, v125
	v_add_nc_u32_e32 v3, v112, v128
	;; [unrolled: 1-line block ×7, first 2 shown]
	v_bfe_i32 v107, v2, 16, 8
	v_add3_u32 v2, v0, v106, v102
	v_add3_u32 v0, v3, v108, v104
	;; [unrolled: 1-line block ×7, first 2 shown]
	s_waitcnt lgkmcnt(23)
	v_ashrrev_i32_e32 v169, s24, v133
	v_ashrrev_i32_e32 v170, s24, v134
	s_waitcnt lgkmcnt(21)
	v_ashrrev_i32_e32 v137, s24, v137
	s_waitcnt lgkmcnt(20)
	;; [unrolled: 2-line block ×3, first 2 shown]
	v_ashrrev_i32_e32 v140, s24, v163
	v_ashrrev_i32_e32 v147, s24, v147
	;; [unrolled: 1-line block ×3, first 2 shown]
	v_bfe_i32 v110, v1, 16, 8
	v_ashrrev_i32_e32 v135, s24, v135
	v_ashrrev_i32_e32 v136, s24, v136
	;; [unrolled: 1-line block ×25, first 2 shown]
	s_waitcnt lgkmcnt(3)
	v_lshrrev_b16 v173, 8, v165
	v_bfe_u32 v174, v165, 4, 4
	s_waitcnt lgkmcnt(2)
	v_lshrrev_b16 v175, 8, v166
	v_bfe_u32 v176, v166, 4, 4
	;; [unrolled: 3-line block ×4, first 2 shown]
	v_and_b32_e32 v181, 3, v169
	v_and_b32_e32 v193, 3, v137
	v_and_b32_e32 v205, 3, v140
	v_and_b32_e32 v208, 3, v147
	v_and_b32_e32 v209, 3, v155
	v_add_nc_u32_e32 v1, v110, v124
	v_bfe_u32 v182, v169, 8, 2
	v_bfe_u32 v183, v169, 16, 2
	v_bfe_u32 v169, v169, 24, 2
	v_and_b32_e32 v184, 3, v170
	v_bfe_u32 v185, v170, 8, 2
	v_bfe_u32 v186, v170, 16, 2
	v_bfe_u32 v170, v170, 24, 2
	v_and_b32_e32 v187, 3, v135
	;; [unrolled: 4-line block ×3, first 2 shown]
	v_bfe_u32 v191, v136, 8, 2
	v_bfe_u32 v192, v136, 16, 2
	v_bfe_u32 v136, v136, 24, 2
	v_bfe_u32 v194, v137, 8, 2
	v_bfe_u32 v195, v137, 16, 2
	v_bfe_u32 v137, v137, 24, 2
	v_and_b32_e32 v196, 3, v138
	v_bfe_u32 v197, v138, 8, 2
	v_bfe_u32 v198, v138, 16, 2
	v_bfe_u32 v138, v138, 24, 2
	v_and_b32_e32 v199, 3, v139
	v_bfe_u32 v200, v139, 8, 2
	v_bfe_u32 v201, v139, 16, 2
	v_bfe_u32 v139, v139, 24, 2
	;; [unrolled: 4-line block ×3, first 2 shown]
	v_bfe_u32 v207, v140, 16, 2
	v_bfe_u32 v140, v140, 24, 2
	v_and_b32_e32 v210, 3, v163
	v_and_b32_e32 v211, 3, v148
	v_and_b32_e32 v212, 3, v156
	v_and_b32_e32 v213, 3, v143
	v_and_b32_e32 v214, 3, v151
	v_and_b32_e32 v215, 3, v159
	v_and_b32_e32 v216, 3, v144
	v_and_b32_e32 v217, 3, v152
	v_and_b32_e32 v218, 3, v160
	v_bfe_u32 v219, v163, 8, 2
	v_bfe_u32 v220, v163, 16, 2
	;; [unrolled: 1-line block ×3, first 2 shown]
	v_and_b32_e32 v221, 3, v141
	v_bfe_u32 v222, v141, 8, 2
	v_bfe_u32 v223, v141, 16, 2
	;; [unrolled: 1-line block ×3, first 2 shown]
	v_and_b32_e32 v224, 3, v142
	v_bfe_u32 v225, v143, 8, 2
	v_and_b32_e32 v226, 3, v145
	v_bfe_u32 v227, v147, 8, 2
	;; [unrolled: 2-line block ×6, first 2 shown]
	v_bfe_u32 v236, v142, 16, 2
	v_bfe_u32 v142, v142, 24, 2
	;; [unrolled: 1-line block ×10, first 2 shown]
	v_and_b32_e32 v242, 3, v146
	v_bfe_u32 v243, v146, 8, 2
	v_bfe_u32 v244, v147, 16, 2
	v_bfe_u32 v147, v147, 24, 2
	v_bfe_u32 v245, v146, 16, 2
	v_bfe_u32 v246, v151, 16, 2
	v_bfe_u32 v151, v151, 24, 2
	v_bfe_u32 v247, v148, 8, 2
	v_bfe_u32 v248, v155, 16, 2
	v_bfe_u32 v249, v148, 16, 2
	v_bfe_u32 v148, v148, 24, 2
	v_bfe_u32 v155, v155, 24, 2
	v_bfe_u32 v250, v149, 8, 2
	v_bfe_u32 v251, v149, 16, 2
	v_bfe_u32 v149, v149, 24, 2
	v_bfe_u32 v252, v159, 16, 2
	v_and_b32_e32 v253, 3, v150
	v_bfe_u32 v159, v159, 24, 2
	v_bfe_u32 v254, v150, 8, 2
	;; [unrolled: 1-line block ×14, first 2 shown]
	v_and_b32_e32 v46, 3, v158
	v_bfe_u32 v66, v153, 16, 2
	v_bfe_u32 v79, v158, 8, 2
	v_bfe_u32 v153, v153, 24, 2
	v_bfe_u32 v80, v158, 16, 2
	v_bfe_u32 v158, v158, 24, 2
	v_bfe_u32 v31, v160, 8, 2
	v_and_b32_e32 v32, 3, v154
	v_bfe_u32 v33, v160, 16, 2
	v_bfe_u32 v160, v160, 24, 2
	v_bfe_u32 v34, v161, 8, 2
	v_bfe_u32 v35, v154, 8, 2
	v_bfe_u32 v36, v161, 16, 2
	v_bfe_u32 v161, v161, 24, 2
	;; [unrolled: 7-line block ×3, first 2 shown]
	v_bfe_u32 v162, v162, 24, 2
	v_mul_lo_u32 v41, 0x1010101, v174
	v_and_b32_e32 v173, 0xffff, v173
	v_mul_lo_u32 v42, 0x1010101, v176
	v_and_b32_e32 v175, 0xffff, v175
	;; [unrolled: 2-line block ×3, first 2 shown]
	v_and_b32_e32 v179, 0xffff, v179
	v_mul_lo_u32 v44, 0x1010101, v180
	v_mul_i32_i24_e32 v174, v174, v132
	v_mul_i32_i24_e32 v176, v176, v132
	;; [unrolled: 1-line block ×9, first 2 shown]
	v_add3_u32 v1, v1, v107, v103
	v_mul_i32_i24_e32 v208, v213, v131
	v_mul_i32_i24_e32 v209, v214, v131
	;; [unrolled: 1-line block ×91, first 2 shown]
	v_lshrrev_b32_e32 v154, 4, v173
	v_lshrrev_b32_e32 v162, 4, v175
	;; [unrolled: 1-line block ×4, first 2 shown]
	v_mul_i32_i24_e32 v182, v182, v126
	v_mul_i32_i24_e32 v187, v187, v127
	;; [unrolled: 1-line block ×16, first 2 shown]
	v_lshrrev_b32_e32 v204, 24, v41
	v_bfe_i32 v224, v41, 16, 8
	v_lshrrev_b32_e32 v231, 24, v42
	v_bfe_i32 v232, v42, 16, 8
	v_lshrrev_b32_e32 v233, 24, v43
	v_bfe_i32 v234, v43, 16, 8
	v_lshrrev_b32_e32 v235, 24, v44
	v_bfe_i32 v236, v44, 16, 8
	v_bfe_i32 v41, v41, 8, 8
	v_bfe_i32 v42, v42, 8, 8
	;; [unrolled: 1-line block ×4, first 2 shown]
	v_mad_i32_i24 v180, v184, v4, v180
	v_mad_i32_i24 v181, v210, v4, v181
	;; [unrolled: 1-line block ×12, first 2 shown]
	v_mul_lo_u32 v132, 0x1010101, v154
	v_mul_lo_u32 v154, 0x1010101, v162
	;; [unrolled: 1-line block ×4, first 2 shown]
	v_mul_i32_i24_e32 v183, v183, v122
	v_mul_i32_i24_e32 v195, v195, v124
	;; [unrolled: 1-line block ×15, first 2 shown]
	v_add3_u32 v44, v180, v187, v182
	v_add3_u32 v129, v129, v199, v194
	;; [unrolled: 1-line block ×3, first 2 shown]
	v_mul_i32_i24_e32 v228, v237, v124
	v_mul_i32_i24_e32 v229, v244, v122
	;; [unrolled: 1-line block ×5, first 2 shown]
	v_add3_u32 v181, v193, v215, v214
	v_add3_u32 v182, v184, v225, v221
	;; [unrolled: 1-line block ×9, first 2 shown]
	v_lshrrev_b32_e32 v101, 24, v132
	v_lshrrev_b32_e32 v131, 24, v154
	;; [unrolled: 1-line block ×4, first 2 shown]
	v_add3_u32 v44, v44, v183, v169
	v_add3_u32 v129, v129, v195, v137
	;; [unrolled: 1-line block ×3, first 2 shown]
	v_bfe_i32 v7, v132, 16, 8
	v_bfe_i32 v130, v154, 16, 8
	;; [unrolled: 1-line block ×8, first 2 shown]
	v_add3_u32 v140, v181, v228, v143
	v_add3_u32 v143, v182, v229, v147
	v_add3_u32 v147, v184, v230, v151
	v_add3_u32 v4, v4, v122, v123
	v_add3_u32 v5, v5, v124, v125
	v_mul_i32_i24_e32 v101, v2, v101
	v_mul_i32_i24_e32 v122, v2, v131
	;; [unrolled: 1-line block ×4, first 2 shown]
	v_add3_u32 v44, v44, v149, v155
	v_add3_u32 v129, v129, v153, v150
	;; [unrolled: 1-line block ×3, first 2 shown]
	v_mul_i32_i24_e32 v7, v1, v7
	v_mul_i32_i24_e32 v124, v1, v130
	;; [unrolled: 1-line block ×8, first 2 shown]
	v_add3_u32 v32, v147, v32, v72
	v_add3_u32 v5, v5, v37, v31
	;; [unrolled: 1-line block ×23, first 2 shown]
	v_cvt_f32_i32_e32 v32, v33
	v_cvt_f32_i32_e32 v33, v0
	v_add3_u32 v0, v1, v117, v115
	v_add3_u32 v1, v2, v107, v105
	;; [unrolled: 1-line block ×8, first 2 shown]
	v_and_b32_e32 v165, 15, v165
	v_and_b32_e32 v166, 15, v166
	v_add3_u32 v5, v5, v34, v36
	v_add3_u32 v0, v0, v114, v113
	;; [unrolled: 1-line block ×7, first 2 shown]
	v_mul_lo_u32 v0, v0, v165
	v_mul_lo_u32 v1, v1, v166
	v_and_b32_e32 v167, 15, v167
	v_and_b32_e32 v168, 15, v168
	v_add3_u32 v27, v27, v145, v35
	v_add3_u32 v35, v3, v201, v134
	;; [unrolled: 1-line block ×4, first 2 shown]
	v_and_b32_e32 v173, 15, v173
	v_add3_u32 v5, v5, v106, v38
	v_and_b32_e32 v175, 15, v175
	v_mul_lo_u32 v2, v2, v167
	v_mul_lo_u32 v3, v3, v168
	v_and_b32_e32 v177, 15, v177
	v_add3_u32 v36, v5, v40, v102
	v_mad_u64_u32 v[4:5], null, v34, v173, v[0:1]
	v_add3_u32 v27, v27, v39, v146
	v_and_b32_e32 v179, 15, v179
	v_lshrrev_b32_e32 v133, 16, v100
	v_lshrrev_b32_e32 v164, 16, v97
	;; [unrolled: 1-line block ×4, first 2 shown]
	v_mad_u64_u32 v[5:6], null, v35, v175, v[1:2]
	v_mad_u64_u32 v[0:1], null, v27, v177, v[2:3]
	;; [unrolled: 1-line block ×3, first 2 shown]
	v_cvt_f32_f16_e64 v133, v133
	v_cvt_f32_f16_e64 v164, v164
	;; [unrolled: 1-line block ×4, first 2 shown]
	v_cvt_f32_i32_e32 v7, v7
	v_cvt_f32_i32_e32 v31, v31
	v_cvt_f32_i32_e32 v4, v4
	v_mul_f32_e32 v6, v171, v32
	v_cvt_f32_i32_e32 v5, v5
	v_mul_f32_e32 v2, v133, v7
	v_mul_f32_e32 v3, v164, v31
	;; [unrolled: 1-line block ×3, first 2 shown]
	v_cvt_f32_i32_e32 v0, v0
	v_cvt_f32_i32_e32 v1, v1
	v_fma_mix_f32 v2, v100, v4, -v2 op_sel_hi:[1,0,0]
	v_fma_mix_f32 v3, v97, v5, -v3 op_sel_hi:[1,0,0]
	v_add_nc_u32_e32 v95, 32, v95
	v_fma_mix_f32 v0, v98, v0, -v6 op_sel_hi:[1,0,0]
	v_fma_mix_f32 v1, v99, v1, -v7 op_sel_hi:[1,0,0]
	s_delay_alu instid0(VALU_DEP_4) | instskip(SKIP_1) | instid1(VALU_DEP_4)
	v_dual_fmac_f32 v61, v96, v3 :: v_dual_add_nc_u32 v94, 4, v94
	v_fmac_f32_e32 v29, v96, v2
	v_fmac_f32_e32 v58, v96, v0
	s_delay_alu instid0(VALU_DEP_4)
	v_fmac_f32_e32 v24, v96, v1
	s_add_i32 s1, s1, 2
	s_cmp_lt_u32 s24, 6
	s_mov_b32 s25, s24
	s_cbranch_scc1 .LBB188_14
; %bb.15:                               ;   in Loop: Header=BB188_7 Depth=1
	s_or_b32 s1, s23, 0x80
	s_delay_alu instid0(SALU_CYCLE_1)
	s_cmp_ge_i32 s1, s5
	s_barrier
	buffer_gl0_inv
	s_cbranch_scc1 .LBB188_4
; %bb.16:                               ;   in Loop: Header=BB188_7 Depth=1
	scratch_load_b32 v0, off, off offset:80 ; 4-byte Folded Reload
	s_waitcnt vmcnt(0)
	v_add_nc_u32_e32 v0, s6, v0
	s_delay_alu instid0(VALU_DEP_1) | instskip(NEXT) | instid1(VALU_DEP_1)
	v_cmp_gt_i32_e64 s1, s8, v0
	s_and_b32 s24, s0, s1
	s_mov_b32 s1, exec_lo
	v_mov_b32_e32 v156, v25
	s_and_b32 s24, s1, s24
	s_delay_alu instid0(SALU_CYCLE_1)
	s_mov_b32 exec_lo, s24
	s_cbranch_execz .LBB188_18
; %bb.17:                               ;   in Loop: Header=BB188_7 Depth=1
	s_clause 0x1
	scratch_load_b32 v1, off, off offset:12
	scratch_load_b64 v[3:4], off, off offset:68
	s_waitcnt vmcnt(1)
	v_add_nc_u32_e32 v2, v1, v0
	s_waitcnt vmcnt(0)
	s_delay_alu instid0(VALU_DEP_1)
	v_mad_i64_i32 v[0:1], null, v2, 36, v[3:4]
	global_load_b32 v0, v[0:1], off offset:4
	scratch_load_b32 v1, off, off offset:76 ; 4-byte Folded Reload
	s_waitcnt vmcnt(0)
	ds_store_b32 v1, v0
.LBB188_18:                             ;   in Loop: Header=BB188_7 Depth=1
	s_or_b32 exec_lo, exec_lo, s1
	s_and_saveexec_b32 s24, vcc_lo
	s_cbranch_execz .LBB188_21
; %bb.19:                               ;   in Loop: Header=BB188_7 Depth=1
	v_or_b32_e32 v0, s6, v156
	s_delay_alu instid0(VALU_DEP_1) | instskip(NEXT) | instid1(VALU_DEP_1)
	v_or_b32_e32 v1, 4, v0
	v_cmp_gt_i32_e64 s1, s8, v1
	s_delay_alu instid0(VALU_DEP_1) | instskip(NEXT) | instid1(SALU_CYCLE_1)
	s_and_b32 s1, s0, s1
	s_and_b32 exec_lo, exec_lo, s1
	s_cbranch_execz .LBB188_21
; %bb.20:                               ;   in Loop: Header=BB188_7 Depth=1
	scratch_load_b32 v2, off, off offset:12 ; 4-byte Folded Reload
	v_ashrrev_i32_e32 v1, 31, v0
	s_waitcnt vmcnt(0)
	v_add_co_u32 v2, s1, v2, v0
	scratch_load_b32 v0, off, off offset:92 ; 4-byte Folded Reload
	s_waitcnt vmcnt(0)
	v_add_co_ci_u32_e64 v3, s1, v0, v1, s1
	v_mad_u64_u32 v[0:1], null, v2, 36, s[14:15]
	s_delay_alu instid0(VALU_DEP_1)
	v_mad_i32_i24 v1, v3, 36, v1
	global_load_b32 v0, v[0:1], off
	scratch_load_b32 v1, off, off offset:84 ; 4-byte Folded Reload
	s_waitcnt vmcnt(1)
	v_cvt_f32_f16_e32 v0, v0
	s_waitcnt vmcnt(0)
	ds_store_b32 v1, v0
.LBB188_21:                             ;   in Loop: Header=BB188_7 Depth=1
	s_or_b32 exec_lo, exec_lo, s24
	s_waitcnt lgkmcnt(0)
	s_clause 0x1
	scratch_load_b32 v4, off, off offset:4
	scratch_load_b32 v5, off, off offset:8
	s_mov_b32 s1, 8
	s_mov_b32 s24, 0
	s_waitcnt vmcnt(0)
	s_barrier
	buffer_gl0_inv
.LBB188_22:                             ;   Parent Loop BB188_7 Depth=1
                                        ; =>  This Inner Loop Header: Depth=2
	ds_load_b128 v[0:3], v4
	ds_load_b128 v[122:125], v4 offset:16
	s_add_i32 s25, s24, 8
	s_and_b32 s28, s1, -16
	s_and_b32 s26, s25, 0x3ffffff8
	s_lshr_b32 s27, s25, 2
	s_lshl_b32 s26, s26, 2
	s_and_b32 s27, s27, 0x3ffffffc
	v_add_nc_u32_e32 v4, 32, v4
	v_add_nc_u32_e32 v37, s27, v64
	s_add_i32 s1, s1, 2
	s_waitcnt lgkmcnt(1)
	v_bfe_i32 v120, v2, 0, 8
	v_bfe_i32 v101, v2, 8, 8
	v_bfe_i32 v100, v2, 16, 8
	v_ashrrev_i32_e32 v96, 24, v2
	v_add_nc_u32_e32 v2, s26, v60
	v_bfe_i32 v118, v0, 0, 8
	v_bfe_i32 v111, v0, 8, 8
	v_bfe_i32 v117, v0, 16, 8
	v_ashrrev_i32_e32 v116, 24, v0
	v_bfe_i32 v119, v1, 0, 8
	v_bfe_i32 v112, v1, 8, 8
	v_bfe_i32 v105, v1, 16, 8
	v_ashrrev_i32_e32 v104, 24, v1
	;; [unrolled: 4-line block ×3, first 2 shown]
	s_waitcnt lgkmcnt(0)
	v_bfe_i32 v121, v122, 0, 8
	v_bfe_i32 v106, v122, 8, 8
	v_bfe_i32 v107, v122, 16, 8
	v_ashrrev_i32_e32 v113, 24, v122
	v_bfe_i32 v122, v123, 0, 8
	v_bfe_i32 v108, v123, 8, 8
	v_bfe_i32 v109, v123, 16, 8
	v_ashrrev_i32_e32 v110, 24, v123
	;; [unrolled: 4-line block ×4, first 2 shown]
	ds_load_2addr_b32 v[124:125], v2 offset1:1
	ds_load_2addr_b32 v[0:1], v2 offset0:2 offset1:3
	ds_load_2addr_b32 v[129:130], v2 offset0:4 offset1:5
	;; [unrolled: 1-line block ×3, first 2 shown]
	s_waitcnt lgkmcnt(3)
	v_ashrrev_i32_e32 v126, s24, v124
	v_ashrrev_i32_e32 v124, s24, v125
	s_waitcnt lgkmcnt(2)
	v_ashrrev_i32_e32 v0, s24, v0
	s_waitcnt lgkmcnt(1)
	v_ashrrev_i32_e32 v127, s24, v129
	v_ashrrev_i32_e32 v125, s24, v130
	v_and_b32_e32 v27, 3, v126
	v_and_b32_e32 v31, 3, v124
	v_and_b32_e32 v32, 3, v0
	s_waitcnt lgkmcnt(0)
	v_ashrrev_i32_e32 v2, s24, v2
	v_ashrrev_i32_e32 v1, s24, v1
	v_mul_i32_i24_e32 v27, v27, v118
	v_ashrrev_i32_e32 v3, s24, v3
	v_mul_i32_i24_e32 v32, v32, v120
	s_delay_alu instid0(VALU_DEP_3) | instskip(SKIP_1) | instid1(VALU_DEP_1)
	v_mad_i32_i24 v27, v31, v119, v27
	v_bfe_u32 v31, v126, 8, 2
	v_mul_i32_i24_e32 v31, v31, v111
	s_delay_alu instid0(VALU_DEP_1) | instskip(SKIP_3) | instid1(VALU_DEP_3)
	v_add3_u32 v128, v27, v32, v31
	v_and_b32_e32 v27, 3, v127
	v_and_b32_e32 v31, 3, v125
	v_and_b32_e32 v32, 3, v2
	v_mul_i32_i24_e32 v27, v27, v121
	s_delay_alu instid0(VALU_DEP_2) | instskip(NEXT) | instid1(VALU_DEP_2)
	v_mul_i32_i24_e32 v32, v32, v123
	v_mad_i32_i24 v27, v31, v122, v27
	v_bfe_u32 v31, v127, 8, 2
	s_delay_alu instid0(VALU_DEP_1) | instskip(NEXT) | instid1(VALU_DEP_1)
	v_mul_i32_i24_e32 v31, v31, v106
	v_add3_u32 v129, v27, v32, v31
	v_add_nc_u32_e32 v27, s26, v63
	v_add_nc_u32_e32 v31, s27, v62
	ds_load_2addr_b32 v[131:132], v27 offset0:2 offset1:3
	ds_load_b32 v130, v31
	ds_load_2addr_b32 v[133:134], v27 offset1:1
	s_waitcnt lgkmcnt(2)
	v_ashrrev_i32_e32 v35, s24, v131
	s_waitcnt lgkmcnt(0)
	v_ashrrev_i32_e32 v31, s24, v133
	v_ashrrev_i32_e32 v32, s24, v134
	s_delay_alu instid0(VALU_DEP_3) | instskip(NEXT) | instid1(VALU_DEP_3)
	v_and_b32_e32 v36, 3, v35
	v_and_b32_e32 v33, 3, v31
	s_delay_alu instid0(VALU_DEP_3) | instskip(NEXT) | instid1(VALU_DEP_3)
	v_and_b32_e32 v34, 3, v32
	v_mul_i32_i24_e32 v36, v36, v120
	s_delay_alu instid0(VALU_DEP_3) | instskip(NEXT) | instid1(VALU_DEP_1)
	v_mul_i32_i24_e32 v33, v33, v118
	v_mad_i32_i24 v33, v34, v119, v33
	v_bfe_u32 v34, v31, 8, 2
	s_delay_alu instid0(VALU_DEP_1) | instskip(NEXT) | instid1(VALU_DEP_1)
	v_mul_i32_i24_e32 v34, v34, v111
	v_add3_u32 v33, v33, v36, v34
	v_add_nc_u32_e32 v34, s24, v75
	s_delay_alu instid0(VALU_DEP_1)
	v_add3_u32 v36, v83, s28, v34
	ds_load_u16 v36, v36
	ds_load_b32 v37, v37
	ds_load_2addr_b32 v[133:134], v27 offset0:4 offset1:5
	ds_load_2addr_b32 v[135:136], v27 offset0:6 offset1:7
	s_waitcnt lgkmcnt(1)
	v_ashrrev_i32_e32 v27, s24, v133
	v_ashrrev_i32_e32 v38, s24, v134
	s_waitcnt lgkmcnt(0)
	v_ashrrev_i32_e32 v41, s24, v135
	s_delay_alu instid0(VALU_DEP_3) | instskip(NEXT) | instid1(VALU_DEP_3)
	v_and_b32_e32 v39, 3, v27
	v_and_b32_e32 v40, 3, v38
	s_delay_alu instid0(VALU_DEP_3) | instskip(NEXT) | instid1(VALU_DEP_3)
	v_and_b32_e32 v42, 3, v41
	v_mul_i32_i24_e32 v39, v39, v121
	s_delay_alu instid0(VALU_DEP_2) | instskip(NEXT) | instid1(VALU_DEP_2)
	v_mul_i32_i24_e32 v42, v42, v123
	v_mad_i32_i24 v39, v40, v122, v39
	v_bfe_u32 v40, v27, 8, 2
	s_delay_alu instid0(VALU_DEP_1) | instskip(NEXT) | instid1(VALU_DEP_1)
	v_mul_i32_i24_e32 v40, v40, v106
	v_add3_u32 v39, v39, v42, v40
	v_add_nc_u32_e32 v40, s26, v65
	ds_load_2addr_b32 v[133:134], v40 offset1:1
	ds_load_2addr_b32 v[137:138], v40 offset0:2 offset1:3
	ds_load_2addr_b32 v[139:140], v40 offset0:4 offset1:5
	;; [unrolled: 1-line block ×3, first 2 shown]
	s_waitcnt lgkmcnt(3)
	v_ashrrev_i32_e32 v40, s24, v133
	v_ashrrev_i32_e32 v42, s24, v134
	s_waitcnt lgkmcnt(2)
	v_ashrrev_i32_e32 v46, s24, v137
	s_waitcnt lgkmcnt(0)
	v_ashrrev_i32_e32 v70, s24, v141
	v_and_b32_e32 v43, 3, v40
	v_and_b32_e32 v44, 3, v42
	;; [unrolled: 1-line block ×3, first 2 shown]
	s_delay_alu instid0(VALU_DEP_4) | instskip(NEXT) | instid1(VALU_DEP_4)
	v_and_b32_e32 v71, 3, v70
	v_mul_i32_i24_e32 v43, v43, v118
	s_delay_alu instid0(VALU_DEP_3) | instskip(NEXT) | instid1(VALU_DEP_3)
	v_mul_i32_i24_e32 v57, v57, v120
	v_mul_i32_i24_e32 v71, v71, v123
	s_delay_alu instid0(VALU_DEP_3) | instskip(SKIP_1) | instid1(VALU_DEP_1)
	v_mad_i32_i24 v43, v44, v119, v43
	v_bfe_u32 v44, v40, 8, 2
	v_mul_i32_i24_e32 v44, v44, v111
	s_delay_alu instid0(VALU_DEP_1) | instskip(SKIP_2) | instid1(VALU_DEP_2)
	v_add3_u32 v43, v43, v57, v44
	v_ashrrev_i32_e32 v44, s24, v139
	v_ashrrev_i32_e32 v57, s24, v140
	v_and_b32_e32 v59, 3, v44
	s_delay_alu instid0(VALU_DEP_2) | instskip(NEXT) | instid1(VALU_DEP_2)
	v_and_b32_e32 v66, 3, v57
	v_mul_i32_i24_e32 v59, v59, v121
	s_delay_alu instid0(VALU_DEP_1) | instskip(SKIP_1) | instid1(VALU_DEP_1)
	v_mad_i32_i24 v59, v66, v122, v59
	v_bfe_u32 v66, v44, 8, 2
	v_mul_i32_i24_e32 v66, v66, v106
	s_delay_alu instid0(VALU_DEP_1)
	v_add3_u32 v59, v59, v71, v66
	v_add_nc_u32_e32 v66, s26, v68
	v_add_nc_u32_e32 v71, s27, v67
	ds_load_2addr_b32 v[133:134], v66 offset0:2 offset1:3
	ds_load_b32 v71, v71
	ds_load_2addr_b32 v[139:140], v66 offset1:1
	s_waitcnt lgkmcnt(2)
	v_ashrrev_i32_e32 v131, s24, v133
	s_waitcnt lgkmcnt(0)
	v_ashrrev_i32_e32 v72, s24, v139
	v_ashrrev_i32_e32 v73, s24, v140
	s_delay_alu instid0(VALU_DEP_3) | instskip(NEXT) | instid1(VALU_DEP_3)
	v_and_b32_e32 v133, 3, v131
	v_and_b32_e32 v79, 3, v72
	s_delay_alu instid0(VALU_DEP_3) | instskip(NEXT) | instid1(VALU_DEP_3)
	v_and_b32_e32 v80, 3, v73
	v_mul_i32_i24_e32 v133, v133, v120
	s_delay_alu instid0(VALU_DEP_3) | instskip(SKIP_1) | instid1(VALU_DEP_2)
	v_mul_i32_i24_e32 v79, v79, v118
	v_add_nc_u32_e32 v118, v119, v118
	v_mad_i32_i24 v79, v80, v119, v79
	v_bfe_u32 v80, v72, 8, 2
	s_delay_alu instid0(VALU_DEP_3) | instskip(SKIP_1) | instid1(VALU_DEP_3)
	v_add3_u32 v118, v118, v120, v114
	v_add3_u32 v120, v84, s28, v34
	v_mul_i32_i24_e32 v80, v80, v111
	v_add_nc_u32_e32 v111, v112, v111
	s_delay_alu instid0(VALU_DEP_2)
	v_add3_u32 v79, v79, v133, v80
	v_add3_u32 v80, v81, s28, v34
	v_add_nc_u32_e32 v133, s27, v69
	v_add3_u32 v34, v82, s28, v34
	v_add3_u32 v111, v111, v101, v97
	ds_load_u16 v80, v80
	ds_load_b32 v133, v133
	ds_load_2addr_b32 v[139:140], v66 offset0:4 offset1:5
	ds_load_2addr_b32 v[143:144], v66 offset0:6 offset1:7
	ds_load_u16 v120, v120
	ds_load_u16 v34, v34
	s_waitcnt lgkmcnt(3)
	v_ashrrev_i32_e32 v66, s24, v139
	v_ashrrev_i32_e32 v135, s24, v140
	s_waitcnt lgkmcnt(2)
	v_ashrrev_i32_e32 v140, s24, v143
	s_delay_alu instid0(VALU_DEP_3) | instskip(NEXT) | instid1(VALU_DEP_3)
	v_and_b32_e32 v137, 3, v66
	v_and_b32_e32 v139, 3, v135
	s_delay_alu instid0(VALU_DEP_3) | instskip(NEXT) | instid1(VALU_DEP_3)
	v_and_b32_e32 v141, 3, v140
	v_mul_i32_i24_e32 v137, v137, v121
	v_add_nc_u32_e32 v121, v122, v121
	s_delay_alu instid0(VALU_DEP_3) | instskip(NEXT) | instid1(VALU_DEP_3)
	v_mul_i32_i24_e32 v141, v141, v123
	v_mad_i32_i24 v137, v139, v122, v137
	v_bfe_u32 v139, v66, 8, 2
	s_delay_alu instid0(VALU_DEP_4)
	v_add3_u32 v119, v121, v123, v115
	s_waitcnt lgkmcnt(1)
	v_lshrrev_b16 v123, 8, v120
	v_add_nc_u32_e32 v121, v104, v116
	v_add_nc_u32_e32 v122, v105, v117
	v_mul_i32_i24_e32 v139, v139, v106
	s_delay_alu instid0(VALU_DEP_4) | instskip(NEXT) | instid1(VALU_DEP_4)
	v_and_b32_e32 v123, 0xffff, v123
	v_add3_u32 v121, v121, v96, v6
	s_delay_alu instid0(VALU_DEP_4) | instskip(NEXT) | instid1(VALU_DEP_4)
	v_add3_u32 v122, v122, v100, v7
	v_add3_u32 v137, v137, v141, v139
	v_bfe_u32 v139, v120, 4, 4
	v_lshrrev_b32_e32 v143, 4, v123
	s_delay_alu instid0(VALU_DEP_2) | instskip(SKIP_1) | instid1(VALU_DEP_1)
	v_mul_lo_u32 v141, 0x1010101, v139
	v_mul_i32_i24_e32 v139, v139, v118
	v_mad_i32_i24 v139, v143, v119, v139
	s_delay_alu instid0(VALU_DEP_3) | instskip(SKIP_1) | instid1(VALU_DEP_2)
	v_lshrrev_b32_e32 v145, 24, v141
	v_bfe_i32 v146, v141, 16, 8
	v_mul_i32_i24_e32 v145, v121, v145
	s_delay_alu instid0(VALU_DEP_2) | instskip(NEXT) | instid1(VALU_DEP_1)
	v_mul_i32_i24_e32 v146, v122, v146
	v_add3_u32 v139, v139, v145, v146
	s_waitcnt lgkmcnt(0)
	v_bfe_u32 v146, v34, 4, 4
	v_lshrrev_b16 v145, 8, v34
	s_delay_alu instid0(VALU_DEP_2) | instskip(NEXT) | instid1(VALU_DEP_2)
	v_mul_lo_u32 v147, 0x1010101, v146
	v_and_b32_e32 v145, 0xffff, v145
	v_mul_i32_i24_e32 v146, v146, v118
	s_delay_alu instid0(VALU_DEP_2) | instskip(NEXT) | instid1(VALU_DEP_4)
	v_lshrrev_b32_e32 v148, 4, v145
	v_lshrrev_b32_e32 v149, 24, v147
	v_bfe_i32 v150, v147, 16, 8
	s_delay_alu instid0(VALU_DEP_3) | instskip(NEXT) | instid1(VALU_DEP_3)
	v_mad_i32_i24 v146, v148, v119, v146
	v_mul_i32_i24_e32 v149, v121, v149
	s_delay_alu instid0(VALU_DEP_3) | instskip(NEXT) | instid1(VALU_DEP_1)
	v_mul_i32_i24_e32 v150, v122, v150
	v_add3_u32 v146, v146, v149, v150
	v_bfe_u32 v150, v36, 4, 4
	v_lshrrev_b16 v149, 8, v36
	s_delay_alu instid0(VALU_DEP_2) | instskip(NEXT) | instid1(VALU_DEP_2)
	v_mul_lo_u32 v151, 0x1010101, v150
	v_and_b32_e32 v149, 0xffff, v149
	v_mul_i32_i24_e32 v150, v150, v118
	s_delay_alu instid0(VALU_DEP_2) | instskip(NEXT) | instid1(VALU_DEP_4)
	v_lshrrev_b32_e32 v152, 4, v149
	v_lshrrev_b32_e32 v153, 24, v151
	v_bfe_i32 v154, v151, 16, 8
	s_delay_alu instid0(VALU_DEP_3) | instskip(NEXT) | instid1(VALU_DEP_3)
	v_mad_i32_i24 v150, v152, v119, v150
	v_mul_i32_i24_e32 v153, v121, v153
	s_delay_alu instid0(VALU_DEP_3) | instskip(NEXT) | instid1(VALU_DEP_1)
	v_mul_i32_i24_e32 v154, v122, v154
	v_add3_u32 v150, v150, v153, v154
	v_lshrrev_b16 v153, 8, v80
	v_bfe_u32 v154, v80, 4, 4
	s_delay_alu instid0(VALU_DEP_2) | instskip(NEXT) | instid1(VALU_DEP_2)
	v_and_b32_e32 v153, 0xffff, v153
	v_mul_i32_i24_e32 v118, v154, v118
	s_delay_alu instid0(VALU_DEP_2) | instskip(NEXT) | instid1(VALU_DEP_1)
	v_lshrrev_b32_e32 v155, 4, v153
	v_mad_i32_i24 v118, v155, v119, v118
	v_mul_lo_u32 v119, 0x1010101, v154
	s_delay_alu instid0(VALU_DEP_1) | instskip(NEXT) | instid1(VALU_DEP_1)
	v_lshrrev_b32_e32 v154, 24, v119
	v_mul_i32_i24_e32 v121, v121, v154
	v_bfe_i32 v154, v119, 16, 8
	v_bfe_i32 v119, v119, 8, 8
	s_delay_alu instid0(VALU_DEP_2) | instskip(NEXT) | instid1(VALU_DEP_1)
	v_mul_i32_i24_e32 v122, v122, v154
	v_add3_u32 v118, v118, v121, v122
	v_bfe_u32 v121, v126, 16, 2
	v_bfe_u32 v122, v126, 24, 2
	;; [unrolled: 1-line block ×3, first 2 shown]
	s_delay_alu instid0(VALU_DEP_3) | instskip(NEXT) | instid1(VALU_DEP_3)
	v_mul_i32_i24_e32 v121, v121, v117
	v_mul_i32_i24_e32 v122, v122, v116
	s_delay_alu instid0(VALU_DEP_3) | instskip(NEXT) | instid1(VALU_DEP_2)
	v_mul_i32_i24_e32 v126, v126, v113
	v_add3_u32 v121, v128, v121, v122
	v_bfe_u32 v122, v127, 16, 2
	v_mul_lo_u32 v127, 0x1010101, v152
	s_delay_alu instid0(VALU_DEP_2) | instskip(NEXT) | instid1(VALU_DEP_2)
	v_mul_i32_i24_e32 v122, v122, v107
	v_lshrrev_b32_e32 v128, 24, v127
	s_delay_alu instid0(VALU_DEP_2) | instskip(SKIP_2) | instid1(VALU_DEP_2)
	v_add3_u32 v122, v129, v122, v126
	v_bfe_u32 v126, v31, 16, 2
	v_bfe_u32 v31, v31, 24, 2
	v_mul_i32_i24_e32 v126, v126, v117
	s_delay_alu instid0(VALU_DEP_2) | instskip(NEXT) | instid1(VALU_DEP_1)
	v_mul_i32_i24_e32 v31, v31, v116
	v_add3_u32 v31, v33, v126, v31
	v_bfe_u32 v33, v27, 16, 2
	v_bfe_u32 v27, v27, 24, 2
	s_delay_alu instid0(VALU_DEP_2) | instskip(NEXT) | instid1(VALU_DEP_2)
	v_mul_i32_i24_e32 v33, v33, v107
	v_mul_i32_i24_e32 v27, v27, v113
	s_delay_alu instid0(VALU_DEP_1) | instskip(SKIP_3) | instid1(VALU_DEP_3)
	v_add3_u32 v27, v39, v33, v27
	v_bfe_u32 v33, v40, 16, 2
	v_bfe_u32 v39, v40, 24, 2
	;; [unrolled: 1-line block ×3, first 2 shown]
	v_mul_i32_i24_e32 v33, v33, v117
	s_delay_alu instid0(VALU_DEP_3) | instskip(NEXT) | instid1(VALU_DEP_3)
	v_mul_i32_i24_e32 v39, v39, v116
	v_mul_i32_i24_e32 v40, v40, v113
	s_delay_alu instid0(VALU_DEP_2) | instskip(SKIP_3) | instid1(VALU_DEP_3)
	v_add3_u32 v33, v43, v33, v39
	v_bfe_u32 v39, v44, 16, 2
	v_bfe_u32 v43, v72, 24, 2
	;; [unrolled: 1-line block ×3, first 2 shown]
	v_mul_i32_i24_e32 v39, v39, v107
	s_delay_alu instid0(VALU_DEP_3) | instskip(NEXT) | instid1(VALU_DEP_3)
	v_mul_i32_i24_e32 v43, v43, v116
	v_mul_i32_i24_e32 v44, v44, v113
	s_delay_alu instid0(VALU_DEP_3) | instskip(SKIP_3) | instid1(VALU_DEP_3)
	v_add3_u32 v39, v59, v39, v40
	v_bfe_u32 v40, v72, 16, 2
	v_and_b32_e32 v59, 3, v1
	v_bfe_u32 v72, v32, 8, 2
	v_mul_i32_i24_e32 v40, v40, v117
	s_delay_alu instid0(VALU_DEP_3) | instskip(NEXT) | instid1(VALU_DEP_3)
	v_mul_i32_i24_e32 v59, v59, v114
	v_mul_i32_i24_e32 v72, v72, v112
	s_delay_alu instid0(VALU_DEP_3) | instskip(SKIP_2) | instid1(VALU_DEP_2)
	v_add3_u32 v40, v79, v40, v43
	v_bfe_u32 v43, v66, 16, 2
	v_and_b32_e32 v66, 3, v3
	v_mul_i32_i24_e32 v43, v43, v107
	s_delay_alu instid0(VALU_DEP_2) | instskip(NEXT) | instid1(VALU_DEP_2)
	v_mul_i32_i24_e32 v66, v66, v115
	v_add3_u32 v43, v137, v43, v44
	v_bfe_u32 v44, v124, 8, 2
	s_delay_alu instid0(VALU_DEP_1) | instskip(NEXT) | instid1(VALU_DEP_1)
	v_mul_i32_i24_e32 v44, v44, v112
	v_add3_u32 v44, v121, v59, v44
	v_bfe_u32 v59, v125, 8, 2
	s_delay_alu instid0(VALU_DEP_1) | instskip(NEXT) | instid1(VALU_DEP_1)
	v_mul_i32_i24_e32 v59, v59, v108
	v_add3_u32 v59, v122, v66, v59
	v_ashrrev_i32_e32 v66, s24, v132
	v_mul_lo_u32 v122, 0x1010101, v148
	s_delay_alu instid0(VALU_DEP_2) | instskip(NEXT) | instid1(VALU_DEP_2)
	v_and_b32_e32 v79, 3, v66
	v_lshrrev_b32_e32 v126, 24, v122
	s_delay_alu instid0(VALU_DEP_2) | instskip(NEXT) | instid1(VALU_DEP_1)
	v_mul_i32_i24_e32 v79, v79, v114
	v_add3_u32 v31, v31, v79, v72
	v_ashrrev_i32_e32 v72, s24, v136
	v_bfe_u32 v79, v38, 8, 2
	s_delay_alu instid0(VALU_DEP_2) | instskip(NEXT) | instid1(VALU_DEP_2)
	v_and_b32_e32 v116, 3, v72
	v_mul_i32_i24_e32 v79, v79, v108
	s_delay_alu instid0(VALU_DEP_2) | instskip(NEXT) | instid1(VALU_DEP_1)
	v_mul_i32_i24_e32 v116, v116, v115
	v_add3_u32 v27, v27, v116, v79
	v_ashrrev_i32_e32 v79, s24, v138
	v_bfe_u32 v116, v42, 8, 2
	s_delay_alu instid0(VALU_DEP_2) | instskip(NEXT) | instid1(VALU_DEP_2)
	v_and_b32_e32 v117, 3, v79
	v_mul_i32_i24_e32 v116, v116, v112
	;; [unrolled: 8-line block ×3, first 2 shown]
	s_delay_alu instid0(VALU_DEP_2) | instskip(NEXT) | instid1(VALU_DEP_1)
	v_mul_i32_i24_e32 v121, v121, v115
	v_add3_u32 v39, v39, v121, v117
	v_ashrrev_i32_e32 v117, s24, v134
	s_delay_alu instid0(VALU_DEP_1) | instskip(NEXT) | instid1(VALU_DEP_1)
	v_and_b32_e32 v121, 3, v117
	v_mul_i32_i24_e32 v114, v121, v114
	v_bfe_u32 v121, v73, 8, 2
	s_delay_alu instid0(VALU_DEP_1) | instskip(SKIP_2) | instid1(VALU_DEP_3)
	v_mul_i32_i24_e32 v121, v121, v112
	v_add_nc_u32_e32 v112, v110, v113
	v_bfe_i32 v113, v141, 8, 8
	v_add3_u32 v40, v40, v114, v121
	v_ashrrev_i32_e32 v114, s24, v144
	s_delay_alu instid0(VALU_DEP_4) | instskip(NEXT) | instid1(VALU_DEP_4)
	v_add3_u32 v112, v112, v98, v94
	v_mul_i32_i24_e32 v113, v111, v113
	s_add_i32 s24, s24, 2
	s_cmp_lt_u32 s25, 14
	v_and_b32_e32 v121, 3, v114
	v_mul_i32_i24_e32 v126, v112, v126
	v_mul_i32_i24_e32 v128, v112, v128
	s_delay_alu instid0(VALU_DEP_3) | instskip(SKIP_1) | instid1(VALU_DEP_1)
	v_mul_i32_i24_e32 v115, v121, v115
	v_bfe_u32 v121, v135, 8, 2
	v_mul_i32_i24_e32 v121, v121, v108
	s_delay_alu instid0(VALU_DEP_1) | instskip(SKIP_1) | instid1(VALU_DEP_1)
	v_add3_u32 v43, v43, v115, v121
	v_mul_lo_u32 v115, 0x1010101, v143
	v_lshrrev_b32_e32 v121, 24, v115
	s_delay_alu instid0(VALU_DEP_1) | instskip(NEXT) | instid1(VALU_DEP_1)
	v_mul_i32_i24_e32 v121, v112, v121
	v_add3_u32 v113, v139, v113, v121
	v_bfe_i32 v121, v147, 8, 8
	s_delay_alu instid0(VALU_DEP_1) | instskip(NEXT) | instid1(VALU_DEP_1)
	v_mul_i32_i24_e32 v121, v111, v121
	v_add3_u32 v121, v146, v121, v126
	v_bfe_i32 v126, v151, 8, 8
	s_delay_alu instid0(VALU_DEP_1) | instskip(SKIP_2) | instid1(VALU_DEP_3)
	v_mul_i32_i24_e32 v126, v111, v126
	v_mul_i32_i24_e32 v111, v111, v119
	v_mul_lo_u32 v119, 0x1010101, v155
	v_add3_u32 v126, v150, v126, v128
	s_delay_alu instid0(VALU_DEP_2) | instskip(NEXT) | instid1(VALU_DEP_1)
	v_lshrrev_b32_e32 v128, 24, v119
	v_mul_i32_i24_e32 v112, v112, v128
	s_delay_alu instid0(VALU_DEP_1) | instskip(SKIP_2) | instid1(VALU_DEP_2)
	v_add3_u32 v111, v118, v111, v112
	v_bfe_u32 v112, v124, 16, 2
	v_bfe_u32 v118, v124, 24, 2
	v_mul_i32_i24_e32 v112, v112, v105
	s_delay_alu instid0(VALU_DEP_2) | instskip(NEXT) | instid1(VALU_DEP_1)
	v_mul_i32_i24_e32 v118, v118, v104
	v_add3_u32 v44, v44, v112, v118
	v_bfe_u32 v112, v125, 16, 2
	v_bfe_u32 v118, v125, 24, 2
	s_delay_alu instid0(VALU_DEP_2) | instskip(NEXT) | instid1(VALU_DEP_2)
	v_mul_i32_i24_e32 v112, v112, v109
	v_mul_i32_i24_e32 v118, v118, v110
	s_delay_alu instid0(VALU_DEP_1) | instskip(SKIP_2) | instid1(VALU_DEP_2)
	v_add3_u32 v59, v59, v112, v118
	v_bfe_u32 v112, v32, 16, 2
	v_bfe_u32 v32, v32, 24, 2
	v_mul_i32_i24_e32 v112, v112, v105
	s_delay_alu instid0(VALU_DEP_2) | instskip(NEXT) | instid1(VALU_DEP_1)
	v_mul_i32_i24_e32 v32, v32, v104
	v_add3_u32 v31, v31, v112, v32
	v_bfe_u32 v32, v38, 16, 2
	v_bfe_u32 v38, v38, 24, 2
	s_delay_alu instid0(VALU_DEP_2) | instskip(NEXT) | instid1(VALU_DEP_2)
	v_mul_i32_i24_e32 v32, v32, v109
	v_mul_i32_i24_e32 v38, v38, v110
	s_delay_alu instid0(VALU_DEP_1) | instskip(SKIP_3) | instid1(VALU_DEP_3)
	v_add3_u32 v27, v27, v32, v38
	v_bfe_u32 v32, v42, 16, 2
	v_bfe_u32 v38, v42, 24, 2
	v_add_nc_u32_e32 v42, v108, v106
	v_mul_i32_i24_e32 v32, v32, v105
	s_delay_alu instid0(VALU_DEP_3) | instskip(NEXT) | instid1(VALU_DEP_3)
	v_mul_i32_i24_e32 v38, v38, v104
	v_add3_u32 v42, v42, v103, v99
	s_delay_alu instid0(VALU_DEP_2) | instskip(SKIP_3) | instid1(VALU_DEP_3)
	v_add3_u32 v32, v33, v32, v38
	v_bfe_u32 v33, v57, 16, 2
	v_bfe_u32 v38, v57, 24, 2
	v_bfe_i32 v57, v115, 8, 8
	v_mul_i32_i24_e32 v33, v33, v109
	s_delay_alu instid0(VALU_DEP_3) | instskip(NEXT) | instid1(VALU_DEP_3)
	v_mul_i32_i24_e32 v38, v38, v110
	v_mul_i32_i24_e32 v57, v42, v57
	s_delay_alu instid0(VALU_DEP_2) | instskip(SKIP_3) | instid1(VALU_DEP_3)
	v_add3_u32 v33, v39, v33, v38
	v_bfe_u32 v38, v73, 16, 2
	v_bfe_u32 v39, v73, 24, 2
	v_bfe_i32 v73, v122, 8, 8
	v_mul_i32_i24_e32 v38, v38, v105
	s_delay_alu instid0(VALU_DEP_3) | instskip(NEXT) | instid1(VALU_DEP_3)
	v_mul_i32_i24_e32 v39, v39, v104
	v_mul_i32_i24_e32 v73, v42, v73
	v_bfe_i32 v104, v127, 8, 8
	s_delay_alu instid0(VALU_DEP_3) | instskip(SKIP_2) | instid1(VALU_DEP_4)
	v_add3_u32 v38, v40, v38, v39
	v_bfe_u32 v39, v135, 24, 2
	v_bfe_u32 v40, v135, 16, 2
	v_mul_i32_i24_e32 v104, v42, v104
	s_delay_alu instid0(VALU_DEP_3) | instskip(NEXT) | instid1(VALU_DEP_3)
	v_mul_i32_i24_e32 v39, v39, v110
	v_mul_i32_i24_e32 v40, v40, v109
	s_delay_alu instid0(VALU_DEP_1) | instskip(SKIP_2) | instid1(VALU_DEP_2)
	v_add3_u32 v39, v43, v40, v39
	v_add_nc_u32_e32 v40, v109, v107
	v_bfe_i32 v43, v115, 16, 8
	v_add3_u32 v40, v40, v102, v95
	s_delay_alu instid0(VALU_DEP_1) | instskip(NEXT) | instid1(VALU_DEP_1)
	v_mul_i32_i24_e32 v43, v40, v43
	v_add3_u32 v43, v113, v43, v57
	v_bfe_i32 v57, v122, 16, 8
	s_delay_alu instid0(VALU_DEP_1) | instskip(NEXT) | instid1(VALU_DEP_1)
	v_mul_i32_i24_e32 v57, v40, v57
	v_add3_u32 v57, v121, v57, v73
	v_bfe_i32 v73, v127, 16, 8
	;; [unrolled: 4-line block ×3, first 2 shown]
	s_delay_alu instid0(VALU_DEP_1) | instskip(SKIP_1) | instid1(VALU_DEP_1)
	v_mul_i32_i24_e32 v40, v40, v104
	v_bfe_i32 v104, v119, 8, 8
	v_mul_i32_i24_e32 v42, v42, v104
	v_bfe_u32 v104, v0, 16, 2
	s_delay_alu instid0(VALU_DEP_2) | instskip(SKIP_1) | instid1(VALU_DEP_3)
	v_add3_u32 v40, v111, v40, v42
	v_bfe_u32 v42, v0, 8, 2
	v_mul_i32_i24_e32 v104, v104, v100
	v_bfe_u32 v0, v0, 24, 2
	s_delay_alu instid0(VALU_DEP_3) | instskip(NEXT) | instid1(VALU_DEP_2)
	v_mul_i32_i24_e32 v42, v42, v101
	v_mul_i32_i24_e32 v0, v0, v96
	s_delay_alu instid0(VALU_DEP_2) | instskip(SKIP_3) | instid1(VALU_DEP_3)
	v_add3_u32 v42, v44, v42, v104
	v_bfe_u32 v44, v2, 8, 2
	v_bfe_u32 v104, v2, 16, 2
	v_bfe_u32 v2, v2, 24, 2
	v_mul_i32_i24_e32 v44, v44, v103
	s_delay_alu instid0(VALU_DEP_3) | instskip(NEXT) | instid1(VALU_DEP_3)
	v_mul_i32_i24_e32 v104, v104, v102
	v_mul_i32_i24_e32 v2, v2, v98
	s_delay_alu instid0(VALU_DEP_2) | instskip(SKIP_3) | instid1(VALU_DEP_3)
	v_add3_u32 v44, v59, v44, v104
	v_bfe_u32 v59, v35, 8, 2
	v_bfe_u32 v104, v35, 16, 2
	;; [unrolled: 1-line block ×3, first 2 shown]
	v_mul_i32_i24_e32 v59, v59, v101
	s_delay_alu instid0(VALU_DEP_3) | instskip(NEXT) | instid1(VALU_DEP_3)
	v_mul_i32_i24_e32 v104, v104, v100
	v_mul_i32_i24_e32 v35, v35, v96
	s_delay_alu instid0(VALU_DEP_2) | instskip(SKIP_2) | instid1(VALU_DEP_2)
	v_add3_u32 v31, v31, v59, v104
	v_bfe_u32 v59, v41, 8, 2
	v_bfe_u32 v104, v41, 16, 2
	v_mul_i32_i24_e32 v59, v59, v103
	s_delay_alu instid0(VALU_DEP_2) | instskip(NEXT) | instid1(VALU_DEP_1)
	v_mul_i32_i24_e32 v104, v104, v102
	v_add3_u32 v27, v27, v59, v104
	v_bfe_u32 v59, v46, 8, 2
	v_bfe_u32 v104, v46, 16, 2
	s_delay_alu instid0(VALU_DEP_2) | instskip(NEXT) | instid1(VALU_DEP_2)
	v_mul_i32_i24_e32 v59, v59, v101
	v_mul_i32_i24_e32 v104, v104, v100
	s_delay_alu instid0(VALU_DEP_1) | instskip(SKIP_2) | instid1(VALU_DEP_2)
	v_add3_u32 v32, v32, v59, v104
	v_bfe_u32 v59, v70, 8, 2
	v_bfe_u32 v104, v70, 16, 2
	v_mul_i32_i24_e32 v59, v59, v103
	s_delay_alu instid0(VALU_DEP_2) | instskip(NEXT) | instid1(VALU_DEP_1)
	v_mul_i32_i24_e32 v104, v104, v102
	v_add3_u32 v33, v33, v59, v104
	v_bfe_u32 v59, v131, 8, 2
	s_delay_alu instid0(VALU_DEP_1) | instskip(SKIP_1) | instid1(VALU_DEP_1)
	v_mul_i32_i24_e32 v59, v59, v101
	v_bfe_u32 v101, v131, 16, 2
	v_mul_i32_i24_e32 v100, v101, v100
	s_delay_alu instid0(VALU_DEP_1) | instskip(SKIP_2) | instid1(VALU_DEP_2)
	v_add3_u32 v38, v38, v59, v100
	v_bfe_u32 v59, v140, 8, 2
	v_bfe_u32 v100, v140, 16, 2
	v_mul_i32_i24_e32 v59, v59, v103
	s_delay_alu instid0(VALU_DEP_2) | instskip(NEXT) | instid1(VALU_DEP_1)
	v_mul_i32_i24_e32 v100, v100, v102
	v_add3_u32 v39, v39, v59, v100
	v_bfe_u32 v59, v1, 8, 2
	s_delay_alu instid0(VALU_DEP_1) | instskip(NEXT) | instid1(VALU_DEP_1)
	v_mul_i32_i24_e32 v59, v59, v97
	v_add3_u32 v0, v42, v0, v59
	v_bfe_u32 v42, v3, 8, 2
	s_delay_alu instid0(VALU_DEP_1) | instskip(NEXT) | instid1(VALU_DEP_1)
	;; [unrolled: 4-line block ×3, first 2 shown]
	v_mul_i32_i24_e32 v42, v42, v97
	v_add3_u32 v31, v31, v35, v42
	v_bfe_u32 v35, v41, 24, 2
	v_bfe_u32 v41, v72, 8, 2
	s_delay_alu instid0(VALU_DEP_2) | instskip(NEXT) | instid1(VALU_DEP_2)
	v_mul_i32_i24_e32 v35, v35, v98
	v_mul_i32_i24_e32 v41, v41, v99
	s_delay_alu instid0(VALU_DEP_1) | instskip(SKIP_2) | instid1(VALU_DEP_2)
	v_add3_u32 v27, v27, v35, v41
	v_bfe_u32 v35, v46, 24, 2
	v_bfe_u32 v41, v79, 8, 2
	v_mul_i32_i24_e32 v35, v35, v96
	s_delay_alu instid0(VALU_DEP_2) | instskip(NEXT) | instid1(VALU_DEP_1)
	v_mul_i32_i24_e32 v41, v41, v97
	v_add3_u32 v32, v32, v35, v41
	v_bfe_u32 v35, v70, 24, 2
	v_bfe_u32 v41, v116, 8, 2
	s_delay_alu instid0(VALU_DEP_2) | instskip(NEXT) | instid1(VALU_DEP_2)
	v_mul_i32_i24_e32 v35, v35, v98
	v_mul_i32_i24_e32 v41, v41, v99
	s_delay_alu instid0(VALU_DEP_1) | instskip(SKIP_2) | instid1(VALU_DEP_2)
	v_add3_u32 v33, v33, v35, v41
	v_bfe_u32 v35, v131, 24, 2
	v_bfe_u32 v41, v117, 8, 2
	v_mul_i32_i24_e32 v35, v35, v96
	s_delay_alu instid0(VALU_DEP_2) | instskip(NEXT) | instid1(VALU_DEP_1)
	;; [unrolled: 13-line block ×3, first 2 shown]
	v_mul_i32_i24_e32 v1, v1, v6
	v_add3_u32 v0, v0, v39, v1
	v_bfe_u32 v1, v3, 16, 2
	v_bfe_u32 v3, v3, 24, 2
	ds_load_b32 v39, v5
	v_add_nc_u32_e32 v5, 4, v5
	v_mul_i32_i24_e32 v1, v1, v95
	v_mul_i32_i24_e32 v3, v3, v94
	s_delay_alu instid0(VALU_DEP_1) | instskip(SKIP_2) | instid1(VALU_DEP_2)
	v_add3_u32 v3, v2, v1, v3
	v_bfe_u32 v1, v66, 16, 2
	v_bfe_u32 v2, v66, 24, 2
	v_mul_i32_i24_e32 v1, v1, v7
	s_delay_alu instid0(VALU_DEP_2) | instskip(NEXT) | instid1(VALU_DEP_1)
	v_mul_i32_i24_e32 v2, v2, v6
	v_add3_u32 v31, v31, v1, v2
	v_bfe_u32 v1, v72, 16, 2
	v_bfe_u32 v2, v72, 24, 2
	s_delay_alu instid0(VALU_DEP_2) | instskip(NEXT) | instid1(VALU_DEP_2)
	v_mul_i32_i24_e32 v1, v1, v95
	v_mul_i32_i24_e32 v2, v2, v94
	s_delay_alu instid0(VALU_DEP_1) | instskip(SKIP_2) | instid1(VALU_DEP_2)
	v_add3_u32 v27, v27, v1, v2
	v_bfe_u32 v1, v79, 16, 2
	v_bfe_u32 v2, v79, 24, 2
	v_mul_i32_i24_e32 v1, v1, v7
	s_delay_alu instid0(VALU_DEP_2) | instskip(NEXT) | instid1(VALU_DEP_1)
	v_mul_i32_i24_e32 v2, v2, v6
	v_add3_u32 v32, v32, v1, v2
	v_bfe_u32 v1, v116, 16, 2
	v_bfe_u32 v2, v116, 24, 2
	s_delay_alu instid0(VALU_DEP_2) | instskip(NEXT) | instid1(VALU_DEP_2)
	v_mul_i32_i24_e32 v1, v1, v95
	v_mul_i32_i24_e32 v2, v2, v94
	s_delay_alu instid0(VALU_DEP_1) | instskip(SKIP_2) | instid1(VALU_DEP_2)
	v_add3_u32 v33, v33, v1, v2
	v_bfe_u32 v1, v117, 16, 2
	v_bfe_u32 v2, v117, 24, 2
	v_mul_i32_i24_e32 v1, v1, v7
	s_delay_alu instid0(VALU_DEP_2) | instskip(SKIP_2) | instid1(VALU_DEP_3)
	v_mul_i32_i24_e32 v2, v2, v6
	v_and_b32_e32 v6, 15, v123
	v_and_b32_e32 v7, 15, v149
	v_add3_u32 v35, v35, v1, v2
	v_bfe_u32 v1, v114, 16, 2
	v_bfe_u32 v2, v114, 24, 2
	s_delay_alu instid0(VALU_DEP_2) | instskip(NEXT) | instid1(VALU_DEP_2)
	v_mul_i32_i24_e32 v1, v1, v95
	v_mul_i32_i24_e32 v2, v2, v94
	s_delay_alu instid0(VALU_DEP_1) | instskip(SKIP_1) | instid1(VALU_DEP_1)
	v_add3_u32 v38, v38, v1, v2
	v_and_b32_e32 v1, 15, v120
	v_mul_lo_u32 v0, v0, v1
	s_delay_alu instid0(VALU_DEP_1) | instskip(SKIP_4) | instid1(VALU_DEP_4)
	v_mad_u64_u32 v[1:2], null, v3, v6, v[0:1]
	v_and_b32_e32 v0, 15, v36
	v_and_b32_e32 v6, 15, v34
	;; [unrolled: 1-line block ×3, first 2 shown]
	v_lshrrev_b32_e32 v36, 16, v130
	v_mul_lo_u32 v0, v31, v0
	v_and_b32_e32 v31, 15, v145
	s_delay_alu instid0(VALU_DEP_2)
	v_mad_u64_u32 v[2:3], null, v27, v7, v[0:1]
	v_mul_lo_u32 v0, v32, v6
	v_and_b32_e32 v32, 15, v153
	v_lshrrev_b32_e32 v3, 16, v37
	v_lshrrev_b32_e32 v27, 16, v71
	v_cvt_f32_i32_e32 v2, v2
	s_delay_alu instid0(VALU_DEP_3)
	v_cvt_f32_f16_e32 v3, v3
	v_mad_u64_u32 v[6:7], null, v33, v31, v[0:1]
	v_mul_lo_u32 v0, v35, v34
	v_lshrrev_b32_e32 v7, 16, v133
	v_cvt_f32_f16_e32 v31, v36
	v_cvt_f32_f16_e32 v27, v27
	v_cvt_f32_i32_e32 v33, v43
	v_cvt_f32_i32_e32 v34, v57
	v_cvt_f32_f16_e32 v7, v7
	v_cvt_f32_i32_e32 v35, v73
	v_mad_u64_u32 v[94:95], null, v38, v32, v[0:1]
	v_cvt_f32_i32_e32 v36, v40
	v_mul_f32_e32 v0, v31, v33
	v_mul_f32_e32 v27, v27, v34
	;; [unrolled: 1-line block ×3, first 2 shown]
	v_cvt_f32_i32_e32 v1, v1
	v_mul_f32_e32 v7, v7, v36
	v_cvt_f32_i32_e32 v6, v6
	v_cvt_f32_i32_e32 v31, v94
	s_delay_alu instid0(VALU_DEP_4) | instskip(SKIP_1) | instid1(VALU_DEP_4)
	v_fma_mix_f32 v0, v130, v1, -v0 op_sel_hi:[1,0,0]
	v_fma_mix_f32 v1, v37, v2, -v3 op_sel_hi:[1,0,0]
	;; [unrolled: 1-line block ×3, first 2 shown]
	s_delay_alu instid0(VALU_DEP_4)
	v_fma_mix_f32 v3, v133, v31, -v7 op_sel_hi:[1,0,0]
	s_waitcnt lgkmcnt(0)
	v_fmac_f32_e32 v29, v39, v0
	v_fmac_f32_e32 v61, v39, v1
	;; [unrolled: 1-line block ×4, first 2 shown]
	s_cbranch_scc1 .LBB188_22
; %bb.23:                               ;   in Loop: Header=BB188_7 Depth=1
	s_or_b32 s1, s23, 0x100
	s_delay_alu instid0(SALU_CYCLE_1)
	s_cmp_ge_i32 s1, s5
	s_barrier
	buffer_gl0_inv
	s_cbranch_scc1 .LBB188_41
; %bb.24:                               ;   in Loop: Header=BB188_7 Depth=1
	scratch_load_b32 v0, off, off offset:88 ; 4-byte Folded Reload
	s_waitcnt vmcnt(0)
	v_add_nc_u32_e32 v0, s6, v0
	s_delay_alu instid0(VALU_DEP_1) | instskip(NEXT) | instid1(VALU_DEP_1)
	v_cmp_gt_i32_e64 s1, s8, v0
	s_and_b32 s24, s0, s1
	s_delay_alu instid0(SALU_CYCLE_1)
	s_and_saveexec_b32 s1, s24
	s_cbranch_execz .LBB188_26
; %bb.25:                               ;   in Loop: Header=BB188_7 Depth=1
	s_clause 0x1
	scratch_load_b32 v1, off, off offset:12
	scratch_load_b64 v[3:4], off, off offset:68
	s_waitcnt vmcnt(1)
	v_add_nc_u32_e32 v2, v1, v0
	s_waitcnt vmcnt(0)
	s_delay_alu instid0(VALU_DEP_1)
	v_mad_i64_i32 v[0:1], null, v2, 36, v[3:4]
	global_load_b32 v0, v[0:1], off offset:4
	scratch_load_b32 v1, off, off offset:76 ; 4-byte Folded Reload
	s_waitcnt vmcnt(0)
	ds_store_b32 v1, v0
.LBB188_26:                             ;   in Loop: Header=BB188_7 Depth=1
	s_or_b32 exec_lo, exec_lo, s1
	s_and_saveexec_b32 s24, vcc_lo
	s_cbranch_execz .LBB188_29
; %bb.27:                               ;   in Loop: Header=BB188_7 Depth=1
	v_or_b32_e32 v0, s6, v156
	s_delay_alu instid0(VALU_DEP_1) | instskip(NEXT) | instid1(VALU_DEP_1)
	v_or_b32_e32 v1, 8, v0
	v_cmp_gt_i32_e64 s1, s8, v1
	s_delay_alu instid0(VALU_DEP_1) | instskip(NEXT) | instid1(SALU_CYCLE_1)
	s_and_b32 s1, s0, s1
	s_and_b32 exec_lo, exec_lo, s1
	s_cbranch_execz .LBB188_29
; %bb.28:                               ;   in Loop: Header=BB188_7 Depth=1
	scratch_load_b32 v2, off, off offset:12 ; 4-byte Folded Reload
	v_ashrrev_i32_e32 v1, 31, v0
	s_waitcnt vmcnt(0)
	v_add_co_u32 v2, s1, v2, v0
	scratch_load_b32 v0, off, off offset:92 ; 4-byte Folded Reload
	s_waitcnt vmcnt(0)
	v_add_co_ci_u32_e64 v3, s1, v0, v1, s1
	v_mad_u64_u32 v[0:1], null, v2, 36, s[16:17]
	s_delay_alu instid0(VALU_DEP_1)
	v_mad_i32_i24 v1, v3, 36, v1
	global_load_b32 v0, v[0:1], off
	scratch_load_b32 v1, off, off offset:84 ; 4-byte Folded Reload
	s_waitcnt vmcnt(1)
	v_cvt_f32_f16_e32 v0, v0
	s_waitcnt vmcnt(0)
	ds_store_b32 v1, v0
.LBB188_29:                             ;   in Loop: Header=BB188_7 Depth=1
	s_or_b32 exec_lo, exec_lo, s24
	s_waitcnt lgkmcnt(0)
	s_clause 0x1
	scratch_load_b32 v4, off, off offset:4
	scratch_load_b32 v5, off, off offset:8
	s_mov_b32 s1, 16
	s_mov_b32 s24, 14
	s_waitcnt vmcnt(0)
	s_barrier
	buffer_gl0_inv
.LBB188_30:                             ;   Parent Loop BB188_7 Depth=1
                                        ; =>  This Inner Loop Header: Depth=2
	ds_load_b128 v[0:3], v4
	ds_load_b128 v[122:125], v4 offset:16
	s_add_i32 s25, s24, 2
	s_add_i32 s26, s24, -14
	s_and_b32 s27, s25, 0x3ffffff8
	s_lshr_b32 s28, s25, 2
	s_lshl_b32 s27, s27, 2
	s_and_b32 s28, s28, 0x3ffffffc
	s_and_b32 s29, s1, -16
	s_add_i32 s1, s1, 2
	s_add_i32 s24, s24, s29
	s_cmp_lt_u32 s25, 22
	s_waitcnt lgkmcnt(1)
	v_bfe_i32 v120, v2, 0, 8
	v_bfe_i32 v101, v2, 8, 8
	;; [unrolled: 1-line block ×3, first 2 shown]
	v_ashrrev_i32_e32 v96, 24, v2
	v_add_nc_u32_e32 v2, s27, v60
	v_bfe_i32 v118, v0, 0, 8
	v_bfe_i32 v111, v0, 8, 8
	v_bfe_i32 v117, v0, 16, 8
	v_ashrrev_i32_e32 v116, 24, v0
	v_bfe_i32 v119, v1, 0, 8
	v_bfe_i32 v112, v1, 8, 8
	v_bfe_i32 v105, v1, 16, 8
	v_ashrrev_i32_e32 v104, 24, v1
	;; [unrolled: 4-line block ×3, first 2 shown]
	s_waitcnt lgkmcnt(0)
	v_bfe_i32 v121, v122, 0, 8
	v_bfe_i32 v106, v122, 8, 8
	v_bfe_i32 v107, v122, 16, 8
	v_ashrrev_i32_e32 v113, 24, v122
	v_bfe_i32 v122, v123, 0, 8
	v_bfe_i32 v108, v123, 8, 8
	v_bfe_i32 v109, v123, 16, 8
	v_ashrrev_i32_e32 v110, 24, v123
	;; [unrolled: 4-line block ×4, first 2 shown]
	ds_load_2addr_b32 v[124:125], v2 offset1:1
	ds_load_2addr_b32 v[0:1], v2 offset0:2 offset1:3
	ds_load_2addr_b32 v[129:130], v2 offset0:4 offset1:5
	ds_load_2addr_b32 v[2:3], v2 offset0:6 offset1:7
	s_waitcnt lgkmcnt(3)
	v_ashrrev_i32_e32 v126, s26, v124
	v_ashrrev_i32_e32 v124, s26, v125
	s_waitcnt lgkmcnt(2)
	v_ashrrev_i32_e32 v0, s26, v0
	s_waitcnt lgkmcnt(1)
	v_ashrrev_i32_e32 v127, s26, v129
	v_ashrrev_i32_e32 v125, s26, v130
	v_and_b32_e32 v27, 3, v126
	v_and_b32_e32 v31, 3, v124
	;; [unrolled: 1-line block ×3, first 2 shown]
	s_waitcnt lgkmcnt(0)
	v_ashrrev_i32_e32 v2, s26, v2
	v_ashrrev_i32_e32 v1, s26, v1
	v_mul_i32_i24_e32 v27, v27, v118
	v_ashrrev_i32_e32 v3, s26, v3
	v_mul_i32_i24_e32 v32, v32, v120
	s_delay_alu instid0(VALU_DEP_3) | instskip(SKIP_1) | instid1(VALU_DEP_1)
	v_mad_i32_i24 v27, v31, v119, v27
	v_bfe_u32 v31, v126, 8, 2
	v_mul_i32_i24_e32 v31, v31, v111
	s_delay_alu instid0(VALU_DEP_1) | instskip(SKIP_3) | instid1(VALU_DEP_3)
	v_add3_u32 v128, v27, v32, v31
	v_and_b32_e32 v27, 3, v127
	v_and_b32_e32 v31, 3, v125
	;; [unrolled: 1-line block ×3, first 2 shown]
	v_mul_i32_i24_e32 v27, v27, v121
	s_delay_alu instid0(VALU_DEP_2) | instskip(NEXT) | instid1(VALU_DEP_2)
	v_mul_i32_i24_e32 v32, v32, v123
	v_mad_i32_i24 v27, v31, v122, v27
	v_bfe_u32 v31, v127, 8, 2
	s_delay_alu instid0(VALU_DEP_1) | instskip(NEXT) | instid1(VALU_DEP_1)
	v_mul_i32_i24_e32 v31, v31, v106
	v_add3_u32 v129, v27, v32, v31
	v_add_nc_u32_e32 v27, s27, v63
	v_add_nc_u32_e32 v31, s28, v62
	ds_load_2addr_b32 v[131:132], v27 offset0:2 offset1:3
	ds_load_b32 v130, v31
	ds_load_2addr_b32 v[133:134], v27 offset1:1
	s_waitcnt lgkmcnt(2)
	v_ashrrev_i32_e32 v35, s26, v131
	s_waitcnt lgkmcnt(0)
	v_ashrrev_i32_e32 v31, s26, v133
	v_ashrrev_i32_e32 v32, s26, v134
	s_delay_alu instid0(VALU_DEP_3) | instskip(NEXT) | instid1(VALU_DEP_3)
	v_and_b32_e32 v36, 3, v35
	v_and_b32_e32 v33, 3, v31
	s_delay_alu instid0(VALU_DEP_3) | instskip(NEXT) | instid1(VALU_DEP_3)
	v_and_b32_e32 v34, 3, v32
	v_mul_i32_i24_e32 v36, v36, v120
	s_delay_alu instid0(VALU_DEP_3) | instskip(NEXT) | instid1(VALU_DEP_1)
	v_mul_i32_i24_e32 v33, v33, v118
	v_mad_i32_i24 v33, v34, v119, v33
	v_bfe_u32 v34, v31, 8, 2
	s_delay_alu instid0(VALU_DEP_1) | instskip(NEXT) | instid1(VALU_DEP_1)
	v_mul_i32_i24_e32 v34, v34, v111
	v_add3_u32 v33, v33, v36, v34
	v_add_nc_u32_e32 v34, s24, v87
	v_add_nc_u32_e32 v36, s28, v64
	ds_load_u16 v34, v34 offset:17906
	ds_load_b32 v36, v36
	ds_load_2addr_b32 v[133:134], v27 offset0:4 offset1:5
	ds_load_2addr_b32 v[135:136], v27 offset0:6 offset1:7
	s_waitcnt lgkmcnt(1)
	v_ashrrev_i32_e32 v27, s26, v133
	v_ashrrev_i32_e32 v37, s26, v134
	s_waitcnt lgkmcnt(0)
	v_ashrrev_i32_e32 v40, s26, v135
	s_delay_alu instid0(VALU_DEP_3) | instskip(NEXT) | instid1(VALU_DEP_3)
	v_and_b32_e32 v38, 3, v27
	v_and_b32_e32 v39, 3, v37
	s_delay_alu instid0(VALU_DEP_3) | instskip(NEXT) | instid1(VALU_DEP_3)
	v_and_b32_e32 v41, 3, v40
	v_mul_i32_i24_e32 v38, v38, v121
	s_delay_alu instid0(VALU_DEP_2) | instskip(NEXT) | instid1(VALU_DEP_2)
	v_mul_i32_i24_e32 v41, v41, v123
	v_mad_i32_i24 v38, v39, v122, v38
	v_bfe_u32 v39, v27, 8, 2
	s_delay_alu instid0(VALU_DEP_1) | instskip(NEXT) | instid1(VALU_DEP_1)
	v_mul_i32_i24_e32 v39, v39, v106
	v_add3_u32 v38, v38, v41, v39
	v_add_nc_u32_e32 v39, s27, v65
	ds_load_2addr_b32 v[133:134], v39 offset1:1
	ds_load_2addr_b32 v[137:138], v39 offset0:2 offset1:3
	ds_load_2addr_b32 v[139:140], v39 offset0:4 offset1:5
	;; [unrolled: 1-line block ×3, first 2 shown]
	s_waitcnt lgkmcnt(3)
	v_ashrrev_i32_e32 v39, s26, v133
	v_ashrrev_i32_e32 v41, s26, v134
	s_waitcnt lgkmcnt(2)
	v_ashrrev_i32_e32 v44, s26, v137
	s_waitcnt lgkmcnt(0)
	v_ashrrev_i32_e32 v66, s26, v141
	v_and_b32_e32 v42, 3, v39
	v_and_b32_e32 v43, 3, v41
	;; [unrolled: 1-line block ×3, first 2 shown]
	s_delay_alu instid0(VALU_DEP_4) | instskip(NEXT) | instid1(VALU_DEP_4)
	v_and_b32_e32 v70, 3, v66
	v_mul_i32_i24_e32 v42, v42, v118
	s_delay_alu instid0(VALU_DEP_3) | instskip(NEXT) | instid1(VALU_DEP_3)
	v_mul_i32_i24_e32 v46, v46, v120
	v_mul_i32_i24_e32 v70, v70, v123
	s_delay_alu instid0(VALU_DEP_3) | instskip(SKIP_1) | instid1(VALU_DEP_1)
	v_mad_i32_i24 v42, v43, v119, v42
	v_bfe_u32 v43, v39, 8, 2
	v_mul_i32_i24_e32 v43, v43, v111
	s_delay_alu instid0(VALU_DEP_1) | instskip(SKIP_2) | instid1(VALU_DEP_2)
	v_add3_u32 v42, v42, v46, v43
	v_ashrrev_i32_e32 v43, s26, v139
	v_ashrrev_i32_e32 v46, s26, v140
	v_and_b32_e32 v57, 3, v43
	s_delay_alu instid0(VALU_DEP_2) | instskip(NEXT) | instid1(VALU_DEP_2)
	v_and_b32_e32 v59, 3, v46
	v_mul_i32_i24_e32 v57, v57, v121
	s_delay_alu instid0(VALU_DEP_1) | instskip(SKIP_1) | instid1(VALU_DEP_1)
	v_mad_i32_i24 v57, v59, v122, v57
	v_bfe_u32 v59, v43, 8, 2
	v_mul_i32_i24_e32 v59, v59, v106
	s_delay_alu instid0(VALU_DEP_1)
	v_add3_u32 v57, v57, v70, v59
	v_add_nc_u32_e32 v59, s27, v68
	v_add_nc_u32_e32 v70, s28, v67
	ds_load_2addr_b32 v[133:134], v59 offset0:2 offset1:3
	ds_load_b32 v70, v70
	ds_load_2addr_b32 v[139:140], v59 offset1:1
	s_waitcnt lgkmcnt(2)
	v_ashrrev_i32_e32 v80, s26, v133
	s_waitcnt lgkmcnt(0)
	v_ashrrev_i32_e32 v71, s26, v139
	v_ashrrev_i32_e32 v72, s26, v140
	s_delay_alu instid0(VALU_DEP_3) | instskip(NEXT) | instid1(VALU_DEP_3)
	v_and_b32_e32 v131, 3, v80
	v_and_b32_e32 v73, 3, v71
	s_delay_alu instid0(VALU_DEP_3) | instskip(NEXT) | instid1(VALU_DEP_3)
	v_and_b32_e32 v79, 3, v72
	v_mul_i32_i24_e32 v131, v131, v120
	s_delay_alu instid0(VALU_DEP_3) | instskip(SKIP_1) | instid1(VALU_DEP_2)
	v_mul_i32_i24_e32 v73, v73, v118
	v_add_nc_u32_e32 v118, v119, v118
	v_mad_i32_i24 v73, v79, v119, v73
	v_bfe_u32 v79, v71, 8, 2
	s_delay_alu instid0(VALU_DEP_3) | instskip(SKIP_1) | instid1(VALU_DEP_3)
	v_add3_u32 v118, v118, v120, v114
	v_add_nc_u32_e32 v120, s24, v88
	v_mul_i32_i24_e32 v79, v79, v111
	v_add_nc_u32_e32 v111, v112, v111
	s_delay_alu instid0(VALU_DEP_2) | instskip(SKIP_2) | instid1(VALU_DEP_4)
	v_add3_u32 v73, v73, v131, v79
	v_add_nc_u32_e32 v79, s24, v85
	v_add_nc_u32_e32 v131, s28, v69
	v_add3_u32 v111, v111, v101, v97
	ds_load_u16 v79, v79 offset:19954
	ds_load_b32 v131, v131
	ds_load_2addr_b32 v[139:140], v59 offset0:4 offset1:5
	ds_load_2addr_b32 v[143:144], v59 offset0:6 offset1:7
	ds_load_u16 v120, v120 offset:16882
	s_waitcnt lgkmcnt(2)
	v_ashrrev_i32_e32 v59, s26, v139
	v_ashrrev_i32_e32 v133, s26, v140
	s_waitcnt lgkmcnt(1)
	v_ashrrev_i32_e32 v139, s26, v143
	s_delay_alu instid0(VALU_DEP_3) | instskip(NEXT) | instid1(VALU_DEP_3)
	v_and_b32_e32 v135, 3, v59
	v_and_b32_e32 v137, 3, v133
	s_delay_alu instid0(VALU_DEP_3) | instskip(NEXT) | instid1(VALU_DEP_3)
	v_and_b32_e32 v140, 3, v139
	v_mul_i32_i24_e32 v135, v135, v121
	v_add_nc_u32_e32 v121, v122, v121
	s_delay_alu instid0(VALU_DEP_3) | instskip(NEXT) | instid1(VALU_DEP_3)
	v_mul_i32_i24_e32 v140, v140, v123
	v_mad_i32_i24 v135, v137, v122, v135
	v_bfe_u32 v137, v59, 8, 2
	s_delay_alu instid0(VALU_DEP_4)
	v_add3_u32 v119, v121, v123, v115
	s_waitcnt lgkmcnt(0)
	v_lshrrev_b16 v123, 8, v120
	v_add_nc_u32_e32 v121, v104, v116
	v_add_nc_u32_e32 v122, v105, v117
	v_mul_i32_i24_e32 v137, v137, v106
	s_delay_alu instid0(VALU_DEP_4) | instskip(NEXT) | instid1(VALU_DEP_4)
	v_and_b32_e32 v123, 0xffff, v123
	v_add3_u32 v121, v121, v96, v6
	s_delay_alu instid0(VALU_DEP_4) | instskip(NEXT) | instid1(VALU_DEP_4)
	v_add3_u32 v122, v122, v100, v7
	v_add3_u32 v135, v135, v140, v137
	v_bfe_u32 v137, v120, 4, 4
	v_lshrrev_b32_e32 v141, 4, v123
	s_delay_alu instid0(VALU_DEP_2) | instskip(SKIP_1) | instid1(VALU_DEP_1)
	v_mul_lo_u32 v140, 0x1010101, v137
	v_mul_i32_i24_e32 v137, v137, v118
	v_mad_i32_i24 v137, v141, v119, v137
	s_delay_alu instid0(VALU_DEP_3) | instskip(SKIP_1) | instid1(VALU_DEP_2)
	v_lshrrev_b32_e32 v143, 24, v140
	v_bfe_i32 v145, v140, 16, 8
	v_mul_i32_i24_e32 v143, v121, v143
	s_delay_alu instid0(VALU_DEP_2) | instskip(NEXT) | instid1(VALU_DEP_1)
	v_mul_i32_i24_e32 v145, v122, v145
	v_add3_u32 v137, v137, v143, v145
	v_add_nc_u32_e32 v143, s24, v86
	s_mov_b32 s24, s25
	ds_load_u16 v143, v143 offset:18930
	s_waitcnt lgkmcnt(0)
	v_bfe_u32 v146, v143, 4, 4
	v_lshrrev_b16 v145, 8, v143
	s_delay_alu instid0(VALU_DEP_2) | instskip(NEXT) | instid1(VALU_DEP_2)
	v_mul_lo_u32 v147, 0x1010101, v146
	v_and_b32_e32 v145, 0xffff, v145
	v_mul_i32_i24_e32 v146, v146, v118
	s_delay_alu instid0(VALU_DEP_2) | instskip(NEXT) | instid1(VALU_DEP_4)
	v_lshrrev_b32_e32 v148, 4, v145
	v_lshrrev_b32_e32 v149, 24, v147
	v_bfe_i32 v150, v147, 16, 8
	s_delay_alu instid0(VALU_DEP_3) | instskip(NEXT) | instid1(VALU_DEP_3)
	v_mad_i32_i24 v146, v148, v119, v146
	v_mul_i32_i24_e32 v149, v121, v149
	s_delay_alu instid0(VALU_DEP_3) | instskip(NEXT) | instid1(VALU_DEP_1)
	v_mul_i32_i24_e32 v150, v122, v150
	v_add3_u32 v146, v146, v149, v150
	v_bfe_u32 v150, v34, 4, 4
	v_lshrrev_b16 v149, 8, v34
	v_and_b32_e32 v34, 15, v34
	s_delay_alu instid0(VALU_DEP_3) | instskip(NEXT) | instid1(VALU_DEP_3)
	v_mul_lo_u32 v151, 0x1010101, v150
	v_and_b32_e32 v149, 0xffff, v149
	v_mul_i32_i24_e32 v150, v150, v118
	s_delay_alu instid0(VALU_DEP_2) | instskip(NEXT) | instid1(VALU_DEP_4)
	v_lshrrev_b32_e32 v152, 4, v149
	v_lshrrev_b32_e32 v153, 24, v151
	v_bfe_i32 v154, v151, 16, 8
	s_delay_alu instid0(VALU_DEP_3) | instskip(NEXT) | instid1(VALU_DEP_3)
	v_mad_i32_i24 v150, v152, v119, v150
	v_mul_i32_i24_e32 v153, v121, v153
	s_delay_alu instid0(VALU_DEP_3) | instskip(NEXT) | instid1(VALU_DEP_1)
	v_mul_i32_i24_e32 v154, v122, v154
	v_add3_u32 v150, v150, v153, v154
	v_lshrrev_b16 v153, 8, v79
	v_bfe_u32 v154, v79, 4, 4
	s_delay_alu instid0(VALU_DEP_2) | instskip(NEXT) | instid1(VALU_DEP_2)
	v_and_b32_e32 v153, 0xffff, v153
	v_mul_i32_i24_e32 v118, v154, v118
	s_delay_alu instid0(VALU_DEP_2) | instskip(NEXT) | instid1(VALU_DEP_1)
	v_lshrrev_b32_e32 v155, 4, v153
	v_mad_i32_i24 v118, v155, v119, v118
	v_mul_lo_u32 v119, 0x1010101, v154
	s_delay_alu instid0(VALU_DEP_1) | instskip(NEXT) | instid1(VALU_DEP_1)
	v_lshrrev_b32_e32 v154, 24, v119
	v_mul_i32_i24_e32 v121, v121, v154
	v_bfe_i32 v154, v119, 16, 8
	v_bfe_i32 v119, v119, 8, 8
	s_delay_alu instid0(VALU_DEP_2) | instskip(NEXT) | instid1(VALU_DEP_1)
	v_mul_i32_i24_e32 v122, v122, v154
	v_add3_u32 v118, v118, v121, v122
	v_bfe_u32 v121, v126, 16, 2
	v_bfe_u32 v122, v126, 24, 2
	;; [unrolled: 1-line block ×3, first 2 shown]
	s_delay_alu instid0(VALU_DEP_3) | instskip(NEXT) | instid1(VALU_DEP_3)
	v_mul_i32_i24_e32 v121, v121, v117
	v_mul_i32_i24_e32 v122, v122, v116
	s_delay_alu instid0(VALU_DEP_3) | instskip(NEXT) | instid1(VALU_DEP_2)
	v_mul_i32_i24_e32 v126, v126, v113
	v_add3_u32 v121, v128, v121, v122
	v_bfe_u32 v122, v127, 16, 2
	v_mul_lo_u32 v127, 0x1010101, v152
	s_delay_alu instid0(VALU_DEP_2) | instskip(NEXT) | instid1(VALU_DEP_2)
	v_mul_i32_i24_e32 v122, v122, v107
	v_lshrrev_b32_e32 v128, 24, v127
	s_delay_alu instid0(VALU_DEP_2) | instskip(SKIP_2) | instid1(VALU_DEP_2)
	v_add3_u32 v122, v129, v122, v126
	v_bfe_u32 v126, v31, 16, 2
	v_bfe_u32 v31, v31, 24, 2
	v_mul_i32_i24_e32 v126, v126, v117
	s_delay_alu instid0(VALU_DEP_2) | instskip(NEXT) | instid1(VALU_DEP_1)
	v_mul_i32_i24_e32 v31, v31, v116
	v_add3_u32 v31, v33, v126, v31
	v_bfe_u32 v33, v27, 16, 2
	v_bfe_u32 v27, v27, 24, 2
	s_delay_alu instid0(VALU_DEP_2) | instskip(NEXT) | instid1(VALU_DEP_2)
	v_mul_i32_i24_e32 v33, v33, v107
	v_mul_i32_i24_e32 v27, v27, v113
	s_delay_alu instid0(VALU_DEP_1) | instskip(SKIP_3) | instid1(VALU_DEP_3)
	v_add3_u32 v27, v38, v33, v27
	v_bfe_u32 v33, v39, 16, 2
	v_bfe_u32 v38, v39, 24, 2
	;; [unrolled: 1-line block ×3, first 2 shown]
	v_mul_i32_i24_e32 v33, v33, v117
	s_delay_alu instid0(VALU_DEP_3) | instskip(NEXT) | instid1(VALU_DEP_3)
	v_mul_i32_i24_e32 v38, v38, v116
	v_mul_i32_i24_e32 v39, v39, v113
	s_delay_alu instid0(VALU_DEP_2) | instskip(SKIP_3) | instid1(VALU_DEP_3)
	v_add3_u32 v33, v42, v33, v38
	v_bfe_u32 v38, v43, 16, 2
	v_bfe_u32 v42, v71, 24, 2
	;; [unrolled: 1-line block ×3, first 2 shown]
	v_mul_i32_i24_e32 v38, v38, v107
	s_delay_alu instid0(VALU_DEP_3) | instskip(NEXT) | instid1(VALU_DEP_3)
	v_mul_i32_i24_e32 v42, v42, v116
	v_mul_i32_i24_e32 v43, v43, v113
	s_delay_alu instid0(VALU_DEP_3) | instskip(SKIP_3) | instid1(VALU_DEP_3)
	v_add3_u32 v38, v57, v38, v39
	v_bfe_u32 v39, v71, 16, 2
	v_and_b32_e32 v57, 3, v1
	v_bfe_u32 v71, v32, 8, 2
	v_mul_i32_i24_e32 v39, v39, v117
	s_delay_alu instid0(VALU_DEP_3) | instskip(NEXT) | instid1(VALU_DEP_3)
	v_mul_i32_i24_e32 v57, v57, v114
	v_mul_i32_i24_e32 v71, v71, v112
	s_delay_alu instid0(VALU_DEP_3) | instskip(SKIP_2) | instid1(VALU_DEP_2)
	v_add3_u32 v39, v73, v39, v42
	v_bfe_u32 v42, v59, 16, 2
	v_and_b32_e32 v59, 3, v3
	v_mul_i32_i24_e32 v42, v42, v107
	s_delay_alu instid0(VALU_DEP_2) | instskip(NEXT) | instid1(VALU_DEP_2)
	v_mul_i32_i24_e32 v59, v59, v115
	v_add3_u32 v42, v135, v42, v43
	v_bfe_u32 v43, v124, 8, 2
	s_delay_alu instid0(VALU_DEP_1) | instskip(NEXT) | instid1(VALU_DEP_1)
	v_mul_i32_i24_e32 v43, v43, v112
	v_add3_u32 v43, v121, v57, v43
	v_bfe_u32 v57, v125, 8, 2
	s_delay_alu instid0(VALU_DEP_1) | instskip(NEXT) | instid1(VALU_DEP_1)
	v_mul_i32_i24_e32 v57, v57, v108
	v_add3_u32 v57, v122, v59, v57
	v_ashrrev_i32_e32 v59, s26, v132
	v_mul_lo_u32 v122, 0x1010101, v148
	s_delay_alu instid0(VALU_DEP_2) | instskip(NEXT) | instid1(VALU_DEP_2)
	v_and_b32_e32 v73, 3, v59
	v_lshrrev_b32_e32 v126, 24, v122
	s_delay_alu instid0(VALU_DEP_2) | instskip(NEXT) | instid1(VALU_DEP_1)
	v_mul_i32_i24_e32 v73, v73, v114
	v_add3_u32 v31, v31, v73, v71
	v_ashrrev_i32_e32 v71, s26, v136
	v_bfe_u32 v73, v37, 8, 2
	s_delay_alu instid0(VALU_DEP_2) | instskip(NEXT) | instid1(VALU_DEP_2)
	v_and_b32_e32 v116, 3, v71
	v_mul_i32_i24_e32 v73, v73, v108
	s_delay_alu instid0(VALU_DEP_2) | instskip(NEXT) | instid1(VALU_DEP_1)
	v_mul_i32_i24_e32 v116, v116, v115
	v_add3_u32 v27, v27, v116, v73
	v_ashrrev_i32_e32 v73, s26, v138
	v_bfe_u32 v116, v41, 8, 2
	s_delay_alu instid0(VALU_DEP_2) | instskip(NEXT) | instid1(VALU_DEP_2)
	v_and_b32_e32 v117, 3, v73
	v_mul_i32_i24_e32 v116, v116, v112
	s_delay_alu instid0(VALU_DEP_2) | instskip(NEXT) | instid1(VALU_DEP_1)
	v_mul_i32_i24_e32 v117, v117, v114
	v_add3_u32 v33, v33, v117, v116
	v_ashrrev_i32_e32 v116, s26, v142
	v_bfe_u32 v117, v46, 8, 2
	s_delay_alu instid0(VALU_DEP_2) | instskip(NEXT) | instid1(VALU_DEP_2)
	v_and_b32_e32 v121, 3, v116
	v_mul_i32_i24_e32 v117, v117, v108
	s_delay_alu instid0(VALU_DEP_2) | instskip(NEXT) | instid1(VALU_DEP_1)
	v_mul_i32_i24_e32 v121, v121, v115
	v_add3_u32 v38, v38, v121, v117
	v_ashrrev_i32_e32 v117, s26, v134
	s_delay_alu instid0(VALU_DEP_1) | instskip(NEXT) | instid1(VALU_DEP_1)
	v_and_b32_e32 v121, 3, v117
	v_mul_i32_i24_e32 v114, v121, v114
	v_bfe_u32 v121, v72, 8, 2
	s_delay_alu instid0(VALU_DEP_1) | instskip(SKIP_2) | instid1(VALU_DEP_3)
	v_mul_i32_i24_e32 v121, v121, v112
	v_add_nc_u32_e32 v112, v110, v113
	v_bfe_i32 v113, v140, 8, 8
	v_add3_u32 v39, v39, v114, v121
	v_ashrrev_i32_e32 v114, s26, v144
	s_delay_alu instid0(VALU_DEP_4) | instskip(NEXT) | instid1(VALU_DEP_4)
	v_add3_u32 v112, v112, v98, v94
	v_mul_i32_i24_e32 v113, v111, v113
	s_delay_alu instid0(VALU_DEP_3) | instskip(NEXT) | instid1(VALU_DEP_3)
	v_and_b32_e32 v121, 3, v114
	v_mul_i32_i24_e32 v126, v112, v126
	v_mul_i32_i24_e32 v128, v112, v128
	s_delay_alu instid0(VALU_DEP_3) | instskip(SKIP_1) | instid1(VALU_DEP_1)
	v_mul_i32_i24_e32 v115, v121, v115
	v_bfe_u32 v121, v133, 8, 2
	v_mul_i32_i24_e32 v121, v121, v108
	s_delay_alu instid0(VALU_DEP_1) | instskip(SKIP_1) | instid1(VALU_DEP_1)
	v_add3_u32 v42, v42, v115, v121
	v_mul_lo_u32 v115, 0x1010101, v141
	v_lshrrev_b32_e32 v121, 24, v115
	s_delay_alu instid0(VALU_DEP_1) | instskip(NEXT) | instid1(VALU_DEP_1)
	v_mul_i32_i24_e32 v121, v112, v121
	v_add3_u32 v113, v137, v113, v121
	v_bfe_i32 v121, v147, 8, 8
	s_delay_alu instid0(VALU_DEP_1) | instskip(NEXT) | instid1(VALU_DEP_1)
	v_mul_i32_i24_e32 v121, v111, v121
	v_add3_u32 v121, v146, v121, v126
	v_bfe_i32 v126, v151, 8, 8
	s_delay_alu instid0(VALU_DEP_1) | instskip(SKIP_2) | instid1(VALU_DEP_3)
	v_mul_i32_i24_e32 v126, v111, v126
	v_mul_i32_i24_e32 v111, v111, v119
	v_mul_lo_u32 v119, 0x1010101, v155
	v_add3_u32 v126, v150, v126, v128
	s_delay_alu instid0(VALU_DEP_2) | instskip(NEXT) | instid1(VALU_DEP_1)
	v_lshrrev_b32_e32 v128, 24, v119
	v_mul_i32_i24_e32 v112, v112, v128
	s_delay_alu instid0(VALU_DEP_1) | instskip(SKIP_2) | instid1(VALU_DEP_2)
	v_add3_u32 v111, v118, v111, v112
	v_bfe_u32 v112, v124, 16, 2
	v_bfe_u32 v118, v124, 24, 2
	v_mul_i32_i24_e32 v112, v112, v105
	s_delay_alu instid0(VALU_DEP_2) | instskip(NEXT) | instid1(VALU_DEP_1)
	v_mul_i32_i24_e32 v118, v118, v104
	v_add3_u32 v43, v43, v112, v118
	v_bfe_u32 v112, v125, 16, 2
	v_bfe_u32 v118, v125, 24, 2
	s_delay_alu instid0(VALU_DEP_2) | instskip(NEXT) | instid1(VALU_DEP_2)
	v_mul_i32_i24_e32 v112, v112, v109
	v_mul_i32_i24_e32 v118, v118, v110
	s_delay_alu instid0(VALU_DEP_1) | instskip(SKIP_2) | instid1(VALU_DEP_2)
	v_add3_u32 v57, v57, v112, v118
	v_bfe_u32 v112, v32, 16, 2
	v_bfe_u32 v32, v32, 24, 2
	v_mul_i32_i24_e32 v112, v112, v105
	s_delay_alu instid0(VALU_DEP_2) | instskip(NEXT) | instid1(VALU_DEP_1)
	v_mul_i32_i24_e32 v32, v32, v104
	v_add3_u32 v31, v31, v112, v32
	v_bfe_u32 v32, v37, 16, 2
	v_bfe_u32 v37, v37, 24, 2
	s_delay_alu instid0(VALU_DEP_2) | instskip(NEXT) | instid1(VALU_DEP_2)
	v_mul_i32_i24_e32 v32, v32, v109
	v_mul_i32_i24_e32 v37, v37, v110
	s_delay_alu instid0(VALU_DEP_1) | instskip(SKIP_3) | instid1(VALU_DEP_3)
	v_add3_u32 v27, v27, v32, v37
	v_bfe_u32 v32, v41, 16, 2
	v_bfe_u32 v37, v41, 24, 2
	v_add_nc_u32_e32 v41, v108, v106
	v_mul_i32_i24_e32 v32, v32, v105
	s_delay_alu instid0(VALU_DEP_3) | instskip(NEXT) | instid1(VALU_DEP_3)
	v_mul_i32_i24_e32 v37, v37, v104
	v_add3_u32 v41, v41, v103, v99
	s_delay_alu instid0(VALU_DEP_2) | instskip(SKIP_3) | instid1(VALU_DEP_3)
	v_add3_u32 v32, v33, v32, v37
	v_bfe_u32 v33, v46, 16, 2
	v_bfe_u32 v37, v46, 24, 2
	v_bfe_i32 v46, v115, 8, 8
	v_mul_i32_i24_e32 v33, v33, v109
	s_delay_alu instid0(VALU_DEP_3) | instskip(NEXT) | instid1(VALU_DEP_3)
	v_mul_i32_i24_e32 v37, v37, v110
	v_mul_i32_i24_e32 v46, v41, v46
	s_delay_alu instid0(VALU_DEP_2) | instskip(SKIP_3) | instid1(VALU_DEP_3)
	v_add3_u32 v33, v38, v33, v37
	v_bfe_u32 v37, v72, 16, 2
	v_bfe_u32 v38, v72, 24, 2
	v_bfe_i32 v72, v122, 8, 8
	v_mul_i32_i24_e32 v37, v37, v105
	s_delay_alu instid0(VALU_DEP_3) | instskip(NEXT) | instid1(VALU_DEP_3)
	v_mul_i32_i24_e32 v38, v38, v104
	v_mul_i32_i24_e32 v72, v41, v72
	v_bfe_i32 v104, v127, 8, 8
	s_delay_alu instid0(VALU_DEP_3) | instskip(SKIP_2) | instid1(VALU_DEP_4)
	v_add3_u32 v37, v39, v37, v38
	v_bfe_u32 v38, v133, 24, 2
	v_bfe_u32 v39, v133, 16, 2
	v_mul_i32_i24_e32 v104, v41, v104
	s_delay_alu instid0(VALU_DEP_3) | instskip(NEXT) | instid1(VALU_DEP_3)
	v_mul_i32_i24_e32 v38, v38, v110
	v_mul_i32_i24_e32 v39, v39, v109
	s_delay_alu instid0(VALU_DEP_1) | instskip(SKIP_2) | instid1(VALU_DEP_2)
	v_add3_u32 v38, v42, v39, v38
	v_add_nc_u32_e32 v39, v109, v107
	v_bfe_i32 v42, v115, 16, 8
	v_add3_u32 v39, v39, v102, v95
	s_delay_alu instid0(VALU_DEP_1) | instskip(NEXT) | instid1(VALU_DEP_1)
	v_mul_i32_i24_e32 v42, v39, v42
	v_add3_u32 v42, v113, v42, v46
	v_bfe_i32 v46, v122, 16, 8
	s_delay_alu instid0(VALU_DEP_1) | instskip(NEXT) | instid1(VALU_DEP_1)
	v_mul_i32_i24_e32 v46, v39, v46
	v_add3_u32 v46, v121, v46, v72
	v_bfe_i32 v72, v127, 16, 8
	;; [unrolled: 4-line block ×3, first 2 shown]
	s_delay_alu instid0(VALU_DEP_1) | instskip(SKIP_1) | instid1(VALU_DEP_1)
	v_mul_i32_i24_e32 v39, v39, v104
	v_bfe_i32 v104, v119, 8, 8
	v_mul_i32_i24_e32 v41, v41, v104
	v_bfe_u32 v104, v0, 16, 2
	s_delay_alu instid0(VALU_DEP_2) | instskip(SKIP_1) | instid1(VALU_DEP_3)
	v_add3_u32 v39, v111, v39, v41
	v_bfe_u32 v41, v0, 8, 2
	v_mul_i32_i24_e32 v104, v104, v100
	v_bfe_u32 v0, v0, 24, 2
	s_delay_alu instid0(VALU_DEP_4) | instskip(NEXT) | instid1(VALU_DEP_4)
	v_cvt_f32_i32_e32 v39, v39
	v_mul_i32_i24_e32 v41, v41, v101
	s_delay_alu instid0(VALU_DEP_3) | instskip(NEXT) | instid1(VALU_DEP_2)
	v_mul_i32_i24_e32 v0, v0, v96
	v_add3_u32 v41, v43, v41, v104
	v_bfe_u32 v43, v2, 8, 2
	v_bfe_u32 v104, v2, 16, 2
	;; [unrolled: 1-line block ×3, first 2 shown]
	s_delay_alu instid0(VALU_DEP_3) | instskip(NEXT) | instid1(VALU_DEP_3)
	v_mul_i32_i24_e32 v43, v43, v103
	v_mul_i32_i24_e32 v104, v104, v102
	s_delay_alu instid0(VALU_DEP_3) | instskip(NEXT) | instid1(VALU_DEP_2)
	v_mul_i32_i24_e32 v2, v2, v98
	v_add3_u32 v43, v57, v43, v104
	v_bfe_u32 v57, v35, 8, 2
	v_bfe_u32 v104, v35, 16, 2
	;; [unrolled: 1-line block ×3, first 2 shown]
	s_delay_alu instid0(VALU_DEP_3) | instskip(NEXT) | instid1(VALU_DEP_3)
	v_mul_i32_i24_e32 v57, v57, v101
	v_mul_i32_i24_e32 v104, v104, v100
	s_delay_alu instid0(VALU_DEP_3) | instskip(NEXT) | instid1(VALU_DEP_2)
	v_mul_i32_i24_e32 v35, v35, v96
	v_add3_u32 v31, v31, v57, v104
	v_bfe_u32 v57, v40, 8, 2
	v_bfe_u32 v104, v40, 16, 2
	s_delay_alu instid0(VALU_DEP_2) | instskip(NEXT) | instid1(VALU_DEP_2)
	v_mul_i32_i24_e32 v57, v57, v103
	v_mul_i32_i24_e32 v104, v104, v102
	s_delay_alu instid0(VALU_DEP_1) | instskip(SKIP_2) | instid1(VALU_DEP_2)
	v_add3_u32 v27, v27, v57, v104
	v_bfe_u32 v57, v44, 8, 2
	v_bfe_u32 v104, v44, 16, 2
	v_mul_i32_i24_e32 v57, v57, v101
	s_delay_alu instid0(VALU_DEP_2) | instskip(NEXT) | instid1(VALU_DEP_1)
	v_mul_i32_i24_e32 v104, v104, v100
	v_add3_u32 v32, v32, v57, v104
	v_bfe_u32 v57, v66, 8, 2
	v_bfe_u32 v104, v66, 16, 2
	s_delay_alu instid0(VALU_DEP_2) | instskip(NEXT) | instid1(VALU_DEP_2)
	v_mul_i32_i24_e32 v57, v57, v103
	v_mul_i32_i24_e32 v104, v104, v102
	s_delay_alu instid0(VALU_DEP_1) | instskip(SKIP_1) | instid1(VALU_DEP_1)
	v_add3_u32 v33, v33, v57, v104
	v_bfe_u32 v57, v80, 8, 2
	v_mul_i32_i24_e32 v57, v57, v101
	v_bfe_u32 v101, v80, 16, 2
	s_delay_alu instid0(VALU_DEP_1) | instskip(NEXT) | instid1(VALU_DEP_1)
	v_mul_i32_i24_e32 v100, v101, v100
	v_add3_u32 v37, v37, v57, v100
	v_bfe_u32 v57, v139, 8, 2
	v_bfe_u32 v100, v139, 16, 2
	s_delay_alu instid0(VALU_DEP_2) | instskip(NEXT) | instid1(VALU_DEP_2)
	v_mul_i32_i24_e32 v57, v57, v103
	v_mul_i32_i24_e32 v100, v100, v102
	s_delay_alu instid0(VALU_DEP_1) | instskip(SKIP_1) | instid1(VALU_DEP_1)
	v_add3_u32 v38, v38, v57, v100
	v_bfe_u32 v57, v1, 8, 2
	v_mul_i32_i24_e32 v57, v57, v97
	s_delay_alu instid0(VALU_DEP_1) | instskip(SKIP_1) | instid1(VALU_DEP_1)
	v_add3_u32 v0, v41, v0, v57
	v_bfe_u32 v41, v3, 8, 2
	v_mul_i32_i24_e32 v41, v41, v99
	s_delay_alu instid0(VALU_DEP_1) | instskip(SKIP_2) | instid1(VALU_DEP_2)
	v_add3_u32 v2, v43, v2, v41
	v_bfe_u32 v41, v59, 8, 2
	v_and_b32_e32 v43, 15, v153
	v_mul_i32_i24_e32 v41, v41, v97
	s_delay_alu instid0(VALU_DEP_1) | instskip(SKIP_3) | instid1(VALU_DEP_3)
	v_add3_u32 v31, v31, v35, v41
	v_bfe_u32 v35, v40, 24, 2
	v_bfe_u32 v40, v71, 8, 2
	v_and_b32_e32 v41, 15, v149
	v_mul_i32_i24_e32 v35, v35, v98
	s_delay_alu instid0(VALU_DEP_3) | instskip(NEXT) | instid1(VALU_DEP_1)
	v_mul_i32_i24_e32 v40, v40, v99
	v_add3_u32 v27, v27, v35, v40
	v_bfe_u32 v35, v44, 24, 2
	v_bfe_u32 v40, v73, 8, 2
	s_delay_alu instid0(VALU_DEP_2) | instskip(NEXT) | instid1(VALU_DEP_2)
	v_mul_i32_i24_e32 v35, v35, v96
	v_mul_i32_i24_e32 v40, v40, v97
	s_delay_alu instid0(VALU_DEP_1) | instskip(SKIP_2) | instid1(VALU_DEP_2)
	v_add3_u32 v32, v32, v35, v40
	v_bfe_u32 v35, v66, 24, 2
	v_bfe_u32 v40, v116, 8, 2
	v_mul_i32_i24_e32 v35, v35, v98
	s_delay_alu instid0(VALU_DEP_2) | instskip(NEXT) | instid1(VALU_DEP_1)
	v_mul_i32_i24_e32 v40, v40, v99
	v_add3_u32 v33, v33, v35, v40
	v_bfe_u32 v35, v80, 24, 2
	v_bfe_u32 v40, v117, 8, 2
	s_delay_alu instid0(VALU_DEP_2) | instskip(NEXT) | instid1(VALU_DEP_2)
	v_mul_i32_i24_e32 v35, v35, v96
	v_mul_i32_i24_e32 v40, v40, v97
	s_delay_alu instid0(VALU_DEP_1) | instskip(SKIP_2) | instid1(VALU_DEP_2)
	v_add3_u32 v35, v37, v35, v40
	v_bfe_u32 v37, v139, 24, 2
	v_bfe_u32 v40, v114, 8, 2
	v_mul_i32_i24_e32 v37, v37, v98
	s_delay_alu instid0(VALU_DEP_2) | instskip(NEXT) | instid1(VALU_DEP_1)
	v_mul_i32_i24_e32 v40, v40, v99
	v_add3_u32 v37, v38, v37, v40
	v_bfe_u32 v38, v1, 16, 2
	v_bfe_u32 v1, v1, 24, 2
	v_lshrrev_b32_e32 v40, 16, v36
	s_delay_alu instid0(VALU_DEP_3) | instskip(NEXT) | instid1(VALU_DEP_3)
	v_mul_i32_i24_e32 v38, v38, v7
	v_mul_i32_i24_e32 v1, v1, v6
	s_delay_alu instid0(VALU_DEP_1) | instskip(SKIP_3) | instid1(VALU_DEP_3)
	v_add3_u32 v0, v0, v38, v1
	v_bfe_u32 v1, v3, 16, 2
	v_bfe_u32 v3, v3, 24, 2
	v_and_b32_e32 v38, 15, v123
	v_mul_i32_i24_e32 v1, v1, v95
	s_delay_alu instid0(VALU_DEP_3) | instskip(NEXT) | instid1(VALU_DEP_1)
	v_mul_i32_i24_e32 v3, v3, v94
	v_add3_u32 v3, v2, v1, v3
	v_bfe_u32 v1, v59, 16, 2
	v_bfe_u32 v2, v59, 24, 2
	s_delay_alu instid0(VALU_DEP_2) | instskip(NEXT) | instid1(VALU_DEP_2)
	v_mul_i32_i24_e32 v1, v1, v7
	v_mul_i32_i24_e32 v2, v2, v6
	s_delay_alu instid0(VALU_DEP_1) | instskip(SKIP_2) | instid1(VALU_DEP_2)
	v_add3_u32 v31, v31, v1, v2
	v_bfe_u32 v1, v71, 16, 2
	v_bfe_u32 v2, v71, 24, 2
	v_mul_i32_i24_e32 v1, v1, v95
	s_delay_alu instid0(VALU_DEP_2) | instskip(NEXT) | instid1(VALU_DEP_1)
	v_mul_i32_i24_e32 v2, v2, v94
	v_add3_u32 v27, v27, v1, v2
	v_bfe_u32 v1, v73, 16, 2
	v_bfe_u32 v2, v73, 24, 2
	s_delay_alu instid0(VALU_DEP_2) | instskip(NEXT) | instid1(VALU_DEP_2)
	v_mul_i32_i24_e32 v1, v1, v7
	v_mul_i32_i24_e32 v2, v2, v6
	s_delay_alu instid0(VALU_DEP_1) | instskip(SKIP_2) | instid1(VALU_DEP_2)
	v_add3_u32 v32, v32, v1, v2
	v_bfe_u32 v1, v116, 16, 2
	v_bfe_u32 v2, v116, 24, 2
	v_mul_i32_i24_e32 v1, v1, v95
	s_delay_alu instid0(VALU_DEP_2) | instskip(NEXT) | instid1(VALU_DEP_1)
	v_mul_i32_i24_e32 v2, v2, v94
	v_add3_u32 v33, v33, v1, v2
	v_bfe_u32 v1, v117, 16, 2
	v_bfe_u32 v2, v117, 24, 2
	s_delay_alu instid0(VALU_DEP_2) | instskip(NEXT) | instid1(VALU_DEP_2)
	v_mul_i32_i24_e32 v1, v1, v7
	v_mul_i32_i24_e32 v2, v2, v6
	v_and_b32_e32 v7, 15, v143
	s_delay_alu instid0(VALU_DEP_2) | instskip(SKIP_2) | instid1(VALU_DEP_2)
	v_add3_u32 v6, v35, v1, v2
	v_bfe_u32 v1, v114, 16, 2
	v_bfe_u32 v2, v114, 24, 2
	v_mul_i32_i24_e32 v1, v1, v95
	s_delay_alu instid0(VALU_DEP_2) | instskip(NEXT) | instid1(VALU_DEP_1)
	v_mul_i32_i24_e32 v2, v2, v94
	v_add3_u32 v35, v37, v1, v2
	v_and_b32_e32 v1, 15, v120
	ds_load_b32 v37, v5
	v_add_nc_u32_e32 v5, 4, v5
	v_mul_lo_u32 v0, v0, v1
	s_delay_alu instid0(VALU_DEP_1) | instskip(SKIP_3) | instid1(VALU_DEP_2)
	v_mad_u64_u32 v[1:2], null, v3, v38, v[0:1]
	v_mul_lo_u32 v0, v31, v34
	v_lshrrev_b32_e32 v38, 16, v130
	v_cvt_f32_f16_e32 v34, v40
	v_cvt_f32_f16_e32 v31, v38
	s_delay_alu instid0(VALU_DEP_4) | instskip(SKIP_4) | instid1(VALU_DEP_4)
	v_mad_u64_u32 v[2:3], null, v27, v41, v[0:1]
	v_lshrrev_b32_e32 v0, 16, v70
	v_lshrrev_b32_e32 v3, 16, v131
	v_and_b32_e32 v27, 15, v79
	v_and_b32_e32 v41, 15, v145
	v_cvt_f32_f16_e32 v38, v0
	s_delay_alu instid0(VALU_DEP_4)
	v_cvt_f32_f16_e32 v40, v3
	v_mul_lo_u32 v0, v32, v7
	v_mul_lo_u32 v3, v6, v27
	v_cvt_f32_i32_e32 v27, v42
	v_cvt_f32_i32_e32 v32, v46
	;; [unrolled: 1-line block ×4, first 2 shown]
	v_mad_u64_u32 v[6:7], null, v33, v41, v[0:1]
	v_mul_f32_e32 v0, v31, v27
	v_mad_u64_u32 v[94:95], null, v35, v43, v[3:4]
	v_mul_f32_e32 v3, v38, v32
	v_mul_f32_e32 v7, v34, v42
	;; [unrolled: 1-line block ×3, first 2 shown]
	v_cvt_f32_i32_e32 v1, v1
	v_cvt_f32_i32_e32 v6, v6
	v_add_nc_u32_e32 v4, 32, v4
	v_cvt_f32_i32_e32 v31, v94
	s_delay_alu instid0(VALU_DEP_4) | instskip(SKIP_2) | instid1(VALU_DEP_4)
	v_fma_mix_f32 v0, v130, v1, -v0 op_sel_hi:[1,0,0]
	v_fma_mix_f32 v1, v36, v2, -v7 op_sel_hi:[1,0,0]
	;; [unrolled: 1-line block ×4, first 2 shown]
	s_waitcnt lgkmcnt(0)
	v_fmac_f32_e32 v29, v37, v0
	v_fmac_f32_e32 v61, v37, v1
	;; [unrolled: 1-line block ×4, first 2 shown]
	s_cbranch_scc1 .LBB188_30
; %bb.31:                               ;   in Loop: Header=BB188_7 Depth=1
	s_or_b32 s1, s23, 0x180
	s_delay_alu instid0(SALU_CYCLE_1)
	s_cmp_ge_i32 s1, s5
	s_barrier
	buffer_gl0_inv
	s_cbranch_scc1 .LBB188_40
; %bb.32:                               ;   in Loop: Header=BB188_7 Depth=1
	scratch_load_b32 v0, off, off offset:96 ; 4-byte Folded Reload
	s_waitcnt vmcnt(0)
	v_add_nc_u32_e32 v0, s6, v0
	s_delay_alu instid0(VALU_DEP_1) | instskip(NEXT) | instid1(VALU_DEP_1)
	v_cmp_gt_i32_e64 s1, s8, v0
	s_and_b32 s23, s0, s1
	s_delay_alu instid0(SALU_CYCLE_1)
	s_and_saveexec_b32 s1, s23
	s_cbranch_execz .LBB188_34
; %bb.33:                               ;   in Loop: Header=BB188_7 Depth=1
	s_clause 0x1
	scratch_load_b32 v1, off, off offset:12
	scratch_load_b64 v[3:4], off, off offset:68
	s_waitcnt vmcnt(1)
	v_add_nc_u32_e32 v2, v1, v0
	s_waitcnt vmcnt(0)
	s_delay_alu instid0(VALU_DEP_1)
	v_mad_i64_i32 v[0:1], null, v2, 36, v[3:4]
	global_load_b32 v0, v[0:1], off offset:4
	scratch_load_b32 v1, off, off offset:76 ; 4-byte Folded Reload
	s_waitcnt vmcnt(0)
	ds_store_b32 v1, v0
.LBB188_34:                             ;   in Loop: Header=BB188_7 Depth=1
	s_or_b32 exec_lo, exec_lo, s1
	s_and_saveexec_b32 s23, vcc_lo
	s_cbranch_execz .LBB188_37
; %bb.35:                               ;   in Loop: Header=BB188_7 Depth=1
	v_or_b32_e32 v0, s6, v156
	s_delay_alu instid0(VALU_DEP_1) | instskip(NEXT) | instid1(VALU_DEP_1)
	v_or_b32_e32 v1, 12, v0
	v_cmp_gt_i32_e64 s1, s8, v1
	s_delay_alu instid0(VALU_DEP_1) | instskip(NEXT) | instid1(SALU_CYCLE_1)
	s_and_b32 s1, s0, s1
	s_and_b32 exec_lo, exec_lo, s1
	s_cbranch_execz .LBB188_37
; %bb.36:                               ;   in Loop: Header=BB188_7 Depth=1
	scratch_load_b32 v2, off, off offset:12 ; 4-byte Folded Reload
	v_ashrrev_i32_e32 v1, 31, v0
	s_waitcnt vmcnt(0)
	v_add_co_u32 v2, s1, v2, v0
	scratch_load_b32 v0, off, off offset:92 ; 4-byte Folded Reload
	s_waitcnt vmcnt(0)
	v_add_co_ci_u32_e64 v3, s1, v0, v1, s1
	v_mad_u64_u32 v[0:1], null, v2, 36, s[18:19]
	s_delay_alu instid0(VALU_DEP_1)
	v_mad_i32_i24 v1, v3, 36, v1
	global_load_b32 v0, v[0:1], off
	scratch_load_b32 v1, off, off offset:84 ; 4-byte Folded Reload
	s_waitcnt vmcnt(1)
	v_cvt_f32_f16_e32 v0, v0
	s_waitcnt vmcnt(0)
	ds_store_b32 v1, v0
.LBB188_37:                             ;   in Loop: Header=BB188_7 Depth=1
	s_or_b32 exec_lo, exec_lo, s23
	s_waitcnt lgkmcnt(0)
	s_clause 0x1
	scratch_load_b32 v4, off, off offset:4
	scratch_load_b32 v5, off, off offset:8
	s_mov_b32 s1, 24
	s_mov_b32 s6, 22
	s_waitcnt vmcnt(0)
	s_barrier
	buffer_gl0_inv
.LBB188_38:                             ;   Parent Loop BB188_7 Depth=1
                                        ; =>  This Inner Loop Header: Depth=2
	ds_load_b128 v[0:3], v4
	ds_load_b128 v[122:125], v4 offset:16
	s_add_i32 s23, s6, 2
	s_sub_i32 s24, s6, 22
	s_and_b32 s25, s23, 0x3ffffff8
	s_lshr_b32 s26, s23, 2
	s_lshl_b32 s25, s25, 2
	s_and_b32 s26, s26, 0x3ffffffc
	s_and_b32 s27, s1, -16
	s_add_i32 s1, s1, 2
	s_add_i32 s6, s6, s27
	s_cmp_lt_u32 s23, 30
	s_waitcnt lgkmcnt(1)
	v_bfe_i32 v120, v2, 0, 8
	v_bfe_i32 v101, v2, 8, 8
	;; [unrolled: 1-line block ×3, first 2 shown]
	v_ashrrev_i32_e32 v96, 24, v2
	v_add_nc_u32_e32 v2, s25, v60
	v_bfe_i32 v118, v0, 0, 8
	v_bfe_i32 v111, v0, 8, 8
	v_bfe_i32 v117, v0, 16, 8
	v_ashrrev_i32_e32 v116, 24, v0
	v_bfe_i32 v119, v1, 0, 8
	v_bfe_i32 v112, v1, 8, 8
	v_bfe_i32 v105, v1, 16, 8
	v_ashrrev_i32_e32 v104, 24, v1
	;; [unrolled: 4-line block ×3, first 2 shown]
	s_waitcnt lgkmcnt(0)
	v_bfe_i32 v121, v122, 0, 8
	v_bfe_i32 v106, v122, 8, 8
	v_bfe_i32 v107, v122, 16, 8
	v_ashrrev_i32_e32 v113, 24, v122
	v_bfe_i32 v122, v123, 0, 8
	v_bfe_i32 v108, v123, 8, 8
	v_bfe_i32 v109, v123, 16, 8
	v_ashrrev_i32_e32 v110, 24, v123
	;; [unrolled: 4-line block ×4, first 2 shown]
	ds_load_2addr_b32 v[124:125], v2 offset1:1
	ds_load_2addr_b32 v[0:1], v2 offset0:2 offset1:3
	ds_load_2addr_b32 v[129:130], v2 offset0:4 offset1:5
	ds_load_2addr_b32 v[2:3], v2 offset0:6 offset1:7
	s_waitcnt lgkmcnt(3)
	v_ashrrev_i32_e32 v126, s24, v124
	v_ashrrev_i32_e32 v124, s24, v125
	s_waitcnt lgkmcnt(2)
	v_ashrrev_i32_e32 v0, s24, v0
	s_waitcnt lgkmcnt(1)
	v_ashrrev_i32_e32 v127, s24, v129
	v_ashrrev_i32_e32 v125, s24, v130
	v_and_b32_e32 v27, 3, v126
	v_and_b32_e32 v31, 3, v124
	;; [unrolled: 1-line block ×3, first 2 shown]
	s_waitcnt lgkmcnt(0)
	v_ashrrev_i32_e32 v2, s24, v2
	v_ashrrev_i32_e32 v1, s24, v1
	v_mul_i32_i24_e32 v27, v27, v118
	v_ashrrev_i32_e32 v3, s24, v3
	v_mul_i32_i24_e32 v32, v32, v120
	s_delay_alu instid0(VALU_DEP_3) | instskip(SKIP_1) | instid1(VALU_DEP_1)
	v_mad_i32_i24 v27, v31, v119, v27
	v_bfe_u32 v31, v126, 8, 2
	v_mul_i32_i24_e32 v31, v31, v111
	s_delay_alu instid0(VALU_DEP_1) | instskip(SKIP_3) | instid1(VALU_DEP_3)
	v_add3_u32 v128, v27, v32, v31
	v_and_b32_e32 v27, 3, v127
	v_and_b32_e32 v31, 3, v125
	;; [unrolled: 1-line block ×3, first 2 shown]
	v_mul_i32_i24_e32 v27, v27, v121
	s_delay_alu instid0(VALU_DEP_2) | instskip(NEXT) | instid1(VALU_DEP_2)
	v_mul_i32_i24_e32 v32, v32, v123
	v_mad_i32_i24 v27, v31, v122, v27
	v_bfe_u32 v31, v127, 8, 2
	s_delay_alu instid0(VALU_DEP_1) | instskip(NEXT) | instid1(VALU_DEP_1)
	v_mul_i32_i24_e32 v31, v31, v106
	v_add3_u32 v129, v27, v32, v31
	v_add_nc_u32_e32 v27, s25, v63
	v_add_nc_u32_e32 v31, s26, v62
	ds_load_2addr_b32 v[131:132], v27 offset0:2 offset1:3
	ds_load_b32 v130, v31
	ds_load_2addr_b32 v[133:134], v27 offset1:1
	s_waitcnt lgkmcnt(2)
	v_ashrrev_i32_e32 v35, s24, v131
	s_waitcnt lgkmcnt(0)
	v_ashrrev_i32_e32 v31, s24, v133
	v_ashrrev_i32_e32 v32, s24, v134
	s_delay_alu instid0(VALU_DEP_3) | instskip(NEXT) | instid1(VALU_DEP_3)
	v_and_b32_e32 v36, 3, v35
	v_and_b32_e32 v33, 3, v31
	s_delay_alu instid0(VALU_DEP_3) | instskip(NEXT) | instid1(VALU_DEP_3)
	v_and_b32_e32 v34, 3, v32
	v_mul_i32_i24_e32 v36, v36, v120
	s_delay_alu instid0(VALU_DEP_3) | instskip(NEXT) | instid1(VALU_DEP_1)
	v_mul_i32_i24_e32 v33, v33, v118
	v_mad_i32_i24 v33, v34, v119, v33
	v_bfe_u32 v34, v31, 8, 2
	s_delay_alu instid0(VALU_DEP_1) | instskip(NEXT) | instid1(VALU_DEP_1)
	v_mul_i32_i24_e32 v34, v34, v111
	v_add3_u32 v33, v33, v36, v34
	v_add_nc_u32_e32 v34, s6, v87
	v_add_nc_u32_e32 v36, s26, v64
	ds_load_u16 v34, v34 offset:17906
	ds_load_b32 v36, v36
	ds_load_2addr_b32 v[133:134], v27 offset0:4 offset1:5
	ds_load_2addr_b32 v[135:136], v27 offset0:6 offset1:7
	s_waitcnt lgkmcnt(1)
	v_ashrrev_i32_e32 v27, s24, v133
	v_ashrrev_i32_e32 v37, s24, v134
	s_waitcnt lgkmcnt(0)
	v_ashrrev_i32_e32 v40, s24, v135
	s_delay_alu instid0(VALU_DEP_3) | instskip(NEXT) | instid1(VALU_DEP_3)
	v_and_b32_e32 v38, 3, v27
	v_and_b32_e32 v39, 3, v37
	s_delay_alu instid0(VALU_DEP_3) | instskip(NEXT) | instid1(VALU_DEP_3)
	v_and_b32_e32 v41, 3, v40
	v_mul_i32_i24_e32 v38, v38, v121
	s_delay_alu instid0(VALU_DEP_2) | instskip(NEXT) | instid1(VALU_DEP_2)
	v_mul_i32_i24_e32 v41, v41, v123
	v_mad_i32_i24 v38, v39, v122, v38
	v_bfe_u32 v39, v27, 8, 2
	s_delay_alu instid0(VALU_DEP_1) | instskip(NEXT) | instid1(VALU_DEP_1)
	v_mul_i32_i24_e32 v39, v39, v106
	v_add3_u32 v38, v38, v41, v39
	v_add_nc_u32_e32 v39, s25, v65
	ds_load_2addr_b32 v[133:134], v39 offset1:1
	ds_load_2addr_b32 v[137:138], v39 offset0:2 offset1:3
	ds_load_2addr_b32 v[139:140], v39 offset0:4 offset1:5
	;; [unrolled: 1-line block ×3, first 2 shown]
	s_waitcnt lgkmcnt(3)
	v_ashrrev_i32_e32 v39, s24, v133
	v_ashrrev_i32_e32 v41, s24, v134
	s_waitcnt lgkmcnt(2)
	v_ashrrev_i32_e32 v44, s24, v137
	s_waitcnt lgkmcnt(0)
	v_ashrrev_i32_e32 v66, s24, v141
	v_and_b32_e32 v42, 3, v39
	v_and_b32_e32 v43, 3, v41
	;; [unrolled: 1-line block ×3, first 2 shown]
	s_delay_alu instid0(VALU_DEP_4) | instskip(NEXT) | instid1(VALU_DEP_4)
	v_and_b32_e32 v70, 3, v66
	v_mul_i32_i24_e32 v42, v42, v118
	s_delay_alu instid0(VALU_DEP_3) | instskip(NEXT) | instid1(VALU_DEP_3)
	v_mul_i32_i24_e32 v46, v46, v120
	v_mul_i32_i24_e32 v70, v70, v123
	s_delay_alu instid0(VALU_DEP_3) | instskip(SKIP_1) | instid1(VALU_DEP_1)
	v_mad_i32_i24 v42, v43, v119, v42
	v_bfe_u32 v43, v39, 8, 2
	v_mul_i32_i24_e32 v43, v43, v111
	s_delay_alu instid0(VALU_DEP_1) | instskip(SKIP_2) | instid1(VALU_DEP_2)
	v_add3_u32 v42, v42, v46, v43
	v_ashrrev_i32_e32 v43, s24, v139
	v_ashrrev_i32_e32 v46, s24, v140
	v_and_b32_e32 v57, 3, v43
	s_delay_alu instid0(VALU_DEP_2) | instskip(NEXT) | instid1(VALU_DEP_2)
	v_and_b32_e32 v59, 3, v46
	v_mul_i32_i24_e32 v57, v57, v121
	s_delay_alu instid0(VALU_DEP_1) | instskip(SKIP_1) | instid1(VALU_DEP_1)
	v_mad_i32_i24 v57, v59, v122, v57
	v_bfe_u32 v59, v43, 8, 2
	v_mul_i32_i24_e32 v59, v59, v106
	s_delay_alu instid0(VALU_DEP_1)
	v_add3_u32 v57, v57, v70, v59
	v_add_nc_u32_e32 v59, s25, v68
	v_add_nc_u32_e32 v70, s26, v67
	ds_load_2addr_b32 v[133:134], v59 offset0:2 offset1:3
	ds_load_b32 v70, v70
	ds_load_2addr_b32 v[139:140], v59 offset1:1
	s_waitcnt lgkmcnt(2)
	v_ashrrev_i32_e32 v80, s24, v133
	s_waitcnt lgkmcnt(0)
	v_ashrrev_i32_e32 v71, s24, v139
	v_ashrrev_i32_e32 v72, s24, v140
	s_delay_alu instid0(VALU_DEP_3) | instskip(NEXT) | instid1(VALU_DEP_3)
	v_and_b32_e32 v131, 3, v80
	v_and_b32_e32 v73, 3, v71
	s_delay_alu instid0(VALU_DEP_3) | instskip(NEXT) | instid1(VALU_DEP_3)
	v_and_b32_e32 v79, 3, v72
	v_mul_i32_i24_e32 v131, v131, v120
	s_delay_alu instid0(VALU_DEP_3) | instskip(SKIP_1) | instid1(VALU_DEP_2)
	v_mul_i32_i24_e32 v73, v73, v118
	v_add_nc_u32_e32 v118, v119, v118
	v_mad_i32_i24 v73, v79, v119, v73
	v_bfe_u32 v79, v71, 8, 2
	s_delay_alu instid0(VALU_DEP_3) | instskip(SKIP_1) | instid1(VALU_DEP_3)
	v_add3_u32 v118, v118, v120, v114
	v_add_nc_u32_e32 v120, s6, v88
	v_mul_i32_i24_e32 v79, v79, v111
	v_add_nc_u32_e32 v111, v112, v111
	s_delay_alu instid0(VALU_DEP_2) | instskip(SKIP_2) | instid1(VALU_DEP_4)
	v_add3_u32 v73, v73, v131, v79
	v_add_nc_u32_e32 v79, s6, v85
	v_add_nc_u32_e32 v131, s26, v69
	v_add3_u32 v111, v111, v101, v97
	ds_load_u16 v79, v79 offset:19954
	ds_load_b32 v131, v131
	ds_load_2addr_b32 v[139:140], v59 offset0:4 offset1:5
	ds_load_2addr_b32 v[143:144], v59 offset0:6 offset1:7
	ds_load_u16 v120, v120 offset:16882
	s_waitcnt lgkmcnt(2)
	v_ashrrev_i32_e32 v59, s24, v139
	v_ashrrev_i32_e32 v133, s24, v140
	s_waitcnt lgkmcnt(1)
	v_ashrrev_i32_e32 v139, s24, v143
	s_delay_alu instid0(VALU_DEP_3) | instskip(NEXT) | instid1(VALU_DEP_3)
	v_and_b32_e32 v135, 3, v59
	v_and_b32_e32 v137, 3, v133
	s_delay_alu instid0(VALU_DEP_3) | instskip(NEXT) | instid1(VALU_DEP_3)
	v_and_b32_e32 v140, 3, v139
	v_mul_i32_i24_e32 v135, v135, v121
	v_add_nc_u32_e32 v121, v122, v121
	s_delay_alu instid0(VALU_DEP_3) | instskip(NEXT) | instid1(VALU_DEP_3)
	v_mul_i32_i24_e32 v140, v140, v123
	v_mad_i32_i24 v135, v137, v122, v135
	v_bfe_u32 v137, v59, 8, 2
	s_delay_alu instid0(VALU_DEP_4)
	v_add3_u32 v119, v121, v123, v115
	s_waitcnt lgkmcnt(0)
	v_lshrrev_b16 v123, 8, v120
	v_add_nc_u32_e32 v121, v104, v116
	v_add_nc_u32_e32 v122, v105, v117
	v_mul_i32_i24_e32 v137, v137, v106
	s_delay_alu instid0(VALU_DEP_4) | instskip(NEXT) | instid1(VALU_DEP_4)
	v_and_b32_e32 v123, 0xffff, v123
	v_add3_u32 v121, v121, v96, v6
	s_delay_alu instid0(VALU_DEP_4) | instskip(NEXT) | instid1(VALU_DEP_4)
	v_add3_u32 v122, v122, v100, v7
	v_add3_u32 v135, v135, v140, v137
	v_bfe_u32 v137, v120, 4, 4
	v_lshrrev_b32_e32 v141, 4, v123
	s_delay_alu instid0(VALU_DEP_2) | instskip(SKIP_1) | instid1(VALU_DEP_1)
	v_mul_lo_u32 v140, 0x1010101, v137
	v_mul_i32_i24_e32 v137, v137, v118
	v_mad_i32_i24 v137, v141, v119, v137
	s_delay_alu instid0(VALU_DEP_3) | instskip(SKIP_1) | instid1(VALU_DEP_2)
	v_lshrrev_b32_e32 v143, 24, v140
	v_bfe_i32 v145, v140, 16, 8
	v_mul_i32_i24_e32 v143, v121, v143
	s_delay_alu instid0(VALU_DEP_2) | instskip(NEXT) | instid1(VALU_DEP_1)
	v_mul_i32_i24_e32 v145, v122, v145
	v_add3_u32 v137, v137, v143, v145
	v_add_nc_u32_e32 v143, s6, v86
	s_mov_b32 s6, s23
	ds_load_u16 v143, v143 offset:18930
	s_waitcnt lgkmcnt(0)
	v_bfe_u32 v146, v143, 4, 4
	v_lshrrev_b16 v145, 8, v143
	s_delay_alu instid0(VALU_DEP_2) | instskip(NEXT) | instid1(VALU_DEP_2)
	v_mul_lo_u32 v147, 0x1010101, v146
	v_and_b32_e32 v145, 0xffff, v145
	v_mul_i32_i24_e32 v146, v146, v118
	s_delay_alu instid0(VALU_DEP_2) | instskip(NEXT) | instid1(VALU_DEP_4)
	v_lshrrev_b32_e32 v148, 4, v145
	v_lshrrev_b32_e32 v149, 24, v147
	v_bfe_i32 v150, v147, 16, 8
	s_delay_alu instid0(VALU_DEP_3) | instskip(NEXT) | instid1(VALU_DEP_3)
	v_mad_i32_i24 v146, v148, v119, v146
	v_mul_i32_i24_e32 v149, v121, v149
	s_delay_alu instid0(VALU_DEP_3) | instskip(NEXT) | instid1(VALU_DEP_1)
	v_mul_i32_i24_e32 v150, v122, v150
	v_add3_u32 v146, v146, v149, v150
	v_bfe_u32 v150, v34, 4, 4
	v_lshrrev_b16 v149, 8, v34
	v_and_b32_e32 v34, 15, v34
	s_delay_alu instid0(VALU_DEP_3) | instskip(NEXT) | instid1(VALU_DEP_3)
	v_mul_lo_u32 v151, 0x1010101, v150
	v_and_b32_e32 v149, 0xffff, v149
	v_mul_i32_i24_e32 v150, v150, v118
	s_delay_alu instid0(VALU_DEP_2) | instskip(NEXT) | instid1(VALU_DEP_4)
	v_lshrrev_b32_e32 v152, 4, v149
	v_lshrrev_b32_e32 v153, 24, v151
	v_bfe_i32 v154, v151, 16, 8
	s_delay_alu instid0(VALU_DEP_3) | instskip(NEXT) | instid1(VALU_DEP_3)
	v_mad_i32_i24 v150, v152, v119, v150
	v_mul_i32_i24_e32 v153, v121, v153
	s_delay_alu instid0(VALU_DEP_3) | instskip(NEXT) | instid1(VALU_DEP_1)
	v_mul_i32_i24_e32 v154, v122, v154
	v_add3_u32 v150, v150, v153, v154
	v_lshrrev_b16 v153, 8, v79
	v_bfe_u32 v154, v79, 4, 4
	s_delay_alu instid0(VALU_DEP_2) | instskip(NEXT) | instid1(VALU_DEP_2)
	v_and_b32_e32 v153, 0xffff, v153
	v_mul_i32_i24_e32 v118, v154, v118
	s_delay_alu instid0(VALU_DEP_2) | instskip(NEXT) | instid1(VALU_DEP_1)
	v_lshrrev_b32_e32 v155, 4, v153
	v_mad_i32_i24 v118, v155, v119, v118
	v_mul_lo_u32 v119, 0x1010101, v154
	s_delay_alu instid0(VALU_DEP_1) | instskip(NEXT) | instid1(VALU_DEP_1)
	v_lshrrev_b32_e32 v154, 24, v119
	v_mul_i32_i24_e32 v121, v121, v154
	v_bfe_i32 v154, v119, 16, 8
	v_bfe_i32 v119, v119, 8, 8
	s_delay_alu instid0(VALU_DEP_2) | instskip(NEXT) | instid1(VALU_DEP_1)
	v_mul_i32_i24_e32 v122, v122, v154
	v_add3_u32 v118, v118, v121, v122
	v_bfe_u32 v121, v126, 16, 2
	v_bfe_u32 v122, v126, 24, 2
	;; [unrolled: 1-line block ×3, first 2 shown]
	s_delay_alu instid0(VALU_DEP_3) | instskip(NEXT) | instid1(VALU_DEP_3)
	v_mul_i32_i24_e32 v121, v121, v117
	v_mul_i32_i24_e32 v122, v122, v116
	s_delay_alu instid0(VALU_DEP_3) | instskip(NEXT) | instid1(VALU_DEP_2)
	v_mul_i32_i24_e32 v126, v126, v113
	v_add3_u32 v121, v128, v121, v122
	v_bfe_u32 v122, v127, 16, 2
	v_mul_lo_u32 v127, 0x1010101, v152
	s_delay_alu instid0(VALU_DEP_2) | instskip(NEXT) | instid1(VALU_DEP_2)
	v_mul_i32_i24_e32 v122, v122, v107
	v_lshrrev_b32_e32 v128, 24, v127
	s_delay_alu instid0(VALU_DEP_2) | instskip(SKIP_2) | instid1(VALU_DEP_2)
	v_add3_u32 v122, v129, v122, v126
	v_bfe_u32 v126, v31, 16, 2
	v_bfe_u32 v31, v31, 24, 2
	v_mul_i32_i24_e32 v126, v126, v117
	s_delay_alu instid0(VALU_DEP_2) | instskip(NEXT) | instid1(VALU_DEP_1)
	v_mul_i32_i24_e32 v31, v31, v116
	v_add3_u32 v31, v33, v126, v31
	v_bfe_u32 v33, v27, 16, 2
	v_bfe_u32 v27, v27, 24, 2
	s_delay_alu instid0(VALU_DEP_2) | instskip(NEXT) | instid1(VALU_DEP_2)
	v_mul_i32_i24_e32 v33, v33, v107
	v_mul_i32_i24_e32 v27, v27, v113
	s_delay_alu instid0(VALU_DEP_1) | instskip(SKIP_3) | instid1(VALU_DEP_3)
	v_add3_u32 v27, v38, v33, v27
	v_bfe_u32 v33, v39, 16, 2
	v_bfe_u32 v38, v39, 24, 2
	;; [unrolled: 1-line block ×3, first 2 shown]
	v_mul_i32_i24_e32 v33, v33, v117
	s_delay_alu instid0(VALU_DEP_3) | instskip(NEXT) | instid1(VALU_DEP_3)
	v_mul_i32_i24_e32 v38, v38, v116
	v_mul_i32_i24_e32 v39, v39, v113
	s_delay_alu instid0(VALU_DEP_2) | instskip(SKIP_3) | instid1(VALU_DEP_3)
	v_add3_u32 v33, v42, v33, v38
	v_bfe_u32 v38, v43, 16, 2
	v_bfe_u32 v42, v71, 24, 2
	;; [unrolled: 1-line block ×3, first 2 shown]
	v_mul_i32_i24_e32 v38, v38, v107
	s_delay_alu instid0(VALU_DEP_3) | instskip(NEXT) | instid1(VALU_DEP_3)
	v_mul_i32_i24_e32 v42, v42, v116
	v_mul_i32_i24_e32 v43, v43, v113
	s_delay_alu instid0(VALU_DEP_3) | instskip(SKIP_3) | instid1(VALU_DEP_3)
	v_add3_u32 v38, v57, v38, v39
	v_bfe_u32 v39, v71, 16, 2
	v_and_b32_e32 v57, 3, v1
	v_bfe_u32 v71, v32, 8, 2
	v_mul_i32_i24_e32 v39, v39, v117
	s_delay_alu instid0(VALU_DEP_3) | instskip(NEXT) | instid1(VALU_DEP_3)
	v_mul_i32_i24_e32 v57, v57, v114
	v_mul_i32_i24_e32 v71, v71, v112
	s_delay_alu instid0(VALU_DEP_3) | instskip(SKIP_2) | instid1(VALU_DEP_2)
	v_add3_u32 v39, v73, v39, v42
	v_bfe_u32 v42, v59, 16, 2
	v_and_b32_e32 v59, 3, v3
	v_mul_i32_i24_e32 v42, v42, v107
	s_delay_alu instid0(VALU_DEP_2) | instskip(NEXT) | instid1(VALU_DEP_2)
	v_mul_i32_i24_e32 v59, v59, v115
	v_add3_u32 v42, v135, v42, v43
	v_bfe_u32 v43, v124, 8, 2
	s_delay_alu instid0(VALU_DEP_1) | instskip(NEXT) | instid1(VALU_DEP_1)
	v_mul_i32_i24_e32 v43, v43, v112
	v_add3_u32 v43, v121, v57, v43
	v_bfe_u32 v57, v125, 8, 2
	s_delay_alu instid0(VALU_DEP_1) | instskip(NEXT) | instid1(VALU_DEP_1)
	v_mul_i32_i24_e32 v57, v57, v108
	v_add3_u32 v57, v122, v59, v57
	v_ashrrev_i32_e32 v59, s24, v132
	v_mul_lo_u32 v122, 0x1010101, v148
	s_delay_alu instid0(VALU_DEP_2) | instskip(NEXT) | instid1(VALU_DEP_2)
	v_and_b32_e32 v73, 3, v59
	v_lshrrev_b32_e32 v126, 24, v122
	s_delay_alu instid0(VALU_DEP_2) | instskip(NEXT) | instid1(VALU_DEP_1)
	v_mul_i32_i24_e32 v73, v73, v114
	v_add3_u32 v31, v31, v73, v71
	v_ashrrev_i32_e32 v71, s24, v136
	v_bfe_u32 v73, v37, 8, 2
	s_delay_alu instid0(VALU_DEP_2) | instskip(NEXT) | instid1(VALU_DEP_2)
	v_and_b32_e32 v116, 3, v71
	v_mul_i32_i24_e32 v73, v73, v108
	s_delay_alu instid0(VALU_DEP_2) | instskip(NEXT) | instid1(VALU_DEP_1)
	v_mul_i32_i24_e32 v116, v116, v115
	v_add3_u32 v27, v27, v116, v73
	v_ashrrev_i32_e32 v73, s24, v138
	v_bfe_u32 v116, v41, 8, 2
	s_delay_alu instid0(VALU_DEP_2) | instskip(NEXT) | instid1(VALU_DEP_2)
	v_and_b32_e32 v117, 3, v73
	v_mul_i32_i24_e32 v116, v116, v112
	s_delay_alu instid0(VALU_DEP_2) | instskip(NEXT) | instid1(VALU_DEP_1)
	v_mul_i32_i24_e32 v117, v117, v114
	v_add3_u32 v33, v33, v117, v116
	v_ashrrev_i32_e32 v116, s24, v142
	v_bfe_u32 v117, v46, 8, 2
	s_delay_alu instid0(VALU_DEP_2) | instskip(NEXT) | instid1(VALU_DEP_2)
	v_and_b32_e32 v121, 3, v116
	v_mul_i32_i24_e32 v117, v117, v108
	s_delay_alu instid0(VALU_DEP_2) | instskip(NEXT) | instid1(VALU_DEP_1)
	v_mul_i32_i24_e32 v121, v121, v115
	v_add3_u32 v38, v38, v121, v117
	v_ashrrev_i32_e32 v117, s24, v134
	s_delay_alu instid0(VALU_DEP_1) | instskip(NEXT) | instid1(VALU_DEP_1)
	v_and_b32_e32 v121, 3, v117
	v_mul_i32_i24_e32 v114, v121, v114
	v_bfe_u32 v121, v72, 8, 2
	s_delay_alu instid0(VALU_DEP_1) | instskip(SKIP_2) | instid1(VALU_DEP_3)
	v_mul_i32_i24_e32 v121, v121, v112
	v_add_nc_u32_e32 v112, v110, v113
	v_bfe_i32 v113, v140, 8, 8
	v_add3_u32 v39, v39, v114, v121
	v_ashrrev_i32_e32 v114, s24, v144
	s_delay_alu instid0(VALU_DEP_4) | instskip(NEXT) | instid1(VALU_DEP_4)
	v_add3_u32 v112, v112, v98, v94
	v_mul_i32_i24_e32 v113, v111, v113
	s_delay_alu instid0(VALU_DEP_3) | instskip(NEXT) | instid1(VALU_DEP_3)
	v_and_b32_e32 v121, 3, v114
	v_mul_i32_i24_e32 v126, v112, v126
	v_mul_i32_i24_e32 v128, v112, v128
	s_delay_alu instid0(VALU_DEP_3) | instskip(SKIP_1) | instid1(VALU_DEP_1)
	v_mul_i32_i24_e32 v115, v121, v115
	v_bfe_u32 v121, v133, 8, 2
	v_mul_i32_i24_e32 v121, v121, v108
	s_delay_alu instid0(VALU_DEP_1) | instskip(SKIP_1) | instid1(VALU_DEP_1)
	v_add3_u32 v42, v42, v115, v121
	v_mul_lo_u32 v115, 0x1010101, v141
	v_lshrrev_b32_e32 v121, 24, v115
	s_delay_alu instid0(VALU_DEP_1) | instskip(NEXT) | instid1(VALU_DEP_1)
	v_mul_i32_i24_e32 v121, v112, v121
	v_add3_u32 v113, v137, v113, v121
	v_bfe_i32 v121, v147, 8, 8
	s_delay_alu instid0(VALU_DEP_1) | instskip(NEXT) | instid1(VALU_DEP_1)
	v_mul_i32_i24_e32 v121, v111, v121
	v_add3_u32 v121, v146, v121, v126
	v_bfe_i32 v126, v151, 8, 8
	s_delay_alu instid0(VALU_DEP_1) | instskip(SKIP_2) | instid1(VALU_DEP_3)
	v_mul_i32_i24_e32 v126, v111, v126
	v_mul_i32_i24_e32 v111, v111, v119
	v_mul_lo_u32 v119, 0x1010101, v155
	v_add3_u32 v126, v150, v126, v128
	s_delay_alu instid0(VALU_DEP_2) | instskip(NEXT) | instid1(VALU_DEP_1)
	v_lshrrev_b32_e32 v128, 24, v119
	v_mul_i32_i24_e32 v112, v112, v128
	s_delay_alu instid0(VALU_DEP_1) | instskip(SKIP_2) | instid1(VALU_DEP_2)
	v_add3_u32 v111, v118, v111, v112
	v_bfe_u32 v112, v124, 16, 2
	v_bfe_u32 v118, v124, 24, 2
	v_mul_i32_i24_e32 v112, v112, v105
	s_delay_alu instid0(VALU_DEP_2) | instskip(NEXT) | instid1(VALU_DEP_1)
	v_mul_i32_i24_e32 v118, v118, v104
	v_add3_u32 v43, v43, v112, v118
	v_bfe_u32 v112, v125, 16, 2
	v_bfe_u32 v118, v125, 24, 2
	s_delay_alu instid0(VALU_DEP_2) | instskip(NEXT) | instid1(VALU_DEP_2)
	v_mul_i32_i24_e32 v112, v112, v109
	v_mul_i32_i24_e32 v118, v118, v110
	s_delay_alu instid0(VALU_DEP_1) | instskip(SKIP_2) | instid1(VALU_DEP_2)
	v_add3_u32 v57, v57, v112, v118
	v_bfe_u32 v112, v32, 16, 2
	v_bfe_u32 v32, v32, 24, 2
	v_mul_i32_i24_e32 v112, v112, v105
	s_delay_alu instid0(VALU_DEP_2) | instskip(NEXT) | instid1(VALU_DEP_1)
	v_mul_i32_i24_e32 v32, v32, v104
	v_add3_u32 v31, v31, v112, v32
	v_bfe_u32 v32, v37, 16, 2
	v_bfe_u32 v37, v37, 24, 2
	s_delay_alu instid0(VALU_DEP_2) | instskip(NEXT) | instid1(VALU_DEP_2)
	v_mul_i32_i24_e32 v32, v32, v109
	v_mul_i32_i24_e32 v37, v37, v110
	s_delay_alu instid0(VALU_DEP_1) | instskip(SKIP_3) | instid1(VALU_DEP_3)
	v_add3_u32 v27, v27, v32, v37
	v_bfe_u32 v32, v41, 16, 2
	v_bfe_u32 v37, v41, 24, 2
	v_add_nc_u32_e32 v41, v108, v106
	v_mul_i32_i24_e32 v32, v32, v105
	s_delay_alu instid0(VALU_DEP_3) | instskip(NEXT) | instid1(VALU_DEP_3)
	v_mul_i32_i24_e32 v37, v37, v104
	v_add3_u32 v41, v41, v103, v99
	s_delay_alu instid0(VALU_DEP_2) | instskip(SKIP_3) | instid1(VALU_DEP_3)
	v_add3_u32 v32, v33, v32, v37
	v_bfe_u32 v33, v46, 16, 2
	v_bfe_u32 v37, v46, 24, 2
	v_bfe_i32 v46, v115, 8, 8
	v_mul_i32_i24_e32 v33, v33, v109
	s_delay_alu instid0(VALU_DEP_3) | instskip(NEXT) | instid1(VALU_DEP_3)
	v_mul_i32_i24_e32 v37, v37, v110
	v_mul_i32_i24_e32 v46, v41, v46
	s_delay_alu instid0(VALU_DEP_2) | instskip(SKIP_3) | instid1(VALU_DEP_3)
	v_add3_u32 v33, v38, v33, v37
	v_bfe_u32 v37, v72, 16, 2
	v_bfe_u32 v38, v72, 24, 2
	v_bfe_i32 v72, v122, 8, 8
	v_mul_i32_i24_e32 v37, v37, v105
	s_delay_alu instid0(VALU_DEP_3) | instskip(NEXT) | instid1(VALU_DEP_3)
	v_mul_i32_i24_e32 v38, v38, v104
	v_mul_i32_i24_e32 v72, v41, v72
	v_bfe_i32 v104, v127, 8, 8
	s_delay_alu instid0(VALU_DEP_3) | instskip(SKIP_2) | instid1(VALU_DEP_4)
	v_add3_u32 v37, v39, v37, v38
	v_bfe_u32 v38, v133, 24, 2
	v_bfe_u32 v39, v133, 16, 2
	v_mul_i32_i24_e32 v104, v41, v104
	s_delay_alu instid0(VALU_DEP_3) | instskip(NEXT) | instid1(VALU_DEP_3)
	v_mul_i32_i24_e32 v38, v38, v110
	v_mul_i32_i24_e32 v39, v39, v109
	s_delay_alu instid0(VALU_DEP_1) | instskip(SKIP_2) | instid1(VALU_DEP_2)
	v_add3_u32 v38, v42, v39, v38
	v_add_nc_u32_e32 v39, v109, v107
	v_bfe_i32 v42, v115, 16, 8
	v_add3_u32 v39, v39, v102, v95
	s_delay_alu instid0(VALU_DEP_1) | instskip(NEXT) | instid1(VALU_DEP_1)
	v_mul_i32_i24_e32 v42, v39, v42
	v_add3_u32 v42, v113, v42, v46
	v_bfe_i32 v46, v122, 16, 8
	s_delay_alu instid0(VALU_DEP_1) | instskip(NEXT) | instid1(VALU_DEP_1)
	v_mul_i32_i24_e32 v46, v39, v46
	v_add3_u32 v46, v121, v46, v72
	v_bfe_i32 v72, v127, 16, 8
	;; [unrolled: 4-line block ×3, first 2 shown]
	s_delay_alu instid0(VALU_DEP_1) | instskip(SKIP_1) | instid1(VALU_DEP_1)
	v_mul_i32_i24_e32 v39, v39, v104
	v_bfe_i32 v104, v119, 8, 8
	v_mul_i32_i24_e32 v41, v41, v104
	v_bfe_u32 v104, v0, 16, 2
	s_delay_alu instid0(VALU_DEP_2) | instskip(SKIP_1) | instid1(VALU_DEP_3)
	v_add3_u32 v39, v111, v39, v41
	v_bfe_u32 v41, v0, 8, 2
	v_mul_i32_i24_e32 v104, v104, v100
	v_bfe_u32 v0, v0, 24, 2
	s_delay_alu instid0(VALU_DEP_4) | instskip(NEXT) | instid1(VALU_DEP_4)
	v_cvt_f32_i32_e32 v39, v39
	v_mul_i32_i24_e32 v41, v41, v101
	s_delay_alu instid0(VALU_DEP_3) | instskip(NEXT) | instid1(VALU_DEP_2)
	v_mul_i32_i24_e32 v0, v0, v96
	v_add3_u32 v41, v43, v41, v104
	v_bfe_u32 v43, v2, 8, 2
	v_bfe_u32 v104, v2, 16, 2
	;; [unrolled: 1-line block ×3, first 2 shown]
	s_delay_alu instid0(VALU_DEP_3) | instskip(NEXT) | instid1(VALU_DEP_3)
	v_mul_i32_i24_e32 v43, v43, v103
	v_mul_i32_i24_e32 v104, v104, v102
	s_delay_alu instid0(VALU_DEP_3) | instskip(NEXT) | instid1(VALU_DEP_2)
	v_mul_i32_i24_e32 v2, v2, v98
	v_add3_u32 v43, v57, v43, v104
	v_bfe_u32 v57, v35, 8, 2
	v_bfe_u32 v104, v35, 16, 2
	;; [unrolled: 1-line block ×3, first 2 shown]
	s_delay_alu instid0(VALU_DEP_3) | instskip(NEXT) | instid1(VALU_DEP_3)
	v_mul_i32_i24_e32 v57, v57, v101
	v_mul_i32_i24_e32 v104, v104, v100
	s_delay_alu instid0(VALU_DEP_3) | instskip(NEXT) | instid1(VALU_DEP_2)
	v_mul_i32_i24_e32 v35, v35, v96
	v_add3_u32 v31, v31, v57, v104
	v_bfe_u32 v57, v40, 8, 2
	v_bfe_u32 v104, v40, 16, 2
	s_delay_alu instid0(VALU_DEP_2) | instskip(NEXT) | instid1(VALU_DEP_2)
	v_mul_i32_i24_e32 v57, v57, v103
	v_mul_i32_i24_e32 v104, v104, v102
	s_delay_alu instid0(VALU_DEP_1) | instskip(SKIP_2) | instid1(VALU_DEP_2)
	v_add3_u32 v27, v27, v57, v104
	v_bfe_u32 v57, v44, 8, 2
	v_bfe_u32 v104, v44, 16, 2
	v_mul_i32_i24_e32 v57, v57, v101
	s_delay_alu instid0(VALU_DEP_2) | instskip(NEXT) | instid1(VALU_DEP_1)
	v_mul_i32_i24_e32 v104, v104, v100
	v_add3_u32 v32, v32, v57, v104
	v_bfe_u32 v57, v66, 8, 2
	v_bfe_u32 v104, v66, 16, 2
	s_delay_alu instid0(VALU_DEP_2) | instskip(NEXT) | instid1(VALU_DEP_2)
	v_mul_i32_i24_e32 v57, v57, v103
	v_mul_i32_i24_e32 v104, v104, v102
	s_delay_alu instid0(VALU_DEP_1) | instskip(SKIP_1) | instid1(VALU_DEP_1)
	v_add3_u32 v33, v33, v57, v104
	v_bfe_u32 v57, v80, 8, 2
	v_mul_i32_i24_e32 v57, v57, v101
	v_bfe_u32 v101, v80, 16, 2
	s_delay_alu instid0(VALU_DEP_1) | instskip(NEXT) | instid1(VALU_DEP_1)
	v_mul_i32_i24_e32 v100, v101, v100
	v_add3_u32 v37, v37, v57, v100
	v_bfe_u32 v57, v139, 8, 2
	v_bfe_u32 v100, v139, 16, 2
	s_delay_alu instid0(VALU_DEP_2) | instskip(NEXT) | instid1(VALU_DEP_2)
	v_mul_i32_i24_e32 v57, v57, v103
	v_mul_i32_i24_e32 v100, v100, v102
	s_delay_alu instid0(VALU_DEP_1) | instskip(SKIP_1) | instid1(VALU_DEP_1)
	v_add3_u32 v38, v38, v57, v100
	v_bfe_u32 v57, v1, 8, 2
	v_mul_i32_i24_e32 v57, v57, v97
	s_delay_alu instid0(VALU_DEP_1) | instskip(SKIP_1) | instid1(VALU_DEP_1)
	v_add3_u32 v0, v41, v0, v57
	v_bfe_u32 v41, v3, 8, 2
	v_mul_i32_i24_e32 v41, v41, v99
	s_delay_alu instid0(VALU_DEP_1) | instskip(SKIP_2) | instid1(VALU_DEP_2)
	v_add3_u32 v2, v43, v2, v41
	v_bfe_u32 v41, v59, 8, 2
	v_and_b32_e32 v43, 15, v153
	v_mul_i32_i24_e32 v41, v41, v97
	s_delay_alu instid0(VALU_DEP_1) | instskip(SKIP_3) | instid1(VALU_DEP_3)
	v_add3_u32 v31, v31, v35, v41
	v_bfe_u32 v35, v40, 24, 2
	v_bfe_u32 v40, v71, 8, 2
	v_and_b32_e32 v41, 15, v149
	v_mul_i32_i24_e32 v35, v35, v98
	s_delay_alu instid0(VALU_DEP_3) | instskip(NEXT) | instid1(VALU_DEP_1)
	v_mul_i32_i24_e32 v40, v40, v99
	v_add3_u32 v27, v27, v35, v40
	v_bfe_u32 v35, v44, 24, 2
	v_bfe_u32 v40, v73, 8, 2
	s_delay_alu instid0(VALU_DEP_2) | instskip(NEXT) | instid1(VALU_DEP_2)
	v_mul_i32_i24_e32 v35, v35, v96
	v_mul_i32_i24_e32 v40, v40, v97
	s_delay_alu instid0(VALU_DEP_1) | instskip(SKIP_2) | instid1(VALU_DEP_2)
	v_add3_u32 v32, v32, v35, v40
	v_bfe_u32 v35, v66, 24, 2
	v_bfe_u32 v40, v116, 8, 2
	v_mul_i32_i24_e32 v35, v35, v98
	s_delay_alu instid0(VALU_DEP_2) | instskip(NEXT) | instid1(VALU_DEP_1)
	v_mul_i32_i24_e32 v40, v40, v99
	v_add3_u32 v33, v33, v35, v40
	v_bfe_u32 v35, v80, 24, 2
	v_bfe_u32 v40, v117, 8, 2
	s_delay_alu instid0(VALU_DEP_2) | instskip(NEXT) | instid1(VALU_DEP_2)
	v_mul_i32_i24_e32 v35, v35, v96
	v_mul_i32_i24_e32 v40, v40, v97
	s_delay_alu instid0(VALU_DEP_1) | instskip(SKIP_2) | instid1(VALU_DEP_2)
	v_add3_u32 v35, v37, v35, v40
	v_bfe_u32 v37, v139, 24, 2
	v_bfe_u32 v40, v114, 8, 2
	v_mul_i32_i24_e32 v37, v37, v98
	s_delay_alu instid0(VALU_DEP_2) | instskip(NEXT) | instid1(VALU_DEP_1)
	v_mul_i32_i24_e32 v40, v40, v99
	v_add3_u32 v37, v38, v37, v40
	v_bfe_u32 v38, v1, 16, 2
	v_bfe_u32 v1, v1, 24, 2
	v_lshrrev_b32_e32 v40, 16, v36
	s_delay_alu instid0(VALU_DEP_3) | instskip(NEXT) | instid1(VALU_DEP_3)
	v_mul_i32_i24_e32 v38, v38, v7
	v_mul_i32_i24_e32 v1, v1, v6
	s_delay_alu instid0(VALU_DEP_1) | instskip(SKIP_3) | instid1(VALU_DEP_3)
	v_add3_u32 v0, v0, v38, v1
	v_bfe_u32 v1, v3, 16, 2
	v_bfe_u32 v3, v3, 24, 2
	v_and_b32_e32 v38, 15, v123
	v_mul_i32_i24_e32 v1, v1, v95
	s_delay_alu instid0(VALU_DEP_3) | instskip(NEXT) | instid1(VALU_DEP_1)
	v_mul_i32_i24_e32 v3, v3, v94
	v_add3_u32 v3, v2, v1, v3
	v_bfe_u32 v1, v59, 16, 2
	v_bfe_u32 v2, v59, 24, 2
	s_delay_alu instid0(VALU_DEP_2) | instskip(NEXT) | instid1(VALU_DEP_2)
	v_mul_i32_i24_e32 v1, v1, v7
	v_mul_i32_i24_e32 v2, v2, v6
	s_delay_alu instid0(VALU_DEP_1) | instskip(SKIP_2) | instid1(VALU_DEP_2)
	v_add3_u32 v31, v31, v1, v2
	v_bfe_u32 v1, v71, 16, 2
	v_bfe_u32 v2, v71, 24, 2
	v_mul_i32_i24_e32 v1, v1, v95
	s_delay_alu instid0(VALU_DEP_2) | instskip(NEXT) | instid1(VALU_DEP_1)
	v_mul_i32_i24_e32 v2, v2, v94
	v_add3_u32 v27, v27, v1, v2
	v_bfe_u32 v1, v73, 16, 2
	v_bfe_u32 v2, v73, 24, 2
	s_delay_alu instid0(VALU_DEP_2) | instskip(NEXT) | instid1(VALU_DEP_2)
	v_mul_i32_i24_e32 v1, v1, v7
	v_mul_i32_i24_e32 v2, v2, v6
	s_delay_alu instid0(VALU_DEP_1) | instskip(SKIP_2) | instid1(VALU_DEP_2)
	v_add3_u32 v32, v32, v1, v2
	v_bfe_u32 v1, v116, 16, 2
	v_bfe_u32 v2, v116, 24, 2
	v_mul_i32_i24_e32 v1, v1, v95
	s_delay_alu instid0(VALU_DEP_2) | instskip(NEXT) | instid1(VALU_DEP_1)
	v_mul_i32_i24_e32 v2, v2, v94
	v_add3_u32 v33, v33, v1, v2
	v_bfe_u32 v1, v117, 16, 2
	v_bfe_u32 v2, v117, 24, 2
	s_delay_alu instid0(VALU_DEP_2) | instskip(NEXT) | instid1(VALU_DEP_2)
	v_mul_i32_i24_e32 v1, v1, v7
	v_mul_i32_i24_e32 v2, v2, v6
	v_and_b32_e32 v7, 15, v143
	s_delay_alu instid0(VALU_DEP_2) | instskip(SKIP_2) | instid1(VALU_DEP_2)
	v_add3_u32 v6, v35, v1, v2
	v_bfe_u32 v1, v114, 16, 2
	v_bfe_u32 v2, v114, 24, 2
	v_mul_i32_i24_e32 v1, v1, v95
	s_delay_alu instid0(VALU_DEP_2) | instskip(NEXT) | instid1(VALU_DEP_1)
	v_mul_i32_i24_e32 v2, v2, v94
	v_add3_u32 v35, v37, v1, v2
	v_and_b32_e32 v1, 15, v120
	ds_load_b32 v37, v5
	v_add_nc_u32_e32 v5, 4, v5
	v_mul_lo_u32 v0, v0, v1
	s_delay_alu instid0(VALU_DEP_1) | instskip(SKIP_3) | instid1(VALU_DEP_2)
	v_mad_u64_u32 v[1:2], null, v3, v38, v[0:1]
	v_mul_lo_u32 v0, v31, v34
	v_lshrrev_b32_e32 v38, 16, v130
	v_cvt_f32_f16_e32 v34, v40
	v_cvt_f32_f16_e32 v31, v38
	s_delay_alu instid0(VALU_DEP_4) | instskip(SKIP_4) | instid1(VALU_DEP_4)
	v_mad_u64_u32 v[2:3], null, v27, v41, v[0:1]
	v_lshrrev_b32_e32 v0, 16, v70
	v_lshrrev_b32_e32 v3, 16, v131
	v_and_b32_e32 v27, 15, v79
	v_and_b32_e32 v41, 15, v145
	v_cvt_f32_f16_e32 v38, v0
	s_delay_alu instid0(VALU_DEP_4)
	v_cvt_f32_f16_e32 v40, v3
	v_mul_lo_u32 v0, v32, v7
	v_mul_lo_u32 v3, v6, v27
	v_cvt_f32_i32_e32 v27, v42
	v_cvt_f32_i32_e32 v32, v46
	;; [unrolled: 1-line block ×4, first 2 shown]
	v_mad_u64_u32 v[6:7], null, v33, v41, v[0:1]
	v_mul_f32_e32 v0, v31, v27
	v_mad_u64_u32 v[94:95], null, v35, v43, v[3:4]
	v_mul_f32_e32 v3, v38, v32
	v_mul_f32_e32 v7, v34, v42
	;; [unrolled: 1-line block ×3, first 2 shown]
	v_cvt_f32_i32_e32 v1, v1
	v_cvt_f32_i32_e32 v6, v6
	v_add_nc_u32_e32 v4, 32, v4
	v_cvt_f32_i32_e32 v31, v94
	s_delay_alu instid0(VALU_DEP_4) | instskip(SKIP_2) | instid1(VALU_DEP_4)
	v_fma_mix_f32 v0, v130, v1, -v0 op_sel_hi:[1,0,0]
	v_fma_mix_f32 v1, v36, v2, -v7 op_sel_hi:[1,0,0]
	;; [unrolled: 1-line block ×4, first 2 shown]
	s_waitcnt lgkmcnt(0)
	v_fmac_f32_e32 v29, v37, v0
	v_fmac_f32_e32 v61, v37, v1
	;; [unrolled: 1-line block ×4, first 2 shown]
	s_cbranch_scc1 .LBB188_38
; %bb.39:                               ;   in Loop: Header=BB188_7 Depth=1
	s_barrier
	buffer_gl0_inv
.LBB188_40:                             ;   in Loop: Header=BB188_7 Depth=1
	v_dual_mov_b32 v31, v51 :: v_dual_mov_b32 v32, v53
	v_dual_mov_b32 v33, v54 :: v_dual_mov_b32 v34, v55
	v_mov_b32_e32 v39, v26
	v_mov_b32_e32 v40, v10
	v_dual_mov_b32 v10, v11 :: v_dual_mov_b32 v11, v12
	v_dual_mov_b32 v12, v13 :: v_dual_mov_b32 v13, v14
	;; [unrolled: 1-line block ×5, first 2 shown]
	v_mov_b32_e32 v20, v21
	s_clause 0x9
	scratch_load_b64 v[42:43], off, off offset:16
	scratch_load_b32 v21, off, off offset:32
	scratch_load_b32 v41, off, off offset:36
	;; [unrolled: 1-line block ×8, first 2 shown]
	scratch_load_b64 v[43:44], off, off offset:24
	s_branch .LBB188_42
.LBB188_41:                             ;   in Loop: Header=BB188_7 Depth=1
	scratch_load_b64 v[42:43], off, off offset:16 ; 8-byte Folded Reload
	v_dual_mov_b32 v31, v51 :: v_dual_mov_b32 v32, v53
	v_dual_mov_b32 v33, v54 :: v_dual_mov_b32 v34, v55
	v_mov_b32_e32 v39, v26
	v_mov_b32_e32 v40, v10
	v_dual_mov_b32 v10, v11 :: v_dual_mov_b32 v11, v12
	v_dual_mov_b32 v12, v13 :: v_dual_mov_b32 v13, v14
	;; [unrolled: 1-line block ×5, first 2 shown]
	v_mov_b32_e32 v20, v21
	s_clause 0x8
	scratch_load_b64 v[43:44], off, off offset:24
	scratch_load_b32 v21, off, off offset:32
	scratch_load_b32 v41, off, off offset:36
	scratch_load_b32 v46, off, off offset:44
	scratch_load_b32 v26, off, off offset:48
	scratch_load_b32 v27, off, off offset:52
	scratch_load_b32 v51, off, off offset:56
	scratch_load_b32 v53, off, off offset:60
	scratch_load_b32 v54, off, off offset:64
.LBB188_42:                             ;   in Loop: Header=BB188_7 Depth=1
	scratch_load_b32 v44, off, off offset:40 ; 4-byte Folded Reload
	s_branch .LBB188_5
.LBB188_43:
	scratch_load_b32 v27, off, off offset:100 ; 4-byte Folded Reload
.LBB188_44:
	s_mul_i32 s0, s10, s7
	s_waitcnt vmcnt(0)
	v_cmp_gt_i32_e32 vcc_lo, s0, v27
	s_and_saveexec_b32 s0, vcc_lo
	s_cbranch_execz .LBB188_53
; %bb.45:
	v_mul_lo_u32 v0, v27, s9
	v_add_nc_u32_e32 v1, s11, v156
	s_mov_b32 s0, exec_lo
	s_delay_alu instid0(VALU_DEP_1)
	v_cmpx_gt_u32_e64 s9, v1
	s_cbranch_execz .LBB188_47
; %bb.46:
	s_delay_alu instid0(VALU_DEP_3) | instskip(NEXT) | instid1(VALU_DEP_1)
	v_dual_mov_b32 v3, 0 :: v_dual_add_nc_u32 v2, v0, v1
	v_lshlrev_b64 v[2:3], 2, v[2:3]
	s_delay_alu instid0(VALU_DEP_1) | instskip(NEXT) | instid1(VALU_DEP_2)
	v_add_co_u32 v2, vcc_lo, s12, v2
	v_add_co_ci_u32_e32 v3, vcc_lo, s13, v3, vcc_lo
	global_store_b32 v[2:3], v29, off
.LBB188_47:
	s_or_b32 exec_lo, exec_lo, s0
	v_add_nc_u32_e32 v2, 32, v1
	s_mov_b32 s0, exec_lo
	s_delay_alu instid0(VALU_DEP_1)
	v_cmpx_gt_u32_e64 s9, v2
	s_cbranch_execz .LBB188_49
; %bb.48:
	v_dual_mov_b32 v3, 0 :: v_dual_add_nc_u32 v2, v0, v2
	s_delay_alu instid0(VALU_DEP_1) | instskip(NEXT) | instid1(VALU_DEP_1)
	v_lshlrev_b64 v[2:3], 2, v[2:3]
	v_add_co_u32 v2, vcc_lo, s12, v2
	s_delay_alu instid0(VALU_DEP_2)
	v_add_co_ci_u32_e32 v3, vcc_lo, s13, v3, vcc_lo
	global_store_b32 v[2:3], v61, off
.LBB188_49:
	s_or_b32 exec_lo, exec_lo, s0
	v_add_nc_u32_e32 v2, 64, v1
	s_mov_b32 s0, exec_lo
	s_delay_alu instid0(VALU_DEP_1)
	v_cmpx_gt_u32_e64 s9, v2
	s_cbranch_execz .LBB188_51
; %bb.50:
	v_dual_mov_b32 v3, 0 :: v_dual_add_nc_u32 v2, v0, v2
	s_delay_alu instid0(VALU_DEP_1) | instskip(NEXT) | instid1(VALU_DEP_1)
	v_lshlrev_b64 v[2:3], 2, v[2:3]
	v_add_co_u32 v2, vcc_lo, s12, v2
	s_delay_alu instid0(VALU_DEP_2)
	v_add_co_ci_u32_e32 v3, vcc_lo, s13, v3, vcc_lo
	global_store_b32 v[2:3], v58, off
.LBB188_51:
	s_or_b32 exec_lo, exec_lo, s0
	v_add_nc_u32_e32 v1, 0x60, v1
	s_delay_alu instid0(VALU_DEP_1)
	v_cmp_gt_u32_e32 vcc_lo, s9, v1
	s_and_b32 exec_lo, exec_lo, vcc_lo
	s_cbranch_execz .LBB188_53
; %bb.52:
	v_dual_mov_b32 v1, 0 :: v_dual_add_nc_u32 v0, v0, v1
	s_delay_alu instid0(VALU_DEP_1) | instskip(NEXT) | instid1(VALU_DEP_1)
	v_lshlrev_b64 v[0:1], 2, v[0:1]
	v_add_co_u32 v0, vcc_lo, s12, v0
	s_delay_alu instid0(VALU_DEP_2)
	v_add_co_ci_u32_e32 v1, vcc_lo, s13, v1, vcc_lo
	global_store_b32 v[0:1], v24, off
.LBB188_53:
	s_endpgm
	.section	.rodata,"a",@progbits
	.p2align	6, 0x0
	.amdhsa_kernel _ZL8moe_q2_KIfLb1EEvPKvS1_PT_PKiS5_S5_iiiiiii
		.amdhsa_group_segment_fixed_size 23328
		.amdhsa_private_segment_fixed_size 108
		.amdhsa_kernarg_size 76
		.amdhsa_user_sgpr_count 14
		.amdhsa_user_sgpr_dispatch_ptr 0
		.amdhsa_user_sgpr_queue_ptr 0
		.amdhsa_user_sgpr_kernarg_segment_ptr 1
		.amdhsa_user_sgpr_dispatch_id 0
		.amdhsa_user_sgpr_private_segment_size 0
		.amdhsa_wavefront_size32 1
		.amdhsa_uses_dynamic_stack 0
		.amdhsa_enable_private_segment 1
		.amdhsa_system_sgpr_workgroup_id_x 1
		.amdhsa_system_sgpr_workgroup_id_y 1
		.amdhsa_system_sgpr_workgroup_id_z 0
		.amdhsa_system_sgpr_workgroup_info 0
		.amdhsa_system_vgpr_workitem_id 1
		.amdhsa_next_free_vgpr 256
		.amdhsa_next_free_sgpr 30
		.amdhsa_reserve_vcc 1
		.amdhsa_float_round_mode_32 0
		.amdhsa_float_round_mode_16_64 0
		.amdhsa_float_denorm_mode_32 3
		.amdhsa_float_denorm_mode_16_64 3
		.amdhsa_dx10_clamp 1
		.amdhsa_ieee_mode 1
		.amdhsa_fp16_overflow 0
		.amdhsa_workgroup_processor_mode 1
		.amdhsa_memory_ordered 1
		.amdhsa_forward_progress 0
		.amdhsa_shared_vgpr_count 0
		.amdhsa_exception_fp_ieee_invalid_op 0
		.amdhsa_exception_fp_denorm_src 0
		.amdhsa_exception_fp_ieee_div_zero 0
		.amdhsa_exception_fp_ieee_overflow 0
		.amdhsa_exception_fp_ieee_underflow 0
		.amdhsa_exception_fp_ieee_inexact 0
		.amdhsa_exception_int_div_zero 0
	.end_amdhsa_kernel
	.section	.text._ZL8moe_q2_KIfLb1EEvPKvS1_PT_PKiS5_S5_iiiiiii,"axG",@progbits,_ZL8moe_q2_KIfLb1EEvPKvS1_PT_PKiS5_S5_iiiiiii,comdat
.Lfunc_end188:
	.size	_ZL8moe_q2_KIfLb1EEvPKvS1_PT_PKiS5_S5_iiiiiii, .Lfunc_end188-_ZL8moe_q2_KIfLb1EEvPKvS1_PT_PKiS5_S5_iiiiiii
                                        ; -- End function
	.section	.AMDGPU.csdata,"",@progbits
; Kernel info:
; codeLenInByte = 20996
; NumSgprs: 32
; NumVgprs: 256
; ScratchSize: 108
; MemoryBound: 0
; FloatMode: 240
; IeeeMode: 1
; LDSByteSize: 23328 bytes/workgroup (compile time only)
; SGPRBlocks: 3
; VGPRBlocks: 31
; NumSGPRsForWavesPerEU: 32
; NumVGPRsForWavesPerEU: 256
; Occupancy: 5
; WaveLimiterHint : 1
; COMPUTE_PGM_RSRC2:SCRATCH_EN: 1
; COMPUTE_PGM_RSRC2:USER_SGPR: 14
; COMPUTE_PGM_RSRC2:TRAP_HANDLER: 0
; COMPUTE_PGM_RSRC2:TGID_X_EN: 1
; COMPUTE_PGM_RSRC2:TGID_Y_EN: 1
; COMPUTE_PGM_RSRC2:TGID_Z_EN: 0
; COMPUTE_PGM_RSRC2:TIDIG_COMP_CNT: 1
	.section	.text._ZL8moe_q3_KIfLb0EEvPKvS1_PT_PKiS5_S5_iiiiiii,"axG",@progbits,_ZL8moe_q3_KIfLb0EEvPKvS1_PT_PKiS5_S5_iiiiiii,comdat
	.globl	_ZL8moe_q3_KIfLb0EEvPKvS1_PT_PKiS5_S5_iiiiiii ; -- Begin function _ZL8moe_q3_KIfLb0EEvPKvS1_PT_PKiS5_S5_iiiiiii
	.p2align	8
	.type	_ZL8moe_q3_KIfLb0EEvPKvS1_PT_PKiS5_S5_iiiiiii,@function
_ZL8moe_q3_KIfLb0EEvPKvS1_PT_PKiS5_S5_iiiiiii: ; @_ZL8moe_q3_KIfLb0EEvPKvS1_PT_PKiS5_S5_iiiiiii
; %bb.0:
	s_load_b128 s[4:7], s[0:1], 0x18
	s_mov_b32 s2, s15
	s_mov_b32 s3, 0
	s_delay_alu instid0(SALU_CYCLE_1)
	s_lshl_b64 s[8:9], s[2:3], 2
	s_waitcnt lgkmcnt(0)
	s_add_u32 s6, s6, s8
	s_addc_u32 s7, s7, s9
	s_load_b32 s12, s[6:7], 0x0
	s_waitcnt lgkmcnt(0)
	s_cmpk_gt_u32 s12, 0xff
	s_cbranch_scc1 .LBB189_47
; %bb.1:
	s_load_b64 s[6:7], s[0:1], 0x28
	s_lshl_b32 s2, s2, 3
	s_waitcnt lgkmcnt(0)
	s_load_b32 s3, s[6:7], 0x0
	s_waitcnt lgkmcnt(0)
	s_cmp_gt_u32 s2, s3
	s_cbranch_scc1 .LBB189_47
; %bb.2:
	v_bfe_u32 v1, v0, 10, 10
	v_mov_b32_e32 v8, 0
	s_lshl_b32 s20, s14, 7
	s_mov_b32 s21, 0
	s_delay_alu instid0(VALU_DEP_2) | instskip(NEXT) | instid1(VALU_DEP_2)
	v_add_nc_u32_e32 v7, s2, v1
	v_dual_mov_b32 v95, v8 :: v_dual_and_b32 v32, 0x3ff, v0
	v_mov_b32_e32 v98, v8
	v_mov_b32_e32 v33, v8
	s_delay_alu instid0(VALU_DEP_4) | instskip(NEXT) | instid1(VALU_DEP_1)
	v_lshlrev_b64 v[2:3], 2, v[7:8]
	v_add_co_u32 v2, vcc_lo, s4, v2
	s_delay_alu instid0(VALU_DEP_2)
	v_add_co_ci_u32_e32 v3, vcc_lo, s5, v3, vcc_lo
	global_load_b32 v31, v[2:3], off
	s_clause 0x2
	s_load_b64 s[10:11], s[0:1], 0x30
	s_load_b64 s[8:9], s[0:1], 0x10
	s_load_b128 s[4:7], s[0:1], 0x3c
	s_waitcnt lgkmcnt(0)
	s_cmpk_lt_i32 s11, 0x100
	s_cbranch_scc1 .LBB189_38
; %bb.3:
	s_load_b128 s[0:3], s[0:1], 0x0
	s_ashr_i32 s13, s11, 31
	s_mul_i32 s12, s12, s10
	s_lshr_b32 s10, s13, 24
	s_ashr_i32 s14, s5, 31
	s_add_i32 s10, s11, s10
	s_lshr_b32 s13, s14, 27
	s_ashr_i32 s10, s10, 8
	s_add_i32 s5, s5, s13
	s_mul_i32 s13, s10, s20
	s_ashr_i32 s14, s12, 31
	s_ashr_i32 s5, s5, 5
	s_mul_hi_i32 s15, s13, 0x6e
	s_mulk_i32 s13, 0x6e
	v_lshrrev_b32_e32 v34, 4, v32
	v_lshlrev_b32_e32 v5, 1, v1
	v_lshlrev_b32_e32 v3, 4, v1
	v_lshrrev_b32_e32 v4, 1, v32
	v_dual_mov_b32 v33, 0 :: v_dual_and_b32 v0, 15, v32
	s_waitcnt lgkmcnt(0)
	s_add_u32 s0, s0, s12
	s_addc_u32 s1, s1, s14
	s_add_u32 s22, s0, s13
	s_addc_u32 s23, s1, s15
	s_lshl_b32 s0, s10, 3
	v_add_nc_u32_e32 v9, v34, v5
	v_mad_i32_i24 v35, s10, v1, s0
	s_lshl_b32 s14, s10, 4
	v_and_b32_e32 v36, 1, v32
	v_add_nc_u32_e32 v7, v4, v3
	v_mad_i32_i24 v73, s10, v9, s14
	v_add_nc_u32_e32 v37, s0, v35
	v_lshlrev_b32_e32 v38, 2, v0
	v_lshlrev_b32_e32 v8, 2, v36
	v_cmp_lt_u32_e32 vcc_lo, 7, v0
	v_add_nc_u32_e32 v75, s14, v73
	v_add_nc_u32_e32 v39, s0, v37
	v_add_nc_u16 v0, v34, v5
	v_and_b32_e32 v5, 0x7f, v7
	v_lshrrev_b32_e32 v7, 2, v7
	v_add_nc_u32_e32 v76, s14, v75
	v_add_nc_u32_e32 v41, s0, v39
	;; [unrolled: 1-line block ×8, first 2 shown]
	v_mul_i32_i24_e32 v68, s10, v5
	v_lshl_or_b32 v5, v5, 3, v8
	v_and_b32_e32 v7, 28, v7
	v_add_nc_u32_e32 v50, s0, v45
	v_lshlrev_b32_e32 v8, 1, v10
	v_lshlrev_b32_e32 v15, 6, v10
	;; [unrolled: 1-line block ×4, first 2 shown]
	v_add_nc_u32_e32 v78, s14, v77
	v_add_nc_u32_e32 v55, s0, v50
	v_add3_u32 v71, v5, v7, 0x7380
	v_and_b32_e32 v5, 0x3ffc, v8
	v_and_b32_e32 v7, 0x3ffc, v10
	;; [unrolled: 1-line block ×3, first 2 shown]
	v_lshlrev_b32_e32 v10, 1, v14
	v_add_nc_u32_e32 v16, 0x50, v9
	v_add_nc_u32_e32 v79, s14, v78
	v_mul_i32_i24_e32 v65, s10, v9
	v_lshlrev_b32_e32 v11, 6, v9
	v_add_nc_u32_e32 v18, 0x60, v9
	v_add_nc_u32_e32 v9, 0x70, v9
	;; [unrolled: 1-line block ×3, first 2 shown]
	v_and_b32_e32 v10, 0x3ffc, v10
	v_lshlrev_b32_e32 v17, 1, v16
	v_add_nc_u32_e32 v80, s14, v79
	s_abs_i32 s14, s7
	v_lshlrev_b32_e32 v20, 1, v9
	v_lshlrev_b32_e32 v23, 6, v9
	v_cvt_f32_u32_e32 v9, s14
	v_add_nc_u32_e32 v64, s0, v60
	v_add3_u32 v19, v10, v38, 0x4200
	v_and_b32_e32 v10, 0x3ffc, v17
	v_lshlrev_b32_e32 v17, 1, v18
	v_rcp_iflag_f32_e32 v9, v9
	v_add_nc_u32_e32 v66, s0, v64
	v_cndmask_b32_e64 v42, 0, 1, vcc_lo
	v_add3_u32 v21, v10, v38, 0x4200
	v_and_b32_e32 v10, 0x3ffc, v17
	v_and_b32_e32 v17, 0x3ffc, v20
	;; [unrolled: 1-line block ×3, first 2 shown]
	v_add_nc_u32_e32 v67, s0, v66
	v_lshlrev_b32_e32 v2, 2, v32
	v_add3_u32 v22, v10, v38, 0x4200
	v_mul_f32_e32 v9, 0x4f7ffffe, v9
	v_add_nc_u16 v10, v20, -2
	v_cmp_gt_u32_e32 vcc_lo, 2, v20
	v_add_nc_u32_e32 v69, s0, v67
	v_lshlrev_b32_e32 v24, 2, v1
	v_lshrrev_b32_e32 v81, 3, v32
	v_cvt_u32_f32_e32 v9, v9
	v_cndmask_b32_e32 v10, v10, v20, vcc_lo
	v_add_nc_u32_e32 v70, s0, v69
	v_cmp_lt_u32_e32 vcc_lo, 1, v20
	v_add_nc_u32_e32 v26, v81, v24
	s_sub_i32 s15, 0, s14
	v_and_b32_e32 v10, 0xff, v10
	v_mul_lo_u32 v27, s15, v9
	v_add_nc_u32_e32 v72, s0, v70
	v_and_b32_e32 v6, 7, v32
	v_cndmask_b32_e64 v25, 0, 1, vcc_lo
	v_lshlrev_b32_e32 v84, 2, v10
	v_add_nc_u32_e32 v10, 32, v26
	v_add_nc_u32_e32 v74, s0, v72
	s_lshl_b32 s0, s10, 5
	v_lshlrev_b32_e32 v43, 2, v6
	v_cmp_lt_u32_e32 vcc_lo, 3, v6
	v_lshlrev_b32_e32 v83, 2, v25
	v_and_b32_e32 v6, 0x1ffc, v26
	v_lshlrev_b32_e32 v85, 1, v20
	v_mul_i32_i24_e32 v86, s10, v26
	v_add_nc_u32_e32 v20, 64, v26
	v_and_b32_e32 v25, 0x3ffc, v10
	v_mad_i32_i24 v87, s10, v26, s0
	v_lshlrev_b32_e32 v29, 5, v26
	v_lshlrev_b32_e32 v30, 5, v10
	v_add_nc_u32_e32 v10, 0x60, v26
	v_mul_hi_u32 v26, v9, v27
	s_waitcnt vmcnt(0)
	v_sub_nc_u32_e32 v27, 0, v31
	v_mad_u32_u24 v40, 0x84, v1, v2
	v_add_nc_u32_e32 v88, s0, v87
	v_and_b32_e32 v2, 28, v2
	v_lshl_add_u32 v93, v32, 4, v4
	v_max_i32_e32 v27, v31, v27
	v_and_b32_e32 v90, 0x3ffc, v10
	v_add_nc_u32_e32 v9, v9, v26
	v_add_nc_u32_e32 v89, s0, v88
	v_lshlrev_b32_e32 v95, 5, v10
	v_lshlrev_b32_e32 v97, 2, v34
	;; [unrolled: 1-line block ×3, first 2 shown]
	v_mul_hi_u32 v96, v27, v9
	v_add_co_u32 v9, s0, s2, v2
	s_delay_alu instid0(VALU_DEP_1)
	v_add_co_ci_u32_e64 v10, null, s3, 0, s0
	v_mul_i32_i24_e32 v44, s10, v1
	v_and_b32_e32 v91, 31, v32
	v_lshlrev_b32_e32 v1, 7, v1
	v_mul_lo_u32 v94, v96, s14
	v_or_b32_e32 v2, v24, v32
	v_add_nc_u32_e32 v24, 32, v32
	v_add3_u32 v26, v90, v43, 0x6300
	v_lshl_or_b32 v90, v91, 2, v1
	v_add_nc_u32_e32 v98, 64, v32
	v_lshl_add_u32 v91, v2, 2, 0x7ba0
	v_lshrrev_b32_e32 v2, 1, v24
	v_sub_nc_u32_e32 v4, v27, v94
	v_add_nc_u32_e32 v27, 1, v96
	v_lshrrev_b16 v0, 1, v0
	v_add_nc_u32_e32 v112, 0x60, v32
	v_lshlrev_b32_e32 v104, 3, v98
	v_subrev_nc_u32_e32 v100, s14, v4
	v_cmp_le_u32_e64 s0, s14, v4
	v_and_b32_e32 v0, 0xffff, v0
	v_lshrrev_b32_e32 v102, 2, v24
	v_and_b32_e32 v28, 0x3ffc, v20
	v_lshrrev_b32_e32 v105, 1, v112
	v_cndmask_b32_e64 v27, v96, v27, s0
	v_cndmask_b32_e64 v4, v4, v100, s0
	v_add3_u32 v96, v97, v99, 0x7380
	v_xor_b32_e32 v97, s7, v31
	v_lshlrev_b32_e32 v0, 2, v0
	v_add_nc_u32_e32 v99, 1, v27
	v_cmp_le_u32_e64 s0, s14, v4
	v_and_b32_e32 v100, 0x7c, v102
	v_ashrrev_i32_e32 v103, 31, v97
	v_lshl_add_u32 v97, v24, 4, v2
	v_lshrrev_b32_e32 v2, 2, v98
	v_cndmask_b32_e64 v4, v27, v99, s0
	v_lshrrev_b32_e32 v27, 2, v112
	v_lshlrev_b32_e32 v102, 3, v24
	v_add3_u32 v0, v0, v38, 0x4200
	v_and_b32_e32 v2, 0x7c, v2
	v_xor_b32_e32 v4, v4, v103
	v_add3_u32 v5, v5, v38, 0x4200
	v_add3_u32 v7, v7, v38, 0x4200
	v_lshlrev_b32_e32 v12, 6, v12
	v_add3_u32 v8, v8, v38, 0x4200
	v_sub_nc_u32_e32 v4, v4, v103
	v_add3_u32 v103, v104, v2, 0x7380
	v_lshlrev_b32_e32 v13, 6, v13
	v_lshlrev_b32_e32 v14, 6, v14
	;; [unrolled: 1-line block ×3, first 2 shown]
	v_mul_lo_u32 v104, v4, s5
	v_lshlrev_b32_e32 v18, 6, v18
	v_add3_u32 v17, v17, v38, 0x4200
	v_add3_u32 v6, v6, v43, 0x6300
	;; [unrolled: 1-line block ×4, first 2 shown]
	v_lshlrev_b32_e32 v20, 5, v20
	v_lshlrev_b32_e32 v92, 5, v32
	v_lshrrev_b32_e32 v101, 1, v98
	v_and_b32_e32 v27, 0x7c, v27
	v_lshlrev_b32_e32 v107, 3, v112
	v_lshl_add_u32 v105, v112, 4, v105
	v_lshrrev_b32_e32 v110, 3, v112
	v_and_b32_e32 v112, 0x1fc, v112
	v_and_b32_e32 v113, 0x1fc, v98
	;; [unrolled: 1-line block ×4, first 2 shown]
	s_movk_i32 s12, 0x2100
	s_movk_i32 s13, 0x3180
	;; [unrolled: 1-line block ×3, first 2 shown]
	v_add3_u32 v100, v102, v100, 0x7380
	v_mad_u32_u24 v102, 0x84, v32, s12
	s_add_u32 s12, s2, 0x90
	v_mad_u32_u24 v106, 0x84, v32, s13
	s_addc_u32 s13, s3, 0
	v_add_nc_u32_e32 v46, 0x420, v40
	v_add_nc_u32_e32 v47, 0x840, v40
	;; [unrolled: 1-line block ×15, first 2 shown]
	v_cndmask_b32_e64 v82, 0, 1, vcc_lo
	v_add_nc_u32_e32 v90, 0x77a0, v90
	v_cmp_gt_u32_e32 vcc_lo, 4, v32
	v_mul_u32_u24_e32 v94, 0x84, v32
	v_mad_u32_u24 v99, 0x84, v32, s1
	v_lshl_add_u32 v101, v98, 4, v101
	v_add3_u32 v107, v107, v27, 0x7380
	v_lshrrev_b32_e32 v108, 3, v24
	v_lshrrev_b32_e32 v109, 3, v98
	v_cmp_gt_i32_e64 s0, s4, v4
	v_ashrrev_i32_e32 v111, 31, v104
	s_add_u32 s14, s2, 0x120
	v_add_nc_u32_e32 v116, 0x77a0, v1
	v_add_nc_u32_e32 v117, 0x7ba0, v3
	;; [unrolled: 1-line block ×21, first 2 shown]
	v_dual_mov_b32 v98, 0 :: v_dual_add_nc_u32 v137, v26, v95
	v_dual_mov_b32 v95, 0 :: v_dual_mov_b32 v8, 0
	s_addc_u32 s15, s3, 0
	s_add_u32 s16, s2, 0x1b0
	s_addc_u32 s17, s3, 0
	s_branch .LBB189_5
.LBB189_4:                              ;   in Loop: Header=BB189_5 Depth=1
	s_add_i32 s21, s21, 2
	s_delay_alu instid0(SALU_CYCLE_1)
	s_cmp_ge_i32 s21, s10
	s_cbranch_scc1 .LBB189_38
.LBB189_5:                              ; =>This Loop Header: Depth=1
                                        ;     Child Loop BB189_12 Depth 2
                                        ;     Child Loop BB189_20 Depth 2
	;; [unrolled: 1-line block ×4, first 2 shown]
	s_mul_i32 s1, s21, 0x6e
	s_mul_hi_u32 s19, s21, 0x6e
	s_add_u32 s18, s22, s1
	s_addc_u32 s19, s23, s19
	s_delay_alu instid0(SALU_CYCLE_1) | instskip(SKIP_2) | instid1(VALU_DEP_3)
	v_mad_u64_u32 v[0:1], null, 0x6e, v34, s[18:19]
	v_mad_u64_u32 v[29:30], null, 0x6e, v82, s[18:19]
	;; [unrolled: 1-line block ×3, first 2 shown]
	v_add_co_u32 v0, s1, v0, v38
	s_delay_alu instid0(VALU_DEP_1) | instskip(NEXT) | instid1(VALU_DEP_2)
	v_add_co_ci_u32_e64 v1, s1, 0, v1, s1
	v_add_co_u32 v0, s1, v0, 32
	s_delay_alu instid0(VALU_DEP_1) | instskip(NEXT) | instid1(VALU_DEP_1)
	v_add_co_ci_u32_e64 v1, s1, 0, v1, s1
	v_mad_u64_u32 v[2:3], null, 0x6e, v44, v[0:1]
	v_mad_u64_u32 v[4:5], null, 0x6e, v35, v[0:1]
	;; [unrolled: 1-line block ×8, first 2 shown]
	s_clause 0x7
	global_load_b32 v148, v[2:3], off
	global_load_b32 v149, v[4:5], off
	;; [unrolled: 1-line block ×8, first 2 shown]
	v_mad_u64_u32 v[15:16], null, 0x6e, v42, s[18:19]
	v_mad_u64_u32 v[2:3], null, 0x6e, v60, v[0:1]
	;; [unrolled: 1-line block ×4, first 2 shown]
	s_delay_alu instid0(VALU_DEP_4) | instskip(NEXT) | instid1(VALU_DEP_1)
	v_add_co_u32 v15, s1, v15, v43
	v_add_co_ci_u32_e64 v16, s1, 0, v16, s1
	v_add_co_u32 v29, s1, 0x60, v29
	v_mad_u64_u32 v[11:12], null, 0x6e, v67, v[0:1]
	v_mad_u64_u32 v[13:14], null, 0x6e, v69, v[0:1]
	;; [unrolled: 1-line block ×6, first 2 shown]
	v_add_co_ci_u32_e64 v30, s1, 0, v30, s1
	v_mad_u64_u32 v[21:22], null, 0x6e, v65, v[15:16]
	v_mad_u64_u32 v[25:26], null, 0x6e, v73, v[15:16]
	;; [unrolled: 1-line block ×9, first 2 shown]
	s_clause 0x8
	global_load_u16 v156, v[0:1], off offset:108
	global_load_b32 v157, v[21:22], off
	global_load_b32 v158, v[25:26], off
	;; [unrolled: 1-line block ×8, first 2 shown]
	v_mad_u64_u32 v[21:22], null, 0x6e, v87, v[29:30]
	v_mad_u64_u32 v[25:26], null, 0x6e, v88, v[29:30]
	;; [unrolled: 1-line block ×3, first 2 shown]
	v_add_co_u32 v0, s1, v15, v84
	s_delay_alu instid0(VALU_DEP_1)
	v_add_co_ci_u32_e64 v1, s1, 0, v16, s1
	s_clause 0xc
	global_load_b32 v29, v[2:3], off
	global_load_b32 v30, v[4:5], off
	;; [unrolled: 1-line block ×8, first 2 shown]
	global_load_b32 v17, v[27:28], off offset:8
	global_load_b32 v18, v[25:26], off offset:8
	;; [unrolled: 1-line block ×3, first 2 shown]
	global_load_b32 v20, v[0:1], off
	global_load_b32 v15, v[15:16], off offset:8
	v_add_co_u32 v0, s1, v21, v84
	s_delay_alu instid0(VALU_DEP_1) | instskip(SKIP_1) | instid1(VALU_DEP_1)
	v_add_co_ci_u32_e64 v1, s1, 0, v22, s1
	v_add_co_u32 v2, s1, v25, v84
	v_add_co_ci_u32_e64 v3, s1, 0, v26, s1
	v_add_co_u32 v4, s1, v27, v84
	s_delay_alu instid0(VALU_DEP_1)
	v_add_co_ci_u32_e64 v5, s1, 0, v28, s1
	s_clause 0x2
	global_load_b32 v0, v[0:1], off
	global_load_b32 v1, v[2:3], off
	;; [unrolled: 1-line block ×3, first 2 shown]
	s_lshl_b32 s18, s21, 8
	s_delay_alu instid0(SALU_CYCLE_1)
	s_cmp_lt_i32 s18, s11
	s_waitcnt vmcnt(24)
	v_cvt_f32_f16_e64 v3, v156
	s_waitcnt vmcnt(23)
	v_not_b32_e32 v4, v157
	s_waitcnt vmcnt(22)
	v_not_b32_e32 v5, v158
	;; [unrolled: 2-line block ×5, first 2 shown]
	ds_store_b32 v40, v148
	ds_store_b32 v46, v149
	;; [unrolled: 1-line block ×8, first 2 shown]
	s_waitcnt vmcnt(15)
	ds_store_b32 v54, v29
	s_waitcnt vmcnt(14)
	ds_store_b32 v56, v30
	;; [unrolled: 2-line block ×8, first 2 shown]
	ds_store_b32 v71, v3
	ds_store_b32 v126, v4
	;; [unrolled: 1-line block ×6, first 2 shown]
	s_waitcnt vmcnt(7)
	v_ashrrev_i32_e32 v7, v85, v17
	s_waitcnt vmcnt(6)
	v_ashrrev_i32_e32 v6, v85, v18
	;; [unrolled: 2-line block ×5, first 2 shown]
	v_lshlrev_b32_e32 v7, 4, v7
	v_lshlrev_b32_e32 v6, 4, v6
	v_lshlrev_b32_e32 v5, 4, v5
	v_and_b32_e32 v3, 0xf0f0f0f, v3
	v_lshlrev_b32_e32 v4, 4, v4
	v_not_b32_e32 v23, v140
	v_not_b32_e32 v24, v141
	;; [unrolled: 1-line block ×3, first 2 shown]
	s_delay_alu instid0(VALU_DEP_4)
	v_and_or_b32 v3, 0x30303030, v4, v3
	ds_store_b32 v131, v23
	s_waitcnt vmcnt(2)
	v_ashrrev_i32_e32 v0, v83, v0
	s_waitcnt vmcnt(1)
	v_ashrrev_i32_e32 v1, v83, v1
	;; [unrolled: 2-line block ×3, first 2 shown]
	v_lshrrev_b32_e32 v4, 16, v3
	ds_store_b32 v132, v24
	v_and_b32_e32 v0, 0xf0f0f0f, v0
	v_and_b32_e32 v1, 0xf0f0f0f, v1
	;; [unrolled: 1-line block ×4, first 2 shown]
	v_lshlrev_b16 v4, 8, v4
	v_and_or_b32 v0, 0x30303030, v5, v0
	v_and_or_b32 v1, 0x30303030, v6, v1
	;; [unrolled: 1-line block ×3, first 2 shown]
	v_and_b32_e32 v5, 0x3f00, v3
	v_lshlrev_b16 v3, 8, v3
	v_lshrrev_b32_e32 v6, 16, v0
	v_lshrrev_b32_e32 v11, 16, v1
	v_and_b32_e32 v7, 0x3f00, v0
	v_lshlrev_b16 v0, 8, v0
	v_lshrrev_b32_e32 v13, 16, v2
	v_add_nc_u16 v3, v3, 0xe000
	v_and_b32_e32 v16, 0x3f00, v6
	v_lshlrev_b16 v6, 8, v6
	v_and_b32_e32 v12, 0x3f00, v1
	v_lshlrev_b16 v1, 8, v1
	;; [unrolled: 2-line block ×4, first 2 shown]
	v_add_nc_u16 v0, v0, 0xe000
	v_and_b32_e32 v18, 0x3f00, v13
	v_lshlrev_b16 v13, 8, v13
	v_add_nc_u16 v4, v4, 0xe000
	v_lshrrev_b16 v3, 8, v3
	v_add_nc_u16 v6, v6, 0xe000
	v_add_nc_u16 v1, v1, 0xe000
	;; [unrolled: 1-line block ×4, first 2 shown]
	v_lshrrev_b16 v0, 8, v0
	v_add_nc_u16 v13, v13, 0xe000
	v_lshrrev_b16 v4, 8, v4
	v_or_b32_e32 v3, v5, v3
	v_lshrrev_b16 v5, 8, v6
	v_lshrrev_b16 v1, 8, v1
	;; [unrolled: 1-line block ×4, first 2 shown]
	v_or_b32_e32 v0, v7, v0
	v_lshrrev_b16 v7, 8, v13
	v_or_b32_e32 v4, v15, v4
	v_or_b32_e32 v5, v16, v5
	;; [unrolled: 1-line block ×6, first 2 shown]
	v_add_nc_u16 v3, v3, 0xe000
	v_add_nc_u16 v4, v4, 0xe000
	;; [unrolled: 1-line block ×8, first 2 shown]
	v_and_b32_e32 v3, 0xffff, v3
	v_lshlrev_b32_e32 v4, 16, v4
	v_and_b32_e32 v0, 0xffff, v0
	v_lshlrev_b32_e32 v5, 16, v5
	;; [unrolled: 2-line block ×4, first 2 shown]
	v_or_b32_e32 v3, v3, v4
	v_or_b32_e32 v0, v0, v5
	;; [unrolled: 1-line block ×3, first 2 shown]
	s_delay_alu instid0(VALU_DEP_4)
	v_or_b32_e32 v2, v2, v7
	ds_store_b32 v133, v25
	ds_store_b32 v134, v3
	ds_store_b32 v135, v0
	ds_store_b32 v136, v1
	ds_store_b32 v137, v2
	s_cbranch_scc0 .LBB189_4
; %bb.6:                                ;   in Loop: Header=BB189_5 Depth=1
	s_lshl_b32 s19, s21, 3
	s_delay_alu instid0(SALU_CYCLE_1) | instskip(NEXT) | instid1(VALU_DEP_1)
	v_add_nc_u32_e32 v0, s19, v81
	v_cmp_gt_i32_e64 s1, s5, v0
	s_delay_alu instid0(VALU_DEP_1) | instskip(NEXT) | instid1(SALU_CYCLE_1)
	s_and_b32 s24, s0, s1
	s_and_saveexec_b32 s1, s24
	s_cbranch_execz .LBB189_8
; %bb.7:                                ;   in Loop: Header=BB189_5 Depth=1
	v_add_nc_u32_e32 v2, v104, v0
	s_delay_alu instid0(VALU_DEP_1)
	v_mad_i64_i32 v[0:1], null, v2, 36, v[9:10]
	global_load_b32 v0, v[0:1], off offset:4
	s_waitcnt vmcnt(0)
	ds_store_b32 v90, v0
.LBB189_8:                              ;   in Loop: Header=BB189_5 Depth=1
	s_or_b32 exec_lo, exec_lo, s1
	s_and_saveexec_b32 s24, vcc_lo
	s_cbranch_execz .LBB189_11
; %bb.9:                                ;   in Loop: Header=BB189_5 Depth=1
	v_or_b32_e32 v0, s19, v32
	s_delay_alu instid0(VALU_DEP_1) | instskip(NEXT) | instid1(VALU_DEP_1)
	v_cmp_gt_i32_e64 s1, s5, v0
	s_and_b32 s1, s0, s1
	s_delay_alu instid0(SALU_CYCLE_1)
	s_and_b32 exec_lo, exec_lo, s1
	s_cbranch_execz .LBB189_11
; %bb.10:                               ;   in Loop: Header=BB189_5 Depth=1
	v_add_nc_u32_e32 v2, v104, v0
	s_delay_alu instid0(VALU_DEP_1)
	v_mad_i64_i32 v[0:1], null, v2, 36, s[2:3]
	global_load_b32 v0, v[0:1], off
	s_waitcnt vmcnt(0)
	v_cvt_f32_f16_e32 v0, v0
	ds_store_b32 v91, v0
.LBB189_11:                             ;   in Loop: Header=BB189_5 Depth=1
	s_or_b32 exec_lo, exec_lo, s24
	v_dual_mov_b32 v138, v117 :: v_dual_mov_b32 v139, v116
	s_mov_b32 s26, -2
	s_mov_b32 s1, 0
	s_mov_b32 s24, 0
	s_waitcnt lgkmcnt(0)
	s_barrier
	buffer_gl0_inv
.LBB189_12:                             ;   Parent Loop BB189_5 Depth=1
                                        ; =>  This Inner Loop Header: Depth=2
	ds_load_b128 v[0:3], v139 offset:16
	s_add_i32 s25, s26, 2
	ds_load_b128 v[4:7], v139
	ds_load_b32 v140, v138
	s_and_b32 s27, s25, 0x3ffffff8
	s_lshr_b32 s28, s25, 4
	s_lshl_b32 s29, s27, 2
	s_lshl_b32 s27, s28, 2
	v_add_nc_u32_e32 v148, s29, v94
	v_add_nc_u32_e32 v149, s29, v99
	;; [unrolled: 1-line block ×4, first 2 shown]
	ds_load_2addr_b32 v[13:14], v148 offset1:1
	ds_load_2addr_b32 v[11:12], v148 offset0:6 offset1:7
	ds_load_2addr_b32 v[15:16], v148 offset0:2 offset1:3
	v_add_nc_u32_e32 v162, s29, v106
	s_lshl_b32 s28, s28, 3
	v_add_nc_u32_e32 v139, 32, v139
	v_add_lshl_u32 v165, v93, s28, 2
	v_add_lshl_u32 v168, v97, s28, 2
	;; [unrolled: 1-line block ×3, first 2 shown]
	s_waitcnt lgkmcnt(5)
	v_perm_b32 v158, v0, v0, 0x30201
	v_perm_b32 v159, v1, v1, 0x30201
	ds_load_2addr_b32 v[17:18], v149 offset0:2 offset1:3
	ds_load_b32 v142, v19
	ds_load_2addr_b32 v[0:1], v149 offset1:1
	v_perm_b32 v145, v2, v2, 0x30201
	v_perm_b32 v141, v3, v3, 0x30201
	s_waitcnt lgkmcnt(7)
	v_perm_b32 v150, v6, v6, 0x30201
	v_add_nc_u32_e32 v6, 0x4208, v165
	v_perm_b32 v151, v4, v4, 0x30201
	v_perm_b32 v152, v5, v5, 0x30201
	v_perm_b32 v144, v7, v7, 0x30201
	v_add_nc_u32_e32 v27, 0x4208, v171
	s_waitcnt lgkmcnt(5)
	v_ashrrev_i32_e32 v153, s25, v13
	v_ashrrev_i32_e32 v154, s25, v14
	v_add_lshl_u32 v174, v105, s28, 2
	s_and_b32 s28, s24, -16
	s_waitcnt lgkmcnt(3)
	v_ashrrev_i32_e32 v15, s25, v15
	v_bfe_u32 v175, v153, 24, 2
	v_and_b32_e32 v153, 0x3030303, v153
	v_ashrrev_i32_e32 v11, s25, v11
	v_ashrrev_i32_e32 v12, s25, v12
	s_waitcnt lgkmcnt(2)
	v_ashrrev_i32_e32 v17, s25, v17
	v_add_nc_u32_e32 v138, 4, v138
	s_waitcnt lgkmcnt(0)
	v_ashrrev_i32_e32 v155, s25, v0
	v_ashrrev_i32_e32 v156, s25, v1
	ds_load_2addr_b32 v[2:3], v157 offset1:1
	ds_load_2addr_b32 v[0:1], v157 offset0:6 offset1:7
	ds_load_2addr_b32 v[19:20], v157 offset0:2 offset1:3
	s_add_i32 s24, s24, 2
	s_waitcnt lgkmcnt(2)
	v_ashrrev_i32_e32 v160, s25, v2
	v_add_nc_u32_e32 v2, s27, v103
	v_ashrrev_i32_e32 v161, s25, v3
	ds_load_2addr_b32 v[21:22], v162 offset0:2 offset1:3
	ds_load_b32 v143, v2
	ds_load_2addr_b32 v[2:3], v162 offset1:1
	s_waitcnt lgkmcnt(3)
	v_ashrrev_i32_e32 v19, s25, v19
	v_ashrrev_i32_e32 v0, s25, v0
	;; [unrolled: 1-line block ×3, first 2 shown]
	s_waitcnt lgkmcnt(2)
	v_ashrrev_i32_e32 v21, s25, v21
	s_waitcnt lgkmcnt(0)
	v_ashrrev_i32_e32 v163, s25, v2
	v_add_nc_u32_e32 v2, 0x4200, v165
	v_ashrrev_i32_e32 v164, s25, v3
	v_add_nc_u32_e32 v3, 0x4218, v165
	ds_load_2addr_b32 v[4:5], v2 offset1:1
	ds_load_2addr_b32 v[2:3], v3 offset1:1
	;; [unrolled: 1-line block ×3, first 2 shown]
	s_waitcnt lgkmcnt(2)
	v_ashrrev_i32_e32 v166, s1, v4
	v_add_nc_u32_e32 v4, 0x4200, v168
	v_ashrrev_i32_e32 v167, s1, v5
	v_add_nc_u32_e32 v5, 0x4208, v168
	ds_load_2addr_b32 v[6:7], v4 offset1:1
	ds_load_2addr_b32 v[25:26], v5 offset1:1
	ds_load_2addr_b32 v[4:5], v149 offset0:6 offset1:7
	v_lshlrev_b32_e32 v166, 2, v166
	v_lshlrev_b32_e32 v167, 2, v167
	s_waitcnt lgkmcnt(3)
	v_ashrrev_i32_e32 v23, s1, v23
	v_ashrrev_i32_e32 v2, s1, v2
	;; [unrolled: 1-line block ×3, first 2 shown]
	v_and_b32_e32 v166, 0x4040404, v166
	v_and_b32_e32 v167, 0x4040404, v167
	v_lshlrev_b32_e32 v23, 2, v23
	v_lshlrev_b32_e32 v2, 2, v2
	;; [unrolled: 1-line block ×3, first 2 shown]
	v_lshrrev_b32_e32 v176, 24, v166
	v_lshrrev_b32_e32 v177, 16, v166
	;; [unrolled: 1-line block ×4, first 2 shown]
	v_and_b32_e32 v23, 0x4040404, v23
	v_sub_nc_u16 v175, v175, v176
	v_lshrrev_b32_e32 v176, 16, v153
	s_waitcnt lgkmcnt(2)
	v_ashrrev_i32_e32 v169, s1, v6
	v_add_nc_u32_e32 v6, 0x4200, v171
	v_ashrrev_i32_e32 v170, s1, v7
	v_add_nc_u32_e32 v7, 0x4218, v171
	v_sub_nc_u16 v176, v176, v177
	v_lshrrev_b16 v177, 8, v153
	v_sub_nc_u16 v153, v153, v166
	v_lshrrev_b16 v166, 8, v166
	v_lshlrev_b32_e32 v169, 2, v169
	ds_load_2addr_b32 v[13:14], v6 offset1:1
	ds_load_2addr_b32 v[6:7], v7 offset1:1
	;; [unrolled: 1-line block ×3, first 2 shown]
	v_lshlrev_b32_e32 v170, 2, v170
	v_lshlrev_b16 v175, 8, v175
	v_sub_nc_u16 v166, v177, v166
	v_bfe_u32 v177, v154, 24, 2
	v_and_b32_e32 v154, 0x3030303, v154
	v_and_b32_e32 v169, 0x4040404, v169
	;; [unrolled: 1-line block ×3, first 2 shown]
	v_lshlrev_b16 v166, 8, v166
	v_sub_nc_u16 v177, v177, v178
	v_lshrrev_b32_e32 v178, 16, v154
	v_lshrrev_b32_e32 v180, 24, v169
	;; [unrolled: 1-line block ×5, first 2 shown]
	v_sub_nc_u16 v178, v178, v179
	v_lshrrev_b16 v179, 8, v154
	v_sub_nc_u16 v154, v154, v167
	v_lshrrev_b16 v167, 8, v167
	s_waitcnt lgkmcnt(2)
	v_ashrrev_i32_e32 v172, s1, v13
	v_add_nc_u32_e32 v13, 0x4200, v174
	v_ashrrev_i32_e32 v173, s1, v14
	v_add_nc_u32_e32 v14, 0x4208, v174
	v_sub_nc_u16 v167, v179, v167
	v_bfe_u32 v179, v155, 24, 2
	v_and_b32_e32 v155, 0x3030303, v155
	v_lshlrev_b32_e32 v172, 2, v172
	ds_load_2addr_b32 v[146:147], v13 offset1:1
	ds_load_2addr_b32 v[29:30], v14 offset1:1
	ds_load_2addr_b32 v[13:14], v162 offset0:6 offset1:7
	v_lshlrev_b32_e32 v173, 2, v173
	v_sub_nc_u16 v179, v179, v180
	v_lshrrev_b32_e32 v180, 16, v155
	v_and_b32_e32 v172, 0x4040404, v172
	v_lshlrev_b16 v177, 8, v177
	v_and_b32_e32 v173, 0x4040404, v173
	v_lshlrev_b16 v167, 8, v167
	v_sub_nc_u16 v180, v180, v181
	v_lshrrev_b16 v181, 8, v155
	v_sub_nc_u16 v155, v155, v169
	v_lshrrev_b16 v169, 8, v169
	v_lshrrev_b32_e32 v184, 24, v172
	v_lshrrev_b32_e32 v185, 16, v172
	;; [unrolled: 1-line block ×4, first 2 shown]
	v_sub_nc_u16 v169, v181, v169
	v_bfe_u32 v181, v156, 24, 2
	v_and_b32_e32 v156, 0x3030303, v156
	s_waitcnt lgkmcnt(2)
	v_ashrrev_i32_e32 v146, s1, v146
	v_ashrrev_i32_e32 v147, s1, v147
	v_lshlrev_b16 v179, 8, v179
	v_sub_nc_u16 v181, v181, v182
	v_lshrrev_b32_e32 v182, 16, v156
	v_lshlrev_b32_e32 v146, 2, v146
	v_lshlrev_b32_e32 v147, 2, v147
	v_lshlrev_b16 v169, 8, v169
	v_lshlrev_b16 v181, 8, v181
	v_sub_nc_u16 v182, v182, v183
	v_lshrrev_b16 v183, 8, v156
	v_sub_nc_u16 v156, v156, v170
	v_lshrrev_b16 v170, 8, v170
	v_and_b32_e32 v146, 0x4040404, v146
	v_and_b32_e32 v147, 0x4040404, v147
	v_ashrrev_i32_e32 v25, s1, v25
	v_ashrrev_i32_e32 v27, s1, v27
	v_sub_nc_u16 v170, v183, v170
	v_bfe_u32 v183, v160, 24, 2
	v_and_b32_e32 v160, 0x3030303, v160
	v_lshrrev_b32_e32 v188, 24, v146
	v_lshrrev_b32_e32 v189, 16, v146
	;; [unrolled: 1-line block ×3, first 2 shown]
	v_sub_nc_u16 v183, v183, v184
	v_lshrrev_b32_e32 v184, 16, v160
	v_lshrrev_b32_e32 v191, 16, v147
	v_lshlrev_b16 v170, 8, v170
	v_lshlrev_b32_e32 v25, 2, v25
	v_lshlrev_b16 v183, 8, v183
	v_sub_nc_u16 v184, v184, v185
	v_lshrrev_b16 v185, 8, v160
	v_sub_nc_u16 v160, v160, v172
	v_lshrrev_b16 v172, 8, v172
	v_and_b32_e32 v25, 0x4040404, v25
	v_lshlrev_b32_e32 v27, 2, v27
	s_waitcnt lgkmcnt(1)
	v_ashrrev_i32_e32 v29, s1, v29
	v_and_b32_e32 v2, 0x4040404, v2
	v_sub_nc_u16 v172, v185, v172
	v_bfe_u32 v185, v161, 24, 2
	v_and_b32_e32 v161, 0x3030303, v161
	v_and_b32_e32 v27, 0x4040404, v27
	v_lshlrev_b32_e32 v29, 2, v29
	v_lshlrev_b16 v172, 8, v172
	v_sub_nc_u16 v185, v185, v186
	v_lshrrev_b32_e32 v186, 16, v161
	v_ashrrev_i32_e32 v4, s25, v4
	v_and_b32_e32 v29, 0x4040404, v29
	v_ashrrev_i32_e32 v6, s1, v6
	v_lshlrev_b16 v185, 8, v185
	v_sub_nc_u16 v186, v186, v187
	v_lshrrev_b16 v187, 8, v161
	v_sub_nc_u16 v161, v161, v173
	v_lshrrev_b16 v173, 8, v173
	v_lshlrev_b32_e32 v6, 2, v6
	s_waitcnt lgkmcnt(0)
	v_ashrrev_i32_e32 v13, s25, v13
	v_and_b32_e32 v3, 0x4040404, v3
	v_ashrrev_i32_e32 v5, s25, v5
	v_sub_nc_u16 v173, v187, v173
	v_bfe_u32 v187, v163, 24, 2
	v_and_b32_e32 v163, 0x3030303, v163
	v_and_b32_e32 v6, 0x4040404, v6
	v_ashrrev_i32_e32 v7, s1, v7
	v_lshlrev_b16 v173, 8, v173
	v_sub_nc_u16 v187, v187, v188
	v_lshrrev_b32_e32 v188, 16, v163
	v_ashrrev_i32_e32 v14, s25, v14
	v_lshlrev_b32_e32 v7, 2, v7
	s_delay_alu instid0(VALU_DEP_4) | instskip(NEXT) | instid1(VALU_DEP_4)
	v_lshlrev_b16 v187, 8, v187
	v_sub_nc_u16 v188, v188, v189
	v_lshrrev_b16 v189, 8, v163
	v_sub_nc_u16 v163, v163, v146
	v_lshrrev_b16 v146, 8, v146
	v_and_b32_e32 v7, 0x4040404, v7
	s_delay_alu instid0(VALU_DEP_2) | instskip(SKIP_2) | instid1(VALU_DEP_3)
	v_sub_nc_u16 v146, v189, v146
	v_bfe_u32 v189, v164, 24, 2
	v_and_b32_e32 v164, 0x3030303, v164
	v_lshlrev_b16 v146, 8, v146
	s_delay_alu instid0(VALU_DEP_3) | instskip(NEXT) | instid1(VALU_DEP_3)
	v_sub_nc_u16 v189, v189, v190
	v_lshrrev_b32_e32 v190, 16, v164
	s_delay_alu instid0(VALU_DEP_2) | instskip(NEXT) | instid1(VALU_DEP_2)
	v_lshlrev_b16 v189, 8, v189
	v_sub_nc_u16 v190, v190, v191
	v_lshrrev_b16 v191, 8, v164
	v_sub_nc_u16 v164, v164, v147
	v_lshrrev_b16 v147, 8, v147
	s_delay_alu instid0(VALU_DEP_1) | instskip(SKIP_1) | instid1(VALU_DEP_2)
	v_sub_nc_u16 v147, v191, v147
	v_and_b32_e32 v191, 0xff, v176
	v_lshlrev_b16 v147, 8, v147
	s_delay_alu instid0(VALU_DEP_2) | instskip(SKIP_1) | instid1(VALU_DEP_2)
	v_or_b32_e32 v175, v191, v175
	v_and_b32_e32 v191, 0xff, v153
	v_perm_b32 v153, v153, v175, 0x4010c0c
	s_delay_alu instid0(VALU_DEP_2) | instskip(SKIP_1) | instid1(VALU_DEP_2)
	v_or_b32_e32 v166, v191, v166
	v_and_b32_e32 v191, 0xff, v178
	v_perm_b32 v166, v176, v166, 0xc0c0401
	s_delay_alu instid0(VALU_DEP_2) | instskip(SKIP_1) | instid1(VALU_DEP_3)
	v_or_b32_e32 v177, v191, v177
	v_and_b32_e32 v191, 0xff, v154
	v_or_b32_e32 v153, v153, v166
	s_delay_alu instid0(VALU_DEP_3) | instskip(NEXT) | instid1(VALU_DEP_3)
	v_perm_b32 v154, v154, v177, 0x4010c0c
	v_or_b32_e32 v167, v191, v167
	v_and_b32_e32 v191, 0xff, v180
	s_delay_alu instid0(VALU_DEP_4) | instskip(NEXT) | instid1(VALU_DEP_3)
	v_dot4_i32_iu8 v153, v153, v151, 0 neg_lo:[1,1,0]
	v_perm_b32 v167, v178, v167, 0xc0c0401
	s_delay_alu instid0(VALU_DEP_3) | instskip(SKIP_1) | instid1(VALU_DEP_3)
	v_or_b32_e32 v179, v191, v179
	v_and_b32_e32 v191, 0xff, v155
	v_or_b32_e32 v154, v154, v167
	s_delay_alu instid0(VALU_DEP_3) | instskip(NEXT) | instid1(VALU_DEP_3)
	v_perm_b32 v155, v155, v179, 0x4010c0c
	v_or_b32_e32 v169, v191, v169
	v_and_b32_e32 v191, 0xff, v182
	s_delay_alu instid0(VALU_DEP_2) | instskip(NEXT) | instid1(VALU_DEP_2)
	v_perm_b32 v169, v180, v169, 0xc0c0401
	v_or_b32_e32 v181, v191, v181
	v_and_b32_e32 v191, 0xff, v156
	s_delay_alu instid0(VALU_DEP_3) | instskip(NEXT) | instid1(VALU_DEP_3)
	v_or_b32_e32 v155, v155, v169
	v_perm_b32 v156, v156, v181, 0x4010c0c
	s_delay_alu instid0(VALU_DEP_3) | instskip(SKIP_1) | instid1(VALU_DEP_4)
	v_or_b32_e32 v170, v191, v170
	v_and_b32_e32 v191, 0xff, v184
	v_dot4_i32_iu8 v155, v155, v151, 0 neg_lo:[1,1,0]
	s_delay_alu instid0(VALU_DEP_3) | instskip(NEXT) | instid1(VALU_DEP_3)
	v_perm_b32 v170, v182, v170, 0xc0c0401
	v_or_b32_e32 v183, v191, v183
	v_and_b32_e32 v191, 0xff, v160
	s_delay_alu instid0(VALU_DEP_3) | instskip(NEXT) | instid1(VALU_DEP_3)
	v_or_b32_e32 v156, v156, v170
	v_perm_b32 v160, v160, v183, 0x4010c0c
	s_delay_alu instid0(VALU_DEP_3) | instskip(SKIP_1) | instid1(VALU_DEP_2)
	v_or_b32_e32 v172, v191, v172
	v_and_b32_e32 v191, 0xff, v186
	v_perm_b32 v172, v184, v172, 0xc0c0401
	s_delay_alu instid0(VALU_DEP_2) | instskip(SKIP_1) | instid1(VALU_DEP_3)
	v_or_b32_e32 v185, v191, v185
	v_and_b32_e32 v191, 0xff, v161
	v_or_b32_e32 v160, v160, v172
	s_delay_alu instid0(VALU_DEP_3) | instskip(NEXT) | instid1(VALU_DEP_3)
	v_perm_b32 v161, v161, v185, 0x4010c0c
	v_or_b32_e32 v173, v191, v173
	v_and_b32_e32 v191, 0xff, v188
	s_delay_alu instid0(VALU_DEP_4) | instskip(NEXT) | instid1(VALU_DEP_3)
	v_dot4_i32_iu8 v160, v160, v151, 0 neg_lo:[1,1,0]
	v_perm_b32 v173, v186, v173, 0xc0c0401
	s_delay_alu instid0(VALU_DEP_3) | instskip(SKIP_1) | instid1(VALU_DEP_3)
	v_or_b32_e32 v187, v191, v187
	v_and_b32_e32 v191, 0xff, v163
	v_or_b32_e32 v161, v161, v173
	s_delay_alu instid0(VALU_DEP_3) | instskip(NEXT) | instid1(VALU_DEP_3)
	v_perm_b32 v163, v163, v187, 0x4010c0c
	v_or_b32_e32 v146, v191, v146
	v_and_b32_e32 v191, 0xff, v190
	s_delay_alu instid0(VALU_DEP_4) | instskip(NEXT) | instid1(VALU_DEP_3)
	v_dot4_i32_iu8 v160, v161, v152, v160 neg_lo:[1,1,0]
	v_perm_b32 v146, v188, v146, 0xc0c0401
	s_delay_alu instid0(VALU_DEP_3) | instskip(SKIP_1) | instid1(VALU_DEP_3)
	v_or_b32_e32 v189, v191, v189
	v_and_b32_e32 v191, 0xff, v164
	v_or_b32_e32 v146, v163, v146
	s_delay_alu instid0(VALU_DEP_3) | instskip(NEXT) | instid1(VALU_DEP_3)
	v_perm_b32 v164, v164, v189, 0x4010c0c
	v_or_b32_e32 v147, v191, v147
	v_dot4_i32_iu8 v163, v154, v152, v153 neg_lo:[1,1,0]
	s_delay_alu instid0(VALU_DEP_4) | instskip(SKIP_1) | instid1(VALU_DEP_4)
	v_dot4_i32_iu8 v146, v146, v151, 0 neg_lo:[1,1,0]
	v_add_nc_u32_e32 v151, s28, v92
	v_perm_b32 v147, v190, v147, 0xc0c0401
	s_delay_alu instid0(VALU_DEP_1) | instskip(SKIP_2) | instid1(VALU_DEP_3)
	v_or_b32_e32 v147, v164, v147
	v_dot4_i32_iu8 v164, v156, v152, v155 neg_lo:[1,1,0]
	v_add_nc_u32_e32 v156, 0x4218, v174
	v_dot4_i32_iu8 v161, v147, v152, v146 neg_lo:[1,1,0]
	ds_load_2addr_b32 v[146:147], v148 offset0:4 offset1:5
	s_waitcnt lgkmcnt(0)
	v_ashrrev_i32_e32 v166, s25, v146
	v_ashrrev_i32_e32 v167, s25, v147
	ds_load_2addr_b32 v[146:147], v149 offset0:4 offset1:5
	v_add_nc_u32_e32 v149, 0x4218, v168
	s_waitcnt lgkmcnt(0)
	v_ashrrev_i32_e32 v169, s25, v146
	v_ashrrev_i32_e32 v170, s25, v147
	ds_load_2addr_b32 v[146:147], v157 offset0:4 offset1:5
	s_waitcnt lgkmcnt(0)
	v_ashrrev_i32_e32 v172, s25, v146
	v_ashrrev_i32_e32 v173, s25, v147
	ds_load_2addr_b32 v[146:147], v162 offset0:4 offset1:5
	s_waitcnt lgkmcnt(0)
	v_ashrrev_i32_e32 v162, s25, v146
	v_add_nc_u32_e32 v146, 0x4210, v165
	v_ashrrev_i32_e32 v175, s25, v147
	ds_load_2addr_b32 v[146:147], v146 offset1:1
	s_waitcnt lgkmcnt(0)
	v_ashrrev_i32_e32 v165, s1, v146
	v_add3_u32 v146, v114, s26, v151
	v_ashrrev_i32_e32 v176, s1, v147
	v_add_nc_u32_e32 v147, 0x4210, v168
	s_delay_alu instid0(VALU_DEP_4)
	v_lshlrev_b32_e32 v165, 2, v165
	ds_load_u16 v148, v146 offset:26370
	v_add_nc_u32_e32 v146, s27, v100
	ds_load_b32 v146, v146
	ds_load_2addr_b32 v[152:153], v147 offset1:1
	ds_load_2addr_b32 v[154:155], v149 offset1:1
	v_add_nc_u32_e32 v147, 0x4210, v171
	v_and_b32_e32 v165, 0x4040404, v165
	v_lshlrev_b32_e32 v176, 2, v176
	s_delay_alu instid0(VALU_DEP_2) | instskip(SKIP_1) | instid1(VALU_DEP_3)
	v_lshrrev_b32_e32 v179, 24, v165
	v_lshrrev_b32_e32 v180, 16, v165
	v_and_b32_e32 v176, 0x4040404, v176
	s_delay_alu instid0(VALU_DEP_1)
	v_lshrrev_b32_e32 v181, 24, v176
	v_lshrrev_b32_e32 v182, 16, v176
	s_waitcnt lgkmcnt(1)
	v_ashrrev_i32_e32 v168, s1, v152
	v_ashrrev_i32_e32 v177, s1, v153
	ds_load_2addr_b32 v[152:153], v147 offset1:1
	v_add3_u32 v147, v112, s26, v151
	v_lshlrev_b32_e32 v168, 2, v168
	v_lshlrev_b32_e32 v177, 2, v177
	ds_load_u16 v149, v147 offset:28418
	v_add_nc_u32_e32 v147, s27, v107
	v_and_b32_e32 v168, 0x4040404, v168
	v_and_b32_e32 v177, 0x4040404, v177
	s_delay_alu instid0(VALU_DEP_2) | instskip(SKIP_1) | instid1(VALU_DEP_3)
	v_lshrrev_b32_e32 v183, 24, v168
	v_lshrrev_b32_e32 v184, 16, v168
	;; [unrolled: 1-line block ×4, first 2 shown]
	s_waitcnt lgkmcnt(1)
	v_ashrrev_i32_e32 v171, s1, v152
	v_add_nc_u32_e32 v152, 0x4210, v174
	v_bfe_u32 v174, v166, 24, 2
	v_and_b32_e32 v166, 0x3030303, v166
	v_ashrrev_i32_e32 v178, s1, v153
	v_lshlrev_b32_e32 v171, 2, v171
	ds_load_b32 v147, v147
	ds_load_2addr_b32 v[152:153], v152 offset1:1
	ds_load_2addr_b32 v[156:157], v156 offset1:1
	v_sub_nc_u16 v174, v174, v179
	v_lshrrev_b32_e32 v179, 16, v166
	v_lshlrev_b32_e32 v178, 2, v178
	v_and_b32_e32 v171, 0x4040404, v171
	s_delay_alu instid0(VALU_DEP_4) | instskip(NEXT) | instid1(VALU_DEP_4)
	v_lshlrev_b16 v174, 8, v174
	v_sub_nc_u16 v179, v179, v180
	v_lshrrev_b16 v180, 8, v166
	v_sub_nc_u16 v166, v166, v165
	v_lshrrev_b16 v165, 8, v165
	v_lshrrev_b32_e32 v187, 24, v171
	v_lshrrev_b32_e32 v188, 16, v171
	v_and_b32_e32 v178, 0x4040404, v178
	s_delay_alu instid0(VALU_DEP_4) | instskip(SKIP_2) | instid1(VALU_DEP_4)
	v_sub_nc_u16 v165, v180, v165
	v_bfe_u32 v180, v167, 24, 2
	v_and_b32_e32 v167, 0x3030303, v167
	v_lshrrev_b32_e32 v189, 24, v178
	s_waitcnt lgkmcnt(1)
	v_ashrrev_i32_e32 v152, s1, v152
	v_lshrrev_b32_e32 v190, 16, v178
	v_sub_nc_u16 v180, v180, v181
	v_lshrrev_b32_e32 v181, 16, v167
	v_ashrrev_i32_e32 v153, s1, v153
	v_lshlrev_b32_e32 v152, 2, v152
	v_lshlrev_b16 v165, 8, v165
	v_lshlrev_b16 v180, 8, v180
	v_sub_nc_u16 v181, v181, v182
	v_lshrrev_b16 v182, 8, v167
	v_sub_nc_u16 v167, v167, v176
	v_lshrrev_b16 v176, 8, v176
	v_and_b32_e32 v152, 0x4040404, v152
	v_lshlrev_b32_e32 v153, 2, v153
	s_waitcnt lgkmcnt(0)
	v_ashrrev_i32_e32 v156, s1, v156
	v_sub_nc_u16 v176, v182, v176
	v_bfe_u32 v182, v169, 24, 2
	v_and_b32_e32 v169, 0x3030303, v169
	v_lshrrev_b32_e32 v191, 24, v152
	v_lshrrev_b32_e32 v192, 16, v152
	v_and_b32_e32 v153, 0x4040404, v153
	v_sub_nc_u16 v182, v182, v183
	v_lshrrev_b32_e32 v183, 16, v169
	v_lshlrev_b16 v176, 8, v176
	v_lshlrev_b32_e32 v156, 2, v156
	v_lshrrev_b32_e32 v193, 24, v153
	v_lshrrev_b32_e32 v194, 16, v153
	v_sub_nc_u16 v183, v183, v184
	v_lshrrev_b16 v184, 8, v169
	v_sub_nc_u16 v169, v169, v168
	v_lshrrev_b16 v168, 8, v168
	v_lshlrev_b16 v182, 8, v182
	v_and_b32_e32 v156, 0x4040404, v156
	s_delay_alu instid0(VALU_DEP_3) | instskip(SKIP_2) | instid1(VALU_DEP_3)
	v_sub_nc_u16 v168, v184, v168
	v_bfe_u32 v184, v170, 24, 2
	v_and_b32_e32 v170, 0x3030303, v170
	v_lshlrev_b16 v168, 8, v168
	s_delay_alu instid0(VALU_DEP_3) | instskip(NEXT) | instid1(VALU_DEP_3)
	v_sub_nc_u16 v184, v184, v185
	v_lshrrev_b32_e32 v185, 16, v170
	s_delay_alu instid0(VALU_DEP_2) | instskip(NEXT) | instid1(VALU_DEP_2)
	v_lshlrev_b16 v184, 8, v184
	v_sub_nc_u16 v185, v185, v186
	v_lshrrev_b16 v186, 8, v170
	v_sub_nc_u16 v170, v170, v177
	v_lshrrev_b16 v177, 8, v177
	s_delay_alu instid0(VALU_DEP_1) | instskip(SKIP_2) | instid1(VALU_DEP_3)
	v_sub_nc_u16 v177, v186, v177
	v_bfe_u32 v186, v172, 24, 2
	v_and_b32_e32 v172, 0x3030303, v172
	v_lshlrev_b16 v177, 8, v177
	s_delay_alu instid0(VALU_DEP_3) | instskip(NEXT) | instid1(VALU_DEP_3)
	v_sub_nc_u16 v186, v186, v187
	v_lshrrev_b32_e32 v187, 16, v172
	s_delay_alu instid0(VALU_DEP_2) | instskip(NEXT) | instid1(VALU_DEP_2)
	v_lshlrev_b16 v186, 8, v186
	v_sub_nc_u16 v187, v187, v188
	v_lshrrev_b16 v188, 8, v172
	v_sub_nc_u16 v172, v172, v171
	v_lshrrev_b16 v171, 8, v171
	s_delay_alu instid0(VALU_DEP_1) | instskip(SKIP_2) | instid1(VALU_DEP_3)
	;; [unrolled: 14-line block ×4, first 2 shown]
	v_sub_nc_u16 v152, v192, v152
	v_bfe_u32 v192, v175, 24, 2
	v_and_b32_e32 v175, 0x3030303, v175
	v_lshlrev_b16 v152, 8, v152
	s_delay_alu instid0(VALU_DEP_3) | instskip(NEXT) | instid1(VALU_DEP_3)
	v_sub_nc_u16 v192, v192, v193
	v_lshrrev_b32_e32 v193, 16, v175
	s_delay_alu instid0(VALU_DEP_2) | instskip(NEXT) | instid1(VALU_DEP_2)
	v_lshlrev_b16 v192, 8, v192
	v_sub_nc_u16 v193, v193, v194
	v_lshrrev_b16 v194, 8, v175
	v_sub_nc_u16 v175, v175, v153
	v_lshrrev_b16 v153, 8, v153
	s_delay_alu instid0(VALU_DEP_1) | instskip(SKIP_1) | instid1(VALU_DEP_2)
	v_sub_nc_u16 v153, v194, v153
	v_and_b32_e32 v194, 0xff, v179
	v_lshlrev_b16 v153, 8, v153
	s_delay_alu instid0(VALU_DEP_2) | instskip(SKIP_1) | instid1(VALU_DEP_2)
	v_or_b32_e32 v174, v194, v174
	v_and_b32_e32 v194, 0xff, v166
	v_perm_b32 v166, v166, v174, 0x4010c0c
	s_delay_alu instid0(VALU_DEP_2) | instskip(SKIP_1) | instid1(VALU_DEP_2)
	v_or_b32_e32 v165, v194, v165
	v_and_b32_e32 v194, 0xff, v181
	v_perm_b32 v165, v179, v165, 0xc0c0401
	s_delay_alu instid0(VALU_DEP_2) | instskip(SKIP_1) | instid1(VALU_DEP_3)
	v_or_b32_e32 v180, v194, v180
	v_and_b32_e32 v194, 0xff, v167
	v_or_b32_e32 v165, v166, v165
	s_delay_alu instid0(VALU_DEP_3) | instskip(NEXT) | instid1(VALU_DEP_3)
	v_perm_b32 v167, v167, v180, 0x4010c0c
	v_or_b32_e32 v176, v194, v176
	v_and_b32_e32 v194, 0xff, v183
	s_delay_alu instid0(VALU_DEP_2) | instskip(NEXT) | instid1(VALU_DEP_2)
	v_perm_b32 v174, v181, v176, 0xc0c0401
	v_or_b32_e32 v182, v194, v182
	v_and_b32_e32 v194, 0xff, v169
	s_delay_alu instid0(VALU_DEP_3) | instskip(NEXT) | instid1(VALU_DEP_3)
	v_or_b32_e32 v166, v167, v174
	v_perm_b32 v169, v169, v182, 0x4010c0c
	s_delay_alu instid0(VALU_DEP_3) | instskip(SKIP_1) | instid1(VALU_DEP_2)
	v_or_b32_e32 v168, v194, v168
	v_and_b32_e32 v194, 0xff, v185
	v_perm_b32 v168, v183, v168, 0xc0c0401
	s_delay_alu instid0(VALU_DEP_2) | instskip(SKIP_1) | instid1(VALU_DEP_3)
	v_or_b32_e32 v184, v194, v184
	v_and_b32_e32 v194, 0xff, v170
	v_or_b32_e32 v167, v169, v168
	s_delay_alu instid0(VALU_DEP_3) | instskip(NEXT) | instid1(VALU_DEP_3)
	v_perm_b32 v170, v170, v184, 0x4010c0c
	v_or_b32_e32 v177, v194, v177
	v_and_b32_e32 v194, 0xff, v187
	s_delay_alu instid0(VALU_DEP_2) | instskip(NEXT) | instid1(VALU_DEP_2)
	v_perm_b32 v176, v185, v177, 0xc0c0401
	v_or_b32_e32 v186, v194, v186
	v_and_b32_e32 v194, 0xff, v172
	s_delay_alu instid0(VALU_DEP_3) | instskip(NEXT) | instid1(VALU_DEP_3)
	v_or_b32_e32 v168, v170, v176
	v_perm_b32 v172, v172, v186, 0x4010c0c
	s_delay_alu instid0(VALU_DEP_3) | instskip(SKIP_1) | instid1(VALU_DEP_2)
	v_or_b32_e32 v171, v194, v171
	v_and_b32_e32 v194, 0xff, v189
	v_perm_b32 v171, v187, v171, 0xc0c0401
	s_delay_alu instid0(VALU_DEP_2) | instskip(SKIP_1) | instid1(VALU_DEP_3)
	v_or_b32_e32 v188, v194, v188
	v_and_b32_e32 v194, 0xff, v173
	v_or_b32_e32 v169, v172, v171
	s_delay_alu instid0(VALU_DEP_3) | instskip(NEXT) | instid1(VALU_DEP_3)
	v_perm_b32 v173, v173, v188, 0x4010c0c
	v_or_b32_e32 v178, v194, v178
	v_and_b32_e32 v194, 0xff, v191
	v_lshrrev_b32_e32 v171, 24, v29
	v_lshrrev_b32_e32 v172, 16, v29
	s_delay_alu instid0(VALU_DEP_4) | instskip(NEXT) | instid1(VALU_DEP_4)
	v_perm_b32 v177, v189, v178, 0xc0c0401
	v_or_b32_e32 v190, v194, v190
	v_and_b32_e32 v194, 0xff, v162
	s_delay_alu instid0(VALU_DEP_3) | instskip(NEXT) | instid1(VALU_DEP_3)
	v_or_b32_e32 v170, v173, v177
	v_perm_b32 v162, v162, v190, 0x4010c0c
	s_delay_alu instid0(VALU_DEP_3) | instskip(SKIP_1) | instid1(VALU_DEP_2)
	v_or_b32_e32 v152, v194, v152
	v_and_b32_e32 v194, 0xff, v193
	v_perm_b32 v152, v191, v152, 0xc0c0401
	s_delay_alu instid0(VALU_DEP_2) | instskip(SKIP_1) | instid1(VALU_DEP_3)
	v_or_b32_e32 v192, v194, v192
	v_and_b32_e32 v194, 0xff, v175
	v_or_b32_e32 v152, v162, v152
	s_delay_alu instid0(VALU_DEP_3) | instskip(NEXT) | instid1(VALU_DEP_3)
	v_perm_b32 v175, v175, v192, 0x4010c0c
	v_or_b32_e32 v153, v194, v153
	v_dot4_i32_iu8 v162, v165, v158, 0 neg_lo:[1,1,0]
	v_dot4_i32_iu8 v165, v167, v158, 0 neg_lo:[1,1,0]
	;; [unrolled: 1-line block ×4, first 2 shown]
	v_perm_b32 v153, v193, v153, 0xc0c0401
	v_dot4_i32_iu8 v158, v166, v159, v162 neg_lo:[1,1,0]
	v_dot4_i32_iu8 v162, v168, v159, v165 neg_lo:[1,1,0]
	;; [unrolled: 1-line block ×3, first 2 shown]
	v_lshrrev_b32_e32 v166, 16, v23
	v_or_b32_e32 v153, v175, v153
	v_lshrrev_b32_e32 v167, 24, v25
	v_lshrrev_b32_e32 v168, 16, v25
	;; [unrolled: 1-line block ×4, first 2 shown]
	v_dot4_i32_iu8 v152, v153, v159, v152 neg_lo:[1,1,0]
	v_bfe_u32 v153, v15, 24, 2
	v_lshrrev_b32_e32 v159, 24, v23
	v_and_b32_e32 v15, 0x3030303, v15
	s_delay_alu instid0(VALU_DEP_2) | instskip(NEXT) | instid1(VALU_DEP_2)
	v_sub_nc_u16 v153, v153, v159
	v_lshrrev_b32_e32 v159, 16, v15
	s_delay_alu instid0(VALU_DEP_2) | instskip(NEXT) | instid1(VALU_DEP_2)
	v_lshlrev_b16 v153, 8, v153
	v_sub_nc_u16 v159, v159, v166
	v_lshrrev_b16 v166, 8, v15
	v_sub_nc_u16 v15, v15, v23
	v_lshrrev_b16 v23, 8, v23
	s_delay_alu instid0(VALU_DEP_1) | instskip(SKIP_2) | instid1(VALU_DEP_3)
	v_sub_nc_u16 v23, v166, v23
	v_bfe_u32 v166, v17, 24, 2
	v_and_b32_e32 v17, 0x3030303, v17
	v_lshlrev_b16 v23, 8, v23
	s_delay_alu instid0(VALU_DEP_3) | instskip(NEXT) | instid1(VALU_DEP_3)
	v_sub_nc_u16 v166, v166, v167
	v_lshrrev_b32_e32 v167, 16, v17
	s_delay_alu instid0(VALU_DEP_2) | instskip(NEXT) | instid1(VALU_DEP_2)
	v_lshlrev_b16 v166, 8, v166
	v_sub_nc_u16 v167, v167, v168
	v_lshrrev_b16 v168, 8, v17
	v_sub_nc_u16 v17, v17, v25
	v_lshrrev_b16 v25, 8, v25
	s_delay_alu instid0(VALU_DEP_1) | instskip(SKIP_2) | instid1(VALU_DEP_3)
	v_sub_nc_u16 v25, v168, v25
	v_bfe_u32 v168, v19, 24, 2
	v_and_b32_e32 v19, 0x3030303, v19
	v_lshlrev_b16 v25, 8, v25
	s_delay_alu instid0(VALU_DEP_3) | instskip(NEXT) | instid1(VALU_DEP_3)
	;; [unrolled: 14-line block ×3, first 2 shown]
	v_sub_nc_u16 v170, v170, v171
	v_lshrrev_b32_e32 v171, 16, v21
	s_delay_alu instid0(VALU_DEP_2) | instskip(NEXT) | instid1(VALU_DEP_2)
	v_lshlrev_b16 v170, 8, v170
	v_sub_nc_u16 v171, v171, v172
	v_lshrrev_b16 v172, 8, v21
	v_sub_nc_u16 v21, v21, v29
	v_lshrrev_b16 v29, 8, v29
	s_delay_alu instid0(VALU_DEP_1) | instskip(SKIP_1) | instid1(VALU_DEP_2)
	v_sub_nc_u16 v29, v172, v29
	v_and_b32_e32 v172, 0xff, v159
	v_lshlrev_b16 v29, 8, v29
	s_delay_alu instid0(VALU_DEP_2) | instskip(SKIP_1) | instid1(VALU_DEP_2)
	v_or_b32_e32 v153, v172, v153
	v_and_b32_e32 v172, 0xff, v15
	v_perm_b32 v15, v15, v153, 0x4010c0c
	s_delay_alu instid0(VALU_DEP_2) | instskip(SKIP_1) | instid1(VALU_DEP_2)
	v_or_b32_e32 v23, v172, v23
	v_and_b32_e32 v172, 0xff, v167
	v_perm_b32 v23, v159, v23, 0xc0c0401
	s_delay_alu instid0(VALU_DEP_2) | instskip(SKIP_2) | instid1(VALU_DEP_4)
	v_or_b32_e32 v166, v172, v166
	v_and_b32_e32 v172, 0xff, v17
	v_lshrrev_b32_e32 v159, 16, v6
	v_or_b32_e32 v15, v15, v23
	s_delay_alu instid0(VALU_DEP_4) | instskip(NEXT) | instid1(VALU_DEP_4)
	v_perm_b32 v17, v17, v166, 0x4010c0c
	v_or_b32_e32 v25, v172, v25
	v_and_b32_e32 v172, 0xff, v169
	v_bfe_u32 v23, v11, 24, 2
	v_and_b32_e32 v11, 0x3030303, v11
	v_dot4_i32_iu8 v15, v15, v150, v163 neg_lo:[1,1,0]
	v_perm_b32 v25, v167, v25, 0xc0c0401
	v_or_b32_e32 v168, v172, v168
	v_and_b32_e32 v172, 0xff, v19
	s_delay_alu instid0(VALU_DEP_3) | instskip(NEXT) | instid1(VALU_DEP_3)
	v_or_b32_e32 v17, v17, v25
	v_perm_b32 v19, v19, v168, 0x4010c0c
	s_delay_alu instid0(VALU_DEP_3) | instskip(SKIP_3) | instid1(VALU_DEP_4)
	v_or_b32_e32 v27, v172, v27
	v_lshrrev_b32_e32 v25, 24, v2
	v_and_b32_e32 v172, 0xff, v171
	v_dot4_i32_iu8 v17, v17, v150, v164 neg_lo:[1,1,0]
	v_perm_b32 v27, v169, v27, 0xc0c0401
	s_delay_alu instid0(VALU_DEP_4)
	v_sub_nc_u16 v23, v23, v25
	v_lshrrev_b32_e32 v25, 16, v11
	v_or_b32_e32 v170, v172, v170
	v_and_b32_e32 v172, 0xff, v21
	v_or_b32_e32 v19, v19, v27
	v_lshrrev_b32_e32 v27, 16, v2
	v_lshlrev_b16 v23, 8, v23
	v_perm_b32 v21, v21, v170, 0x4010c0c
	v_or_b32_e32 v29, v172, v29
	v_dot4_i32_iu8 v19, v19, v150, v160 neg_lo:[1,1,0]
	v_sub_nc_u16 v25, v25, v27
	v_lshrrev_b16 v27, 8, v11
	v_sub_nc_u16 v11, v11, v2
	v_lshrrev_b16 v2, 8, v2
	v_perm_b32 v29, v171, v29, 0xc0c0401
	v_lshrrev_b32_e32 v160, 24, v156
	s_delay_alu instid0(VALU_DEP_3) | instskip(SKIP_1) | instid1(VALU_DEP_4)
	v_sub_nc_u16 v2, v27, v2
	v_ashrrev_i32_e32 v27, s1, v154
	v_or_b32_e32 v21, v21, v29
	v_bfe_u32 v29, v4, 24, 2
	v_and_b32_e32 v4, 0x3030303, v4
	v_lshrrev_b32_e32 v154, 24, v6
	v_lshlrev_b32_e32 v27, 2, v27
	v_dot4_i32_iu8 v21, v21, v150, v161 neg_lo:[1,1,0]
	v_lshrrev_b32_e32 v161, 16, v156
	v_lshlrev_b16 v2, 8, v2
	s_delay_alu instid0(VALU_DEP_4) | instskip(NEXT) | instid1(VALU_DEP_1)
	v_and_b32_e32 v27, 0x4040404, v27
	v_lshrrev_b32_e32 v150, 24, v27
	v_lshrrev_b32_e32 v153, 16, v27
	s_delay_alu instid0(VALU_DEP_2) | instskip(SKIP_1) | instid1(VALU_DEP_2)
	v_sub_nc_u16 v29, v29, v150
	v_lshrrev_b32_e32 v150, 16, v4
	v_lshlrev_b16 v29, 8, v29
	s_delay_alu instid0(VALU_DEP_2) | instskip(SKIP_3) | instid1(VALU_DEP_1)
	v_sub_nc_u16 v150, v150, v153
	v_lshrrev_b16 v153, 8, v4
	v_sub_nc_u16 v4, v4, v27
	v_lshrrev_b16 v27, 8, v27
	v_sub_nc_u16 v27, v153, v27
	v_bfe_u32 v153, v0, 24, 2
	v_and_b32_e32 v0, 0x3030303, v0
	s_delay_alu instid0(VALU_DEP_3) | instskip(NEXT) | instid1(VALU_DEP_3)
	v_lshlrev_b16 v27, 8, v27
	v_sub_nc_u16 v153, v153, v154
	s_delay_alu instid0(VALU_DEP_3) | instskip(NEXT) | instid1(VALU_DEP_2)
	v_lshrrev_b32_e32 v154, 16, v0
	v_lshlrev_b16 v153, 8, v153
	s_delay_alu instid0(VALU_DEP_2) | instskip(SKIP_3) | instid1(VALU_DEP_1)
	v_sub_nc_u16 v154, v154, v159
	v_lshrrev_b16 v159, 8, v0
	v_sub_nc_u16 v0, v0, v6
	v_lshrrev_b16 v6, 8, v6
	v_sub_nc_u16 v6, v159, v6
	v_bfe_u32 v159, v13, 24, 2
	v_and_b32_e32 v13, 0x3030303, v13
	s_delay_alu instid0(VALU_DEP_3) | instskip(NEXT) | instid1(VALU_DEP_3)
	v_lshlrev_b16 v6, 8, v6
	v_sub_nc_u16 v159, v159, v160
	s_delay_alu instid0(VALU_DEP_3) | instskip(NEXT) | instid1(VALU_DEP_2)
	v_lshrrev_b32_e32 v160, 16, v13
	v_lshlrev_b16 v159, 8, v159
	s_delay_alu instid0(VALU_DEP_2) | instskip(SKIP_3) | instid1(VALU_DEP_1)
	v_sub_nc_u16 v160, v160, v161
	v_lshrrev_b16 v161, 8, v13
	v_sub_nc_u16 v13, v13, v156
	v_lshrrev_b16 v156, 8, v156
	v_sub_nc_u16 v156, v161, v156
	v_and_b32_e32 v161, 0xff, v25
	s_delay_alu instid0(VALU_DEP_2) | instskip(NEXT) | instid1(VALU_DEP_2)
	v_lshlrev_b16 v156, 8, v156
	v_or_b32_e32 v23, v161, v23
	v_and_b32_e32 v161, 0xff, v11
	s_delay_alu instid0(VALU_DEP_2) | instskip(NEXT) | instid1(VALU_DEP_2)
	v_perm_b32 v11, v11, v23, 0x4010c0c
	v_or_b32_e32 v2, v161, v2
	v_and_b32_e32 v161, 0xff, v150
	s_delay_alu instid0(VALU_DEP_2) | instskip(NEXT) | instid1(VALU_DEP_2)
	v_perm_b32 v2, v25, v2, 0xc0c0401
	v_or_b32_e32 v29, v161, v29
	v_and_b32_e32 v161, 0xff, v4
	s_delay_alu instid0(VALU_DEP_3) | instskip(SKIP_1) | instid1(VALU_DEP_3)
	v_or_b32_e32 v2, v11, v2
	v_ashrrev_i32_e32 v11, s25, v16
	v_or_b32_e32 v27, v161, v27
	v_and_b32_e32 v161, 0xff, v154
	v_ashrrev_i32_e32 v16, s25, v20
	v_ashrrev_i32_e32 v20, s1, v24
	v_perm_b32 v4, v4, v29, 0x4010c0c
	v_perm_b32 v23, v150, v27, 0xc0c0401
	v_or_b32_e32 v153, v161, v153
	v_and_b32_e32 v161, 0xff, v0
	v_lshlrev_b32_e32 v20, 2, v20
	v_ashrrev_i32_e32 v24, s1, v30
	v_or_b32_e32 v4, v4, v23
	v_perm_b32 v0, v0, v153, 0x4010c0c
	v_or_b32_e32 v6, v161, v6
	v_and_b32_e32 v161, 0xff, v160
	v_and_b32_e32 v20, 0x4040404, v20
	v_ashrrev_i32_e32 v23, s1, v28
	v_dot4_i32_iu8 v2, v2, v145, v158 neg_lo:[1,1,0]
	v_perm_b32 v6, v154, v6, 0xc0c0401
	v_or_b32_e32 v159, v161, v159
	v_and_b32_e32 v161, 0xff, v13
	v_lshrrev_b32_e32 v27, 16, v20
	v_lshlrev_b32_e32 v23, 2, v23
	v_or_b32_e32 v0, v0, v6
	v_perm_b32 v13, v13, v159, 0x4010c0c
	v_or_b32_e32 v156, v161, v156
	v_dot4_i32_iu8 v4, v4, v145, v162 neg_lo:[1,1,0]
	v_and_b32_e32 v23, 0x4040404, v23
	v_dot4_i32_iu8 v0, v0, v145, v165 neg_lo:[1,1,0]
	v_lshlrev_b32_e32 v24, 2, v24
	v_perm_b32 v25, v160, v156, 0xc0c0401
	s_delay_alu instid0(VALU_DEP_4) | instskip(NEXT) | instid1(VALU_DEP_3)
	v_lshrrev_b32_e32 v30, 24, v23
	v_and_b32_e32 v24, 0x4040404, v24
	s_delay_alu instid0(VALU_DEP_3)
	v_or_b32_e32 v6, v13, v25
	v_ashrrev_i32_e32 v13, s25, v18
	v_ashrrev_i32_e32 v18, s25, v22
	;; [unrolled: 1-line block ×3, first 2 shown]
	v_bfe_u32 v25, v11, 24, 2
	v_lshrrev_b32_e32 v26, 24, v20
	v_and_b32_e32 v11, 0x3030303, v11
	v_dot4_i32_iu8 v6, v6, v145, v152 neg_lo:[1,1,0]
	v_lshlrev_b32_e32 v22, 2, v22
	v_lshrrev_b32_e32 v145, 16, v23
	v_sub_nc_u16 v25, v25, v26
	v_lshrrev_b32_e32 v26, 16, v11
	v_lshrrev_b32_e32 v150, 24, v24
	v_and_b32_e32 v22, 0x4040404, v22
	v_lshrrev_b32_e32 v152, 16, v24
	v_lshlrev_b16 v25, 8, v25
	v_sub_nc_u16 v26, v26, v27
	v_lshrrev_b16 v27, 8, v11
	v_sub_nc_u16 v11, v11, v20
	v_lshrrev_b16 v20, 8, v20
	v_lshrrev_b32_e32 v28, 24, v22
	v_lshrrev_b32_e32 v29, 16, v22
	s_delay_alu instid0(VALU_DEP_3) | instskip(SKIP_2) | instid1(VALU_DEP_3)
	v_sub_nc_u16 v20, v27, v20
	v_bfe_u32 v27, v13, 24, 2
	v_and_b32_e32 v13, 0x3030303, v13
	v_lshlrev_b16 v20, 8, v20
	s_delay_alu instid0(VALU_DEP_3) | instskip(NEXT) | instid1(VALU_DEP_3)
	v_sub_nc_u16 v27, v27, v28
	v_lshrrev_b32_e32 v28, 16, v13
	s_delay_alu instid0(VALU_DEP_2) | instskip(NEXT) | instid1(VALU_DEP_2)
	v_lshlrev_b16 v27, 8, v27
	v_sub_nc_u16 v28, v28, v29
	v_lshrrev_b16 v29, 8, v13
	v_sub_nc_u16 v13, v13, v22
	v_lshrrev_b16 v22, 8, v22
	s_delay_alu instid0(VALU_DEP_1) | instskip(SKIP_2) | instid1(VALU_DEP_3)
	v_sub_nc_u16 v22, v29, v22
	v_bfe_u32 v29, v16, 24, 2
	v_and_b32_e32 v16, 0x3030303, v16
	v_lshlrev_b16 v22, 8, v22
	s_delay_alu instid0(VALU_DEP_3) | instskip(NEXT) | instid1(VALU_DEP_3)
	v_sub_nc_u16 v29, v29, v30
	v_lshrrev_b32_e32 v30, 16, v16
	s_delay_alu instid0(VALU_DEP_2) | instskip(NEXT) | instid1(VALU_DEP_2)
	v_lshlrev_b16 v29, 8, v29
	v_sub_nc_u16 v30, v30, v145
	v_lshrrev_b16 v145, 8, v16
	v_sub_nc_u16 v16, v16, v23
	v_lshrrev_b16 v23, 8, v23
	s_delay_alu instid0(VALU_DEP_1) | instskip(SKIP_2) | instid1(VALU_DEP_3)
	v_sub_nc_u16 v23, v145, v23
	v_bfe_u32 v145, v18, 24, 2
	v_and_b32_e32 v18, 0x3030303, v18
	v_lshlrev_b16 v23, 8, v23
	s_delay_alu instid0(VALU_DEP_3) | instskip(NEXT) | instid1(VALU_DEP_3)
	v_sub_nc_u16 v145, v145, v150
	v_lshrrev_b32_e32 v150, 16, v18
	s_delay_alu instid0(VALU_DEP_2) | instskip(NEXT) | instid1(VALU_DEP_2)
	v_lshlrev_b16 v145, 8, v145
	v_sub_nc_u16 v150, v150, v152
	v_lshrrev_b16 v152, 8, v18
	v_sub_nc_u16 v18, v18, v24
	v_lshrrev_b16 v24, 8, v24
	s_delay_alu instid0(VALU_DEP_1) | instskip(SKIP_1) | instid1(VALU_DEP_2)
	v_sub_nc_u16 v24, v152, v24
	v_and_b32_e32 v152, 0xff, v26
	v_lshlrev_b16 v24, 8, v24
	s_delay_alu instid0(VALU_DEP_2) | instskip(SKIP_1) | instid1(VALU_DEP_2)
	v_or_b32_e32 v25, v152, v25
	v_and_b32_e32 v152, 0xff, v11
	v_perm_b32 v11, v11, v25, 0x4010c0c
	s_delay_alu instid0(VALU_DEP_2) | instskip(SKIP_2) | instid1(VALU_DEP_3)
	v_or_b32_e32 v20, v152, v20
	v_and_b32_e32 v152, 0xff, v28
	v_lshrrev_b32_e32 v25, 16, v7
	v_perm_b32 v20, v26, v20, 0xc0c0401
	s_delay_alu instid0(VALU_DEP_3) | instskip(SKIP_1) | instid1(VALU_DEP_3)
	v_or_b32_e32 v27, v152, v27
	v_and_b32_e32 v152, 0xff, v13
	v_or_b32_e32 v11, v11, v20
	s_delay_alu instid0(VALU_DEP_3) | instskip(NEXT) | instid1(VALU_DEP_3)
	v_perm_b32 v13, v13, v27, 0x4010c0c
	v_or_b32_e32 v22, v152, v22
	v_and_b32_e32 v152, 0xff, v30
	v_lshrrev_b32_e32 v20, 24, v3
	v_dot4_i32_iu8 v11, v11, v144, v15 neg_lo:[1,1,0]
	s_delay_alu instid0(VALU_DEP_4) | instskip(NEXT) | instid1(VALU_DEP_4)
	v_perm_b32 v22, v28, v22, 0xc0c0401
	v_or_b32_e32 v29, v152, v29
	v_and_b32_e32 v152, 0xff, v16
	s_delay_alu instid0(VALU_DEP_3) | instskip(NEXT) | instid1(VALU_DEP_3)
	v_or_b32_e32 v13, v13, v22
	v_perm_b32 v16, v16, v29, 0x4010c0c
	s_delay_alu instid0(VALU_DEP_3) | instskip(SKIP_1) | instid1(VALU_DEP_4)
	v_or_b32_e32 v23, v152, v23
	v_and_b32_e32 v152, 0xff, v150
	v_dot4_i32_iu8 v13, v13, v144, v17 neg_lo:[1,1,0]
	v_ashrrev_i32_e32 v17, s1, v155
	s_delay_alu instid0(VALU_DEP_4) | instskip(NEXT) | instid1(VALU_DEP_4)
	v_perm_b32 v23, v30, v23, 0xc0c0401
	v_or_b32_e32 v145, v152, v145
	v_and_b32_e32 v152, 0xff, v18
	s_delay_alu instid0(VALU_DEP_4) | instskip(NEXT) | instid1(VALU_DEP_4)
	v_lshlrev_b32_e32 v17, 2, v17
	v_or_b32_e32 v16, v16, v23
	s_delay_alu instid0(VALU_DEP_4) | instskip(NEXT) | instid1(VALU_DEP_4)
	v_perm_b32 v18, v18, v145, 0x4010c0c
	v_or_b32_e32 v24, v152, v24
	s_delay_alu instid0(VALU_DEP_4) | instskip(NEXT) | instid1(VALU_DEP_4)
	v_and_b32_e32 v17, 0x4040404, v17
	v_dot4_i32_iu8 v15, v16, v144, v19 neg_lo:[1,1,0]
	v_bfe_u32 v19, v12, 24, 2
	s_delay_alu instid0(VALU_DEP_4)
	v_perm_b32 v24, v150, v24, 0xc0c0401
	v_and_b32_e32 v12, 0x3030303, v12
	v_lshrrev_b32_e32 v22, 24, v17
	v_lshrrev_b32_e32 v23, 16, v17
	v_sub_nc_u16 v19, v19, v20
	v_or_b32_e32 v18, v18, v24
	v_lshrrev_b32_e32 v20, 16, v12
	v_lshrrev_b32_e32 v24, 24, v7
	s_delay_alu instid0(VALU_DEP_4) | instskip(NEXT) | instid1(VALU_DEP_4)
	v_lshlrev_b16 v19, 8, v19
	v_dot4_i32_iu8 v16, v18, v144, v21 neg_lo:[1,1,0]
	v_lshrrev_b32_e32 v21, 16, v3
	v_ashrrev_i32_e32 v18, s1, v157
	s_add_i32 s1, s1, 1
	s_cmp_lt_u32 s25, 6
	s_delay_alu instid0(VALU_DEP_2) | instskip(SKIP_4) | instid1(VALU_DEP_2)
	v_sub_nc_u16 v20, v20, v21
	v_lshrrev_b16 v21, 8, v12
	v_sub_nc_u16 v12, v12, v3
	v_lshrrev_b16 v3, 8, v3
	v_lshlrev_b32_e32 v18, 2, v18
	v_sub_nc_u16 v3, v21, v3
	v_bfe_u32 v21, v5, 24, 2
	v_and_b32_e32 v5, 0x3030303, v5
	s_delay_alu instid0(VALU_DEP_4) | instskip(NEXT) | instid1(VALU_DEP_4)
	v_and_b32_e32 v18, 0x4040404, v18
	v_lshlrev_b16 v3, 8, v3
	s_delay_alu instid0(VALU_DEP_4) | instskip(NEXT) | instid1(VALU_DEP_4)
	v_sub_nc_u16 v21, v21, v22
	v_lshrrev_b32_e32 v22, 16, v5
	s_delay_alu instid0(VALU_DEP_4) | instskip(SKIP_1) | instid1(VALU_DEP_4)
	v_lshrrev_b32_e32 v26, 24, v18
	v_lshrrev_b32_e32 v27, 16, v18
	v_lshlrev_b16 v21, 8, v21
	s_delay_alu instid0(VALU_DEP_4) | instskip(SKIP_3) | instid1(VALU_DEP_1)
	v_sub_nc_u16 v22, v22, v23
	v_lshrrev_b16 v23, 8, v5
	v_sub_nc_u16 v5, v5, v17
	v_lshrrev_b16 v17, 8, v17
	v_sub_nc_u16 v17, v23, v17
	v_bfe_u32 v23, v1, 24, 2
	v_and_b32_e32 v1, 0x3030303, v1
	s_delay_alu instid0(VALU_DEP_3) | instskip(NEXT) | instid1(VALU_DEP_3)
	v_lshlrev_b16 v17, 8, v17
	v_sub_nc_u16 v23, v23, v24
	s_delay_alu instid0(VALU_DEP_3) | instskip(NEXT) | instid1(VALU_DEP_2)
	v_lshrrev_b32_e32 v24, 16, v1
	v_lshlrev_b16 v23, 8, v23
	s_delay_alu instid0(VALU_DEP_2) | instskip(SKIP_3) | instid1(VALU_DEP_1)
	v_sub_nc_u16 v24, v24, v25
	v_lshrrev_b16 v25, 8, v1
	v_sub_nc_u16 v1, v1, v7
	v_lshrrev_b16 v7, 8, v7
	v_sub_nc_u16 v7, v25, v7
	v_bfe_u32 v25, v14, 24, 2
	v_and_b32_e32 v14, 0x3030303, v14
	s_delay_alu instid0(VALU_DEP_3) | instskip(NEXT) | instid1(VALU_DEP_3)
	v_lshlrev_b16 v7, 8, v7
	v_sub_nc_u16 v25, v25, v26
	s_delay_alu instid0(VALU_DEP_3) | instskip(NEXT) | instid1(VALU_DEP_2)
	v_lshrrev_b32_e32 v26, 16, v14
	v_lshlrev_b16 v25, 8, v25
	s_delay_alu instid0(VALU_DEP_2) | instskip(SKIP_3) | instid1(VALU_DEP_1)
	v_sub_nc_u16 v26, v26, v27
	v_lshrrev_b16 v27, 8, v14
	v_sub_nc_u16 v14, v14, v18
	v_lshrrev_b16 v18, 8, v18
	v_sub_nc_u16 v18, v27, v18
	v_and_b32_e32 v27, 0xff, v20
	s_delay_alu instid0(VALU_DEP_2) | instskip(NEXT) | instid1(VALU_DEP_2)
	v_lshlrev_b16 v18, 8, v18
	v_or_b32_e32 v19, v27, v19
	v_and_b32_e32 v27, 0xff, v12
	s_delay_alu instid0(VALU_DEP_2) | instskip(NEXT) | instid1(VALU_DEP_2)
	v_perm_b32 v12, v12, v19, 0x4010c0c
	v_or_b32_e32 v3, v27, v3
	v_and_b32_e32 v27, 0xff, v22
	s_delay_alu instid0(VALU_DEP_2) | instskip(NEXT) | instid1(VALU_DEP_2)
	v_perm_b32 v3, v20, v3, 0xc0c0401
	v_or_b32_e32 v21, v27, v21
	v_and_b32_e32 v27, 0xff, v5
	s_delay_alu instid0(VALU_DEP_3) | instskip(NEXT) | instid1(VALU_DEP_3)
	v_or_b32_e32 v3, v12, v3
	v_perm_b32 v5, v5, v21, 0x4010c0c
	s_delay_alu instid0(VALU_DEP_3) | instskip(SKIP_1) | instid1(VALU_DEP_4)
	v_or_b32_e32 v17, v27, v17
	v_and_b32_e32 v27, 0xff, v24
	v_dot4_i32_iu8 v3, v3, v141, v2 neg_lo:[1,1,0]
	v_add3_u32 v2, v115, s26, v151
	s_delay_alu instid0(VALU_DEP_4) | instskip(NEXT) | instid1(VALU_DEP_4)
	v_perm_b32 v17, v22, v17, 0xc0c0401
	v_or_b32_e32 v23, v27, v23
	v_and_b32_e32 v27, 0xff, v1
	s_delay_alu instid0(VALU_DEP_3) | instskip(NEXT) | instid1(VALU_DEP_3)
	v_or_b32_e32 v5, v5, v17
	v_perm_b32 v1, v1, v23, 0x4010c0c
	s_delay_alu instid0(VALU_DEP_3) | instskip(SKIP_1) | instid1(VALU_DEP_4)
	v_or_b32_e32 v7, v27, v7
	v_and_b32_e32 v27, 0xff, v26
	v_dot4_i32_iu8 v12, v5, v141, v4 neg_lo:[1,1,0]
	v_add3_u32 v4, v113, s26, v151
	ds_load_u16 v2, v2 offset:25346
	ds_load_u16 v4, v4 offset:27394
	v_or_b32_e32 v25, v27, v25
	v_and_b32_e32 v27, 0xff, v14
	v_perm_b32 v7, v24, v7, 0xc0c0401
	s_mov_b32 s26, s25
	s_delay_alu instid0(VALU_DEP_3) | instskip(NEXT) | instid1(VALU_DEP_3)
	v_perm_b32 v14, v14, v25, 0x4010c0c
	v_or_b32_e32 v18, v27, v18
	s_delay_alu instid0(VALU_DEP_3) | instskip(NEXT) | instid1(VALU_DEP_2)
	v_or_b32_e32 v1, v1, v7
	v_perm_b32 v18, v26, v18, 0xc0c0401
	s_delay_alu instid0(VALU_DEP_1) | instskip(NEXT) | instid1(VALU_DEP_3)
	v_or_b32_e32 v7, v14, v18
	v_dot4_i32_iu8 v14, v1, v141, v0 neg_lo:[1,1,0]
	s_waitcnt lgkmcnt(1)
	v_lshrrev_b16 v0, 8, v2
	v_bfe_i32 v1, v2, 0, 8
	s_waitcnt lgkmcnt(0)
	v_lshrrev_b16 v5, 8, v4
	v_dot4_i32_iu8 v17, v7, v141, v6 neg_lo:[1,1,0]
	v_bfe_i32 v7, v148, 0, 8
	v_bfe_i32 v18, v0, 0, 8
	v_mul_lo_u32 v0, v11, v1
	v_lshrrev_b16 v6, 8, v148
	v_bfe_i32 v4, v4, 0, 8
	v_lshrrev_b16 v11, 8, v149
	s_delay_alu instid0(VALU_DEP_3)
	v_bfe_i32 v6, v6, 0, 8
	v_mad_u64_u32 v[1:2], null, v3, v18, v[0:1]
	v_mul_lo_u32 v0, v13, v7
	v_bfe_i32 v3, v149, 0, 8
	v_mul_lo_u32 v2, v15, v4
	v_bfe_i32 v18, v5, 0, 8
	v_bfe_i32 v11, v11, 0, 8
	s_delay_alu instid0(VALU_DEP_4) | instskip(SKIP_3) | instid1(VALU_DEP_4)
	v_mul_lo_u32 v3, v16, v3
	v_mad_u64_u32 v[4:5], null, v12, v6, v[0:1]
	v_mul_f32_e32 v0, v140, v142
	v_cvt_f32_i32_e32 v1, v1
	v_mad_u64_u32 v[5:6], null, v14, v18, v[2:3]
	s_delay_alu instid0(VALU_DEP_4)
	v_mad_u64_u32 v[6:7], null, v17, v11, v[3:4]
	v_mul_f32_e32 v2, v140, v143
	v_mul_f32_e32 v3, v140, v146
	;; [unrolled: 1-line block ×3, first 2 shown]
	v_cvt_f32_i32_e32 v4, v4
	v_cvt_f32_i32_e32 v5, v5
	v_fmac_f32_e32 v33, v0, v1
	v_cvt_f32_i32_e32 v6, v6
	s_delay_alu instid0(VALU_DEP_3) | instskip(NEXT) | instid1(VALU_DEP_2)
	v_dual_fmac_f32 v98, v3, v4 :: v_dual_fmac_f32 v95, v2, v5
	v_fmac_f32_e32 v8, v7, v6
	s_cbranch_scc1 .LBB189_12
; %bb.13:                               ;   in Loop: Header=BB189_5 Depth=1
	s_or_b32 s1, s18, 0x80
	s_delay_alu instid0(SALU_CYCLE_1)
	s_cmp_ge_i32 s1, s11
	s_barrier
	buffer_gl0_inv
	s_cbranch_scc1 .LBB189_4
; %bb.14:                               ;   in Loop: Header=BB189_5 Depth=1
	v_add_nc_u32_e32 v0, s19, v108
	s_delay_alu instid0(VALU_DEP_1) | instskip(NEXT) | instid1(VALU_DEP_1)
	v_cmp_gt_i32_e64 s1, s5, v0
	s_and_b32 s24, s0, s1
	s_delay_alu instid0(SALU_CYCLE_1)
	s_and_saveexec_b32 s1, s24
	s_cbranch_execz .LBB189_16
; %bb.15:                               ;   in Loop: Header=BB189_5 Depth=1
	v_add_nc_u32_e32 v2, v104, v0
	s_delay_alu instid0(VALU_DEP_1)
	v_mad_i64_i32 v[0:1], null, v2, 36, v[9:10]
	global_load_b32 v0, v[0:1], off offset:4
	s_waitcnt vmcnt(0)
	ds_store_b32 v90, v0
.LBB189_16:                             ;   in Loop: Header=BB189_5 Depth=1
	s_or_b32 exec_lo, exec_lo, s1
	s_and_saveexec_b32 s24, vcc_lo
	s_cbranch_execz .LBB189_19
; %bb.17:                               ;   in Loop: Header=BB189_5 Depth=1
	v_or_b32_e32 v0, s19, v32
	s_delay_alu instid0(VALU_DEP_1) | instskip(NEXT) | instid1(VALU_DEP_1)
	v_or_b32_e32 v1, 4, v0
	v_cmp_gt_i32_e64 s1, s5, v1
	s_delay_alu instid0(VALU_DEP_1) | instskip(NEXT) | instid1(SALU_CYCLE_1)
	s_and_b32 s1, s0, s1
	s_and_b32 exec_lo, exec_lo, s1
	s_cbranch_execz .LBB189_19
; %bb.18:                               ;   in Loop: Header=BB189_5 Depth=1
	v_ashrrev_i32_e32 v1, 31, v0
	v_add_co_u32 v2, s1, v104, v0
	s_delay_alu instid0(VALU_DEP_1) | instskip(NEXT) | instid1(VALU_DEP_2)
	v_add_co_ci_u32_e64 v3, s1, v111, v1, s1
	v_mad_u64_u32 v[0:1], null, v2, 36, s[12:13]
	s_delay_alu instid0(VALU_DEP_1)
	v_mad_i32_i24 v1, v3, 36, v1
	global_load_b32 v0, v[0:1], off
	s_waitcnt vmcnt(0)
	v_cvt_f32_f16_e32 v0, v0
	ds_store_b32 v91, v0
.LBB189_19:                             ;   in Loop: Header=BB189_5 Depth=1
	s_or_b32 exec_lo, exec_lo, s24
	v_dual_mov_b32 v138, v116 :: v_dual_mov_b32 v139, v117
	s_mov_b32 s1, 8
	s_mov_b32 s24, 0
	s_mov_b32 s25, 4
	s_waitcnt lgkmcnt(0)
	s_barrier
	buffer_gl0_inv
.LBB189_20:                             ;   Parent Loop BB189_5 Depth=1
                                        ; =>  This Inner Loop Header: Depth=2
	ds_load_b128 v[4:7], v138
	ds_load_b128 v[0:3], v138 offset:16
	s_add_i32 s26, s24, 8
	v_add_nc_u32_e32 v138, 32, v138
	s_and_b32 s28, s26, 0x3ffffff8
	s_lshr_b32 s27, s26, 4
	s_lshl_b32 s28, s28, 2
	s_lshl_b32 s29, s27, 2
	v_add_nc_u32_e32 v147, s28, v94
	v_add_nc_u32_e32 v148, s28, v99
	;; [unrolled: 1-line block ×4, first 2 shown]
	ds_load_2addr_b32 v[13:14], v147 offset1:1
	ds_load_2addr_b32 v[11:12], v147 offset0:6 offset1:7
	ds_load_2addr_b32 v[15:16], v147 offset0:2 offset1:3
	;; [unrolled: 1-line block ×3, first 2 shown]
	ds_load_b32 v140, v19
	v_add_nc_u32_e32 v161, s28, v106
	s_lshl_b32 s27, s27, 3
	s_delay_alu instid0(SALU_CYCLE_1)
	v_add_lshl_u32 v164, v93, s27, 2
	v_add_lshl_u32 v167, v97, s27, 2
	s_waitcnt lgkmcnt(6)
	v_perm_b32 v150, v6, v6, 0x30201
	s_waitcnt lgkmcnt(5)
	v_perm_b32 v157, v0, v0, 0x30201
	v_perm_b32 v158, v1, v1, 0x30201
	ds_load_2addr_b32 v[0:1], v148 offset1:1
	v_perm_b32 v144, v2, v2, 0x30201
	v_perm_b32 v141, v3, v3, 0x30201
	v_add_nc_u32_e32 v6, 0x4208, v164
	v_perm_b32 v149, v4, v4, 0x30201
	v_perm_b32 v151, v5, v5, 0x30201
	;; [unrolled: 1-line block ×3, first 2 shown]
	v_add_lshl_u32 v170, v101, s27, 2
	s_waitcnt lgkmcnt(5)
	v_ashrrev_i32_e32 v152, s24, v13
	v_ashrrev_i32_e32 v153, s24, v14
	v_add_lshl_u32 v173, v105, s27, 2
	s_and_b32 s27, s1, -16
	v_add_nc_u32_e32 v27, 0x4208, v170
	v_bfe_u32 v174, v152, 24, 2
	v_and_b32_e32 v152, 0x3030303, v152
	s_waitcnt lgkmcnt(3)
	v_ashrrev_i32_e32 v15, s24, v15
	s_waitcnt lgkmcnt(2)
	v_ashrrev_i32_e32 v17, s24, v17
	v_ashrrev_i32_e32 v11, s24, v11
	;; [unrolled: 1-line block ×3, first 2 shown]
	s_add_i32 s1, s1, 2
	s_waitcnt lgkmcnt(0)
	v_ashrrev_i32_e32 v154, s24, v0
	v_ashrrev_i32_e32 v155, s24, v1
	ds_load_2addr_b32 v[2:3], v156 offset1:1
	ds_load_2addr_b32 v[0:1], v156 offset0:6 offset1:7
	ds_load_2addr_b32 v[19:20], v156 offset0:2 offset1:3
	s_waitcnt lgkmcnt(2)
	v_ashrrev_i32_e32 v159, s24, v2
	v_add_nc_u32_e32 v2, s29, v103
	v_ashrrev_i32_e32 v160, s24, v3
	ds_load_2addr_b32 v[21:22], v161 offset0:2 offset1:3
	ds_load_b32 v142, v2
	ds_load_2addr_b32 v[2:3], v161 offset1:1
	s_waitcnt lgkmcnt(3)
	v_ashrrev_i32_e32 v19, s24, v19
	v_ashrrev_i32_e32 v0, s24, v0
	;; [unrolled: 1-line block ×3, first 2 shown]
	s_waitcnt lgkmcnt(2)
	v_ashrrev_i32_e32 v21, s24, v21
	s_waitcnt lgkmcnt(0)
	v_ashrrev_i32_e32 v162, s24, v2
	v_add_nc_u32_e32 v2, 0x4200, v164
	v_ashrrev_i32_e32 v163, s24, v3
	v_add_nc_u32_e32 v3, 0x4218, v164
	ds_load_2addr_b32 v[4:5], v2 offset1:1
	ds_load_2addr_b32 v[2:3], v3 offset1:1
	;; [unrolled: 1-line block ×3, first 2 shown]
	s_waitcnt lgkmcnt(2)
	v_ashrrev_i32_e32 v165, s25, v4
	v_add_nc_u32_e32 v4, 0x4200, v167
	v_ashrrev_i32_e32 v166, s25, v5
	v_add_nc_u32_e32 v5, 0x4208, v167
	ds_load_2addr_b32 v[6:7], v4 offset1:1
	ds_load_2addr_b32 v[25:26], v5 offset1:1
	ds_load_2addr_b32 v[4:5], v148 offset0:6 offset1:7
	v_lshlrev_b32_e32 v165, 2, v165
	v_lshlrev_b32_e32 v166, 2, v166
	s_waitcnt lgkmcnt(3)
	v_ashrrev_i32_e32 v23, s25, v23
	v_ashrrev_i32_e32 v2, s25, v2
	;; [unrolled: 1-line block ×3, first 2 shown]
	v_and_b32_e32 v165, 0x4040404, v165
	v_and_b32_e32 v166, 0x4040404, v166
	v_lshlrev_b32_e32 v23, 2, v23
	v_lshlrev_b32_e32 v2, 2, v2
	v_lshlrev_b32_e32 v3, 2, v3
	v_lshrrev_b32_e32 v175, 24, v165
	v_lshrrev_b32_e32 v176, 16, v165
	;; [unrolled: 1-line block ×4, first 2 shown]
	v_and_b32_e32 v23, 0x4040404, v23
	v_sub_nc_u16 v174, v174, v175
	v_lshrrev_b32_e32 v175, 16, v152
	s_waitcnt lgkmcnt(2)
	v_ashrrev_i32_e32 v168, s25, v6
	v_add_nc_u32_e32 v6, 0x4200, v170
	v_ashrrev_i32_e32 v169, s25, v7
	v_add_nc_u32_e32 v7, 0x4218, v170
	v_sub_nc_u16 v175, v175, v176
	v_lshrrev_b16 v176, 8, v152
	v_sub_nc_u16 v152, v152, v165
	v_lshrrev_b16 v165, 8, v165
	v_lshlrev_b32_e32 v168, 2, v168
	ds_load_2addr_b32 v[13:14], v6 offset1:1
	ds_load_2addr_b32 v[6:7], v7 offset1:1
	;; [unrolled: 1-line block ×3, first 2 shown]
	v_lshlrev_b32_e32 v169, 2, v169
	v_lshlrev_b16 v174, 8, v174
	v_sub_nc_u16 v165, v176, v165
	v_bfe_u32 v176, v153, 24, 2
	v_and_b32_e32 v153, 0x3030303, v153
	v_and_b32_e32 v168, 0x4040404, v168
	;; [unrolled: 1-line block ×3, first 2 shown]
	v_lshlrev_b16 v165, 8, v165
	v_sub_nc_u16 v176, v176, v177
	v_lshrrev_b32_e32 v177, 16, v153
	v_lshrrev_b32_e32 v179, 24, v168
	;; [unrolled: 1-line block ×5, first 2 shown]
	v_sub_nc_u16 v177, v177, v178
	v_lshrrev_b16 v178, 8, v153
	v_sub_nc_u16 v153, v153, v166
	v_lshrrev_b16 v166, 8, v166
	s_waitcnt lgkmcnt(2)
	v_ashrrev_i32_e32 v171, s25, v13
	v_add_nc_u32_e32 v13, 0x4200, v173
	v_ashrrev_i32_e32 v172, s25, v14
	v_add_nc_u32_e32 v14, 0x4208, v173
	v_sub_nc_u16 v166, v178, v166
	v_bfe_u32 v178, v154, 24, 2
	v_and_b32_e32 v154, 0x3030303, v154
	v_lshlrev_b32_e32 v171, 2, v171
	ds_load_2addr_b32 v[145:146], v13 offset1:1
	ds_load_2addr_b32 v[29:30], v14 offset1:1
	ds_load_2addr_b32 v[13:14], v161 offset0:6 offset1:7
	v_lshlrev_b32_e32 v172, 2, v172
	v_sub_nc_u16 v178, v178, v179
	v_lshrrev_b32_e32 v179, 16, v154
	v_and_b32_e32 v171, 0x4040404, v171
	v_lshlrev_b16 v176, 8, v176
	v_and_b32_e32 v172, 0x4040404, v172
	v_lshlrev_b16 v166, 8, v166
	v_sub_nc_u16 v179, v179, v180
	v_lshrrev_b16 v180, 8, v154
	v_sub_nc_u16 v154, v154, v168
	v_lshrrev_b16 v168, 8, v168
	v_lshrrev_b32_e32 v183, 24, v171
	v_lshrrev_b32_e32 v184, 16, v171
	v_lshrrev_b32_e32 v185, 24, v172
	v_lshrrev_b32_e32 v186, 16, v172
	v_sub_nc_u16 v168, v180, v168
	v_bfe_u32 v180, v155, 24, 2
	v_and_b32_e32 v155, 0x3030303, v155
	s_waitcnt lgkmcnt(2)
	v_ashrrev_i32_e32 v145, s25, v145
	v_ashrrev_i32_e32 v146, s25, v146
	v_lshlrev_b16 v178, 8, v178
	v_sub_nc_u16 v180, v180, v181
	v_lshrrev_b32_e32 v181, 16, v155
	v_lshlrev_b32_e32 v145, 2, v145
	v_lshlrev_b32_e32 v146, 2, v146
	v_lshlrev_b16 v168, 8, v168
	v_lshlrev_b16 v180, 8, v180
	v_sub_nc_u16 v181, v181, v182
	v_lshrrev_b16 v182, 8, v155
	v_sub_nc_u16 v155, v155, v169
	v_lshrrev_b16 v169, 8, v169
	v_and_b32_e32 v145, 0x4040404, v145
	v_and_b32_e32 v146, 0x4040404, v146
	v_ashrrev_i32_e32 v25, s25, v25
	v_ashrrev_i32_e32 v27, s25, v27
	v_sub_nc_u16 v169, v182, v169
	v_bfe_u32 v182, v159, 24, 2
	v_and_b32_e32 v159, 0x3030303, v159
	v_lshrrev_b32_e32 v187, 24, v145
	v_lshrrev_b32_e32 v188, 16, v145
	;; [unrolled: 1-line block ×3, first 2 shown]
	v_sub_nc_u16 v182, v182, v183
	v_lshrrev_b32_e32 v183, 16, v159
	v_lshrrev_b32_e32 v190, 16, v146
	v_lshlrev_b16 v169, 8, v169
	v_lshlrev_b32_e32 v25, 2, v25
	v_lshlrev_b16 v182, 8, v182
	v_sub_nc_u16 v183, v183, v184
	v_lshrrev_b16 v184, 8, v159
	v_sub_nc_u16 v159, v159, v171
	v_lshrrev_b16 v171, 8, v171
	v_and_b32_e32 v25, 0x4040404, v25
	v_lshlrev_b32_e32 v27, 2, v27
	s_waitcnt lgkmcnt(1)
	v_ashrrev_i32_e32 v29, s25, v29
	v_and_b32_e32 v2, 0x4040404, v2
	v_sub_nc_u16 v171, v184, v171
	v_bfe_u32 v184, v160, 24, 2
	v_and_b32_e32 v160, 0x3030303, v160
	v_and_b32_e32 v27, 0x4040404, v27
	v_lshlrev_b32_e32 v29, 2, v29
	v_lshlrev_b16 v171, 8, v171
	v_sub_nc_u16 v184, v184, v185
	v_lshrrev_b32_e32 v185, 16, v160
	v_ashrrev_i32_e32 v4, s24, v4
	v_and_b32_e32 v29, 0x4040404, v29
	v_ashrrev_i32_e32 v6, s25, v6
	v_lshlrev_b16 v184, 8, v184
	v_sub_nc_u16 v185, v185, v186
	v_lshrrev_b16 v186, 8, v160
	v_sub_nc_u16 v160, v160, v172
	v_lshrrev_b16 v172, 8, v172
	v_lshlrev_b32_e32 v6, 2, v6
	s_waitcnt lgkmcnt(0)
	v_ashrrev_i32_e32 v13, s24, v13
	v_and_b32_e32 v3, 0x4040404, v3
	v_ashrrev_i32_e32 v5, s24, v5
	v_sub_nc_u16 v172, v186, v172
	v_bfe_u32 v186, v162, 24, 2
	v_and_b32_e32 v162, 0x3030303, v162
	v_and_b32_e32 v6, 0x4040404, v6
	v_ashrrev_i32_e32 v7, s25, v7
	v_lshlrev_b16 v172, 8, v172
	v_sub_nc_u16 v186, v186, v187
	v_lshrrev_b32_e32 v187, 16, v162
	v_ashrrev_i32_e32 v14, s24, v14
	v_lshlrev_b32_e32 v7, 2, v7
	s_delay_alu instid0(VALU_DEP_4) | instskip(NEXT) | instid1(VALU_DEP_4)
	v_lshlrev_b16 v186, 8, v186
	v_sub_nc_u16 v187, v187, v188
	v_lshrrev_b16 v188, 8, v162
	v_sub_nc_u16 v162, v162, v145
	v_lshrrev_b16 v145, 8, v145
	v_and_b32_e32 v7, 0x4040404, v7
	s_delay_alu instid0(VALU_DEP_2) | instskip(SKIP_2) | instid1(VALU_DEP_3)
	v_sub_nc_u16 v145, v188, v145
	v_bfe_u32 v188, v163, 24, 2
	v_and_b32_e32 v163, 0x3030303, v163
	v_lshlrev_b16 v145, 8, v145
	s_delay_alu instid0(VALU_DEP_3) | instskip(NEXT) | instid1(VALU_DEP_3)
	v_sub_nc_u16 v188, v188, v189
	v_lshrrev_b32_e32 v189, 16, v163
	s_delay_alu instid0(VALU_DEP_2) | instskip(NEXT) | instid1(VALU_DEP_2)
	v_lshlrev_b16 v188, 8, v188
	v_sub_nc_u16 v189, v189, v190
	v_lshrrev_b16 v190, 8, v163
	v_sub_nc_u16 v163, v163, v146
	v_lshrrev_b16 v146, 8, v146
	s_delay_alu instid0(VALU_DEP_1) | instskip(SKIP_1) | instid1(VALU_DEP_2)
	v_sub_nc_u16 v146, v190, v146
	v_and_b32_e32 v190, 0xff, v175
	v_lshlrev_b16 v146, 8, v146
	s_delay_alu instid0(VALU_DEP_2) | instskip(SKIP_1) | instid1(VALU_DEP_2)
	v_or_b32_e32 v174, v190, v174
	v_and_b32_e32 v190, 0xff, v152
	v_perm_b32 v152, v152, v174, 0x4010c0c
	s_delay_alu instid0(VALU_DEP_2) | instskip(SKIP_1) | instid1(VALU_DEP_2)
	v_or_b32_e32 v165, v190, v165
	v_and_b32_e32 v190, 0xff, v177
	v_perm_b32 v165, v175, v165, 0xc0c0401
	s_delay_alu instid0(VALU_DEP_2) | instskip(SKIP_1) | instid1(VALU_DEP_3)
	v_or_b32_e32 v176, v190, v176
	v_and_b32_e32 v190, 0xff, v153
	v_or_b32_e32 v152, v152, v165
	s_delay_alu instid0(VALU_DEP_3) | instskip(NEXT) | instid1(VALU_DEP_3)
	v_perm_b32 v153, v153, v176, 0x4010c0c
	v_or_b32_e32 v166, v190, v166
	v_and_b32_e32 v190, 0xff, v179
	s_delay_alu instid0(VALU_DEP_4) | instskip(NEXT) | instid1(VALU_DEP_3)
	v_dot4_i32_iu8 v152, v152, v149, 0 neg_lo:[1,1,0]
	v_perm_b32 v166, v177, v166, 0xc0c0401
	s_delay_alu instid0(VALU_DEP_3) | instskip(SKIP_1) | instid1(VALU_DEP_3)
	v_or_b32_e32 v178, v190, v178
	v_and_b32_e32 v190, 0xff, v154
	v_or_b32_e32 v153, v153, v166
	s_delay_alu instid0(VALU_DEP_3) | instskip(NEXT) | instid1(VALU_DEP_3)
	v_perm_b32 v154, v154, v178, 0x4010c0c
	v_or_b32_e32 v168, v190, v168
	v_and_b32_e32 v190, 0xff, v181
	s_delay_alu instid0(VALU_DEP_2) | instskip(NEXT) | instid1(VALU_DEP_2)
	v_perm_b32 v168, v179, v168, 0xc0c0401
	v_or_b32_e32 v180, v190, v180
	v_and_b32_e32 v190, 0xff, v155
	s_delay_alu instid0(VALU_DEP_3) | instskip(NEXT) | instid1(VALU_DEP_3)
	v_or_b32_e32 v154, v154, v168
	v_perm_b32 v155, v155, v180, 0x4010c0c
	s_delay_alu instid0(VALU_DEP_3) | instskip(SKIP_1) | instid1(VALU_DEP_4)
	v_or_b32_e32 v169, v190, v169
	v_and_b32_e32 v190, 0xff, v183
	v_dot4_i32_iu8 v154, v154, v149, 0 neg_lo:[1,1,0]
	s_delay_alu instid0(VALU_DEP_3) | instskip(NEXT) | instid1(VALU_DEP_3)
	v_perm_b32 v169, v181, v169, 0xc0c0401
	v_or_b32_e32 v182, v190, v182
	v_and_b32_e32 v190, 0xff, v159
	s_delay_alu instid0(VALU_DEP_3) | instskip(NEXT) | instid1(VALU_DEP_3)
	v_or_b32_e32 v155, v155, v169
	v_perm_b32 v159, v159, v182, 0x4010c0c
	s_delay_alu instid0(VALU_DEP_3) | instskip(SKIP_1) | instid1(VALU_DEP_2)
	v_or_b32_e32 v171, v190, v171
	v_and_b32_e32 v190, 0xff, v185
	v_perm_b32 v171, v183, v171, 0xc0c0401
	s_delay_alu instid0(VALU_DEP_2) | instskip(SKIP_1) | instid1(VALU_DEP_3)
	v_or_b32_e32 v184, v190, v184
	v_and_b32_e32 v190, 0xff, v160
	v_or_b32_e32 v159, v159, v171
	s_delay_alu instid0(VALU_DEP_3) | instskip(NEXT) | instid1(VALU_DEP_3)
	v_perm_b32 v160, v160, v184, 0x4010c0c
	v_or_b32_e32 v172, v190, v172
	v_and_b32_e32 v190, 0xff, v187
	s_delay_alu instid0(VALU_DEP_4) | instskip(NEXT) | instid1(VALU_DEP_3)
	v_dot4_i32_iu8 v159, v159, v149, 0 neg_lo:[1,1,0]
	v_perm_b32 v172, v185, v172, 0xc0c0401
	s_delay_alu instid0(VALU_DEP_3) | instskip(SKIP_1) | instid1(VALU_DEP_3)
	v_or_b32_e32 v186, v190, v186
	v_and_b32_e32 v190, 0xff, v162
	v_or_b32_e32 v160, v160, v172
	s_delay_alu instid0(VALU_DEP_3) | instskip(NEXT) | instid1(VALU_DEP_3)
	v_perm_b32 v162, v162, v186, 0x4010c0c
	v_or_b32_e32 v145, v190, v145
	v_and_b32_e32 v190, 0xff, v189
	s_delay_alu instid0(VALU_DEP_4) | instskip(NEXT) | instid1(VALU_DEP_3)
	v_dot4_i32_iu8 v159, v160, v151, v159 neg_lo:[1,1,0]
	v_perm_b32 v145, v187, v145, 0xc0c0401
	s_delay_alu instid0(VALU_DEP_3) | instskip(SKIP_1) | instid1(VALU_DEP_3)
	v_or_b32_e32 v188, v190, v188
	v_and_b32_e32 v190, 0xff, v163
	v_or_b32_e32 v145, v162, v145
	s_delay_alu instid0(VALU_DEP_3) | instskip(NEXT) | instid1(VALU_DEP_3)
	v_perm_b32 v163, v163, v188, 0x4010c0c
	v_or_b32_e32 v146, v190, v146
	v_dot4_i32_iu8 v162, v153, v151, v152 neg_lo:[1,1,0]
	v_add_nc_u32_e32 v153, 0x4210, v173
	v_dot4_i32_iu8 v145, v145, v149, 0 neg_lo:[1,1,0]
	v_add_nc_u32_e32 v149, s24, v92
	v_perm_b32 v146, v189, v146, 0xc0c0401
	s_delay_alu instid0(VALU_DEP_1) | instskip(SKIP_2) | instid1(VALU_DEP_3)
	v_or_b32_e32 v146, v163, v146
	v_dot4_i32_iu8 v163, v155, v151, v154 neg_lo:[1,1,0]
	v_add_nc_u32_e32 v155, 0x4218, v173
	v_dot4_i32_iu8 v160, v146, v151, v145 neg_lo:[1,1,0]
	ds_load_2addr_b32 v[145:146], v147 offset0:4 offset1:5
	v_add_nc_u32_e32 v147, 0x4210, v167
	v_add_nc_u32_e32 v151, 0x4218, v167
	s_waitcnt lgkmcnt(0)
	v_ashrrev_i32_e32 v165, s24, v145
	v_ashrrev_i32_e32 v166, s24, v146
	ds_load_2addr_b32 v[145:146], v148 offset0:4 offset1:5
	v_bfe_u32 v173, v165, 24, 2
	v_and_b32_e32 v165, 0x3030303, v165
	s_waitcnt lgkmcnt(0)
	v_ashrrev_i32_e32 v168, s24, v145
	v_ashrrev_i32_e32 v169, s24, v146
	ds_load_2addr_b32 v[145:146], v156 offset0:4 offset1:5
	s_waitcnt lgkmcnt(0)
	v_ashrrev_i32_e32 v171, s24, v145
	v_ashrrev_i32_e32 v172, s24, v146
	ds_load_2addr_b32 v[145:146], v161 offset0:4 offset1:5
	s_waitcnt lgkmcnt(0)
	v_ashrrev_i32_e32 v161, s24, v145
	v_add_nc_u32_e32 v145, 0x4210, v164
	v_ashrrev_i32_e32 v174, s24, v146
	ds_load_2addr_b32 v[145:146], v145 offset1:1
	s_waitcnt lgkmcnt(0)
	v_ashrrev_i32_e32 v164, s25, v145
	v_add3_u32 v145, v120, s27, v149
	v_ashrrev_i32_e32 v175, s25, v146
	s_delay_alu instid0(VALU_DEP_3)
	v_lshlrev_b32_e32 v164, 2, v164
	ds_load_u16 v146, v145
	v_add_nc_u32_e32 v145, s29, v100
	ds_load_b32 v145, v145
	ds_load_2addr_b32 v[147:148], v147 offset1:1
	ds_load_2addr_b32 v[151:152], v151 offset1:1
	v_and_b32_e32 v164, 0x4040404, v164
	v_lshlrev_b32_e32 v175, 2, v175
	s_delay_alu instid0(VALU_DEP_2) | instskip(SKIP_1) | instid1(VALU_DEP_3)
	v_lshrrev_b32_e32 v178, 24, v164
	v_lshrrev_b32_e32 v179, 16, v164
	v_and_b32_e32 v175, 0x4040404, v175
	s_delay_alu instid0(VALU_DEP_3) | instskip(SKIP_1) | instid1(VALU_DEP_3)
	v_sub_nc_u16 v173, v173, v178
	v_lshrrev_b32_e32 v178, 16, v165
	v_lshrrev_b32_e32 v180, 24, v175
	;; [unrolled: 1-line block ×3, first 2 shown]
	s_delay_alu instid0(VALU_DEP_4) | instskip(NEXT) | instid1(VALU_DEP_4)
	v_lshlrev_b16 v173, 8, v173
	v_sub_nc_u16 v178, v178, v179
	v_lshrrev_b16 v179, 8, v165
	v_sub_nc_u16 v165, v165, v164
	v_lshrrev_b16 v164, 8, v164
	s_waitcnt lgkmcnt(1)
	v_ashrrev_i32_e32 v167, s25, v147
	v_add_nc_u32_e32 v147, 0x4210, v170
	v_ashrrev_i32_e32 v176, s25, v148
	v_sub_nc_u16 v164, v179, v164
	v_bfe_u32 v179, v166, 24, 2
	v_and_b32_e32 v166, 0x3030303, v166
	v_lshlrev_b32_e32 v167, 2, v167
	ds_load_2addr_b32 v[147:148], v147 offset1:1
	v_lshlrev_b32_e32 v176, 2, v176
	v_sub_nc_u16 v179, v179, v180
	v_lshrrev_b32_e32 v180, 16, v166
	v_and_b32_e32 v167, 0x4040404, v167
	v_lshlrev_b16 v164, 8, v164
	v_and_b32_e32 v176, 0x4040404, v176
	v_lshlrev_b16 v179, 8, v179
	v_sub_nc_u16 v180, v180, v181
	v_lshrrev_b16 v181, 8, v166
	v_sub_nc_u16 v166, v166, v175
	v_lshrrev_b16 v175, 8, v175
	v_lshrrev_b32_e32 v182, 24, v167
	v_lshrrev_b32_e32 v183, 16, v167
	;; [unrolled: 1-line block ×4, first 2 shown]
	v_sub_nc_u16 v175, v181, v175
	v_bfe_u32 v181, v168, 24, 2
	v_and_b32_e32 v168, 0x3030303, v168
	s_waitcnt lgkmcnt(0)
	v_ashrrev_i32_e32 v170, s25, v147
	v_add3_u32 v147, v118, s27, v149
	v_sub_nc_u16 v181, v181, v182
	v_lshrrev_b32_e32 v182, 16, v168
	v_ashrrev_i32_e32 v177, s25, v148
	v_lshlrev_b32_e32 v170, 2, v170
	ds_load_u16 v148, v147
	v_add_nc_u32_e32 v147, s29, v107
	v_sub_nc_u16 v182, v182, v183
	v_lshrrev_b16 v183, 8, v168
	v_sub_nc_u16 v168, v168, v167
	v_lshrrev_b16 v167, 8, v167
	v_and_b32_e32 v170, 0x4040404, v170
	ds_load_b32 v147, v147
	ds_load_2addr_b32 v[153:154], v153 offset1:1
	ds_load_2addr_b32 v[155:156], v155 offset1:1
	v_lshlrev_b32_e32 v177, 2, v177
	v_lshlrev_b16 v175, 8, v175
	v_sub_nc_u16 v167, v183, v167
	v_bfe_u32 v183, v169, 24, 2
	v_and_b32_e32 v169, 0x3030303, v169
	v_lshrrev_b32_e32 v186, 24, v170
	v_lshrrev_b32_e32 v187, 16, v170
	v_and_b32_e32 v177, 0x4040404, v177
	v_sub_nc_u16 v183, v183, v184
	v_lshrrev_b32_e32 v184, 16, v169
	v_lshlrev_b16 v181, 8, v181
	v_lshlrev_b16 v167, 8, v167
	v_lshrrev_b32_e32 v188, 24, v177
	v_lshrrev_b32_e32 v189, 16, v177
	v_sub_nc_u16 v184, v184, v185
	v_lshrrev_b16 v185, 8, v169
	v_sub_nc_u16 v169, v169, v176
	v_lshrrev_b16 v176, 8, v176
	s_waitcnt lgkmcnt(1)
	v_ashrrev_i32_e32 v153, s25, v153
	v_ashrrev_i32_e32 v154, s25, v154
	v_lshlrev_b16 v183, 8, v183
	s_waitcnt lgkmcnt(0)
	v_ashrrev_i32_e32 v155, s25, v155
	v_sub_nc_u16 v176, v185, v176
	v_bfe_u32 v185, v171, 24, 2
	v_and_b32_e32 v171, 0x3030303, v171
	v_lshlrev_b32_e32 v153, 2, v153
	v_lshlrev_b32_e32 v154, 2, v154
	v_lshlrev_b16 v176, 8, v176
	v_sub_nc_u16 v185, v185, v186
	v_lshrrev_b32_e32 v186, 16, v171
	v_and_b32_e32 v153, 0x4040404, v153
	v_and_b32_e32 v154, 0x4040404, v154
	v_lshlrev_b32_e32 v155, 2, v155
	v_lshlrev_b16 v185, 8, v185
	v_sub_nc_u16 v186, v186, v187
	v_lshrrev_b16 v187, 8, v171
	v_sub_nc_u16 v171, v171, v170
	v_lshrrev_b16 v170, 8, v170
	v_lshrrev_b32_e32 v190, 24, v153
	v_lshrrev_b32_e32 v191, 16, v153
	v_lshrrev_b32_e32 v192, 24, v154
	v_lshrrev_b32_e32 v193, 16, v154
	v_sub_nc_u16 v170, v187, v170
	v_bfe_u32 v187, v172, 24, 2
	v_and_b32_e32 v172, 0x3030303, v172
	v_and_b32_e32 v155, 0x4040404, v155
	s_delay_alu instid0(VALU_DEP_4) | instskip(NEXT) | instid1(VALU_DEP_4)
	v_lshlrev_b16 v170, 8, v170
	v_sub_nc_u16 v187, v187, v188
	s_delay_alu instid0(VALU_DEP_4) | instskip(NEXT) | instid1(VALU_DEP_2)
	v_lshrrev_b32_e32 v188, 16, v172
	v_lshlrev_b16 v187, 8, v187
	s_delay_alu instid0(VALU_DEP_2) | instskip(SKIP_3) | instid1(VALU_DEP_1)
	v_sub_nc_u16 v188, v188, v189
	v_lshrrev_b16 v189, 8, v172
	v_sub_nc_u16 v172, v172, v177
	v_lshrrev_b16 v177, 8, v177
	v_sub_nc_u16 v177, v189, v177
	v_bfe_u32 v189, v161, 24, 2
	v_and_b32_e32 v161, 0x3030303, v161
	s_delay_alu instid0(VALU_DEP_3) | instskip(NEXT) | instid1(VALU_DEP_3)
	v_lshlrev_b16 v177, 8, v177
	v_sub_nc_u16 v189, v189, v190
	s_delay_alu instid0(VALU_DEP_3) | instskip(NEXT) | instid1(VALU_DEP_2)
	v_lshrrev_b32_e32 v190, 16, v161
	v_lshlrev_b16 v189, 8, v189
	s_delay_alu instid0(VALU_DEP_2) | instskip(SKIP_3) | instid1(VALU_DEP_1)
	v_sub_nc_u16 v190, v190, v191
	v_lshrrev_b16 v191, 8, v161
	v_sub_nc_u16 v161, v161, v153
	v_lshrrev_b16 v153, 8, v153
	v_sub_nc_u16 v153, v191, v153
	v_bfe_u32 v191, v174, 24, 2
	v_and_b32_e32 v174, 0x3030303, v174
	s_delay_alu instid0(VALU_DEP_3) | instskip(NEXT) | instid1(VALU_DEP_3)
	v_lshlrev_b16 v153, 8, v153
	v_sub_nc_u16 v191, v191, v192
	s_delay_alu instid0(VALU_DEP_3) | instskip(NEXT) | instid1(VALU_DEP_2)
	v_lshrrev_b32_e32 v192, 16, v174
	v_lshlrev_b16 v191, 8, v191
	s_delay_alu instid0(VALU_DEP_2) | instskip(SKIP_3) | instid1(VALU_DEP_1)
	v_sub_nc_u16 v192, v192, v193
	v_lshrrev_b16 v193, 8, v174
	v_sub_nc_u16 v174, v174, v154
	v_lshrrev_b16 v154, 8, v154
	v_sub_nc_u16 v154, v193, v154
	v_and_b32_e32 v193, 0xff, v178
	s_delay_alu instid0(VALU_DEP_2) | instskip(NEXT) | instid1(VALU_DEP_2)
	v_lshlrev_b16 v154, 8, v154
	v_or_b32_e32 v173, v193, v173
	v_and_b32_e32 v193, 0xff, v165
	s_delay_alu instid0(VALU_DEP_2) | instskip(NEXT) | instid1(VALU_DEP_2)
	v_perm_b32 v165, v165, v173, 0x4010c0c
	v_or_b32_e32 v164, v193, v164
	v_and_b32_e32 v193, 0xff, v180
	s_delay_alu instid0(VALU_DEP_2) | instskip(NEXT) | instid1(VALU_DEP_2)
	v_perm_b32 v164, v178, v164, 0xc0c0401
	v_or_b32_e32 v179, v193, v179
	v_and_b32_e32 v193, 0xff, v166
	s_delay_alu instid0(VALU_DEP_3) | instskip(NEXT) | instid1(VALU_DEP_3)
	v_or_b32_e32 v164, v165, v164
	v_perm_b32 v166, v166, v179, 0x4010c0c
	s_delay_alu instid0(VALU_DEP_3) | instskip(SKIP_1) | instid1(VALU_DEP_2)
	v_or_b32_e32 v175, v193, v175
	v_and_b32_e32 v193, 0xff, v182
	v_perm_b32 v173, v180, v175, 0xc0c0401
	s_delay_alu instid0(VALU_DEP_2) | instskip(SKIP_1) | instid1(VALU_DEP_3)
	v_or_b32_e32 v181, v193, v181
	v_and_b32_e32 v193, 0xff, v168
	v_or_b32_e32 v165, v166, v173
	s_delay_alu instid0(VALU_DEP_3) | instskip(NEXT) | instid1(VALU_DEP_3)
	v_perm_b32 v168, v168, v181, 0x4010c0c
	v_or_b32_e32 v167, v193, v167
	v_and_b32_e32 v193, 0xff, v184
	s_delay_alu instid0(VALU_DEP_2) | instskip(NEXT) | instid1(VALU_DEP_2)
	v_perm_b32 v167, v182, v167, 0xc0c0401
	v_or_b32_e32 v183, v193, v183
	v_and_b32_e32 v193, 0xff, v169
	s_delay_alu instid0(VALU_DEP_3) | instskip(NEXT) | instid1(VALU_DEP_3)
	v_or_b32_e32 v166, v168, v167
	v_perm_b32 v169, v169, v183, 0x4010c0c
	s_delay_alu instid0(VALU_DEP_3) | instskip(SKIP_1) | instid1(VALU_DEP_2)
	v_or_b32_e32 v176, v193, v176
	v_and_b32_e32 v193, 0xff, v186
	v_perm_b32 v175, v184, v176, 0xc0c0401
	s_delay_alu instid0(VALU_DEP_2) | instskip(SKIP_1) | instid1(VALU_DEP_3)
	v_or_b32_e32 v185, v193, v185
	v_and_b32_e32 v193, 0xff, v171
	v_or_b32_e32 v167, v169, v175
	s_delay_alu instid0(VALU_DEP_3) | instskip(NEXT) | instid1(VALU_DEP_3)
	v_perm_b32 v171, v171, v185, 0x4010c0c
	v_or_b32_e32 v170, v193, v170
	v_and_b32_e32 v193, 0xff, v188
	s_delay_alu instid0(VALU_DEP_2) | instskip(NEXT) | instid1(VALU_DEP_2)
	v_perm_b32 v170, v186, v170, 0xc0c0401
	v_or_b32_e32 v187, v193, v187
	v_and_b32_e32 v193, 0xff, v172
	s_delay_alu instid0(VALU_DEP_3) | instskip(NEXT) | instid1(VALU_DEP_3)
	v_or_b32_e32 v168, v171, v170
	v_perm_b32 v172, v172, v187, 0x4010c0c
	s_delay_alu instid0(VALU_DEP_3) | instskip(SKIP_3) | instid1(VALU_DEP_4)
	v_or_b32_e32 v177, v193, v177
	v_and_b32_e32 v193, 0xff, v190
	v_lshrrev_b32_e32 v170, 24, v29
	v_lshrrev_b32_e32 v171, 16, v29
	v_perm_b32 v176, v188, v177, 0xc0c0401
	s_delay_alu instid0(VALU_DEP_4) | instskip(SKIP_1) | instid1(VALU_DEP_3)
	v_or_b32_e32 v189, v193, v189
	v_and_b32_e32 v193, 0xff, v161
	v_or_b32_e32 v169, v172, v176
	s_delay_alu instid0(VALU_DEP_3) | instskip(NEXT) | instid1(VALU_DEP_3)
	v_perm_b32 v161, v161, v189, 0x4010c0c
	v_or_b32_e32 v153, v193, v153
	v_and_b32_e32 v193, 0xff, v192
	s_delay_alu instid0(VALU_DEP_2) | instskip(NEXT) | instid1(VALU_DEP_2)
	v_perm_b32 v153, v190, v153, 0xc0c0401
	v_or_b32_e32 v191, v193, v191
	v_and_b32_e32 v193, 0xff, v174
	s_delay_alu instid0(VALU_DEP_3) | instskip(NEXT) | instid1(VALU_DEP_3)
	v_or_b32_e32 v153, v161, v153
	v_perm_b32 v174, v174, v191, 0x4010c0c
	s_delay_alu instid0(VALU_DEP_3)
	v_or_b32_e32 v154, v193, v154
	v_dot4_i32_iu8 v161, v164, v157, 0 neg_lo:[1,1,0]
	v_dot4_i32_iu8 v164, v166, v157, 0 neg_lo:[1,1,0]
	;; [unrolled: 1-line block ×4, first 2 shown]
	v_perm_b32 v154, v192, v154, 0xc0c0401
	v_dot4_i32_iu8 v157, v165, v158, v161 neg_lo:[1,1,0]
	v_dot4_i32_iu8 v161, v167, v158, v164 neg_lo:[1,1,0]
	;; [unrolled: 1-line block ×3, first 2 shown]
	v_lshrrev_b32_e32 v165, 16, v23
	v_or_b32_e32 v154, v174, v154
	v_lshrrev_b32_e32 v166, 24, v25
	v_lshrrev_b32_e32 v167, 16, v25
	v_lshrrev_b32_e32 v168, 24, v27
	v_lshrrev_b32_e32 v169, 16, v27
	v_dot4_i32_iu8 v153, v154, v158, v153 neg_lo:[1,1,0]
	v_bfe_u32 v154, v15, 24, 2
	v_lshrrev_b32_e32 v158, 24, v23
	v_and_b32_e32 v15, 0x3030303, v15
	s_delay_alu instid0(VALU_DEP_2) | instskip(NEXT) | instid1(VALU_DEP_2)
	v_sub_nc_u16 v154, v154, v158
	v_lshrrev_b32_e32 v158, 16, v15
	s_delay_alu instid0(VALU_DEP_2) | instskip(NEXT) | instid1(VALU_DEP_2)
	v_lshlrev_b16 v154, 8, v154
	v_sub_nc_u16 v158, v158, v165
	v_lshrrev_b16 v165, 8, v15
	v_sub_nc_u16 v15, v15, v23
	v_lshrrev_b16 v23, 8, v23
	s_delay_alu instid0(VALU_DEP_1) | instskip(SKIP_2) | instid1(VALU_DEP_3)
	v_sub_nc_u16 v23, v165, v23
	v_bfe_u32 v165, v17, 24, 2
	v_and_b32_e32 v17, 0x3030303, v17
	v_lshlrev_b16 v23, 8, v23
	s_delay_alu instid0(VALU_DEP_3) | instskip(NEXT) | instid1(VALU_DEP_3)
	v_sub_nc_u16 v165, v165, v166
	v_lshrrev_b32_e32 v166, 16, v17
	s_delay_alu instid0(VALU_DEP_2) | instskip(NEXT) | instid1(VALU_DEP_2)
	v_lshlrev_b16 v165, 8, v165
	v_sub_nc_u16 v166, v166, v167
	v_lshrrev_b16 v167, 8, v17
	v_sub_nc_u16 v17, v17, v25
	v_lshrrev_b16 v25, 8, v25
	s_delay_alu instid0(VALU_DEP_1) | instskip(SKIP_2) | instid1(VALU_DEP_3)
	v_sub_nc_u16 v25, v167, v25
	v_bfe_u32 v167, v19, 24, 2
	v_and_b32_e32 v19, 0x3030303, v19
	v_lshlrev_b16 v25, 8, v25
	s_delay_alu instid0(VALU_DEP_3) | instskip(NEXT) | instid1(VALU_DEP_3)
	v_sub_nc_u16 v167, v167, v168
	v_lshrrev_b32_e32 v168, 16, v19
	s_delay_alu instid0(VALU_DEP_2) | instskip(NEXT) | instid1(VALU_DEP_2)
	v_lshlrev_b16 v167, 8, v167
	v_sub_nc_u16 v168, v168, v169
	v_lshrrev_b16 v169, 8, v19
	v_sub_nc_u16 v19, v19, v27
	v_lshrrev_b16 v27, 8, v27
	s_delay_alu instid0(VALU_DEP_1) | instskip(SKIP_2) | instid1(VALU_DEP_3)
	v_sub_nc_u16 v27, v169, v27
	v_bfe_u32 v169, v21, 24, 2
	v_and_b32_e32 v21, 0x3030303, v21
	v_lshlrev_b16 v27, 8, v27
	s_delay_alu instid0(VALU_DEP_3) | instskip(NEXT) | instid1(VALU_DEP_3)
	v_sub_nc_u16 v169, v169, v170
	v_lshrrev_b32_e32 v170, 16, v21
	s_delay_alu instid0(VALU_DEP_2) | instskip(NEXT) | instid1(VALU_DEP_2)
	v_lshlrev_b16 v169, 8, v169
	v_sub_nc_u16 v170, v170, v171
	v_lshrrev_b16 v171, 8, v21
	v_sub_nc_u16 v21, v21, v29
	v_lshrrev_b16 v29, 8, v29
	s_delay_alu instid0(VALU_DEP_1) | instskip(SKIP_1) | instid1(VALU_DEP_2)
	v_sub_nc_u16 v29, v171, v29
	v_and_b32_e32 v171, 0xff, v158
	v_lshlrev_b16 v29, 8, v29
	s_delay_alu instid0(VALU_DEP_2) | instskip(SKIP_1) | instid1(VALU_DEP_2)
	v_or_b32_e32 v154, v171, v154
	v_and_b32_e32 v171, 0xff, v15
	v_perm_b32 v15, v15, v154, 0x4010c0c
	s_delay_alu instid0(VALU_DEP_2) | instskip(SKIP_2) | instid1(VALU_DEP_3)
	v_or_b32_e32 v23, v171, v23
	v_and_b32_e32 v171, 0xff, v166
	v_lshrrev_b32_e32 v154, 24, v6
	v_perm_b32 v23, v158, v23, 0xc0c0401
	s_delay_alu instid0(VALU_DEP_3) | instskip(SKIP_2) | instid1(VALU_DEP_4)
	v_or_b32_e32 v165, v171, v165
	v_and_b32_e32 v171, 0xff, v17
	v_lshrrev_b32_e32 v158, 16, v6
	v_or_b32_e32 v15, v15, v23
	s_delay_alu instid0(VALU_DEP_4) | instskip(NEXT) | instid1(VALU_DEP_4)
	v_perm_b32 v17, v17, v165, 0x4010c0c
	v_or_b32_e32 v25, v171, v25
	v_and_b32_e32 v171, 0xff, v168
	v_bfe_u32 v23, v11, 24, 2
	v_and_b32_e32 v11, 0x3030303, v11
	v_dot4_i32_iu8 v15, v15, v150, v162 neg_lo:[1,1,0]
	v_perm_b32 v25, v166, v25, 0xc0c0401
	v_or_b32_e32 v167, v171, v167
	v_and_b32_e32 v171, 0xff, v19
	s_delay_alu instid0(VALU_DEP_3) | instskip(NEXT) | instid1(VALU_DEP_3)
	v_or_b32_e32 v17, v17, v25
	v_perm_b32 v19, v19, v167, 0x4010c0c
	s_delay_alu instid0(VALU_DEP_3) | instskip(SKIP_3) | instid1(VALU_DEP_4)
	v_or_b32_e32 v27, v171, v27
	v_lshrrev_b32_e32 v25, 24, v2
	v_and_b32_e32 v171, 0xff, v170
	v_dot4_i32_iu8 v17, v17, v150, v163 neg_lo:[1,1,0]
	v_perm_b32 v27, v168, v27, 0xc0c0401
	s_delay_alu instid0(VALU_DEP_4)
	v_sub_nc_u16 v23, v23, v25
	v_lshrrev_b32_e32 v25, 16, v11
	v_or_b32_e32 v169, v171, v169
	v_and_b32_e32 v171, 0xff, v21
	v_or_b32_e32 v19, v19, v27
	v_lshrrev_b32_e32 v27, 16, v2
	v_lshlrev_b16 v23, 8, v23
	v_perm_b32 v21, v21, v169, 0x4010c0c
	v_or_b32_e32 v29, v171, v29
	v_dot4_i32_iu8 v19, v19, v150, v159 neg_lo:[1,1,0]
	v_sub_nc_u16 v25, v25, v27
	v_lshrrev_b16 v27, 8, v11
	v_sub_nc_u16 v11, v11, v2
	v_lshrrev_b16 v2, 8, v2
	v_perm_b32 v29, v170, v29, 0xc0c0401
	v_lshrrev_b32_e32 v159, 24, v155
	s_delay_alu instid0(VALU_DEP_3) | instskip(SKIP_1) | instid1(VALU_DEP_4)
	v_sub_nc_u16 v2, v27, v2
	v_ashrrev_i32_e32 v27, s25, v151
	v_or_b32_e32 v21, v21, v29
	v_bfe_u32 v29, v4, 24, 2
	v_and_b32_e32 v4, 0x3030303, v4
	v_lshlrev_b16 v2, 8, v2
	v_lshlrev_b32_e32 v27, 2, v27
	v_dot4_i32_iu8 v21, v21, v150, v160 neg_lo:[1,1,0]
	v_lshrrev_b32_e32 v160, 16, v155
	s_delay_alu instid0(VALU_DEP_3) | instskip(NEXT) | instid1(VALU_DEP_1)
	v_and_b32_e32 v27, 0x4040404, v27
	v_lshrrev_b32_e32 v150, 24, v27
	v_lshrrev_b32_e32 v151, 16, v27
	s_delay_alu instid0(VALU_DEP_2) | instskip(SKIP_1) | instid1(VALU_DEP_2)
	v_sub_nc_u16 v29, v29, v150
	v_lshrrev_b32_e32 v150, 16, v4
	v_lshlrev_b16 v29, 8, v29
	s_delay_alu instid0(VALU_DEP_2) | instskip(SKIP_3) | instid1(VALU_DEP_1)
	v_sub_nc_u16 v150, v150, v151
	v_lshrrev_b16 v151, 8, v4
	v_sub_nc_u16 v4, v4, v27
	v_lshrrev_b16 v27, 8, v27
	v_sub_nc_u16 v27, v151, v27
	v_bfe_u32 v151, v0, 24, 2
	v_and_b32_e32 v0, 0x3030303, v0
	s_delay_alu instid0(VALU_DEP_3) | instskip(NEXT) | instid1(VALU_DEP_3)
	v_lshlrev_b16 v27, 8, v27
	v_sub_nc_u16 v151, v151, v154
	s_delay_alu instid0(VALU_DEP_3) | instskip(NEXT) | instid1(VALU_DEP_2)
	v_lshrrev_b32_e32 v154, 16, v0
	v_lshlrev_b16 v151, 8, v151
	s_delay_alu instid0(VALU_DEP_2) | instskip(SKIP_3) | instid1(VALU_DEP_1)
	v_sub_nc_u16 v154, v154, v158
	v_lshrrev_b16 v158, 8, v0
	v_sub_nc_u16 v0, v0, v6
	v_lshrrev_b16 v6, 8, v6
	v_sub_nc_u16 v6, v158, v6
	v_bfe_u32 v158, v13, 24, 2
	v_and_b32_e32 v13, 0x3030303, v13
	s_delay_alu instid0(VALU_DEP_3) | instskip(NEXT) | instid1(VALU_DEP_3)
	v_lshlrev_b16 v6, 8, v6
	v_sub_nc_u16 v158, v158, v159
	s_delay_alu instid0(VALU_DEP_3) | instskip(NEXT) | instid1(VALU_DEP_2)
	v_lshrrev_b32_e32 v159, 16, v13
	v_lshlrev_b16 v158, 8, v158
	s_delay_alu instid0(VALU_DEP_2) | instskip(SKIP_3) | instid1(VALU_DEP_1)
	v_sub_nc_u16 v159, v159, v160
	v_lshrrev_b16 v160, 8, v13
	v_sub_nc_u16 v13, v13, v155
	v_lshrrev_b16 v155, 8, v155
	v_sub_nc_u16 v155, v160, v155
	v_and_b32_e32 v160, 0xff, v25
	s_delay_alu instid0(VALU_DEP_2) | instskip(NEXT) | instid1(VALU_DEP_2)
	v_lshlrev_b16 v155, 8, v155
	v_or_b32_e32 v23, v160, v23
	v_and_b32_e32 v160, 0xff, v11
	s_delay_alu instid0(VALU_DEP_2) | instskip(NEXT) | instid1(VALU_DEP_2)
	v_perm_b32 v11, v11, v23, 0x4010c0c
	v_or_b32_e32 v2, v160, v2
	v_and_b32_e32 v160, 0xff, v150
	s_delay_alu instid0(VALU_DEP_2) | instskip(NEXT) | instid1(VALU_DEP_2)
	v_perm_b32 v2, v25, v2, 0xc0c0401
	v_or_b32_e32 v29, v160, v29
	v_and_b32_e32 v160, 0xff, v4
	s_delay_alu instid0(VALU_DEP_3) | instskip(SKIP_1) | instid1(VALU_DEP_3)
	v_or_b32_e32 v2, v11, v2
	v_ashrrev_i32_e32 v11, s24, v16
	v_or_b32_e32 v27, v160, v27
	v_and_b32_e32 v160, 0xff, v154
	v_ashrrev_i32_e32 v16, s24, v20
	v_ashrrev_i32_e32 v20, s25, v24
	v_perm_b32 v4, v4, v29, 0x4010c0c
	v_perm_b32 v23, v150, v27, 0xc0c0401
	v_or_b32_e32 v151, v160, v151
	v_and_b32_e32 v160, 0xff, v0
	v_lshlrev_b32_e32 v20, 2, v20
	v_ashrrev_i32_e32 v24, s25, v30
	v_or_b32_e32 v4, v4, v23
	v_perm_b32 v0, v0, v151, 0x4010c0c
	v_or_b32_e32 v6, v160, v6
	v_and_b32_e32 v160, 0xff, v159
	v_and_b32_e32 v20, 0x4040404, v20
	v_ashrrev_i32_e32 v23, s25, v28
	v_dot4_i32_iu8 v2, v2, v144, v157 neg_lo:[1,1,0]
	v_perm_b32 v6, v154, v6, 0xc0c0401
	v_or_b32_e32 v158, v160, v158
	v_and_b32_e32 v160, 0xff, v13
	v_lshrrev_b32_e32 v27, 16, v20
	v_lshlrev_b32_e32 v23, 2, v23
	v_or_b32_e32 v0, v0, v6
	v_perm_b32 v13, v13, v158, 0x4010c0c
	v_or_b32_e32 v155, v160, v155
	v_dot4_i32_iu8 v4, v4, v144, v161 neg_lo:[1,1,0]
	v_and_b32_e32 v23, 0x4040404, v23
	v_dot4_i32_iu8 v0, v0, v144, v164 neg_lo:[1,1,0]
	v_lshlrev_b32_e32 v24, 2, v24
	v_perm_b32 v25, v159, v155, 0xc0c0401
	s_delay_alu instid0(VALU_DEP_4) | instskip(NEXT) | instid1(VALU_DEP_3)
	v_lshrrev_b32_e32 v30, 24, v23
	v_and_b32_e32 v24, 0x4040404, v24
	s_delay_alu instid0(VALU_DEP_3)
	v_or_b32_e32 v6, v13, v25
	v_ashrrev_i32_e32 v13, s24, v18
	v_ashrrev_i32_e32 v18, s24, v22
	;; [unrolled: 1-line block ×3, first 2 shown]
	v_bfe_u32 v25, v11, 24, 2
	v_lshrrev_b32_e32 v26, 24, v20
	v_and_b32_e32 v11, 0x3030303, v11
	v_dot4_i32_iu8 v6, v6, v144, v153 neg_lo:[1,1,0]
	v_lshlrev_b32_e32 v22, 2, v22
	v_lshrrev_b32_e32 v144, 16, v23
	v_sub_nc_u16 v25, v25, v26
	v_lshrrev_b32_e32 v26, 16, v11
	v_lshrrev_b32_e32 v150, 24, v24
	v_and_b32_e32 v22, 0x4040404, v22
	v_lshrrev_b32_e32 v151, 16, v24
	v_lshlrev_b16 v25, 8, v25
	v_sub_nc_u16 v26, v26, v27
	v_lshrrev_b16 v27, 8, v11
	v_sub_nc_u16 v11, v11, v20
	v_lshrrev_b16 v20, 8, v20
	v_lshrrev_b32_e32 v28, 24, v22
	v_lshrrev_b32_e32 v29, 16, v22
	s_add_i32 s24, s24, 2
	s_delay_alu instid0(VALU_DEP_3) | instskip(SKIP_2) | instid1(VALU_DEP_3)
	v_sub_nc_u16 v20, v27, v20
	v_bfe_u32 v27, v13, 24, 2
	v_and_b32_e32 v13, 0x3030303, v13
	v_lshlrev_b16 v20, 8, v20
	s_delay_alu instid0(VALU_DEP_3) | instskip(NEXT) | instid1(VALU_DEP_3)
	v_sub_nc_u16 v27, v27, v28
	v_lshrrev_b32_e32 v28, 16, v13
	s_delay_alu instid0(VALU_DEP_2) | instskip(NEXT) | instid1(VALU_DEP_2)
	v_lshlrev_b16 v27, 8, v27
	v_sub_nc_u16 v28, v28, v29
	v_lshrrev_b16 v29, 8, v13
	v_sub_nc_u16 v13, v13, v22
	v_lshrrev_b16 v22, 8, v22
	s_delay_alu instid0(VALU_DEP_1) | instskip(SKIP_2) | instid1(VALU_DEP_3)
	v_sub_nc_u16 v22, v29, v22
	v_bfe_u32 v29, v16, 24, 2
	v_and_b32_e32 v16, 0x3030303, v16
	v_lshlrev_b16 v22, 8, v22
	s_delay_alu instid0(VALU_DEP_3) | instskip(NEXT) | instid1(VALU_DEP_3)
	v_sub_nc_u16 v29, v29, v30
	v_lshrrev_b32_e32 v30, 16, v16
	s_delay_alu instid0(VALU_DEP_2) | instskip(NEXT) | instid1(VALU_DEP_2)
	v_lshlrev_b16 v29, 8, v29
	v_sub_nc_u16 v30, v30, v144
	v_lshrrev_b16 v144, 8, v16
	v_sub_nc_u16 v16, v16, v23
	v_lshrrev_b16 v23, 8, v23
	s_delay_alu instid0(VALU_DEP_1) | instskip(SKIP_2) | instid1(VALU_DEP_3)
	v_sub_nc_u16 v23, v144, v23
	v_bfe_u32 v144, v18, 24, 2
	v_and_b32_e32 v18, 0x3030303, v18
	v_lshlrev_b16 v23, 8, v23
	s_delay_alu instid0(VALU_DEP_3) | instskip(NEXT) | instid1(VALU_DEP_3)
	v_sub_nc_u16 v144, v144, v150
	v_lshrrev_b32_e32 v150, 16, v18
	s_delay_alu instid0(VALU_DEP_2) | instskip(NEXT) | instid1(VALU_DEP_2)
	v_lshlrev_b16 v144, 8, v144
	v_sub_nc_u16 v150, v150, v151
	v_lshrrev_b16 v151, 8, v18
	v_sub_nc_u16 v18, v18, v24
	v_lshrrev_b16 v24, 8, v24
	s_delay_alu instid0(VALU_DEP_1) | instskip(SKIP_1) | instid1(VALU_DEP_2)
	v_sub_nc_u16 v24, v151, v24
	v_and_b32_e32 v151, 0xff, v26
	v_lshlrev_b16 v24, 8, v24
	s_delay_alu instid0(VALU_DEP_2) | instskip(SKIP_1) | instid1(VALU_DEP_2)
	v_or_b32_e32 v25, v151, v25
	v_and_b32_e32 v151, 0xff, v11
	v_perm_b32 v11, v11, v25, 0x4010c0c
	s_delay_alu instid0(VALU_DEP_2) | instskip(SKIP_2) | instid1(VALU_DEP_3)
	v_or_b32_e32 v20, v151, v20
	v_and_b32_e32 v151, 0xff, v28
	v_lshrrev_b32_e32 v25, 16, v7
	v_perm_b32 v20, v26, v20, 0xc0c0401
	s_delay_alu instid0(VALU_DEP_3) | instskip(SKIP_1) | instid1(VALU_DEP_3)
	v_or_b32_e32 v27, v151, v27
	v_and_b32_e32 v151, 0xff, v13
	v_or_b32_e32 v11, v11, v20
	s_delay_alu instid0(VALU_DEP_3) | instskip(NEXT) | instid1(VALU_DEP_3)
	v_perm_b32 v13, v13, v27, 0x4010c0c
	v_or_b32_e32 v22, v151, v22
	v_and_b32_e32 v151, 0xff, v30
	v_lshrrev_b32_e32 v20, 24, v3
	v_dot4_i32_iu8 v11, v11, v143, v15 neg_lo:[1,1,0]
	s_delay_alu instid0(VALU_DEP_4) | instskip(NEXT) | instid1(VALU_DEP_4)
	v_perm_b32 v22, v28, v22, 0xc0c0401
	v_or_b32_e32 v29, v151, v29
	v_and_b32_e32 v151, 0xff, v16
	s_delay_alu instid0(VALU_DEP_3) | instskip(NEXT) | instid1(VALU_DEP_3)
	v_or_b32_e32 v13, v13, v22
	v_perm_b32 v16, v16, v29, 0x4010c0c
	s_delay_alu instid0(VALU_DEP_3) | instskip(SKIP_1) | instid1(VALU_DEP_4)
	v_or_b32_e32 v23, v151, v23
	v_and_b32_e32 v151, 0xff, v150
	v_dot4_i32_iu8 v13, v13, v143, v17 neg_lo:[1,1,0]
	v_ashrrev_i32_e32 v17, s25, v152
	s_delay_alu instid0(VALU_DEP_4) | instskip(NEXT) | instid1(VALU_DEP_4)
	v_perm_b32 v23, v30, v23, 0xc0c0401
	v_or_b32_e32 v144, v151, v144
	v_and_b32_e32 v151, 0xff, v18
	s_delay_alu instid0(VALU_DEP_4) | instskip(NEXT) | instid1(VALU_DEP_4)
	v_lshlrev_b32_e32 v17, 2, v17
	v_or_b32_e32 v16, v16, v23
	s_delay_alu instid0(VALU_DEP_4) | instskip(NEXT) | instid1(VALU_DEP_4)
	v_perm_b32 v18, v18, v144, 0x4010c0c
	v_or_b32_e32 v24, v151, v24
	s_delay_alu instid0(VALU_DEP_4) | instskip(NEXT) | instid1(VALU_DEP_4)
	v_and_b32_e32 v17, 0x4040404, v17
	v_dot4_i32_iu8 v15, v16, v143, v19 neg_lo:[1,1,0]
	v_bfe_u32 v19, v12, 24, 2
	s_delay_alu instid0(VALU_DEP_4)
	v_perm_b32 v24, v150, v24, 0xc0c0401
	v_and_b32_e32 v12, 0x3030303, v12
	v_lshrrev_b32_e32 v22, 24, v17
	v_lshrrev_b32_e32 v23, 16, v17
	v_sub_nc_u16 v19, v19, v20
	v_or_b32_e32 v18, v18, v24
	v_lshrrev_b32_e32 v20, 16, v12
	v_lshrrev_b32_e32 v24, 24, v7
	s_delay_alu instid0(VALU_DEP_4) | instskip(NEXT) | instid1(VALU_DEP_4)
	v_lshlrev_b16 v19, 8, v19
	v_dot4_i32_iu8 v16, v18, v143, v21 neg_lo:[1,1,0]
	v_lshrrev_b32_e32 v21, 16, v3
	v_ashrrev_i32_e32 v18, s25, v156
	s_add_i32 s25, s25, 1
	s_cmp_lt_u32 s26, 14
	s_delay_alu instid0(VALU_DEP_2) | instskip(SKIP_4) | instid1(VALU_DEP_2)
	v_sub_nc_u16 v20, v20, v21
	v_lshrrev_b16 v21, 8, v12
	v_sub_nc_u16 v12, v12, v3
	v_lshrrev_b16 v3, 8, v3
	v_lshlrev_b32_e32 v18, 2, v18
	v_sub_nc_u16 v3, v21, v3
	v_bfe_u32 v21, v5, 24, 2
	v_and_b32_e32 v5, 0x3030303, v5
	s_delay_alu instid0(VALU_DEP_4) | instskip(NEXT) | instid1(VALU_DEP_4)
	v_and_b32_e32 v18, 0x4040404, v18
	v_lshlrev_b16 v3, 8, v3
	s_delay_alu instid0(VALU_DEP_4) | instskip(NEXT) | instid1(VALU_DEP_4)
	v_sub_nc_u16 v21, v21, v22
	v_lshrrev_b32_e32 v22, 16, v5
	s_delay_alu instid0(VALU_DEP_4) | instskip(SKIP_1) | instid1(VALU_DEP_4)
	v_lshrrev_b32_e32 v26, 24, v18
	v_lshrrev_b32_e32 v27, 16, v18
	v_lshlrev_b16 v21, 8, v21
	s_delay_alu instid0(VALU_DEP_4) | instskip(SKIP_3) | instid1(VALU_DEP_1)
	v_sub_nc_u16 v22, v22, v23
	v_lshrrev_b16 v23, 8, v5
	v_sub_nc_u16 v5, v5, v17
	v_lshrrev_b16 v17, 8, v17
	v_sub_nc_u16 v17, v23, v17
	v_bfe_u32 v23, v1, 24, 2
	v_and_b32_e32 v1, 0x3030303, v1
	s_delay_alu instid0(VALU_DEP_3) | instskip(NEXT) | instid1(VALU_DEP_3)
	v_lshlrev_b16 v17, 8, v17
	v_sub_nc_u16 v23, v23, v24
	s_delay_alu instid0(VALU_DEP_3) | instskip(NEXT) | instid1(VALU_DEP_2)
	v_lshrrev_b32_e32 v24, 16, v1
	v_lshlrev_b16 v23, 8, v23
	s_delay_alu instid0(VALU_DEP_2) | instskip(SKIP_3) | instid1(VALU_DEP_1)
	v_sub_nc_u16 v24, v24, v25
	v_lshrrev_b16 v25, 8, v1
	v_sub_nc_u16 v1, v1, v7
	v_lshrrev_b16 v7, 8, v7
	v_sub_nc_u16 v7, v25, v7
	v_bfe_u32 v25, v14, 24, 2
	v_and_b32_e32 v14, 0x3030303, v14
	s_delay_alu instid0(VALU_DEP_3) | instskip(NEXT) | instid1(VALU_DEP_3)
	v_lshlrev_b16 v7, 8, v7
	v_sub_nc_u16 v25, v25, v26
	s_delay_alu instid0(VALU_DEP_3) | instskip(NEXT) | instid1(VALU_DEP_2)
	v_lshrrev_b32_e32 v26, 16, v14
	v_lshlrev_b16 v25, 8, v25
	s_delay_alu instid0(VALU_DEP_2) | instskip(SKIP_3) | instid1(VALU_DEP_1)
	v_sub_nc_u16 v26, v26, v27
	v_lshrrev_b16 v27, 8, v14
	v_sub_nc_u16 v14, v14, v18
	v_lshrrev_b16 v18, 8, v18
	v_sub_nc_u16 v18, v27, v18
	v_and_b32_e32 v27, 0xff, v20
	s_delay_alu instid0(VALU_DEP_2) | instskip(NEXT) | instid1(VALU_DEP_2)
	v_lshlrev_b16 v18, 8, v18
	v_or_b32_e32 v19, v27, v19
	v_and_b32_e32 v27, 0xff, v12
	s_delay_alu instid0(VALU_DEP_2) | instskip(NEXT) | instid1(VALU_DEP_2)
	v_perm_b32 v12, v12, v19, 0x4010c0c
	v_or_b32_e32 v3, v27, v3
	v_and_b32_e32 v27, 0xff, v22
	s_delay_alu instid0(VALU_DEP_2) | instskip(NEXT) | instid1(VALU_DEP_2)
	v_perm_b32 v3, v20, v3, 0xc0c0401
	v_or_b32_e32 v21, v27, v21
	v_and_b32_e32 v27, 0xff, v5
	s_delay_alu instid0(VALU_DEP_3) | instskip(SKIP_1) | instid1(VALU_DEP_3)
	v_or_b32_e32 v3, v12, v3
	v_add3_u32 v12, v119, s27, v149
	v_or_b32_e32 v17, v27, v17
	v_and_b32_e32 v27, 0xff, v24
	v_perm_b32 v5, v5, v21, 0x4010c0c
	v_dot4_i32_iu8 v3, v3, v141, v2 neg_lo:[1,1,0]
	v_add3_u32 v2, v121, s27, v149
	ds_load_u16 v2, v2
	ds_load_u16 v12, v12
	v_or_b32_e32 v23, v27, v23
	v_and_b32_e32 v27, 0xff, v1
	v_perm_b32 v17, v22, v17, 0xc0c0401
	s_delay_alu instid0(VALU_DEP_3) | instskip(NEXT) | instid1(VALU_DEP_3)
	v_perm_b32 v1, v1, v23, 0x4010c0c
	v_or_b32_e32 v7, v27, v7
	v_and_b32_e32 v27, 0xff, v26
	s_delay_alu instid0(VALU_DEP_4)
	v_or_b32_e32 v5, v5, v17
	ds_load_b32 v17, v139
	v_add_nc_u32_e32 v139, 4, v139
	v_perm_b32 v7, v24, v7, 0xc0c0401
	v_or_b32_e32 v25, v27, v25
	v_and_b32_e32 v27, 0xff, v14
	s_delay_alu instid0(VALU_DEP_3) | instskip(NEXT) | instid1(VALU_DEP_3)
	v_or_b32_e32 v1, v1, v7
	v_perm_b32 v14, v14, v25, 0x4010c0c
	s_delay_alu instid0(VALU_DEP_3) | instskip(NEXT) | instid1(VALU_DEP_1)
	v_or_b32_e32 v18, v27, v18
	v_perm_b32 v18, v26, v18, 0xc0c0401
	s_delay_alu instid0(VALU_DEP_1)
	v_or_b32_e32 v7, v14, v18
	v_dot4_i32_iu8 v18, v1, v141, v0 neg_lo:[1,1,0]
	s_waitcnt lgkmcnt(2)
	v_lshrrev_b16 v0, 8, v2
	v_bfe_i32 v2, v2, 0, 8
	v_dot4_i32_iu8 v14, v5, v141, v4 neg_lo:[1,1,0]
	s_waitcnt lgkmcnt(1)
	v_lshrrev_b16 v1, 8, v12
	v_dot4_i32_iu8 v19, v7, v141, v6 neg_lo:[1,1,0]
	v_bfe_i32 v5, v0, 0, 8
	v_mul_lo_u32 v0, v11, v2
	v_bfe_i32 v6, v146, 0, 8
	v_bfe_i32 v7, v1, 0, 8
	;; [unrolled: 1-line block ×3, first 2 shown]
	v_lshrrev_b16 v11, 8, v148
	v_mad_u64_u32 v[1:2], null, v3, v5, v[0:1]
	v_lshrrev_b16 v5, 8, v146
	v_mul_lo_u32 v0, v13, v6
	v_bfe_i32 v3, v148, 0, 8
	v_mul_lo_u32 v2, v15, v4
	v_bfe_i32 v11, v11, 0, 8
	v_bfe_i32 v6, v5, 0, 8
	s_delay_alu instid0(VALU_DEP_4) | instskip(NEXT) | instid1(VALU_DEP_2)
	v_mul_lo_u32 v3, v16, v3
	v_mad_u64_u32 v[4:5], null, v14, v6, v[0:1]
	s_waitcnt lgkmcnt(0)
	v_mul_f32_e32 v0, v17, v140
	v_cvt_f32_i32_e32 v1, v1
	s_delay_alu instid0(VALU_DEP_4)
	v_mad_u64_u32 v[5:6], null, v18, v7, v[2:3]
	v_mul_f32_e32 v2, v17, v142
	v_mad_u64_u32 v[6:7], null, v19, v11, v[3:4]
	v_mul_f32_e32 v3, v17, v145
	v_mul_f32_e32 v7, v17, v147
	v_cvt_f32_i32_e32 v4, v4
	v_cvt_f32_i32_e32 v5, v5
	v_fmac_f32_e32 v33, v0, v1
	v_cvt_f32_i32_e32 v6, v6
	s_delay_alu instid0(VALU_DEP_3) | instskip(NEXT) | instid1(VALU_DEP_2)
	v_dual_fmac_f32 v98, v3, v4 :: v_dual_fmac_f32 v95, v2, v5
	v_fmac_f32_e32 v8, v7, v6
	s_cbranch_scc1 .LBB189_20
; %bb.21:                               ;   in Loop: Header=BB189_5 Depth=1
	s_or_b32 s1, s18, 0x100
	s_delay_alu instid0(SALU_CYCLE_1)
	s_cmp_ge_i32 s1, s11
	s_barrier
	buffer_gl0_inv
	s_cbranch_scc1 .LBB189_4
; %bb.22:                               ;   in Loop: Header=BB189_5 Depth=1
	v_add_nc_u32_e32 v0, s19, v109
	s_delay_alu instid0(VALU_DEP_1) | instskip(NEXT) | instid1(VALU_DEP_1)
	v_cmp_gt_i32_e64 s1, s5, v0
	s_and_b32 s24, s0, s1
	s_delay_alu instid0(SALU_CYCLE_1)
	s_and_saveexec_b32 s1, s24
	s_cbranch_execz .LBB189_24
; %bb.23:                               ;   in Loop: Header=BB189_5 Depth=1
	v_add_nc_u32_e32 v2, v104, v0
	s_delay_alu instid0(VALU_DEP_1)
	v_mad_i64_i32 v[0:1], null, v2, 36, v[9:10]
	global_load_b32 v0, v[0:1], off offset:4
	s_waitcnt vmcnt(0)
	ds_store_b32 v90, v0
.LBB189_24:                             ;   in Loop: Header=BB189_5 Depth=1
	s_or_b32 exec_lo, exec_lo, s1
	s_and_saveexec_b32 s24, vcc_lo
	s_cbranch_execz .LBB189_27
; %bb.25:                               ;   in Loop: Header=BB189_5 Depth=1
	v_or_b32_e32 v0, s19, v32
	s_delay_alu instid0(VALU_DEP_1) | instskip(NEXT) | instid1(VALU_DEP_1)
	v_or_b32_e32 v1, 8, v0
	v_cmp_gt_i32_e64 s1, s5, v1
	s_delay_alu instid0(VALU_DEP_1) | instskip(NEXT) | instid1(SALU_CYCLE_1)
	s_and_b32 s1, s0, s1
	s_and_b32 exec_lo, exec_lo, s1
	s_cbranch_execz .LBB189_27
; %bb.26:                               ;   in Loop: Header=BB189_5 Depth=1
	v_ashrrev_i32_e32 v1, 31, v0
	v_add_co_u32 v2, s1, v104, v0
	s_delay_alu instid0(VALU_DEP_1) | instskip(NEXT) | instid1(VALU_DEP_2)
	v_add_co_ci_u32_e64 v3, s1, v111, v1, s1
	v_mad_u64_u32 v[0:1], null, v2, 36, s[14:15]
	s_delay_alu instid0(VALU_DEP_1)
	v_mad_i32_i24 v1, v3, 36, v1
	global_load_b32 v0, v[0:1], off
	s_waitcnt vmcnt(0)
	v_cvt_f32_f16_e32 v0, v0
	ds_store_b32 v91, v0
.LBB189_27:                             ;   in Loop: Header=BB189_5 Depth=1
	s_or_b32 exec_lo, exec_lo, s24
	v_dual_mov_b32 v138, v116 :: v_dual_mov_b32 v139, v117
	s_mov_b32 s1, 16
	s_mov_b32 s27, 14
	;; [unrolled: 1-line block ×3, first 2 shown]
	s_waitcnt lgkmcnt(0)
	s_barrier
	buffer_gl0_inv
.LBB189_28:                             ;   Parent Loop BB189_5 Depth=1
                                        ; =>  This Inner Loop Header: Depth=2
	s_add_i32 s25, s27, 2
	ds_load_b128 v[4:7], v138
	ds_load_b128 v[0:3], v138 offset:16
	s_and_b32 s29, s25, 0x3ffffff8
	s_lshr_b32 s28, s25, 4
	s_lshl_b32 s29, s29, 2
	s_lshl_b32 s30, s28, 2
	v_add_nc_u32_e32 v147, s29, v94
	v_add_nc_u32_e32 v148, s29, v99
	;; [unrolled: 1-line block ×4, first 2 shown]
	s_add_i32 s26, s27, -14
	ds_load_2addr_b32 v[13:14], v147 offset1:1
	ds_load_2addr_b32 v[19:20], v148 offset1:1
	ds_load_2addr_b32 v[11:12], v147 offset0:6 offset1:7
	ds_load_2addr_b32 v[15:16], v147 offset0:2 offset1:3
	;; [unrolled: 1-line block ×3, first 2 shown]
	ds_load_b32 v141, v21
	v_add_nc_u32_e32 v161, s29, v106
	s_lshl_b32 s28, s28, 3
	v_add_nc_u32_e32 v138, 32, v138
	v_add_lshl_u32 v164, v93, s28, 2
	v_add_lshl_u32 v167, v97, s28, 2
	;; [unrolled: 1-line block ×3, first 2 shown]
	s_waitcnt lgkmcnt(7)
	v_perm_b32 v149, v6, v6, 0x30201
	s_waitcnt lgkmcnt(6)
	v_perm_b32 v156, v0, v0, 0x30201
	v_perm_b32 v157, v1, v1, 0x30201
	;; [unrolled: 1-line block ×4, first 2 shown]
	v_add_nc_u32_e32 v6, 0x4208, v164
	v_perm_b32 v150, v4, v4, 0x30201
	v_perm_b32 v151, v5, v5, 0x30201
	;; [unrolled: 1-line block ×3, first 2 shown]
	s_waitcnt lgkmcnt(5)
	v_ashrrev_i32_e32 v152, s26, v13
	s_waitcnt lgkmcnt(4)
	v_ashrrev_i32_e32 v154, s26, v19
	v_ashrrev_i32_e32 v155, s26, v20
	ds_load_2addr_b32 v[2:3], v158 offset1:1
	ds_load_2addr_b32 v[0:1], v158 offset0:6 offset1:7
	ds_load_2addr_b32 v[19:20], v158 offset0:2 offset1:3
	v_ashrrev_i32_e32 v153, s26, v14
	v_bfe_u32 v174, v152, 24, 2
	v_and_b32_e32 v152, 0x3030303, v152
	v_add_nc_u32_e32 v27, 0x4208, v170
	v_add_lshl_u32 v173, v105, s28, 2
	s_and_b32 s28, s1, -16
	s_waitcnt lgkmcnt(5)
	v_ashrrev_i32_e32 v15, s26, v15
	s_add_i32 s27, s27, s28
	s_waitcnt lgkmcnt(4)
	v_ashrrev_i32_e32 v17, s26, v17
	v_ashrrev_i32_e32 v11, s26, v11
	;; [unrolled: 1-line block ×3, first 2 shown]
	s_add_i32 s1, s1, 2
	s_waitcnt lgkmcnt(2)
	v_ashrrev_i32_e32 v159, s26, v2
	v_add_nc_u32_e32 v2, s30, v103
	v_ashrrev_i32_e32 v160, s26, v3
	ds_load_2addr_b32 v[21:22], v161 offset0:2 offset1:3
	ds_load_b32 v142, v2
	ds_load_2addr_b32 v[2:3], v161 offset1:1
	s_waitcnt lgkmcnt(3)
	v_ashrrev_i32_e32 v19, s26, v19
	v_ashrrev_i32_e32 v0, s26, v0
	;; [unrolled: 1-line block ×3, first 2 shown]
	s_waitcnt lgkmcnt(2)
	v_ashrrev_i32_e32 v21, s26, v21
	s_waitcnt lgkmcnt(0)
	v_ashrrev_i32_e32 v162, s26, v2
	v_add_nc_u32_e32 v2, 0x4200, v164
	v_ashrrev_i32_e32 v163, s26, v3
	v_add_nc_u32_e32 v3, 0x4218, v164
	ds_load_2addr_b32 v[4:5], v2 offset1:1
	ds_load_2addr_b32 v[2:3], v3 offset1:1
	;; [unrolled: 1-line block ×3, first 2 shown]
	s_waitcnt lgkmcnt(2)
	v_ashrrev_i32_e32 v165, s24, v4
	v_add_nc_u32_e32 v4, 0x4200, v167
	v_ashrrev_i32_e32 v166, s24, v5
	v_add_nc_u32_e32 v5, 0x4208, v167
	ds_load_2addr_b32 v[6:7], v4 offset1:1
	ds_load_2addr_b32 v[25:26], v5 offset1:1
	ds_load_2addr_b32 v[4:5], v148 offset0:6 offset1:7
	v_lshlrev_b32_e32 v165, 2, v165
	v_lshlrev_b32_e32 v166, 2, v166
	s_waitcnt lgkmcnt(3)
	v_ashrrev_i32_e32 v23, s24, v23
	v_ashrrev_i32_e32 v2, s24, v2
	;; [unrolled: 1-line block ×3, first 2 shown]
	v_and_b32_e32 v165, 0x4040404, v165
	v_and_b32_e32 v166, 0x4040404, v166
	v_lshlrev_b32_e32 v23, 2, v23
	v_lshlrev_b32_e32 v2, 2, v2
	;; [unrolled: 1-line block ×3, first 2 shown]
	v_lshrrev_b32_e32 v175, 24, v165
	v_lshrrev_b32_e32 v176, 16, v165
	;; [unrolled: 1-line block ×4, first 2 shown]
	v_and_b32_e32 v23, 0x4040404, v23
	v_sub_nc_u16 v174, v174, v175
	v_lshrrev_b32_e32 v175, 16, v152
	s_waitcnt lgkmcnt(2)
	v_ashrrev_i32_e32 v168, s24, v6
	v_add_nc_u32_e32 v6, 0x4200, v170
	v_ashrrev_i32_e32 v169, s24, v7
	v_add_nc_u32_e32 v7, 0x4218, v170
	v_sub_nc_u16 v175, v175, v176
	v_lshrrev_b16 v176, 8, v152
	v_sub_nc_u16 v152, v152, v165
	v_lshrrev_b16 v165, 8, v165
	v_lshlrev_b32_e32 v168, 2, v168
	ds_load_2addr_b32 v[13:14], v6 offset1:1
	ds_load_2addr_b32 v[6:7], v7 offset1:1
	;; [unrolled: 1-line block ×3, first 2 shown]
	v_lshlrev_b32_e32 v169, 2, v169
	v_lshlrev_b16 v174, 8, v174
	v_sub_nc_u16 v165, v176, v165
	v_bfe_u32 v176, v153, 24, 2
	v_and_b32_e32 v153, 0x3030303, v153
	v_and_b32_e32 v168, 0x4040404, v168
	;; [unrolled: 1-line block ×3, first 2 shown]
	v_lshlrev_b16 v165, 8, v165
	v_sub_nc_u16 v176, v176, v177
	v_lshrrev_b32_e32 v177, 16, v153
	v_lshrrev_b32_e32 v179, 24, v168
	;; [unrolled: 1-line block ×5, first 2 shown]
	v_sub_nc_u16 v177, v177, v178
	v_lshrrev_b16 v178, 8, v153
	v_sub_nc_u16 v153, v153, v166
	v_lshrrev_b16 v166, 8, v166
	s_waitcnt lgkmcnt(2)
	v_ashrrev_i32_e32 v171, s24, v13
	v_add_nc_u32_e32 v13, 0x4200, v173
	v_ashrrev_i32_e32 v172, s24, v14
	v_add_nc_u32_e32 v14, 0x4208, v173
	v_sub_nc_u16 v166, v178, v166
	v_bfe_u32 v178, v154, 24, 2
	v_and_b32_e32 v154, 0x3030303, v154
	v_lshlrev_b32_e32 v171, 2, v171
	ds_load_2addr_b32 v[145:146], v13 offset1:1
	ds_load_2addr_b32 v[29:30], v14 offset1:1
	ds_load_2addr_b32 v[13:14], v161 offset0:6 offset1:7
	v_lshlrev_b32_e32 v172, 2, v172
	v_sub_nc_u16 v178, v178, v179
	v_lshrrev_b32_e32 v179, 16, v154
	v_and_b32_e32 v171, 0x4040404, v171
	v_lshlrev_b16 v176, 8, v176
	v_and_b32_e32 v172, 0x4040404, v172
	v_lshlrev_b16 v166, 8, v166
	v_sub_nc_u16 v179, v179, v180
	v_lshrrev_b16 v180, 8, v154
	v_sub_nc_u16 v154, v154, v168
	v_lshrrev_b16 v168, 8, v168
	v_lshrrev_b32_e32 v183, 24, v171
	v_lshrrev_b32_e32 v184, 16, v171
	;; [unrolled: 1-line block ×4, first 2 shown]
	v_sub_nc_u16 v168, v180, v168
	v_bfe_u32 v180, v155, 24, 2
	v_and_b32_e32 v155, 0x3030303, v155
	s_waitcnt lgkmcnt(2)
	v_ashrrev_i32_e32 v145, s24, v145
	v_ashrrev_i32_e32 v146, s24, v146
	v_lshlrev_b16 v178, 8, v178
	v_sub_nc_u16 v180, v180, v181
	v_lshrrev_b32_e32 v181, 16, v155
	v_lshlrev_b32_e32 v145, 2, v145
	v_lshlrev_b32_e32 v146, 2, v146
	v_lshlrev_b16 v168, 8, v168
	v_lshlrev_b16 v180, 8, v180
	v_sub_nc_u16 v181, v181, v182
	v_lshrrev_b16 v182, 8, v155
	v_sub_nc_u16 v155, v155, v169
	v_lshrrev_b16 v169, 8, v169
	v_and_b32_e32 v145, 0x4040404, v145
	v_and_b32_e32 v146, 0x4040404, v146
	v_ashrrev_i32_e32 v25, s24, v25
	v_ashrrev_i32_e32 v27, s24, v27
	v_sub_nc_u16 v169, v182, v169
	v_bfe_u32 v182, v159, 24, 2
	v_and_b32_e32 v159, 0x3030303, v159
	v_lshrrev_b32_e32 v187, 24, v145
	v_lshrrev_b32_e32 v188, 16, v145
	;; [unrolled: 1-line block ×3, first 2 shown]
	v_sub_nc_u16 v182, v182, v183
	v_lshrrev_b32_e32 v183, 16, v159
	v_lshrrev_b32_e32 v190, 16, v146
	v_lshlrev_b16 v169, 8, v169
	v_lshlrev_b32_e32 v25, 2, v25
	v_lshlrev_b16 v182, 8, v182
	v_sub_nc_u16 v183, v183, v184
	v_lshrrev_b16 v184, 8, v159
	v_sub_nc_u16 v159, v159, v171
	v_lshrrev_b16 v171, 8, v171
	v_and_b32_e32 v25, 0x4040404, v25
	v_lshlrev_b32_e32 v27, 2, v27
	s_waitcnt lgkmcnt(1)
	v_ashrrev_i32_e32 v29, s24, v29
	v_and_b32_e32 v2, 0x4040404, v2
	v_sub_nc_u16 v171, v184, v171
	v_bfe_u32 v184, v160, 24, 2
	v_and_b32_e32 v160, 0x3030303, v160
	v_and_b32_e32 v27, 0x4040404, v27
	v_lshlrev_b32_e32 v29, 2, v29
	v_lshlrev_b16 v171, 8, v171
	v_sub_nc_u16 v184, v184, v185
	v_lshrrev_b32_e32 v185, 16, v160
	v_ashrrev_i32_e32 v4, s26, v4
	v_and_b32_e32 v29, 0x4040404, v29
	v_ashrrev_i32_e32 v6, s24, v6
	v_lshlrev_b16 v184, 8, v184
	v_sub_nc_u16 v185, v185, v186
	v_lshrrev_b16 v186, 8, v160
	v_sub_nc_u16 v160, v160, v172
	v_lshrrev_b16 v172, 8, v172
	v_lshlrev_b32_e32 v6, 2, v6
	s_waitcnt lgkmcnt(0)
	v_ashrrev_i32_e32 v13, s26, v13
	v_and_b32_e32 v3, 0x4040404, v3
	v_ashrrev_i32_e32 v5, s26, v5
	v_sub_nc_u16 v172, v186, v172
	v_bfe_u32 v186, v162, 24, 2
	v_and_b32_e32 v162, 0x3030303, v162
	v_and_b32_e32 v6, 0x4040404, v6
	v_ashrrev_i32_e32 v7, s24, v7
	v_lshlrev_b16 v172, 8, v172
	v_sub_nc_u16 v186, v186, v187
	v_lshrrev_b32_e32 v187, 16, v162
	v_ashrrev_i32_e32 v14, s26, v14
	v_lshlrev_b32_e32 v7, 2, v7
	s_delay_alu instid0(VALU_DEP_4) | instskip(NEXT) | instid1(VALU_DEP_4)
	v_lshlrev_b16 v186, 8, v186
	v_sub_nc_u16 v187, v187, v188
	v_lshrrev_b16 v188, 8, v162
	v_sub_nc_u16 v162, v162, v145
	v_lshrrev_b16 v145, 8, v145
	v_and_b32_e32 v7, 0x4040404, v7
	s_delay_alu instid0(VALU_DEP_2) | instskip(SKIP_2) | instid1(VALU_DEP_3)
	v_sub_nc_u16 v145, v188, v145
	v_bfe_u32 v188, v163, 24, 2
	v_and_b32_e32 v163, 0x3030303, v163
	v_lshlrev_b16 v145, 8, v145
	s_delay_alu instid0(VALU_DEP_3) | instskip(NEXT) | instid1(VALU_DEP_3)
	v_sub_nc_u16 v188, v188, v189
	v_lshrrev_b32_e32 v189, 16, v163
	s_delay_alu instid0(VALU_DEP_2) | instskip(NEXT) | instid1(VALU_DEP_2)
	v_lshlrev_b16 v188, 8, v188
	v_sub_nc_u16 v189, v189, v190
	v_lshrrev_b16 v190, 8, v163
	v_sub_nc_u16 v163, v163, v146
	v_lshrrev_b16 v146, 8, v146
	s_delay_alu instid0(VALU_DEP_1) | instskip(SKIP_1) | instid1(VALU_DEP_2)
	v_sub_nc_u16 v146, v190, v146
	v_and_b32_e32 v190, 0xff, v175
	v_lshlrev_b16 v146, 8, v146
	s_delay_alu instid0(VALU_DEP_2) | instskip(SKIP_1) | instid1(VALU_DEP_2)
	v_or_b32_e32 v174, v190, v174
	v_and_b32_e32 v190, 0xff, v152
	v_perm_b32 v152, v152, v174, 0x4010c0c
	s_delay_alu instid0(VALU_DEP_2) | instskip(SKIP_1) | instid1(VALU_DEP_2)
	v_or_b32_e32 v165, v190, v165
	v_and_b32_e32 v190, 0xff, v177
	v_perm_b32 v165, v175, v165, 0xc0c0401
	s_delay_alu instid0(VALU_DEP_2) | instskip(SKIP_1) | instid1(VALU_DEP_3)
	v_or_b32_e32 v176, v190, v176
	v_and_b32_e32 v190, 0xff, v153
	v_or_b32_e32 v152, v152, v165
	s_delay_alu instid0(VALU_DEP_3) | instskip(NEXT) | instid1(VALU_DEP_3)
	v_perm_b32 v153, v153, v176, 0x4010c0c
	v_or_b32_e32 v166, v190, v166
	v_and_b32_e32 v190, 0xff, v179
	s_delay_alu instid0(VALU_DEP_4) | instskip(NEXT) | instid1(VALU_DEP_3)
	v_dot4_i32_iu8 v152, v152, v150, 0 neg_lo:[1,1,0]
	v_perm_b32 v166, v177, v166, 0xc0c0401
	s_delay_alu instid0(VALU_DEP_3) | instskip(SKIP_1) | instid1(VALU_DEP_3)
	v_or_b32_e32 v178, v190, v178
	v_and_b32_e32 v190, 0xff, v154
	v_or_b32_e32 v153, v153, v166
	s_delay_alu instid0(VALU_DEP_3) | instskip(NEXT) | instid1(VALU_DEP_3)
	v_perm_b32 v154, v154, v178, 0x4010c0c
	v_or_b32_e32 v168, v190, v168
	v_and_b32_e32 v190, 0xff, v181
	s_delay_alu instid0(VALU_DEP_2) | instskip(NEXT) | instid1(VALU_DEP_2)
	v_perm_b32 v168, v179, v168, 0xc0c0401
	v_or_b32_e32 v180, v190, v180
	v_and_b32_e32 v190, 0xff, v155
	s_delay_alu instid0(VALU_DEP_3) | instskip(NEXT) | instid1(VALU_DEP_3)
	v_or_b32_e32 v154, v154, v168
	v_perm_b32 v155, v155, v180, 0x4010c0c
	s_delay_alu instid0(VALU_DEP_3) | instskip(SKIP_1) | instid1(VALU_DEP_4)
	v_or_b32_e32 v169, v190, v169
	v_and_b32_e32 v190, 0xff, v183
	v_dot4_i32_iu8 v154, v154, v150, 0 neg_lo:[1,1,0]
	s_delay_alu instid0(VALU_DEP_3) | instskip(NEXT) | instid1(VALU_DEP_3)
	v_perm_b32 v169, v181, v169, 0xc0c0401
	v_or_b32_e32 v182, v190, v182
	v_and_b32_e32 v190, 0xff, v159
	s_delay_alu instid0(VALU_DEP_3) | instskip(NEXT) | instid1(VALU_DEP_3)
	v_or_b32_e32 v155, v155, v169
	v_perm_b32 v159, v159, v182, 0x4010c0c
	s_delay_alu instid0(VALU_DEP_3) | instskip(SKIP_1) | instid1(VALU_DEP_2)
	v_or_b32_e32 v171, v190, v171
	v_and_b32_e32 v190, 0xff, v185
	v_perm_b32 v171, v183, v171, 0xc0c0401
	s_delay_alu instid0(VALU_DEP_2) | instskip(SKIP_1) | instid1(VALU_DEP_3)
	v_or_b32_e32 v184, v190, v184
	v_and_b32_e32 v190, 0xff, v160
	v_or_b32_e32 v159, v159, v171
	s_delay_alu instid0(VALU_DEP_3) | instskip(NEXT) | instid1(VALU_DEP_3)
	v_perm_b32 v160, v160, v184, 0x4010c0c
	v_or_b32_e32 v172, v190, v172
	v_and_b32_e32 v190, 0xff, v187
	s_delay_alu instid0(VALU_DEP_4) | instskip(NEXT) | instid1(VALU_DEP_3)
	v_dot4_i32_iu8 v159, v159, v150, 0 neg_lo:[1,1,0]
	v_perm_b32 v172, v185, v172, 0xc0c0401
	s_delay_alu instid0(VALU_DEP_3) | instskip(SKIP_1) | instid1(VALU_DEP_3)
	v_or_b32_e32 v186, v190, v186
	v_and_b32_e32 v190, 0xff, v162
	v_or_b32_e32 v160, v160, v172
	s_delay_alu instid0(VALU_DEP_3) | instskip(NEXT) | instid1(VALU_DEP_3)
	v_perm_b32 v162, v162, v186, 0x4010c0c
	v_or_b32_e32 v145, v190, v145
	v_and_b32_e32 v190, 0xff, v189
	s_delay_alu instid0(VALU_DEP_4) | instskip(NEXT) | instid1(VALU_DEP_3)
	v_dot4_i32_iu8 v159, v160, v151, v159 neg_lo:[1,1,0]
	v_perm_b32 v145, v187, v145, 0xc0c0401
	s_delay_alu instid0(VALU_DEP_3) | instskip(SKIP_1) | instid1(VALU_DEP_3)
	v_or_b32_e32 v188, v190, v188
	v_and_b32_e32 v190, 0xff, v163
	v_or_b32_e32 v145, v162, v145
	s_delay_alu instid0(VALU_DEP_3) | instskip(NEXT) | instid1(VALU_DEP_3)
	v_perm_b32 v163, v163, v188, 0x4010c0c
	v_or_b32_e32 v146, v190, v146
	v_dot4_i32_iu8 v162, v153, v151, v152 neg_lo:[1,1,0]
	v_add_nc_u32_e32 v152, 0x4210, v173
	v_dot4_i32_iu8 v145, v145, v150, 0 neg_lo:[1,1,0]
	v_add_nc_u32_e32 v150, 0x4218, v167
	v_perm_b32 v146, v189, v146, 0xc0c0401
	s_delay_alu instid0(VALU_DEP_1) | instskip(SKIP_2) | instid1(VALU_DEP_3)
	v_or_b32_e32 v146, v163, v146
	v_dot4_i32_iu8 v163, v155, v151, v154 neg_lo:[1,1,0]
	v_add_nc_u32_e32 v154, 0x4218, v173
	v_dot4_i32_iu8 v160, v146, v151, v145 neg_lo:[1,1,0]
	ds_load_2addr_b32 v[145:146], v147 offset0:4 offset1:5
	v_add_nc_u32_e32 v147, 0x4210, v167
	s_waitcnt lgkmcnt(0)
	v_ashrrev_i32_e32 v165, s26, v145
	v_ashrrev_i32_e32 v166, s26, v146
	ds_load_2addr_b32 v[145:146], v148 offset0:4 offset1:5
	v_bfe_u32 v173, v165, 24, 2
	v_and_b32_e32 v165, 0x3030303, v165
	s_waitcnt lgkmcnt(0)
	v_ashrrev_i32_e32 v168, s26, v145
	v_ashrrev_i32_e32 v169, s26, v146
	ds_load_2addr_b32 v[145:146], v158 offset0:4 offset1:5
	s_waitcnt lgkmcnt(0)
	v_ashrrev_i32_e32 v158, s26, v145
	v_ashrrev_i32_e32 v171, s26, v146
	ds_load_2addr_b32 v[145:146], v161 offset0:4 offset1:5
	s_waitcnt lgkmcnt(0)
	v_ashrrev_i32_e32 v161, s26, v145
	v_add_nc_u32_e32 v145, 0x4210, v164
	v_ashrrev_i32_e32 v172, s26, v146
	ds_load_2addr_b32 v[145:146], v145 offset1:1
	s_waitcnt lgkmcnt(0)
	v_ashrrev_i32_e32 v164, s24, v145
	v_add_nc_u32_e32 v145, s27, v124
	v_ashrrev_i32_e32 v174, s24, v146
	s_delay_alu instid0(VALU_DEP_3)
	v_lshlrev_b32_e32 v164, 2, v164
	ds_load_u16 v146, v145 offset:26354
	v_add_nc_u32_e32 v145, s30, v100
	ds_load_b32 v145, v145
	ds_load_2addr_b32 v[147:148], v147 offset1:1
	ds_load_2addr_b32 v[150:151], v150 offset1:1
	v_and_b32_e32 v164, 0x4040404, v164
	v_lshlrev_b32_e32 v174, 2, v174
	s_delay_alu instid0(VALU_DEP_2) | instskip(SKIP_1) | instid1(VALU_DEP_3)
	v_lshrrev_b32_e32 v177, 24, v164
	v_lshrrev_b32_e32 v178, 16, v164
	v_and_b32_e32 v174, 0x4040404, v174
	s_delay_alu instid0(VALU_DEP_3) | instskip(SKIP_1) | instid1(VALU_DEP_3)
	v_sub_nc_u16 v173, v173, v177
	v_lshrrev_b32_e32 v177, 16, v165
	v_lshrrev_b32_e32 v179, 24, v174
	v_lshrrev_b32_e32 v180, 16, v174
	s_delay_alu instid0(VALU_DEP_4) | instskip(NEXT) | instid1(VALU_DEP_4)
	v_lshlrev_b16 v173, 8, v173
	v_sub_nc_u16 v177, v177, v178
	v_lshrrev_b16 v178, 8, v165
	v_sub_nc_u16 v165, v165, v164
	v_lshrrev_b16 v164, 8, v164
	s_waitcnt lgkmcnt(1)
	v_ashrrev_i32_e32 v167, s24, v147
	v_add_nc_u32_e32 v147, 0x4210, v170
	v_ashrrev_i32_e32 v175, s24, v148
	v_sub_nc_u16 v164, v178, v164
	v_bfe_u32 v178, v166, 24, 2
	v_and_b32_e32 v166, 0x3030303, v166
	v_lshlrev_b32_e32 v167, 2, v167
	ds_load_2addr_b32 v[147:148], v147 offset1:1
	v_lshlrev_b32_e32 v175, 2, v175
	v_sub_nc_u16 v178, v178, v179
	v_lshrrev_b32_e32 v179, 16, v166
	v_and_b32_e32 v167, 0x4040404, v167
	v_lshlrev_b16 v164, 8, v164
	v_and_b32_e32 v175, 0x4040404, v175
	v_lshlrev_b16 v178, 8, v178
	v_sub_nc_u16 v179, v179, v180
	v_lshrrev_b16 v180, 8, v166
	v_sub_nc_u16 v166, v166, v174
	v_lshrrev_b16 v174, 8, v174
	v_lshrrev_b32_e32 v181, 24, v167
	v_lshrrev_b32_e32 v182, 16, v167
	;; [unrolled: 1-line block ×4, first 2 shown]
	v_sub_nc_u16 v174, v180, v174
	v_bfe_u32 v180, v168, 24, 2
	v_and_b32_e32 v168, 0x3030303, v168
	s_waitcnt lgkmcnt(0)
	v_ashrrev_i32_e32 v170, s24, v147
	v_add_nc_u32_e32 v147, s27, v122
	v_sub_nc_u16 v180, v180, v181
	v_lshrrev_b32_e32 v181, 16, v168
	v_ashrrev_i32_e32 v176, s24, v148
	v_lshlrev_b32_e32 v170, 2, v170
	ds_load_u16 v148, v147 offset:28402
	v_add_nc_u32_e32 v147, s30, v107
	v_sub_nc_u16 v181, v181, v182
	v_lshrrev_b16 v182, 8, v168
	v_sub_nc_u16 v168, v168, v167
	v_lshrrev_b16 v167, 8, v167
	v_and_b32_e32 v170, 0x4040404, v170
	ds_load_b32 v147, v147
	ds_load_2addr_b32 v[152:153], v152 offset1:1
	ds_load_2addr_b32 v[154:155], v154 offset1:1
	v_lshlrev_b32_e32 v176, 2, v176
	v_lshlrev_b16 v174, 8, v174
	v_sub_nc_u16 v167, v182, v167
	v_bfe_u32 v182, v169, 24, 2
	v_and_b32_e32 v169, 0x3030303, v169
	v_lshrrev_b32_e32 v185, 24, v170
	v_lshrrev_b32_e32 v186, 16, v170
	v_and_b32_e32 v176, 0x4040404, v176
	v_sub_nc_u16 v182, v182, v183
	v_lshrrev_b32_e32 v183, 16, v169
	v_lshlrev_b16 v180, 8, v180
	v_lshlrev_b16 v167, 8, v167
	v_lshrrev_b32_e32 v187, 24, v176
	v_lshrrev_b32_e32 v188, 16, v176
	v_sub_nc_u16 v183, v183, v184
	v_lshrrev_b16 v184, 8, v169
	v_sub_nc_u16 v169, v169, v175
	v_lshrrev_b16 v175, 8, v175
	s_waitcnt lgkmcnt(1)
	v_ashrrev_i32_e32 v152, s24, v152
	v_ashrrev_i32_e32 v153, s24, v153
	v_lshlrev_b16 v182, 8, v182
	s_waitcnt lgkmcnt(0)
	v_ashrrev_i32_e32 v154, s24, v154
	v_sub_nc_u16 v175, v184, v175
	v_bfe_u32 v184, v158, 24, 2
	v_and_b32_e32 v158, 0x3030303, v158
	v_lshlrev_b32_e32 v152, 2, v152
	v_lshlrev_b32_e32 v153, 2, v153
	v_lshlrev_b16 v175, 8, v175
	v_sub_nc_u16 v184, v184, v185
	v_lshrrev_b32_e32 v185, 16, v158
	v_and_b32_e32 v152, 0x4040404, v152
	v_and_b32_e32 v153, 0x4040404, v153
	v_lshlrev_b32_e32 v154, 2, v154
	v_lshlrev_b16 v184, 8, v184
	v_sub_nc_u16 v185, v185, v186
	v_lshrrev_b16 v186, 8, v158
	v_sub_nc_u16 v158, v158, v170
	v_lshrrev_b16 v170, 8, v170
	v_lshrrev_b32_e32 v189, 24, v152
	v_lshrrev_b32_e32 v190, 16, v152
	;; [unrolled: 1-line block ×4, first 2 shown]
	v_sub_nc_u16 v170, v186, v170
	v_bfe_u32 v186, v171, 24, 2
	v_and_b32_e32 v171, 0x3030303, v171
	v_and_b32_e32 v154, 0x4040404, v154
	s_delay_alu instid0(VALU_DEP_4) | instskip(NEXT) | instid1(VALU_DEP_4)
	v_lshlrev_b16 v170, 8, v170
	v_sub_nc_u16 v186, v186, v187
	s_delay_alu instid0(VALU_DEP_4) | instskip(NEXT) | instid1(VALU_DEP_2)
	v_lshrrev_b32_e32 v187, 16, v171
	v_lshlrev_b16 v186, 8, v186
	s_delay_alu instid0(VALU_DEP_2) | instskip(SKIP_3) | instid1(VALU_DEP_1)
	v_sub_nc_u16 v187, v187, v188
	v_lshrrev_b16 v188, 8, v171
	v_sub_nc_u16 v171, v171, v176
	v_lshrrev_b16 v176, 8, v176
	v_sub_nc_u16 v176, v188, v176
	v_bfe_u32 v188, v161, 24, 2
	v_and_b32_e32 v161, 0x3030303, v161
	s_delay_alu instid0(VALU_DEP_3) | instskip(NEXT) | instid1(VALU_DEP_3)
	v_lshlrev_b16 v176, 8, v176
	v_sub_nc_u16 v188, v188, v189
	s_delay_alu instid0(VALU_DEP_3) | instskip(NEXT) | instid1(VALU_DEP_2)
	v_lshrrev_b32_e32 v189, 16, v161
	v_lshlrev_b16 v188, 8, v188
	s_delay_alu instid0(VALU_DEP_2) | instskip(SKIP_3) | instid1(VALU_DEP_1)
	v_sub_nc_u16 v189, v189, v190
	v_lshrrev_b16 v190, 8, v161
	v_sub_nc_u16 v161, v161, v152
	v_lshrrev_b16 v152, 8, v152
	v_sub_nc_u16 v152, v190, v152
	v_bfe_u32 v190, v172, 24, 2
	v_and_b32_e32 v172, 0x3030303, v172
	s_delay_alu instid0(VALU_DEP_3) | instskip(NEXT) | instid1(VALU_DEP_3)
	v_lshlrev_b16 v152, 8, v152
	v_sub_nc_u16 v190, v190, v191
	s_delay_alu instid0(VALU_DEP_3) | instskip(NEXT) | instid1(VALU_DEP_2)
	v_lshrrev_b32_e32 v191, 16, v172
	v_lshlrev_b16 v190, 8, v190
	s_delay_alu instid0(VALU_DEP_2) | instskip(SKIP_3) | instid1(VALU_DEP_1)
	v_sub_nc_u16 v191, v191, v192
	v_lshrrev_b16 v192, 8, v172
	v_sub_nc_u16 v172, v172, v153
	v_lshrrev_b16 v153, 8, v153
	v_sub_nc_u16 v153, v192, v153
	v_and_b32_e32 v192, 0xff, v177
	s_delay_alu instid0(VALU_DEP_2) | instskip(NEXT) | instid1(VALU_DEP_2)
	v_lshlrev_b16 v153, 8, v153
	v_or_b32_e32 v173, v192, v173
	v_and_b32_e32 v192, 0xff, v165
	s_delay_alu instid0(VALU_DEP_2) | instskip(NEXT) | instid1(VALU_DEP_2)
	v_perm_b32 v165, v165, v173, 0x4010c0c
	v_or_b32_e32 v164, v192, v164
	v_and_b32_e32 v192, 0xff, v179
	s_delay_alu instid0(VALU_DEP_2) | instskip(NEXT) | instid1(VALU_DEP_2)
	v_perm_b32 v164, v177, v164, 0xc0c0401
	v_or_b32_e32 v178, v192, v178
	v_and_b32_e32 v192, 0xff, v166
	s_delay_alu instid0(VALU_DEP_3) | instskip(NEXT) | instid1(VALU_DEP_3)
	v_or_b32_e32 v164, v165, v164
	v_perm_b32 v166, v166, v178, 0x4010c0c
	s_delay_alu instid0(VALU_DEP_3) | instskip(SKIP_1) | instid1(VALU_DEP_2)
	v_or_b32_e32 v174, v192, v174
	v_and_b32_e32 v192, 0xff, v181
	v_perm_b32 v173, v179, v174, 0xc0c0401
	s_delay_alu instid0(VALU_DEP_2) | instskip(SKIP_1) | instid1(VALU_DEP_3)
	v_or_b32_e32 v180, v192, v180
	v_and_b32_e32 v192, 0xff, v168
	v_or_b32_e32 v165, v166, v173
	s_delay_alu instid0(VALU_DEP_3) | instskip(NEXT) | instid1(VALU_DEP_3)
	v_perm_b32 v168, v168, v180, 0x4010c0c
	v_or_b32_e32 v167, v192, v167
	v_and_b32_e32 v192, 0xff, v183
	s_delay_alu instid0(VALU_DEP_2) | instskip(NEXT) | instid1(VALU_DEP_2)
	v_perm_b32 v167, v181, v167, 0xc0c0401
	v_or_b32_e32 v182, v192, v182
	v_and_b32_e32 v192, 0xff, v169
	s_delay_alu instid0(VALU_DEP_3) | instskip(NEXT) | instid1(VALU_DEP_3)
	v_or_b32_e32 v166, v168, v167
	v_perm_b32 v169, v169, v182, 0x4010c0c
	s_delay_alu instid0(VALU_DEP_3) | instskip(SKIP_1) | instid1(VALU_DEP_2)
	v_or_b32_e32 v175, v192, v175
	v_and_b32_e32 v192, 0xff, v185
	v_perm_b32 v174, v183, v175, 0xc0c0401
	s_delay_alu instid0(VALU_DEP_2) | instskip(SKIP_1) | instid1(VALU_DEP_3)
	v_or_b32_e32 v184, v192, v184
	v_and_b32_e32 v192, 0xff, v158
	v_or_b32_e32 v167, v169, v174
	s_delay_alu instid0(VALU_DEP_3) | instskip(NEXT) | instid1(VALU_DEP_3)
	v_perm_b32 v158, v158, v184, 0x4010c0c
	v_or_b32_e32 v170, v192, v170
	v_and_b32_e32 v192, 0xff, v187
	v_lshrrev_b32_e32 v169, 24, v29
	s_delay_alu instid0(VALU_DEP_3) | instskip(NEXT) | instid1(VALU_DEP_3)
	v_perm_b32 v170, v185, v170, 0xc0c0401
	v_or_b32_e32 v186, v192, v186
	v_and_b32_e32 v192, 0xff, v171
	s_delay_alu instid0(VALU_DEP_3) | instskip(NEXT) | instid1(VALU_DEP_3)
	v_or_b32_e32 v158, v158, v170
	v_perm_b32 v171, v171, v186, 0x4010c0c
	s_delay_alu instid0(VALU_DEP_3) | instskip(SKIP_3) | instid1(VALU_DEP_4)
	v_or_b32_e32 v176, v192, v176
	v_and_b32_e32 v192, 0xff, v189
	v_lshrrev_b32_e32 v170, 16, v29
	v_dot4_i32_iu8 v158, v158, v156, 0 neg_lo:[1,1,0]
	v_perm_b32 v175, v187, v176, 0xc0c0401
	s_delay_alu instid0(VALU_DEP_4) | instskip(SKIP_1) | instid1(VALU_DEP_3)
	v_or_b32_e32 v188, v192, v188
	v_and_b32_e32 v192, 0xff, v161
	v_or_b32_e32 v168, v171, v175
	s_delay_alu instid0(VALU_DEP_3) | instskip(NEXT) | instid1(VALU_DEP_3)
	v_perm_b32 v161, v161, v188, 0x4010c0c
	v_or_b32_e32 v152, v192, v152
	v_and_b32_e32 v192, 0xff, v191
	s_delay_alu instid0(VALU_DEP_4) | instskip(SKIP_1) | instid1(VALU_DEP_4)
	v_dot4_i32_iu8 v158, v168, v157, v158 neg_lo:[1,1,0]
	v_lshrrev_b32_e32 v168, 16, v27
	v_perm_b32 v152, v189, v152, 0xc0c0401
	s_delay_alu instid0(VALU_DEP_4) | instskip(SKIP_1) | instid1(VALU_DEP_3)
	v_or_b32_e32 v190, v192, v190
	v_and_b32_e32 v192, 0xff, v172
	v_or_b32_e32 v152, v161, v152
	s_delay_alu instid0(VALU_DEP_3) | instskip(NEXT) | instid1(VALU_DEP_3)
	v_perm_b32 v172, v172, v190, 0x4010c0c
	v_or_b32_e32 v153, v192, v153
	v_dot4_i32_iu8 v161, v164, v156, 0 neg_lo:[1,1,0]
	v_dot4_i32_iu8 v164, v166, v156, 0 neg_lo:[1,1,0]
	;; [unrolled: 1-line block ×3, first 2 shown]
	v_lshrrev_b32_e32 v166, 16, v25
	v_perm_b32 v153, v191, v153, 0xc0c0401
	v_dot4_i32_iu8 v156, v165, v157, v161 neg_lo:[1,1,0]
	v_dot4_i32_iu8 v161, v167, v157, v164 neg_lo:[1,1,0]
	v_lshrrev_b32_e32 v164, 16, v23
	v_lshrrev_b32_e32 v165, 24, v25
	v_or_b32_e32 v153, v172, v153
	v_lshrrev_b32_e32 v167, 24, v27
	s_delay_alu instid0(VALU_DEP_2) | instskip(SKIP_3) | instid1(VALU_DEP_2)
	v_dot4_i32_iu8 v152, v153, v157, v152 neg_lo:[1,1,0]
	v_bfe_u32 v153, v15, 24, 2
	v_lshrrev_b32_e32 v157, 24, v23
	v_and_b32_e32 v15, 0x3030303, v15
	v_sub_nc_u16 v153, v153, v157
	s_delay_alu instid0(VALU_DEP_2) | instskip(NEXT) | instid1(VALU_DEP_2)
	v_lshrrev_b32_e32 v157, 16, v15
	v_lshlrev_b16 v153, 8, v153
	s_delay_alu instid0(VALU_DEP_2) | instskip(SKIP_3) | instid1(VALU_DEP_1)
	v_sub_nc_u16 v157, v157, v164
	v_lshrrev_b16 v164, 8, v15
	v_sub_nc_u16 v15, v15, v23
	v_lshrrev_b16 v23, 8, v23
	v_sub_nc_u16 v23, v164, v23
	v_bfe_u32 v164, v17, 24, 2
	v_and_b32_e32 v17, 0x3030303, v17
	s_delay_alu instid0(VALU_DEP_3) | instskip(NEXT) | instid1(VALU_DEP_3)
	v_lshlrev_b16 v23, 8, v23
	v_sub_nc_u16 v164, v164, v165
	s_delay_alu instid0(VALU_DEP_3) | instskip(NEXT) | instid1(VALU_DEP_2)
	v_lshrrev_b32_e32 v165, 16, v17
	v_lshlrev_b16 v164, 8, v164
	s_delay_alu instid0(VALU_DEP_2) | instskip(SKIP_3) | instid1(VALU_DEP_1)
	v_sub_nc_u16 v165, v165, v166
	v_lshrrev_b16 v166, 8, v17
	v_sub_nc_u16 v17, v17, v25
	v_lshrrev_b16 v25, 8, v25
	v_sub_nc_u16 v25, v166, v25
	v_bfe_u32 v166, v19, 24, 2
	v_and_b32_e32 v19, 0x3030303, v19
	s_delay_alu instid0(VALU_DEP_3) | instskip(NEXT) | instid1(VALU_DEP_3)
	v_lshlrev_b16 v25, 8, v25
	v_sub_nc_u16 v166, v166, v167
	s_delay_alu instid0(VALU_DEP_3) | instskip(NEXT) | instid1(VALU_DEP_2)
	;; [unrolled: 14-line block ×3, first 2 shown]
	v_lshrrev_b32_e32 v169, 16, v21
	v_lshlrev_b16 v168, 8, v168
	s_delay_alu instid0(VALU_DEP_2) | instskip(SKIP_3) | instid1(VALU_DEP_1)
	v_sub_nc_u16 v169, v169, v170
	v_lshrrev_b16 v170, 8, v21
	v_sub_nc_u16 v21, v21, v29
	v_lshrrev_b16 v29, 8, v29
	v_sub_nc_u16 v29, v170, v29
	v_and_b32_e32 v170, 0xff, v157
	s_delay_alu instid0(VALU_DEP_2) | instskip(NEXT) | instid1(VALU_DEP_2)
	v_lshlrev_b16 v29, 8, v29
	v_or_b32_e32 v153, v170, v153
	v_and_b32_e32 v170, 0xff, v15
	s_delay_alu instid0(VALU_DEP_2) | instskip(NEXT) | instid1(VALU_DEP_2)
	v_perm_b32 v15, v15, v153, 0x4010c0c
	v_or_b32_e32 v23, v170, v23
	v_and_b32_e32 v170, 0xff, v165
	v_lshrrev_b32_e32 v153, 24, v6
	s_delay_alu instid0(VALU_DEP_3) | instskip(NEXT) | instid1(VALU_DEP_3)
	v_perm_b32 v23, v157, v23, 0xc0c0401
	v_or_b32_e32 v164, v170, v164
	v_and_b32_e32 v170, 0xff, v17
	v_lshrrev_b32_e32 v157, 16, v6
	s_delay_alu instid0(VALU_DEP_4) | instskip(NEXT) | instid1(VALU_DEP_4)
	v_or_b32_e32 v15, v15, v23
	v_perm_b32 v17, v17, v164, 0x4010c0c
	s_delay_alu instid0(VALU_DEP_4)
	v_or_b32_e32 v25, v170, v25
	v_and_b32_e32 v170, 0xff, v167
	v_bfe_u32 v23, v11, 24, 2
	v_and_b32_e32 v11, 0x3030303, v11
	v_dot4_i32_iu8 v15, v15, v149, v162 neg_lo:[1,1,0]
	v_perm_b32 v25, v165, v25, 0xc0c0401
	v_or_b32_e32 v166, v170, v166
	v_and_b32_e32 v170, 0xff, v19
	s_delay_alu instid0(VALU_DEP_3) | instskip(NEXT) | instid1(VALU_DEP_3)
	v_or_b32_e32 v17, v17, v25
	v_perm_b32 v19, v19, v166, 0x4010c0c
	s_delay_alu instid0(VALU_DEP_3) | instskip(SKIP_3) | instid1(VALU_DEP_4)
	v_or_b32_e32 v27, v170, v27
	v_lshrrev_b32_e32 v25, 24, v2
	v_and_b32_e32 v170, 0xff, v169
	v_dot4_i32_iu8 v17, v17, v149, v163 neg_lo:[1,1,0]
	v_perm_b32 v27, v167, v27, 0xc0c0401
	s_delay_alu instid0(VALU_DEP_4)
	v_sub_nc_u16 v23, v23, v25
	v_lshrrev_b32_e32 v25, 16, v11
	v_or_b32_e32 v168, v170, v168
	v_and_b32_e32 v170, 0xff, v21
	v_or_b32_e32 v19, v19, v27
	v_lshrrev_b32_e32 v27, 16, v2
	v_lshlrev_b16 v23, 8, v23
	v_perm_b32 v21, v21, v168, 0x4010c0c
	v_or_b32_e32 v29, v170, v29
	v_dot4_i32_iu8 v19, v19, v149, v159 neg_lo:[1,1,0]
	v_sub_nc_u16 v25, v25, v27
	v_lshrrev_b16 v27, 8, v11
	v_sub_nc_u16 v11, v11, v2
	v_lshrrev_b16 v2, 8, v2
	v_perm_b32 v29, v169, v29, 0xc0c0401
	v_lshrrev_b32_e32 v159, 24, v154
	s_delay_alu instid0(VALU_DEP_3) | instskip(SKIP_1) | instid1(VALU_DEP_4)
	v_sub_nc_u16 v2, v27, v2
	v_ashrrev_i32_e32 v27, s24, v150
	v_or_b32_e32 v21, v21, v29
	v_bfe_u32 v29, v4, 24, 2
	v_and_b32_e32 v4, 0x3030303, v4
	v_lshlrev_b16 v2, 8, v2
	v_lshlrev_b32_e32 v27, 2, v27
	v_dot4_i32_iu8 v21, v21, v149, v160 neg_lo:[1,1,0]
	v_lshrrev_b32_e32 v160, 16, v154
	s_delay_alu instid0(VALU_DEP_3) | instskip(NEXT) | instid1(VALU_DEP_1)
	v_and_b32_e32 v27, 0x4040404, v27
	v_lshrrev_b32_e32 v149, 24, v27
	v_lshrrev_b32_e32 v150, 16, v27
	s_delay_alu instid0(VALU_DEP_2) | instskip(SKIP_1) | instid1(VALU_DEP_2)
	v_sub_nc_u16 v29, v29, v149
	v_lshrrev_b32_e32 v149, 16, v4
	v_lshlrev_b16 v29, 8, v29
	s_delay_alu instid0(VALU_DEP_2) | instskip(SKIP_3) | instid1(VALU_DEP_1)
	v_sub_nc_u16 v149, v149, v150
	v_lshrrev_b16 v150, 8, v4
	v_sub_nc_u16 v4, v4, v27
	v_lshrrev_b16 v27, 8, v27
	v_sub_nc_u16 v27, v150, v27
	v_bfe_u32 v150, v0, 24, 2
	v_and_b32_e32 v0, 0x3030303, v0
	s_delay_alu instid0(VALU_DEP_3) | instskip(NEXT) | instid1(VALU_DEP_3)
	v_lshlrev_b16 v27, 8, v27
	v_sub_nc_u16 v150, v150, v153
	s_delay_alu instid0(VALU_DEP_3) | instskip(NEXT) | instid1(VALU_DEP_2)
	v_lshrrev_b32_e32 v153, 16, v0
	v_lshlrev_b16 v150, 8, v150
	s_delay_alu instid0(VALU_DEP_2) | instskip(SKIP_3) | instid1(VALU_DEP_1)
	v_sub_nc_u16 v153, v153, v157
	v_lshrrev_b16 v157, 8, v0
	v_sub_nc_u16 v0, v0, v6
	v_lshrrev_b16 v6, 8, v6
	v_sub_nc_u16 v6, v157, v6
	v_bfe_u32 v157, v13, 24, 2
	v_and_b32_e32 v13, 0x3030303, v13
	s_delay_alu instid0(VALU_DEP_3) | instskip(NEXT) | instid1(VALU_DEP_3)
	v_lshlrev_b16 v6, 8, v6
	v_sub_nc_u16 v157, v157, v159
	s_delay_alu instid0(VALU_DEP_3) | instskip(NEXT) | instid1(VALU_DEP_2)
	v_lshrrev_b32_e32 v159, 16, v13
	v_lshlrev_b16 v157, 8, v157
	s_delay_alu instid0(VALU_DEP_2) | instskip(SKIP_3) | instid1(VALU_DEP_1)
	v_sub_nc_u16 v159, v159, v160
	v_lshrrev_b16 v160, 8, v13
	v_sub_nc_u16 v13, v13, v154
	v_lshrrev_b16 v154, 8, v154
	v_sub_nc_u16 v154, v160, v154
	v_and_b32_e32 v160, 0xff, v25
	s_delay_alu instid0(VALU_DEP_2) | instskip(NEXT) | instid1(VALU_DEP_2)
	v_lshlrev_b16 v154, 8, v154
	v_or_b32_e32 v23, v160, v23
	v_and_b32_e32 v160, 0xff, v11
	s_delay_alu instid0(VALU_DEP_2) | instskip(NEXT) | instid1(VALU_DEP_2)
	v_perm_b32 v11, v11, v23, 0x4010c0c
	v_or_b32_e32 v2, v160, v2
	v_and_b32_e32 v160, 0xff, v149
	s_delay_alu instid0(VALU_DEP_2) | instskip(NEXT) | instid1(VALU_DEP_2)
	v_perm_b32 v2, v25, v2, 0xc0c0401
	v_or_b32_e32 v29, v160, v29
	v_and_b32_e32 v160, 0xff, v4
	s_delay_alu instid0(VALU_DEP_3) | instskip(SKIP_1) | instid1(VALU_DEP_3)
	v_or_b32_e32 v2, v11, v2
	v_ashrrev_i32_e32 v11, s26, v16
	v_or_b32_e32 v27, v160, v27
	v_and_b32_e32 v160, 0xff, v153
	v_ashrrev_i32_e32 v16, s26, v20
	v_ashrrev_i32_e32 v20, s24, v24
	v_perm_b32 v4, v4, v29, 0x4010c0c
	v_perm_b32 v23, v149, v27, 0xc0c0401
	v_or_b32_e32 v150, v160, v150
	v_and_b32_e32 v160, 0xff, v0
	v_lshlrev_b32_e32 v20, 2, v20
	v_ashrrev_i32_e32 v24, s24, v30
	v_or_b32_e32 v4, v4, v23
	v_perm_b32 v0, v0, v150, 0x4010c0c
	v_or_b32_e32 v6, v160, v6
	v_and_b32_e32 v160, 0xff, v159
	v_and_b32_e32 v20, 0x4040404, v20
	v_ashrrev_i32_e32 v23, s24, v28
	v_dot4_i32_iu8 v2, v2, v144, v156 neg_lo:[1,1,0]
	v_perm_b32 v6, v153, v6, 0xc0c0401
	v_or_b32_e32 v157, v160, v157
	v_and_b32_e32 v160, 0xff, v13
	v_lshrrev_b32_e32 v27, 16, v20
	v_lshlrev_b32_e32 v23, 2, v23
	v_or_b32_e32 v0, v0, v6
	v_perm_b32 v13, v13, v157, 0x4010c0c
	v_or_b32_e32 v154, v160, v154
	v_dot4_i32_iu8 v4, v4, v144, v161 neg_lo:[1,1,0]
	v_and_b32_e32 v23, 0x4040404, v23
	v_dot4_i32_iu8 v0, v0, v144, v158 neg_lo:[1,1,0]
	v_lshlrev_b32_e32 v24, 2, v24
	v_perm_b32 v25, v159, v154, 0xc0c0401
	s_delay_alu instid0(VALU_DEP_4) | instskip(NEXT) | instid1(VALU_DEP_3)
	v_lshrrev_b32_e32 v30, 24, v23
	v_and_b32_e32 v24, 0x4040404, v24
	s_delay_alu instid0(VALU_DEP_3)
	v_or_b32_e32 v6, v13, v25
	v_ashrrev_i32_e32 v13, s26, v18
	v_ashrrev_i32_e32 v18, s26, v22
	;; [unrolled: 1-line block ×3, first 2 shown]
	v_bfe_u32 v25, v11, 24, 2
	v_lshrrev_b32_e32 v26, 24, v20
	v_and_b32_e32 v11, 0x3030303, v11
	v_dot4_i32_iu8 v6, v6, v144, v152 neg_lo:[1,1,0]
	v_lshlrev_b32_e32 v22, 2, v22
	v_lshrrev_b32_e32 v144, 16, v23
	v_sub_nc_u16 v25, v25, v26
	v_lshrrev_b32_e32 v26, 16, v11
	v_lshrrev_b32_e32 v149, 24, v24
	v_and_b32_e32 v22, 0x4040404, v22
	v_lshrrev_b32_e32 v150, 16, v24
	v_lshlrev_b16 v25, 8, v25
	v_sub_nc_u16 v26, v26, v27
	v_lshrrev_b16 v27, 8, v11
	v_sub_nc_u16 v11, v11, v20
	v_lshrrev_b16 v20, 8, v20
	v_lshrrev_b32_e32 v28, 24, v22
	v_lshrrev_b32_e32 v29, 16, v22
	s_delay_alu instid0(VALU_DEP_3) | instskip(SKIP_2) | instid1(VALU_DEP_3)
	v_sub_nc_u16 v20, v27, v20
	v_bfe_u32 v27, v13, 24, 2
	v_and_b32_e32 v13, 0x3030303, v13
	v_lshlrev_b16 v20, 8, v20
	s_delay_alu instid0(VALU_DEP_3) | instskip(NEXT) | instid1(VALU_DEP_3)
	v_sub_nc_u16 v27, v27, v28
	v_lshrrev_b32_e32 v28, 16, v13
	s_delay_alu instid0(VALU_DEP_2) | instskip(NEXT) | instid1(VALU_DEP_2)
	v_lshlrev_b16 v27, 8, v27
	v_sub_nc_u16 v28, v28, v29
	v_lshrrev_b16 v29, 8, v13
	v_sub_nc_u16 v13, v13, v22
	v_lshrrev_b16 v22, 8, v22
	s_delay_alu instid0(VALU_DEP_1) | instskip(SKIP_2) | instid1(VALU_DEP_3)
	v_sub_nc_u16 v22, v29, v22
	v_bfe_u32 v29, v16, 24, 2
	v_and_b32_e32 v16, 0x3030303, v16
	v_lshlrev_b16 v22, 8, v22
	s_delay_alu instid0(VALU_DEP_3) | instskip(NEXT) | instid1(VALU_DEP_3)
	v_sub_nc_u16 v29, v29, v30
	v_lshrrev_b32_e32 v30, 16, v16
	s_delay_alu instid0(VALU_DEP_2) | instskip(NEXT) | instid1(VALU_DEP_2)
	v_lshlrev_b16 v29, 8, v29
	v_sub_nc_u16 v30, v30, v144
	v_lshrrev_b16 v144, 8, v16
	v_sub_nc_u16 v16, v16, v23
	v_lshrrev_b16 v23, 8, v23
	s_delay_alu instid0(VALU_DEP_1) | instskip(SKIP_2) | instid1(VALU_DEP_3)
	v_sub_nc_u16 v23, v144, v23
	v_bfe_u32 v144, v18, 24, 2
	v_and_b32_e32 v18, 0x3030303, v18
	v_lshlrev_b16 v23, 8, v23
	s_delay_alu instid0(VALU_DEP_3) | instskip(NEXT) | instid1(VALU_DEP_3)
	v_sub_nc_u16 v144, v144, v149
	v_lshrrev_b32_e32 v149, 16, v18
	s_delay_alu instid0(VALU_DEP_2) | instskip(NEXT) | instid1(VALU_DEP_2)
	v_lshlrev_b16 v144, 8, v144
	v_sub_nc_u16 v149, v149, v150
	v_lshrrev_b16 v150, 8, v18
	v_sub_nc_u16 v18, v18, v24
	v_lshrrev_b16 v24, 8, v24
	s_delay_alu instid0(VALU_DEP_1) | instskip(SKIP_1) | instid1(VALU_DEP_2)
	v_sub_nc_u16 v24, v150, v24
	v_and_b32_e32 v150, 0xff, v26
	v_lshlrev_b16 v24, 8, v24
	s_delay_alu instid0(VALU_DEP_2) | instskip(SKIP_1) | instid1(VALU_DEP_2)
	v_or_b32_e32 v25, v150, v25
	v_and_b32_e32 v150, 0xff, v11
	v_perm_b32 v11, v11, v25, 0x4010c0c
	s_delay_alu instid0(VALU_DEP_2) | instskip(SKIP_2) | instid1(VALU_DEP_3)
	v_or_b32_e32 v20, v150, v20
	v_and_b32_e32 v150, 0xff, v28
	v_lshrrev_b32_e32 v25, 16, v7
	v_perm_b32 v20, v26, v20, 0xc0c0401
	s_delay_alu instid0(VALU_DEP_3) | instskip(SKIP_1) | instid1(VALU_DEP_3)
	v_or_b32_e32 v27, v150, v27
	v_and_b32_e32 v150, 0xff, v13
	v_or_b32_e32 v11, v11, v20
	s_delay_alu instid0(VALU_DEP_3) | instskip(NEXT) | instid1(VALU_DEP_3)
	v_perm_b32 v13, v13, v27, 0x4010c0c
	v_or_b32_e32 v22, v150, v22
	v_and_b32_e32 v150, 0xff, v30
	v_lshrrev_b32_e32 v20, 24, v3
	v_dot4_i32_iu8 v11, v11, v143, v15 neg_lo:[1,1,0]
	s_delay_alu instid0(VALU_DEP_4) | instskip(NEXT) | instid1(VALU_DEP_4)
	v_perm_b32 v22, v28, v22, 0xc0c0401
	v_or_b32_e32 v29, v150, v29
	v_and_b32_e32 v150, 0xff, v16
	s_delay_alu instid0(VALU_DEP_3) | instskip(NEXT) | instid1(VALU_DEP_3)
	v_or_b32_e32 v13, v13, v22
	v_perm_b32 v16, v16, v29, 0x4010c0c
	s_delay_alu instid0(VALU_DEP_3) | instskip(SKIP_1) | instid1(VALU_DEP_4)
	v_or_b32_e32 v23, v150, v23
	v_and_b32_e32 v150, 0xff, v149
	v_dot4_i32_iu8 v13, v13, v143, v17 neg_lo:[1,1,0]
	v_ashrrev_i32_e32 v17, s24, v151
	s_delay_alu instid0(VALU_DEP_4) | instskip(NEXT) | instid1(VALU_DEP_4)
	v_perm_b32 v23, v30, v23, 0xc0c0401
	v_or_b32_e32 v144, v150, v144
	v_and_b32_e32 v150, 0xff, v18
	s_delay_alu instid0(VALU_DEP_4) | instskip(NEXT) | instid1(VALU_DEP_4)
	v_lshlrev_b32_e32 v17, 2, v17
	v_or_b32_e32 v16, v16, v23
	s_delay_alu instid0(VALU_DEP_4) | instskip(NEXT) | instid1(VALU_DEP_4)
	v_perm_b32 v18, v18, v144, 0x4010c0c
	v_or_b32_e32 v24, v150, v24
	s_delay_alu instid0(VALU_DEP_4) | instskip(NEXT) | instid1(VALU_DEP_4)
	v_and_b32_e32 v17, 0x4040404, v17
	v_dot4_i32_iu8 v15, v16, v143, v19 neg_lo:[1,1,0]
	v_bfe_u32 v19, v12, 24, 2
	s_delay_alu instid0(VALU_DEP_4)
	v_perm_b32 v24, v149, v24, 0xc0c0401
	v_and_b32_e32 v12, 0x3030303, v12
	v_lshrrev_b32_e32 v22, 24, v17
	v_lshrrev_b32_e32 v23, 16, v17
	v_sub_nc_u16 v19, v19, v20
	v_or_b32_e32 v18, v18, v24
	v_lshrrev_b32_e32 v20, 16, v12
	v_lshrrev_b32_e32 v24, 24, v7
	s_delay_alu instid0(VALU_DEP_4) | instskip(NEXT) | instid1(VALU_DEP_4)
	v_lshlrev_b16 v19, 8, v19
	v_dot4_i32_iu8 v16, v18, v143, v21 neg_lo:[1,1,0]
	v_lshrrev_b32_e32 v21, 16, v3
	v_ashrrev_i32_e32 v18, s24, v155
	s_add_i32 s24, s24, 1
	s_cmp_lt_u32 s25, 22
	s_delay_alu instid0(VALU_DEP_2) | instskip(SKIP_4) | instid1(VALU_DEP_2)
	v_sub_nc_u16 v20, v20, v21
	v_lshrrev_b16 v21, 8, v12
	v_sub_nc_u16 v12, v12, v3
	v_lshrrev_b16 v3, 8, v3
	v_lshlrev_b32_e32 v18, 2, v18
	v_sub_nc_u16 v3, v21, v3
	v_bfe_u32 v21, v5, 24, 2
	v_and_b32_e32 v5, 0x3030303, v5
	s_delay_alu instid0(VALU_DEP_4) | instskip(NEXT) | instid1(VALU_DEP_4)
	v_and_b32_e32 v18, 0x4040404, v18
	v_lshlrev_b16 v3, 8, v3
	s_delay_alu instid0(VALU_DEP_4) | instskip(NEXT) | instid1(VALU_DEP_4)
	v_sub_nc_u16 v21, v21, v22
	v_lshrrev_b32_e32 v22, 16, v5
	s_delay_alu instid0(VALU_DEP_4) | instskip(SKIP_1) | instid1(VALU_DEP_4)
	v_lshrrev_b32_e32 v26, 24, v18
	v_lshrrev_b32_e32 v27, 16, v18
	v_lshlrev_b16 v21, 8, v21
	s_delay_alu instid0(VALU_DEP_4) | instskip(SKIP_3) | instid1(VALU_DEP_1)
	v_sub_nc_u16 v22, v22, v23
	v_lshrrev_b16 v23, 8, v5
	v_sub_nc_u16 v5, v5, v17
	v_lshrrev_b16 v17, 8, v17
	v_sub_nc_u16 v17, v23, v17
	v_bfe_u32 v23, v1, 24, 2
	v_and_b32_e32 v1, 0x3030303, v1
	s_delay_alu instid0(VALU_DEP_3) | instskip(NEXT) | instid1(VALU_DEP_3)
	v_lshlrev_b16 v17, 8, v17
	v_sub_nc_u16 v23, v23, v24
	s_delay_alu instid0(VALU_DEP_3) | instskip(NEXT) | instid1(VALU_DEP_2)
	v_lshrrev_b32_e32 v24, 16, v1
	v_lshlrev_b16 v23, 8, v23
	s_delay_alu instid0(VALU_DEP_2) | instskip(SKIP_3) | instid1(VALU_DEP_1)
	v_sub_nc_u16 v24, v24, v25
	v_lshrrev_b16 v25, 8, v1
	v_sub_nc_u16 v1, v1, v7
	v_lshrrev_b16 v7, 8, v7
	v_sub_nc_u16 v7, v25, v7
	v_bfe_u32 v25, v14, 24, 2
	v_and_b32_e32 v14, 0x3030303, v14
	s_delay_alu instid0(VALU_DEP_3) | instskip(NEXT) | instid1(VALU_DEP_3)
	v_lshlrev_b16 v7, 8, v7
	v_sub_nc_u16 v25, v25, v26
	s_delay_alu instid0(VALU_DEP_3) | instskip(NEXT) | instid1(VALU_DEP_2)
	v_lshrrev_b32_e32 v26, 16, v14
	v_lshlrev_b16 v25, 8, v25
	s_delay_alu instid0(VALU_DEP_2) | instskip(SKIP_3) | instid1(VALU_DEP_1)
	v_sub_nc_u16 v26, v26, v27
	v_lshrrev_b16 v27, 8, v14
	v_sub_nc_u16 v14, v14, v18
	v_lshrrev_b16 v18, 8, v18
	v_sub_nc_u16 v18, v27, v18
	v_and_b32_e32 v27, 0xff, v20
	s_delay_alu instid0(VALU_DEP_2) | instskip(NEXT) | instid1(VALU_DEP_2)
	v_lshlrev_b16 v18, 8, v18
	v_or_b32_e32 v19, v27, v19
	v_and_b32_e32 v27, 0xff, v12
	s_delay_alu instid0(VALU_DEP_2) | instskip(NEXT) | instid1(VALU_DEP_2)
	v_perm_b32 v12, v12, v19, 0x4010c0c
	v_or_b32_e32 v3, v27, v3
	v_and_b32_e32 v27, 0xff, v22
	s_delay_alu instid0(VALU_DEP_2) | instskip(NEXT) | instid1(VALU_DEP_2)
	v_perm_b32 v3, v20, v3, 0xc0c0401
	v_or_b32_e32 v21, v27, v21
	v_and_b32_e32 v27, 0xff, v5
	s_delay_alu instid0(VALU_DEP_3) | instskip(NEXT) | instid1(VALU_DEP_3)
	v_or_b32_e32 v3, v12, v3
	v_perm_b32 v5, v5, v21, 0x4010c0c
	s_delay_alu instid0(VALU_DEP_3) | instskip(SKIP_1) | instid1(VALU_DEP_2)
	v_or_b32_e32 v17, v27, v17
	v_and_b32_e32 v27, 0xff, v24
	v_perm_b32 v17, v22, v17, 0xc0c0401
	s_delay_alu instid0(VALU_DEP_2) | instskip(SKIP_1) | instid1(VALU_DEP_3)
	v_or_b32_e32 v23, v27, v23
	v_and_b32_e32 v27, 0xff, v1
	v_or_b32_e32 v5, v5, v17
	s_delay_alu instid0(VALU_DEP_3) | instskip(NEXT) | instid1(VALU_DEP_3)
	v_perm_b32 v1, v1, v23, 0x4010c0c
	v_or_b32_e32 v7, v27, v7
	v_and_b32_e32 v27, 0xff, v26
	v_dot4_i32_iu8 v17, v3, v140, v2 neg_lo:[1,1,0]
	v_dot4_i32_iu8 v19, v5, v140, v4 neg_lo:[1,1,0]
	v_bfe_i32 v4, v146, 0, 8
	v_perm_b32 v7, v24, v7, 0xc0c0401
	v_or_b32_e32 v25, v27, v25
	v_and_b32_e32 v27, 0xff, v14
	v_bfe_i32 v5, v148, 0, 8
	s_delay_alu instid0(VALU_DEP_4) | instskip(NEXT) | instid1(VALU_DEP_4)
	v_or_b32_e32 v1, v1, v7
	v_perm_b32 v14, v14, v25, 0x4010c0c
	s_delay_alu instid0(VALU_DEP_4) | instskip(SKIP_1) | instid1(VALU_DEP_4)
	v_or_b32_e32 v18, v27, v18
	v_add_nc_u32_e32 v7, s27, v125
	v_dot4_i32_iu8 v20, v1, v140, v0 neg_lo:[1,1,0]
	s_delay_alu instid0(VALU_DEP_3) | instskip(NEXT) | instid1(VALU_DEP_1)
	v_perm_b32 v18, v26, v18, 0xc0c0401
	v_or_b32_e32 v12, v14, v18
	v_add_nc_u32_e32 v14, s27, v123
	ds_load_u16 v7, v7 offset:25330
	ds_load_u16 v14, v14 offset:27378
	ds_load_b32 v18, v139
	v_dot4_i32_iu8 v12, v12, v140, v6 neg_lo:[1,1,0]
	v_add_nc_u32_e32 v139, 4, v139
	s_mov_b32 s27, s25
	s_waitcnt lgkmcnt(2)
	v_bfe_i32 v1, v7, 0, 8
	s_waitcnt lgkmcnt(1)
	v_lshrrev_b16 v0, 8, v14
	v_bfe_i32 v3, v14, 0, 8
	v_lshrrev_b16 v2, 8, v7
	s_delay_alu instid0(VALU_DEP_3) | instskip(SKIP_1) | instid1(VALU_DEP_3)
	v_bfe_i32 v14, v0, 0, 8
	v_lshrrev_b16 v0, 8, v146
	v_bfe_i32 v7, v2, 0, 8
	v_lshrrev_b16 v2, 8, v148
	s_delay_alu instid0(VALU_DEP_3) | instskip(SKIP_2) | instid1(VALU_DEP_4)
	v_bfe_i32 v21, v0, 0, 8
	v_mul_lo_u32 v0, v11, v1
	v_mul_lo_u32 v1, v13, v4
	v_bfe_i32 v22, v2, 0, 8
	v_mul_lo_u32 v2, v15, v3
	v_mul_lo_u32 v3, v16, v5
	s_delay_alu instid0(VALU_DEP_4) | instskip(NEXT) | instid1(VALU_DEP_3)
	v_mad_u64_u32 v[4:5], null, v17, v7, v[0:1]
	v_mad_u64_u32 v[5:6], null, v19, v21, v[1:2]
	s_delay_alu instid0(VALU_DEP_3)
	v_mad_u64_u32 v[0:1], null, v20, v14, v[2:3]
	s_waitcnt lgkmcnt(0)
	v_mul_f32_e32 v6, v18, v145
	v_mul_f32_e32 v7, v18, v147
	v_mad_u64_u32 v[1:2], null, v12, v22, v[3:4]
	v_mul_f32_e32 v2, v18, v141
	v_mul_f32_e32 v3, v18, v142
	v_cvt_f32_i32_e32 v4, v4
	v_cvt_f32_i32_e32 v5, v5
	;; [unrolled: 1-line block ×4, first 2 shown]
	s_delay_alu instid0(VALU_DEP_4) | instskip(NEXT) | instid1(VALU_DEP_3)
	v_fmac_f32_e32 v33, v2, v4
	v_dual_fmac_f32 v98, v6, v5 :: v_dual_fmac_f32 v95, v3, v0
	s_delay_alu instid0(VALU_DEP_3)
	v_fmac_f32_e32 v8, v7, v1
	s_cbranch_scc1 .LBB189_28
; %bb.29:                               ;   in Loop: Header=BB189_5 Depth=1
	s_or_b32 s1, s18, 0x180
	s_delay_alu instid0(SALU_CYCLE_1)
	s_cmp_ge_i32 s1, s11
	s_barrier
	buffer_gl0_inv
	s_cbranch_scc1 .LBB189_4
; %bb.30:                               ;   in Loop: Header=BB189_5 Depth=1
	v_add_nc_u32_e32 v0, s19, v110
	s_delay_alu instid0(VALU_DEP_1) | instskip(NEXT) | instid1(VALU_DEP_1)
	v_cmp_gt_i32_e64 s1, s5, v0
	s_and_b32 s18, s0, s1
	s_delay_alu instid0(SALU_CYCLE_1)
	s_and_saveexec_b32 s1, s18
	s_cbranch_execz .LBB189_32
; %bb.31:                               ;   in Loop: Header=BB189_5 Depth=1
	v_add_nc_u32_e32 v2, v104, v0
	s_delay_alu instid0(VALU_DEP_1)
	v_mad_i64_i32 v[0:1], null, v2, 36, v[9:10]
	global_load_b32 v0, v[0:1], off offset:4
	s_waitcnt vmcnt(0)
	ds_store_b32 v90, v0
.LBB189_32:                             ;   in Loop: Header=BB189_5 Depth=1
	s_or_b32 exec_lo, exec_lo, s1
	s_and_saveexec_b32 s18, vcc_lo
	s_cbranch_execz .LBB189_35
; %bb.33:                               ;   in Loop: Header=BB189_5 Depth=1
	v_or_b32_e32 v0, s19, v32
	s_delay_alu instid0(VALU_DEP_1) | instskip(NEXT) | instid1(VALU_DEP_1)
	v_or_b32_e32 v1, 12, v0
	v_cmp_gt_i32_e64 s1, s5, v1
	s_delay_alu instid0(VALU_DEP_1) | instskip(NEXT) | instid1(SALU_CYCLE_1)
	s_and_b32 s1, s0, s1
	s_and_b32 exec_lo, exec_lo, s1
	s_cbranch_execz .LBB189_35
; %bb.34:                               ;   in Loop: Header=BB189_5 Depth=1
	v_ashrrev_i32_e32 v1, 31, v0
	v_add_co_u32 v2, s1, v104, v0
	s_delay_alu instid0(VALU_DEP_1) | instskip(NEXT) | instid1(VALU_DEP_2)
	v_add_co_ci_u32_e64 v3, s1, v111, v1, s1
	v_mad_u64_u32 v[0:1], null, v2, 36, s[16:17]
	s_delay_alu instid0(VALU_DEP_1)
	v_mad_i32_i24 v1, v3, 36, v1
	global_load_b32 v0, v[0:1], off
	s_waitcnt vmcnt(0)
	v_cvt_f32_f16_e32 v0, v0
	ds_store_b32 v91, v0
.LBB189_35:                             ;   in Loop: Header=BB189_5 Depth=1
	s_or_b32 exec_lo, exec_lo, s18
	v_dual_mov_b32 v138, v116 :: v_dual_mov_b32 v139, v117
	s_mov_b32 s1, 24
	s_mov_b32 s25, 22
	s_mov_b32 s18, 4
	s_waitcnt lgkmcnt(0)
	s_barrier
	buffer_gl0_inv
.LBB189_36:                             ;   Parent Loop BB189_5 Depth=1
                                        ; =>  This Inner Loop Header: Depth=2
	s_add_i32 s19, s25, 2
	ds_load_b128 v[4:7], v138
	ds_load_b128 v[0:3], v138 offset:16
	s_and_b32 s27, s19, 0x3ffffff8
	s_lshr_b32 s26, s19, 4
	s_lshl_b32 s27, s27, 2
	s_lshl_b32 s28, s26, 2
	v_add_nc_u32_e32 v147, s27, v94
	v_add_nc_u32_e32 v148, s27, v99
	v_add_nc_u32_e32 v158, s27, v102
	v_add_nc_u32_e32 v21, s28, v96
	s_sub_i32 s24, s25, 22
	ds_load_2addr_b32 v[13:14], v147 offset1:1
	ds_load_2addr_b32 v[19:20], v148 offset1:1
	ds_load_2addr_b32 v[11:12], v147 offset0:6 offset1:7
	ds_load_2addr_b32 v[15:16], v147 offset0:2 offset1:3
	;; [unrolled: 1-line block ×3, first 2 shown]
	ds_load_b32 v141, v21
	v_add_nc_u32_e32 v161, s27, v106
	s_lshl_b32 s26, s26, 3
	v_add_nc_u32_e32 v138, 32, v138
	v_add_lshl_u32 v164, v93, s26, 2
	v_add_lshl_u32 v167, v97, s26, 2
	;; [unrolled: 1-line block ×3, first 2 shown]
	s_waitcnt lgkmcnt(7)
	v_perm_b32 v149, v6, v6, 0x30201
	s_waitcnt lgkmcnt(6)
	v_perm_b32 v156, v0, v0, 0x30201
	v_perm_b32 v157, v1, v1, 0x30201
	;; [unrolled: 1-line block ×4, first 2 shown]
	v_add_nc_u32_e32 v6, 0x4208, v164
	v_perm_b32 v150, v4, v4, 0x30201
	v_perm_b32 v151, v5, v5, 0x30201
	v_perm_b32 v143, v7, v7, 0x30201
	s_waitcnt lgkmcnt(5)
	v_ashrrev_i32_e32 v152, s24, v13
	s_waitcnt lgkmcnt(4)
	v_ashrrev_i32_e32 v154, s24, v19
	v_ashrrev_i32_e32 v155, s24, v20
	ds_load_2addr_b32 v[2:3], v158 offset1:1
	ds_load_2addr_b32 v[0:1], v158 offset0:6 offset1:7
	ds_load_2addr_b32 v[19:20], v158 offset0:2 offset1:3
	v_ashrrev_i32_e32 v153, s24, v14
	v_bfe_u32 v174, v152, 24, 2
	v_and_b32_e32 v152, 0x3030303, v152
	v_add_nc_u32_e32 v27, 0x4208, v170
	v_add_lshl_u32 v173, v105, s26, 2
	s_and_b32 s26, s1, -16
	s_waitcnt lgkmcnt(5)
	v_ashrrev_i32_e32 v15, s24, v15
	s_add_i32 s25, s25, s26
	s_waitcnt lgkmcnt(4)
	v_ashrrev_i32_e32 v17, s24, v17
	v_ashrrev_i32_e32 v11, s24, v11
	;; [unrolled: 1-line block ×3, first 2 shown]
	s_add_i32 s1, s1, 2
	s_waitcnt lgkmcnt(2)
	v_ashrrev_i32_e32 v159, s24, v2
	v_add_nc_u32_e32 v2, s28, v103
	v_ashrrev_i32_e32 v160, s24, v3
	ds_load_2addr_b32 v[21:22], v161 offset0:2 offset1:3
	ds_load_b32 v142, v2
	ds_load_2addr_b32 v[2:3], v161 offset1:1
	s_waitcnt lgkmcnt(3)
	v_ashrrev_i32_e32 v19, s24, v19
	v_ashrrev_i32_e32 v0, s24, v0
	;; [unrolled: 1-line block ×3, first 2 shown]
	s_waitcnt lgkmcnt(2)
	v_ashrrev_i32_e32 v21, s24, v21
	s_waitcnt lgkmcnt(0)
	v_ashrrev_i32_e32 v162, s24, v2
	v_add_nc_u32_e32 v2, 0x4200, v164
	v_ashrrev_i32_e32 v163, s24, v3
	v_add_nc_u32_e32 v3, 0x4218, v164
	ds_load_2addr_b32 v[4:5], v2 offset1:1
	ds_load_2addr_b32 v[2:3], v3 offset1:1
	;; [unrolled: 1-line block ×3, first 2 shown]
	s_waitcnt lgkmcnt(2)
	v_ashrrev_i32_e32 v165, s18, v4
	v_add_nc_u32_e32 v4, 0x4200, v167
	v_ashrrev_i32_e32 v166, s18, v5
	v_add_nc_u32_e32 v5, 0x4208, v167
	ds_load_2addr_b32 v[6:7], v4 offset1:1
	ds_load_2addr_b32 v[25:26], v5 offset1:1
	ds_load_2addr_b32 v[4:5], v148 offset0:6 offset1:7
	v_lshlrev_b32_e32 v165, 2, v165
	v_lshlrev_b32_e32 v166, 2, v166
	s_waitcnt lgkmcnt(3)
	v_ashrrev_i32_e32 v23, s18, v23
	v_ashrrev_i32_e32 v2, s18, v2
	;; [unrolled: 1-line block ×3, first 2 shown]
	v_and_b32_e32 v165, 0x4040404, v165
	v_and_b32_e32 v166, 0x4040404, v166
	v_lshlrev_b32_e32 v23, 2, v23
	v_lshlrev_b32_e32 v2, 2, v2
	;; [unrolled: 1-line block ×3, first 2 shown]
	v_lshrrev_b32_e32 v175, 24, v165
	v_lshrrev_b32_e32 v176, 16, v165
	;; [unrolled: 1-line block ×4, first 2 shown]
	v_and_b32_e32 v23, 0x4040404, v23
	v_sub_nc_u16 v174, v174, v175
	v_lshrrev_b32_e32 v175, 16, v152
	s_waitcnt lgkmcnt(2)
	v_ashrrev_i32_e32 v168, s18, v6
	v_add_nc_u32_e32 v6, 0x4200, v170
	v_ashrrev_i32_e32 v169, s18, v7
	v_add_nc_u32_e32 v7, 0x4218, v170
	v_sub_nc_u16 v175, v175, v176
	v_lshrrev_b16 v176, 8, v152
	v_sub_nc_u16 v152, v152, v165
	v_lshrrev_b16 v165, 8, v165
	v_lshlrev_b32_e32 v168, 2, v168
	ds_load_2addr_b32 v[13:14], v6 offset1:1
	ds_load_2addr_b32 v[6:7], v7 offset1:1
	;; [unrolled: 1-line block ×3, first 2 shown]
	v_lshlrev_b32_e32 v169, 2, v169
	v_lshlrev_b16 v174, 8, v174
	v_sub_nc_u16 v165, v176, v165
	v_bfe_u32 v176, v153, 24, 2
	v_and_b32_e32 v153, 0x3030303, v153
	v_and_b32_e32 v168, 0x4040404, v168
	;; [unrolled: 1-line block ×3, first 2 shown]
	v_lshlrev_b16 v165, 8, v165
	v_sub_nc_u16 v176, v176, v177
	v_lshrrev_b32_e32 v177, 16, v153
	v_lshrrev_b32_e32 v179, 24, v168
	;; [unrolled: 1-line block ×5, first 2 shown]
	v_sub_nc_u16 v177, v177, v178
	v_lshrrev_b16 v178, 8, v153
	v_sub_nc_u16 v153, v153, v166
	v_lshrrev_b16 v166, 8, v166
	s_waitcnt lgkmcnt(2)
	v_ashrrev_i32_e32 v171, s18, v13
	v_add_nc_u32_e32 v13, 0x4200, v173
	v_ashrrev_i32_e32 v172, s18, v14
	v_add_nc_u32_e32 v14, 0x4208, v173
	v_sub_nc_u16 v166, v178, v166
	v_bfe_u32 v178, v154, 24, 2
	v_and_b32_e32 v154, 0x3030303, v154
	v_lshlrev_b32_e32 v171, 2, v171
	ds_load_2addr_b32 v[145:146], v13 offset1:1
	ds_load_2addr_b32 v[29:30], v14 offset1:1
	ds_load_2addr_b32 v[13:14], v161 offset0:6 offset1:7
	v_lshlrev_b32_e32 v172, 2, v172
	v_sub_nc_u16 v178, v178, v179
	v_lshrrev_b32_e32 v179, 16, v154
	v_and_b32_e32 v171, 0x4040404, v171
	v_lshlrev_b16 v176, 8, v176
	v_and_b32_e32 v172, 0x4040404, v172
	v_lshlrev_b16 v166, 8, v166
	v_sub_nc_u16 v179, v179, v180
	v_lshrrev_b16 v180, 8, v154
	v_sub_nc_u16 v154, v154, v168
	v_lshrrev_b16 v168, 8, v168
	v_lshrrev_b32_e32 v183, 24, v171
	v_lshrrev_b32_e32 v184, 16, v171
	;; [unrolled: 1-line block ×4, first 2 shown]
	v_sub_nc_u16 v168, v180, v168
	v_bfe_u32 v180, v155, 24, 2
	v_and_b32_e32 v155, 0x3030303, v155
	s_waitcnt lgkmcnt(2)
	v_ashrrev_i32_e32 v145, s18, v145
	v_ashrrev_i32_e32 v146, s18, v146
	v_lshlrev_b16 v178, 8, v178
	v_sub_nc_u16 v180, v180, v181
	v_lshrrev_b32_e32 v181, 16, v155
	v_lshlrev_b32_e32 v145, 2, v145
	v_lshlrev_b32_e32 v146, 2, v146
	v_lshlrev_b16 v168, 8, v168
	v_lshlrev_b16 v180, 8, v180
	v_sub_nc_u16 v181, v181, v182
	v_lshrrev_b16 v182, 8, v155
	v_sub_nc_u16 v155, v155, v169
	v_lshrrev_b16 v169, 8, v169
	v_and_b32_e32 v145, 0x4040404, v145
	v_and_b32_e32 v146, 0x4040404, v146
	v_ashrrev_i32_e32 v25, s18, v25
	v_ashrrev_i32_e32 v27, s18, v27
	v_sub_nc_u16 v169, v182, v169
	v_bfe_u32 v182, v159, 24, 2
	v_and_b32_e32 v159, 0x3030303, v159
	v_lshrrev_b32_e32 v187, 24, v145
	v_lshrrev_b32_e32 v188, 16, v145
	;; [unrolled: 1-line block ×3, first 2 shown]
	v_sub_nc_u16 v182, v182, v183
	v_lshrrev_b32_e32 v183, 16, v159
	v_lshrrev_b32_e32 v190, 16, v146
	v_lshlrev_b16 v169, 8, v169
	v_lshlrev_b32_e32 v25, 2, v25
	v_lshlrev_b16 v182, 8, v182
	v_sub_nc_u16 v183, v183, v184
	v_lshrrev_b16 v184, 8, v159
	v_sub_nc_u16 v159, v159, v171
	v_lshrrev_b16 v171, 8, v171
	v_and_b32_e32 v25, 0x4040404, v25
	v_lshlrev_b32_e32 v27, 2, v27
	s_waitcnt lgkmcnt(1)
	v_ashrrev_i32_e32 v29, s18, v29
	v_and_b32_e32 v2, 0x4040404, v2
	v_sub_nc_u16 v171, v184, v171
	v_bfe_u32 v184, v160, 24, 2
	v_and_b32_e32 v160, 0x3030303, v160
	v_and_b32_e32 v27, 0x4040404, v27
	v_lshlrev_b32_e32 v29, 2, v29
	v_lshlrev_b16 v171, 8, v171
	v_sub_nc_u16 v184, v184, v185
	v_lshrrev_b32_e32 v185, 16, v160
	v_ashrrev_i32_e32 v4, s24, v4
	v_and_b32_e32 v29, 0x4040404, v29
	v_ashrrev_i32_e32 v6, s18, v6
	v_lshlrev_b16 v184, 8, v184
	v_sub_nc_u16 v185, v185, v186
	v_lshrrev_b16 v186, 8, v160
	v_sub_nc_u16 v160, v160, v172
	v_lshrrev_b16 v172, 8, v172
	v_lshlrev_b32_e32 v6, 2, v6
	s_waitcnt lgkmcnt(0)
	v_ashrrev_i32_e32 v13, s24, v13
	v_and_b32_e32 v3, 0x4040404, v3
	v_ashrrev_i32_e32 v5, s24, v5
	v_sub_nc_u16 v172, v186, v172
	v_bfe_u32 v186, v162, 24, 2
	v_and_b32_e32 v162, 0x3030303, v162
	v_and_b32_e32 v6, 0x4040404, v6
	v_ashrrev_i32_e32 v7, s18, v7
	v_lshlrev_b16 v172, 8, v172
	v_sub_nc_u16 v186, v186, v187
	v_lshrrev_b32_e32 v187, 16, v162
	v_ashrrev_i32_e32 v14, s24, v14
	v_lshlrev_b32_e32 v7, 2, v7
	s_delay_alu instid0(VALU_DEP_4) | instskip(NEXT) | instid1(VALU_DEP_4)
	v_lshlrev_b16 v186, 8, v186
	v_sub_nc_u16 v187, v187, v188
	v_lshrrev_b16 v188, 8, v162
	v_sub_nc_u16 v162, v162, v145
	v_lshrrev_b16 v145, 8, v145
	v_and_b32_e32 v7, 0x4040404, v7
	s_delay_alu instid0(VALU_DEP_2) | instskip(SKIP_2) | instid1(VALU_DEP_3)
	v_sub_nc_u16 v145, v188, v145
	v_bfe_u32 v188, v163, 24, 2
	v_and_b32_e32 v163, 0x3030303, v163
	v_lshlrev_b16 v145, 8, v145
	s_delay_alu instid0(VALU_DEP_3) | instskip(NEXT) | instid1(VALU_DEP_3)
	v_sub_nc_u16 v188, v188, v189
	v_lshrrev_b32_e32 v189, 16, v163
	s_delay_alu instid0(VALU_DEP_2) | instskip(NEXT) | instid1(VALU_DEP_2)
	v_lshlrev_b16 v188, 8, v188
	v_sub_nc_u16 v189, v189, v190
	v_lshrrev_b16 v190, 8, v163
	v_sub_nc_u16 v163, v163, v146
	v_lshrrev_b16 v146, 8, v146
	s_delay_alu instid0(VALU_DEP_1) | instskip(SKIP_1) | instid1(VALU_DEP_2)
	v_sub_nc_u16 v146, v190, v146
	v_and_b32_e32 v190, 0xff, v175
	v_lshlrev_b16 v146, 8, v146
	s_delay_alu instid0(VALU_DEP_2) | instskip(SKIP_1) | instid1(VALU_DEP_2)
	v_or_b32_e32 v174, v190, v174
	v_and_b32_e32 v190, 0xff, v152
	v_perm_b32 v152, v152, v174, 0x4010c0c
	s_delay_alu instid0(VALU_DEP_2) | instskip(SKIP_1) | instid1(VALU_DEP_2)
	v_or_b32_e32 v165, v190, v165
	v_and_b32_e32 v190, 0xff, v177
	v_perm_b32 v165, v175, v165, 0xc0c0401
	s_delay_alu instid0(VALU_DEP_2) | instskip(SKIP_1) | instid1(VALU_DEP_3)
	v_or_b32_e32 v176, v190, v176
	v_and_b32_e32 v190, 0xff, v153
	v_or_b32_e32 v152, v152, v165
	s_delay_alu instid0(VALU_DEP_3) | instskip(NEXT) | instid1(VALU_DEP_3)
	v_perm_b32 v153, v153, v176, 0x4010c0c
	v_or_b32_e32 v166, v190, v166
	v_and_b32_e32 v190, 0xff, v179
	s_delay_alu instid0(VALU_DEP_4) | instskip(NEXT) | instid1(VALU_DEP_3)
	v_dot4_i32_iu8 v152, v152, v150, 0 neg_lo:[1,1,0]
	v_perm_b32 v166, v177, v166, 0xc0c0401
	s_delay_alu instid0(VALU_DEP_3) | instskip(SKIP_1) | instid1(VALU_DEP_3)
	v_or_b32_e32 v178, v190, v178
	v_and_b32_e32 v190, 0xff, v154
	v_or_b32_e32 v153, v153, v166
	s_delay_alu instid0(VALU_DEP_3) | instskip(NEXT) | instid1(VALU_DEP_3)
	v_perm_b32 v154, v154, v178, 0x4010c0c
	v_or_b32_e32 v168, v190, v168
	v_and_b32_e32 v190, 0xff, v181
	s_delay_alu instid0(VALU_DEP_2) | instskip(NEXT) | instid1(VALU_DEP_2)
	v_perm_b32 v168, v179, v168, 0xc0c0401
	v_or_b32_e32 v180, v190, v180
	v_and_b32_e32 v190, 0xff, v155
	s_delay_alu instid0(VALU_DEP_3) | instskip(NEXT) | instid1(VALU_DEP_3)
	v_or_b32_e32 v154, v154, v168
	v_perm_b32 v155, v155, v180, 0x4010c0c
	s_delay_alu instid0(VALU_DEP_3) | instskip(SKIP_1) | instid1(VALU_DEP_4)
	v_or_b32_e32 v169, v190, v169
	v_and_b32_e32 v190, 0xff, v183
	v_dot4_i32_iu8 v154, v154, v150, 0 neg_lo:[1,1,0]
	s_delay_alu instid0(VALU_DEP_3) | instskip(NEXT) | instid1(VALU_DEP_3)
	v_perm_b32 v169, v181, v169, 0xc0c0401
	v_or_b32_e32 v182, v190, v182
	v_and_b32_e32 v190, 0xff, v159
	s_delay_alu instid0(VALU_DEP_3) | instskip(NEXT) | instid1(VALU_DEP_3)
	v_or_b32_e32 v155, v155, v169
	v_perm_b32 v159, v159, v182, 0x4010c0c
	s_delay_alu instid0(VALU_DEP_3) | instskip(SKIP_1) | instid1(VALU_DEP_2)
	v_or_b32_e32 v171, v190, v171
	v_and_b32_e32 v190, 0xff, v185
	v_perm_b32 v171, v183, v171, 0xc0c0401
	s_delay_alu instid0(VALU_DEP_2) | instskip(SKIP_1) | instid1(VALU_DEP_3)
	v_or_b32_e32 v184, v190, v184
	v_and_b32_e32 v190, 0xff, v160
	v_or_b32_e32 v159, v159, v171
	s_delay_alu instid0(VALU_DEP_3) | instskip(NEXT) | instid1(VALU_DEP_3)
	v_perm_b32 v160, v160, v184, 0x4010c0c
	v_or_b32_e32 v172, v190, v172
	v_and_b32_e32 v190, 0xff, v187
	s_delay_alu instid0(VALU_DEP_4) | instskip(NEXT) | instid1(VALU_DEP_3)
	v_dot4_i32_iu8 v159, v159, v150, 0 neg_lo:[1,1,0]
	v_perm_b32 v172, v185, v172, 0xc0c0401
	s_delay_alu instid0(VALU_DEP_3) | instskip(SKIP_1) | instid1(VALU_DEP_3)
	v_or_b32_e32 v186, v190, v186
	v_and_b32_e32 v190, 0xff, v162
	v_or_b32_e32 v160, v160, v172
	s_delay_alu instid0(VALU_DEP_3) | instskip(NEXT) | instid1(VALU_DEP_3)
	v_perm_b32 v162, v162, v186, 0x4010c0c
	v_or_b32_e32 v145, v190, v145
	v_and_b32_e32 v190, 0xff, v189
	s_delay_alu instid0(VALU_DEP_4) | instskip(NEXT) | instid1(VALU_DEP_3)
	v_dot4_i32_iu8 v159, v160, v151, v159 neg_lo:[1,1,0]
	v_perm_b32 v145, v187, v145, 0xc0c0401
	s_delay_alu instid0(VALU_DEP_3) | instskip(SKIP_1) | instid1(VALU_DEP_3)
	v_or_b32_e32 v188, v190, v188
	v_and_b32_e32 v190, 0xff, v163
	v_or_b32_e32 v145, v162, v145
	s_delay_alu instid0(VALU_DEP_3) | instskip(NEXT) | instid1(VALU_DEP_3)
	v_perm_b32 v163, v163, v188, 0x4010c0c
	v_or_b32_e32 v146, v190, v146
	v_dot4_i32_iu8 v162, v153, v151, v152 neg_lo:[1,1,0]
	v_add_nc_u32_e32 v152, 0x4210, v173
	v_dot4_i32_iu8 v145, v145, v150, 0 neg_lo:[1,1,0]
	v_add_nc_u32_e32 v150, 0x4218, v167
	v_perm_b32 v146, v189, v146, 0xc0c0401
	s_delay_alu instid0(VALU_DEP_1) | instskip(SKIP_2) | instid1(VALU_DEP_3)
	v_or_b32_e32 v146, v163, v146
	v_dot4_i32_iu8 v163, v155, v151, v154 neg_lo:[1,1,0]
	v_add_nc_u32_e32 v154, 0x4218, v173
	v_dot4_i32_iu8 v160, v146, v151, v145 neg_lo:[1,1,0]
	ds_load_2addr_b32 v[145:146], v147 offset0:4 offset1:5
	v_add_nc_u32_e32 v147, 0x4210, v167
	s_waitcnt lgkmcnt(0)
	v_ashrrev_i32_e32 v165, s24, v145
	v_ashrrev_i32_e32 v166, s24, v146
	ds_load_2addr_b32 v[145:146], v148 offset0:4 offset1:5
	v_bfe_u32 v173, v165, 24, 2
	v_and_b32_e32 v165, 0x3030303, v165
	s_waitcnt lgkmcnt(0)
	v_ashrrev_i32_e32 v168, s24, v145
	v_ashrrev_i32_e32 v169, s24, v146
	ds_load_2addr_b32 v[145:146], v158 offset0:4 offset1:5
	s_waitcnt lgkmcnt(0)
	v_ashrrev_i32_e32 v158, s24, v145
	v_ashrrev_i32_e32 v171, s24, v146
	ds_load_2addr_b32 v[145:146], v161 offset0:4 offset1:5
	s_waitcnt lgkmcnt(0)
	v_ashrrev_i32_e32 v161, s24, v145
	v_add_nc_u32_e32 v145, 0x4210, v164
	v_ashrrev_i32_e32 v172, s24, v146
	ds_load_2addr_b32 v[145:146], v145 offset1:1
	s_waitcnt lgkmcnt(0)
	v_ashrrev_i32_e32 v164, s18, v145
	v_add_nc_u32_e32 v145, s25, v124
	v_ashrrev_i32_e32 v174, s18, v146
	s_delay_alu instid0(VALU_DEP_3)
	v_lshlrev_b32_e32 v164, 2, v164
	ds_load_u16 v146, v145 offset:26354
	v_add_nc_u32_e32 v145, s28, v100
	ds_load_b32 v145, v145
	ds_load_2addr_b32 v[147:148], v147 offset1:1
	ds_load_2addr_b32 v[150:151], v150 offset1:1
	v_and_b32_e32 v164, 0x4040404, v164
	v_lshlrev_b32_e32 v174, 2, v174
	s_delay_alu instid0(VALU_DEP_2) | instskip(SKIP_1) | instid1(VALU_DEP_3)
	v_lshrrev_b32_e32 v177, 24, v164
	v_lshrrev_b32_e32 v178, 16, v164
	v_and_b32_e32 v174, 0x4040404, v174
	s_delay_alu instid0(VALU_DEP_3) | instskip(SKIP_1) | instid1(VALU_DEP_3)
	v_sub_nc_u16 v173, v173, v177
	v_lshrrev_b32_e32 v177, 16, v165
	v_lshrrev_b32_e32 v179, 24, v174
	;; [unrolled: 1-line block ×3, first 2 shown]
	s_delay_alu instid0(VALU_DEP_4) | instskip(NEXT) | instid1(VALU_DEP_4)
	v_lshlrev_b16 v173, 8, v173
	v_sub_nc_u16 v177, v177, v178
	v_lshrrev_b16 v178, 8, v165
	v_sub_nc_u16 v165, v165, v164
	v_lshrrev_b16 v164, 8, v164
	s_waitcnt lgkmcnt(1)
	v_ashrrev_i32_e32 v167, s18, v147
	v_add_nc_u32_e32 v147, 0x4210, v170
	v_ashrrev_i32_e32 v175, s18, v148
	v_sub_nc_u16 v164, v178, v164
	v_bfe_u32 v178, v166, 24, 2
	v_and_b32_e32 v166, 0x3030303, v166
	v_lshlrev_b32_e32 v167, 2, v167
	ds_load_2addr_b32 v[147:148], v147 offset1:1
	v_lshlrev_b32_e32 v175, 2, v175
	v_sub_nc_u16 v178, v178, v179
	v_lshrrev_b32_e32 v179, 16, v166
	v_and_b32_e32 v167, 0x4040404, v167
	v_lshlrev_b16 v164, 8, v164
	v_and_b32_e32 v175, 0x4040404, v175
	v_lshlrev_b16 v178, 8, v178
	v_sub_nc_u16 v179, v179, v180
	v_lshrrev_b16 v180, 8, v166
	v_sub_nc_u16 v166, v166, v174
	v_lshrrev_b16 v174, 8, v174
	v_lshrrev_b32_e32 v181, 24, v167
	v_lshrrev_b32_e32 v182, 16, v167
	;; [unrolled: 1-line block ×4, first 2 shown]
	v_sub_nc_u16 v174, v180, v174
	v_bfe_u32 v180, v168, 24, 2
	v_and_b32_e32 v168, 0x3030303, v168
	s_waitcnt lgkmcnt(0)
	v_ashrrev_i32_e32 v170, s18, v147
	v_add_nc_u32_e32 v147, s25, v122
	v_sub_nc_u16 v180, v180, v181
	v_lshrrev_b32_e32 v181, 16, v168
	v_ashrrev_i32_e32 v176, s18, v148
	v_lshlrev_b32_e32 v170, 2, v170
	ds_load_u16 v148, v147 offset:28402
	v_add_nc_u32_e32 v147, s28, v107
	v_sub_nc_u16 v181, v181, v182
	v_lshrrev_b16 v182, 8, v168
	v_sub_nc_u16 v168, v168, v167
	v_lshrrev_b16 v167, 8, v167
	v_and_b32_e32 v170, 0x4040404, v170
	ds_load_b32 v147, v147
	ds_load_2addr_b32 v[152:153], v152 offset1:1
	ds_load_2addr_b32 v[154:155], v154 offset1:1
	v_lshlrev_b32_e32 v176, 2, v176
	v_lshlrev_b16 v174, 8, v174
	v_sub_nc_u16 v167, v182, v167
	v_bfe_u32 v182, v169, 24, 2
	v_and_b32_e32 v169, 0x3030303, v169
	v_lshrrev_b32_e32 v185, 24, v170
	v_lshrrev_b32_e32 v186, 16, v170
	v_and_b32_e32 v176, 0x4040404, v176
	v_sub_nc_u16 v182, v182, v183
	v_lshrrev_b32_e32 v183, 16, v169
	v_lshlrev_b16 v180, 8, v180
	v_lshlrev_b16 v167, 8, v167
	v_lshrrev_b32_e32 v187, 24, v176
	v_lshrrev_b32_e32 v188, 16, v176
	v_sub_nc_u16 v183, v183, v184
	v_lshrrev_b16 v184, 8, v169
	v_sub_nc_u16 v169, v169, v175
	v_lshrrev_b16 v175, 8, v175
	s_waitcnt lgkmcnt(1)
	v_ashrrev_i32_e32 v152, s18, v152
	v_ashrrev_i32_e32 v153, s18, v153
	v_lshlrev_b16 v182, 8, v182
	s_waitcnt lgkmcnt(0)
	v_ashrrev_i32_e32 v154, s18, v154
	v_sub_nc_u16 v175, v184, v175
	v_bfe_u32 v184, v158, 24, 2
	v_and_b32_e32 v158, 0x3030303, v158
	v_lshlrev_b32_e32 v152, 2, v152
	v_lshlrev_b32_e32 v153, 2, v153
	v_lshlrev_b16 v175, 8, v175
	v_sub_nc_u16 v184, v184, v185
	v_lshrrev_b32_e32 v185, 16, v158
	v_and_b32_e32 v152, 0x4040404, v152
	v_and_b32_e32 v153, 0x4040404, v153
	v_lshlrev_b32_e32 v154, 2, v154
	v_lshlrev_b16 v184, 8, v184
	v_sub_nc_u16 v185, v185, v186
	v_lshrrev_b16 v186, 8, v158
	v_sub_nc_u16 v158, v158, v170
	v_lshrrev_b16 v170, 8, v170
	v_lshrrev_b32_e32 v189, 24, v152
	v_lshrrev_b32_e32 v190, 16, v152
	;; [unrolled: 1-line block ×4, first 2 shown]
	v_sub_nc_u16 v170, v186, v170
	v_bfe_u32 v186, v171, 24, 2
	v_and_b32_e32 v171, 0x3030303, v171
	v_and_b32_e32 v154, 0x4040404, v154
	s_delay_alu instid0(VALU_DEP_4) | instskip(NEXT) | instid1(VALU_DEP_4)
	v_lshlrev_b16 v170, 8, v170
	v_sub_nc_u16 v186, v186, v187
	s_delay_alu instid0(VALU_DEP_4) | instskip(NEXT) | instid1(VALU_DEP_2)
	v_lshrrev_b32_e32 v187, 16, v171
	v_lshlrev_b16 v186, 8, v186
	s_delay_alu instid0(VALU_DEP_2) | instskip(SKIP_3) | instid1(VALU_DEP_1)
	v_sub_nc_u16 v187, v187, v188
	v_lshrrev_b16 v188, 8, v171
	v_sub_nc_u16 v171, v171, v176
	v_lshrrev_b16 v176, 8, v176
	v_sub_nc_u16 v176, v188, v176
	v_bfe_u32 v188, v161, 24, 2
	v_and_b32_e32 v161, 0x3030303, v161
	s_delay_alu instid0(VALU_DEP_3) | instskip(NEXT) | instid1(VALU_DEP_3)
	v_lshlrev_b16 v176, 8, v176
	v_sub_nc_u16 v188, v188, v189
	s_delay_alu instid0(VALU_DEP_3) | instskip(NEXT) | instid1(VALU_DEP_2)
	v_lshrrev_b32_e32 v189, 16, v161
	v_lshlrev_b16 v188, 8, v188
	s_delay_alu instid0(VALU_DEP_2) | instskip(SKIP_3) | instid1(VALU_DEP_1)
	v_sub_nc_u16 v189, v189, v190
	v_lshrrev_b16 v190, 8, v161
	v_sub_nc_u16 v161, v161, v152
	v_lshrrev_b16 v152, 8, v152
	v_sub_nc_u16 v152, v190, v152
	v_bfe_u32 v190, v172, 24, 2
	v_and_b32_e32 v172, 0x3030303, v172
	s_delay_alu instid0(VALU_DEP_3) | instskip(NEXT) | instid1(VALU_DEP_3)
	v_lshlrev_b16 v152, 8, v152
	v_sub_nc_u16 v190, v190, v191
	s_delay_alu instid0(VALU_DEP_3) | instskip(NEXT) | instid1(VALU_DEP_2)
	v_lshrrev_b32_e32 v191, 16, v172
	v_lshlrev_b16 v190, 8, v190
	s_delay_alu instid0(VALU_DEP_2) | instskip(SKIP_3) | instid1(VALU_DEP_1)
	v_sub_nc_u16 v191, v191, v192
	v_lshrrev_b16 v192, 8, v172
	v_sub_nc_u16 v172, v172, v153
	v_lshrrev_b16 v153, 8, v153
	v_sub_nc_u16 v153, v192, v153
	v_and_b32_e32 v192, 0xff, v177
	s_delay_alu instid0(VALU_DEP_2) | instskip(NEXT) | instid1(VALU_DEP_2)
	v_lshlrev_b16 v153, 8, v153
	v_or_b32_e32 v173, v192, v173
	v_and_b32_e32 v192, 0xff, v165
	s_delay_alu instid0(VALU_DEP_2) | instskip(NEXT) | instid1(VALU_DEP_2)
	v_perm_b32 v165, v165, v173, 0x4010c0c
	v_or_b32_e32 v164, v192, v164
	v_and_b32_e32 v192, 0xff, v179
	s_delay_alu instid0(VALU_DEP_2) | instskip(NEXT) | instid1(VALU_DEP_2)
	v_perm_b32 v164, v177, v164, 0xc0c0401
	v_or_b32_e32 v178, v192, v178
	v_and_b32_e32 v192, 0xff, v166
	s_delay_alu instid0(VALU_DEP_3) | instskip(NEXT) | instid1(VALU_DEP_3)
	v_or_b32_e32 v164, v165, v164
	v_perm_b32 v166, v166, v178, 0x4010c0c
	s_delay_alu instid0(VALU_DEP_3) | instskip(SKIP_1) | instid1(VALU_DEP_2)
	v_or_b32_e32 v174, v192, v174
	v_and_b32_e32 v192, 0xff, v181
	v_perm_b32 v173, v179, v174, 0xc0c0401
	s_delay_alu instid0(VALU_DEP_2) | instskip(SKIP_1) | instid1(VALU_DEP_3)
	v_or_b32_e32 v180, v192, v180
	v_and_b32_e32 v192, 0xff, v168
	v_or_b32_e32 v165, v166, v173
	s_delay_alu instid0(VALU_DEP_3) | instskip(NEXT) | instid1(VALU_DEP_3)
	v_perm_b32 v168, v168, v180, 0x4010c0c
	v_or_b32_e32 v167, v192, v167
	v_and_b32_e32 v192, 0xff, v183
	s_delay_alu instid0(VALU_DEP_2) | instskip(NEXT) | instid1(VALU_DEP_2)
	v_perm_b32 v167, v181, v167, 0xc0c0401
	v_or_b32_e32 v182, v192, v182
	v_and_b32_e32 v192, 0xff, v169
	s_delay_alu instid0(VALU_DEP_3) | instskip(NEXT) | instid1(VALU_DEP_3)
	v_or_b32_e32 v166, v168, v167
	v_perm_b32 v169, v169, v182, 0x4010c0c
	s_delay_alu instid0(VALU_DEP_3) | instskip(SKIP_1) | instid1(VALU_DEP_2)
	v_or_b32_e32 v175, v192, v175
	v_and_b32_e32 v192, 0xff, v185
	v_perm_b32 v174, v183, v175, 0xc0c0401
	s_delay_alu instid0(VALU_DEP_2) | instskip(SKIP_1) | instid1(VALU_DEP_3)
	v_or_b32_e32 v184, v192, v184
	v_and_b32_e32 v192, 0xff, v158
	v_or_b32_e32 v167, v169, v174
	s_delay_alu instid0(VALU_DEP_3) | instskip(NEXT) | instid1(VALU_DEP_3)
	v_perm_b32 v158, v158, v184, 0x4010c0c
	v_or_b32_e32 v170, v192, v170
	v_and_b32_e32 v192, 0xff, v187
	v_lshrrev_b32_e32 v169, 24, v29
	s_delay_alu instid0(VALU_DEP_3) | instskip(NEXT) | instid1(VALU_DEP_3)
	v_perm_b32 v170, v185, v170, 0xc0c0401
	v_or_b32_e32 v186, v192, v186
	v_and_b32_e32 v192, 0xff, v171
	s_delay_alu instid0(VALU_DEP_3) | instskip(NEXT) | instid1(VALU_DEP_3)
	v_or_b32_e32 v158, v158, v170
	v_perm_b32 v171, v171, v186, 0x4010c0c
	s_delay_alu instid0(VALU_DEP_3) | instskip(SKIP_3) | instid1(VALU_DEP_4)
	v_or_b32_e32 v176, v192, v176
	v_and_b32_e32 v192, 0xff, v189
	v_lshrrev_b32_e32 v170, 16, v29
	v_dot4_i32_iu8 v158, v158, v156, 0 neg_lo:[1,1,0]
	v_perm_b32 v175, v187, v176, 0xc0c0401
	s_delay_alu instid0(VALU_DEP_4) | instskip(SKIP_1) | instid1(VALU_DEP_3)
	v_or_b32_e32 v188, v192, v188
	v_and_b32_e32 v192, 0xff, v161
	v_or_b32_e32 v168, v171, v175
	s_delay_alu instid0(VALU_DEP_3) | instskip(NEXT) | instid1(VALU_DEP_3)
	v_perm_b32 v161, v161, v188, 0x4010c0c
	v_or_b32_e32 v152, v192, v152
	v_and_b32_e32 v192, 0xff, v191
	s_delay_alu instid0(VALU_DEP_4) | instskip(SKIP_1) | instid1(VALU_DEP_4)
	v_dot4_i32_iu8 v158, v168, v157, v158 neg_lo:[1,1,0]
	v_lshrrev_b32_e32 v168, 16, v27
	v_perm_b32 v152, v189, v152, 0xc0c0401
	s_delay_alu instid0(VALU_DEP_4) | instskip(SKIP_1) | instid1(VALU_DEP_3)
	v_or_b32_e32 v190, v192, v190
	v_and_b32_e32 v192, 0xff, v172
	v_or_b32_e32 v152, v161, v152
	s_delay_alu instid0(VALU_DEP_3) | instskip(NEXT) | instid1(VALU_DEP_3)
	v_perm_b32 v172, v172, v190, 0x4010c0c
	v_or_b32_e32 v153, v192, v153
	v_dot4_i32_iu8 v161, v164, v156, 0 neg_lo:[1,1,0]
	v_dot4_i32_iu8 v164, v166, v156, 0 neg_lo:[1,1,0]
	;; [unrolled: 1-line block ×3, first 2 shown]
	v_lshrrev_b32_e32 v166, 16, v25
	v_perm_b32 v153, v191, v153, 0xc0c0401
	v_dot4_i32_iu8 v156, v165, v157, v161 neg_lo:[1,1,0]
	v_dot4_i32_iu8 v161, v167, v157, v164 neg_lo:[1,1,0]
	v_lshrrev_b32_e32 v164, 16, v23
	v_lshrrev_b32_e32 v165, 24, v25
	v_or_b32_e32 v153, v172, v153
	v_lshrrev_b32_e32 v167, 24, v27
	s_delay_alu instid0(VALU_DEP_2) | instskip(SKIP_3) | instid1(VALU_DEP_2)
	v_dot4_i32_iu8 v152, v153, v157, v152 neg_lo:[1,1,0]
	v_bfe_u32 v153, v15, 24, 2
	v_lshrrev_b32_e32 v157, 24, v23
	v_and_b32_e32 v15, 0x3030303, v15
	v_sub_nc_u16 v153, v153, v157
	s_delay_alu instid0(VALU_DEP_2) | instskip(NEXT) | instid1(VALU_DEP_2)
	v_lshrrev_b32_e32 v157, 16, v15
	v_lshlrev_b16 v153, 8, v153
	s_delay_alu instid0(VALU_DEP_2) | instskip(SKIP_3) | instid1(VALU_DEP_1)
	v_sub_nc_u16 v157, v157, v164
	v_lshrrev_b16 v164, 8, v15
	v_sub_nc_u16 v15, v15, v23
	v_lshrrev_b16 v23, 8, v23
	v_sub_nc_u16 v23, v164, v23
	v_bfe_u32 v164, v17, 24, 2
	v_and_b32_e32 v17, 0x3030303, v17
	s_delay_alu instid0(VALU_DEP_3) | instskip(NEXT) | instid1(VALU_DEP_3)
	v_lshlrev_b16 v23, 8, v23
	v_sub_nc_u16 v164, v164, v165
	s_delay_alu instid0(VALU_DEP_3) | instskip(NEXT) | instid1(VALU_DEP_2)
	v_lshrrev_b32_e32 v165, 16, v17
	v_lshlrev_b16 v164, 8, v164
	s_delay_alu instid0(VALU_DEP_2) | instskip(SKIP_3) | instid1(VALU_DEP_1)
	v_sub_nc_u16 v165, v165, v166
	v_lshrrev_b16 v166, 8, v17
	v_sub_nc_u16 v17, v17, v25
	v_lshrrev_b16 v25, 8, v25
	v_sub_nc_u16 v25, v166, v25
	v_bfe_u32 v166, v19, 24, 2
	v_and_b32_e32 v19, 0x3030303, v19
	s_delay_alu instid0(VALU_DEP_3) | instskip(NEXT) | instid1(VALU_DEP_3)
	v_lshlrev_b16 v25, 8, v25
	v_sub_nc_u16 v166, v166, v167
	s_delay_alu instid0(VALU_DEP_3) | instskip(NEXT) | instid1(VALU_DEP_2)
	;; [unrolled: 14-line block ×3, first 2 shown]
	v_lshrrev_b32_e32 v169, 16, v21
	v_lshlrev_b16 v168, 8, v168
	s_delay_alu instid0(VALU_DEP_2) | instskip(SKIP_3) | instid1(VALU_DEP_1)
	v_sub_nc_u16 v169, v169, v170
	v_lshrrev_b16 v170, 8, v21
	v_sub_nc_u16 v21, v21, v29
	v_lshrrev_b16 v29, 8, v29
	v_sub_nc_u16 v29, v170, v29
	v_and_b32_e32 v170, 0xff, v157
	s_delay_alu instid0(VALU_DEP_2) | instskip(NEXT) | instid1(VALU_DEP_2)
	v_lshlrev_b16 v29, 8, v29
	v_or_b32_e32 v153, v170, v153
	v_and_b32_e32 v170, 0xff, v15
	s_delay_alu instid0(VALU_DEP_2) | instskip(NEXT) | instid1(VALU_DEP_2)
	v_perm_b32 v15, v15, v153, 0x4010c0c
	v_or_b32_e32 v23, v170, v23
	v_and_b32_e32 v170, 0xff, v165
	v_lshrrev_b32_e32 v153, 24, v6
	s_delay_alu instid0(VALU_DEP_3) | instskip(NEXT) | instid1(VALU_DEP_3)
	v_perm_b32 v23, v157, v23, 0xc0c0401
	v_or_b32_e32 v164, v170, v164
	v_and_b32_e32 v170, 0xff, v17
	v_lshrrev_b32_e32 v157, 16, v6
	s_delay_alu instid0(VALU_DEP_4) | instskip(NEXT) | instid1(VALU_DEP_4)
	v_or_b32_e32 v15, v15, v23
	v_perm_b32 v17, v17, v164, 0x4010c0c
	s_delay_alu instid0(VALU_DEP_4)
	v_or_b32_e32 v25, v170, v25
	v_and_b32_e32 v170, 0xff, v167
	v_bfe_u32 v23, v11, 24, 2
	v_and_b32_e32 v11, 0x3030303, v11
	v_dot4_i32_iu8 v15, v15, v149, v162 neg_lo:[1,1,0]
	v_perm_b32 v25, v165, v25, 0xc0c0401
	v_or_b32_e32 v166, v170, v166
	v_and_b32_e32 v170, 0xff, v19
	s_delay_alu instid0(VALU_DEP_3) | instskip(NEXT) | instid1(VALU_DEP_3)
	v_or_b32_e32 v17, v17, v25
	v_perm_b32 v19, v19, v166, 0x4010c0c
	s_delay_alu instid0(VALU_DEP_3) | instskip(SKIP_3) | instid1(VALU_DEP_4)
	v_or_b32_e32 v27, v170, v27
	v_lshrrev_b32_e32 v25, 24, v2
	v_and_b32_e32 v170, 0xff, v169
	v_dot4_i32_iu8 v17, v17, v149, v163 neg_lo:[1,1,0]
	v_perm_b32 v27, v167, v27, 0xc0c0401
	s_delay_alu instid0(VALU_DEP_4)
	v_sub_nc_u16 v23, v23, v25
	v_lshrrev_b32_e32 v25, 16, v11
	v_or_b32_e32 v168, v170, v168
	v_and_b32_e32 v170, 0xff, v21
	v_or_b32_e32 v19, v19, v27
	v_lshrrev_b32_e32 v27, 16, v2
	v_lshlrev_b16 v23, 8, v23
	v_perm_b32 v21, v21, v168, 0x4010c0c
	v_or_b32_e32 v29, v170, v29
	v_dot4_i32_iu8 v19, v19, v149, v159 neg_lo:[1,1,0]
	v_sub_nc_u16 v25, v25, v27
	v_lshrrev_b16 v27, 8, v11
	v_sub_nc_u16 v11, v11, v2
	v_lshrrev_b16 v2, 8, v2
	v_perm_b32 v29, v169, v29, 0xc0c0401
	v_lshrrev_b32_e32 v159, 24, v154
	s_delay_alu instid0(VALU_DEP_3) | instskip(SKIP_1) | instid1(VALU_DEP_4)
	v_sub_nc_u16 v2, v27, v2
	v_ashrrev_i32_e32 v27, s18, v150
	v_or_b32_e32 v21, v21, v29
	v_bfe_u32 v29, v4, 24, 2
	v_and_b32_e32 v4, 0x3030303, v4
	v_lshlrev_b16 v2, 8, v2
	v_lshlrev_b32_e32 v27, 2, v27
	v_dot4_i32_iu8 v21, v21, v149, v160 neg_lo:[1,1,0]
	v_lshrrev_b32_e32 v160, 16, v154
	s_delay_alu instid0(VALU_DEP_3) | instskip(NEXT) | instid1(VALU_DEP_1)
	v_and_b32_e32 v27, 0x4040404, v27
	v_lshrrev_b32_e32 v149, 24, v27
	v_lshrrev_b32_e32 v150, 16, v27
	s_delay_alu instid0(VALU_DEP_2) | instskip(SKIP_1) | instid1(VALU_DEP_2)
	v_sub_nc_u16 v29, v29, v149
	v_lshrrev_b32_e32 v149, 16, v4
	v_lshlrev_b16 v29, 8, v29
	s_delay_alu instid0(VALU_DEP_2) | instskip(SKIP_3) | instid1(VALU_DEP_1)
	v_sub_nc_u16 v149, v149, v150
	v_lshrrev_b16 v150, 8, v4
	v_sub_nc_u16 v4, v4, v27
	v_lshrrev_b16 v27, 8, v27
	v_sub_nc_u16 v27, v150, v27
	v_bfe_u32 v150, v0, 24, 2
	v_and_b32_e32 v0, 0x3030303, v0
	s_delay_alu instid0(VALU_DEP_3) | instskip(NEXT) | instid1(VALU_DEP_3)
	v_lshlrev_b16 v27, 8, v27
	v_sub_nc_u16 v150, v150, v153
	s_delay_alu instid0(VALU_DEP_3) | instskip(NEXT) | instid1(VALU_DEP_2)
	v_lshrrev_b32_e32 v153, 16, v0
	v_lshlrev_b16 v150, 8, v150
	s_delay_alu instid0(VALU_DEP_2) | instskip(SKIP_3) | instid1(VALU_DEP_1)
	v_sub_nc_u16 v153, v153, v157
	v_lshrrev_b16 v157, 8, v0
	v_sub_nc_u16 v0, v0, v6
	v_lshrrev_b16 v6, 8, v6
	v_sub_nc_u16 v6, v157, v6
	v_bfe_u32 v157, v13, 24, 2
	v_and_b32_e32 v13, 0x3030303, v13
	s_delay_alu instid0(VALU_DEP_3) | instskip(NEXT) | instid1(VALU_DEP_3)
	v_lshlrev_b16 v6, 8, v6
	v_sub_nc_u16 v157, v157, v159
	s_delay_alu instid0(VALU_DEP_3) | instskip(NEXT) | instid1(VALU_DEP_2)
	v_lshrrev_b32_e32 v159, 16, v13
	v_lshlrev_b16 v157, 8, v157
	s_delay_alu instid0(VALU_DEP_2) | instskip(SKIP_3) | instid1(VALU_DEP_1)
	v_sub_nc_u16 v159, v159, v160
	v_lshrrev_b16 v160, 8, v13
	v_sub_nc_u16 v13, v13, v154
	v_lshrrev_b16 v154, 8, v154
	v_sub_nc_u16 v154, v160, v154
	v_and_b32_e32 v160, 0xff, v25
	s_delay_alu instid0(VALU_DEP_2) | instskip(NEXT) | instid1(VALU_DEP_2)
	v_lshlrev_b16 v154, 8, v154
	v_or_b32_e32 v23, v160, v23
	v_and_b32_e32 v160, 0xff, v11
	s_delay_alu instid0(VALU_DEP_2) | instskip(NEXT) | instid1(VALU_DEP_2)
	v_perm_b32 v11, v11, v23, 0x4010c0c
	v_or_b32_e32 v2, v160, v2
	v_and_b32_e32 v160, 0xff, v149
	s_delay_alu instid0(VALU_DEP_2) | instskip(NEXT) | instid1(VALU_DEP_2)
	v_perm_b32 v2, v25, v2, 0xc0c0401
	v_or_b32_e32 v29, v160, v29
	v_and_b32_e32 v160, 0xff, v4
	s_delay_alu instid0(VALU_DEP_3) | instskip(SKIP_1) | instid1(VALU_DEP_3)
	v_or_b32_e32 v2, v11, v2
	v_ashrrev_i32_e32 v11, s24, v16
	v_or_b32_e32 v27, v160, v27
	v_and_b32_e32 v160, 0xff, v153
	v_ashrrev_i32_e32 v16, s24, v20
	v_ashrrev_i32_e32 v20, s18, v24
	v_perm_b32 v4, v4, v29, 0x4010c0c
	v_perm_b32 v23, v149, v27, 0xc0c0401
	v_or_b32_e32 v150, v160, v150
	v_and_b32_e32 v160, 0xff, v0
	v_lshlrev_b32_e32 v20, 2, v20
	v_ashrrev_i32_e32 v24, s18, v30
	v_or_b32_e32 v4, v4, v23
	v_perm_b32 v0, v0, v150, 0x4010c0c
	v_or_b32_e32 v6, v160, v6
	v_and_b32_e32 v160, 0xff, v159
	v_and_b32_e32 v20, 0x4040404, v20
	v_ashrrev_i32_e32 v23, s18, v28
	v_dot4_i32_iu8 v2, v2, v144, v156 neg_lo:[1,1,0]
	v_perm_b32 v6, v153, v6, 0xc0c0401
	v_or_b32_e32 v157, v160, v157
	v_and_b32_e32 v160, 0xff, v13
	v_lshrrev_b32_e32 v27, 16, v20
	v_lshlrev_b32_e32 v23, 2, v23
	v_or_b32_e32 v0, v0, v6
	v_perm_b32 v13, v13, v157, 0x4010c0c
	v_or_b32_e32 v154, v160, v154
	v_dot4_i32_iu8 v4, v4, v144, v161 neg_lo:[1,1,0]
	v_and_b32_e32 v23, 0x4040404, v23
	v_dot4_i32_iu8 v0, v0, v144, v158 neg_lo:[1,1,0]
	v_lshlrev_b32_e32 v24, 2, v24
	v_perm_b32 v25, v159, v154, 0xc0c0401
	s_delay_alu instid0(VALU_DEP_4) | instskip(NEXT) | instid1(VALU_DEP_3)
	v_lshrrev_b32_e32 v30, 24, v23
	v_and_b32_e32 v24, 0x4040404, v24
	s_delay_alu instid0(VALU_DEP_3)
	v_or_b32_e32 v6, v13, v25
	v_ashrrev_i32_e32 v13, s24, v18
	v_ashrrev_i32_e32 v18, s24, v22
	;; [unrolled: 1-line block ×3, first 2 shown]
	v_bfe_u32 v25, v11, 24, 2
	v_lshrrev_b32_e32 v26, 24, v20
	v_and_b32_e32 v11, 0x3030303, v11
	v_dot4_i32_iu8 v6, v6, v144, v152 neg_lo:[1,1,0]
	v_lshlrev_b32_e32 v22, 2, v22
	v_lshrrev_b32_e32 v144, 16, v23
	v_sub_nc_u16 v25, v25, v26
	v_lshrrev_b32_e32 v26, 16, v11
	v_lshrrev_b32_e32 v149, 24, v24
	v_and_b32_e32 v22, 0x4040404, v22
	v_lshrrev_b32_e32 v150, 16, v24
	v_lshlrev_b16 v25, 8, v25
	v_sub_nc_u16 v26, v26, v27
	v_lshrrev_b16 v27, 8, v11
	v_sub_nc_u16 v11, v11, v20
	v_lshrrev_b16 v20, 8, v20
	v_lshrrev_b32_e32 v28, 24, v22
	v_lshrrev_b32_e32 v29, 16, v22
	s_delay_alu instid0(VALU_DEP_3) | instskip(SKIP_2) | instid1(VALU_DEP_3)
	v_sub_nc_u16 v20, v27, v20
	v_bfe_u32 v27, v13, 24, 2
	v_and_b32_e32 v13, 0x3030303, v13
	v_lshlrev_b16 v20, 8, v20
	s_delay_alu instid0(VALU_DEP_3) | instskip(NEXT) | instid1(VALU_DEP_3)
	v_sub_nc_u16 v27, v27, v28
	v_lshrrev_b32_e32 v28, 16, v13
	s_delay_alu instid0(VALU_DEP_2) | instskip(NEXT) | instid1(VALU_DEP_2)
	v_lshlrev_b16 v27, 8, v27
	v_sub_nc_u16 v28, v28, v29
	v_lshrrev_b16 v29, 8, v13
	v_sub_nc_u16 v13, v13, v22
	v_lshrrev_b16 v22, 8, v22
	s_delay_alu instid0(VALU_DEP_1) | instskip(SKIP_2) | instid1(VALU_DEP_3)
	v_sub_nc_u16 v22, v29, v22
	v_bfe_u32 v29, v16, 24, 2
	v_and_b32_e32 v16, 0x3030303, v16
	v_lshlrev_b16 v22, 8, v22
	s_delay_alu instid0(VALU_DEP_3) | instskip(NEXT) | instid1(VALU_DEP_3)
	v_sub_nc_u16 v29, v29, v30
	v_lshrrev_b32_e32 v30, 16, v16
	s_delay_alu instid0(VALU_DEP_2) | instskip(NEXT) | instid1(VALU_DEP_2)
	v_lshlrev_b16 v29, 8, v29
	v_sub_nc_u16 v30, v30, v144
	v_lshrrev_b16 v144, 8, v16
	v_sub_nc_u16 v16, v16, v23
	v_lshrrev_b16 v23, 8, v23
	s_delay_alu instid0(VALU_DEP_1) | instskip(SKIP_2) | instid1(VALU_DEP_3)
	v_sub_nc_u16 v23, v144, v23
	v_bfe_u32 v144, v18, 24, 2
	v_and_b32_e32 v18, 0x3030303, v18
	v_lshlrev_b16 v23, 8, v23
	s_delay_alu instid0(VALU_DEP_3) | instskip(NEXT) | instid1(VALU_DEP_3)
	v_sub_nc_u16 v144, v144, v149
	v_lshrrev_b32_e32 v149, 16, v18
	s_delay_alu instid0(VALU_DEP_2) | instskip(NEXT) | instid1(VALU_DEP_2)
	v_lshlrev_b16 v144, 8, v144
	v_sub_nc_u16 v149, v149, v150
	v_lshrrev_b16 v150, 8, v18
	v_sub_nc_u16 v18, v18, v24
	v_lshrrev_b16 v24, 8, v24
	s_delay_alu instid0(VALU_DEP_1) | instskip(SKIP_1) | instid1(VALU_DEP_2)
	v_sub_nc_u16 v24, v150, v24
	v_and_b32_e32 v150, 0xff, v26
	v_lshlrev_b16 v24, 8, v24
	s_delay_alu instid0(VALU_DEP_2) | instskip(SKIP_1) | instid1(VALU_DEP_2)
	v_or_b32_e32 v25, v150, v25
	v_and_b32_e32 v150, 0xff, v11
	v_perm_b32 v11, v11, v25, 0x4010c0c
	s_delay_alu instid0(VALU_DEP_2) | instskip(SKIP_2) | instid1(VALU_DEP_3)
	v_or_b32_e32 v20, v150, v20
	v_and_b32_e32 v150, 0xff, v28
	v_lshrrev_b32_e32 v25, 16, v7
	v_perm_b32 v20, v26, v20, 0xc0c0401
	s_delay_alu instid0(VALU_DEP_3) | instskip(SKIP_1) | instid1(VALU_DEP_3)
	v_or_b32_e32 v27, v150, v27
	v_and_b32_e32 v150, 0xff, v13
	v_or_b32_e32 v11, v11, v20
	s_delay_alu instid0(VALU_DEP_3) | instskip(NEXT) | instid1(VALU_DEP_3)
	v_perm_b32 v13, v13, v27, 0x4010c0c
	v_or_b32_e32 v22, v150, v22
	v_and_b32_e32 v150, 0xff, v30
	v_lshrrev_b32_e32 v20, 24, v3
	v_dot4_i32_iu8 v11, v11, v143, v15 neg_lo:[1,1,0]
	s_delay_alu instid0(VALU_DEP_4) | instskip(NEXT) | instid1(VALU_DEP_4)
	v_perm_b32 v22, v28, v22, 0xc0c0401
	v_or_b32_e32 v29, v150, v29
	v_and_b32_e32 v150, 0xff, v16
	s_delay_alu instid0(VALU_DEP_3) | instskip(NEXT) | instid1(VALU_DEP_3)
	v_or_b32_e32 v13, v13, v22
	v_perm_b32 v16, v16, v29, 0x4010c0c
	s_delay_alu instid0(VALU_DEP_3) | instskip(SKIP_1) | instid1(VALU_DEP_4)
	v_or_b32_e32 v23, v150, v23
	v_and_b32_e32 v150, 0xff, v149
	v_dot4_i32_iu8 v13, v13, v143, v17 neg_lo:[1,1,0]
	v_ashrrev_i32_e32 v17, s18, v151
	s_delay_alu instid0(VALU_DEP_4) | instskip(NEXT) | instid1(VALU_DEP_4)
	v_perm_b32 v23, v30, v23, 0xc0c0401
	v_or_b32_e32 v144, v150, v144
	v_and_b32_e32 v150, 0xff, v18
	s_delay_alu instid0(VALU_DEP_4) | instskip(NEXT) | instid1(VALU_DEP_4)
	v_lshlrev_b32_e32 v17, 2, v17
	v_or_b32_e32 v16, v16, v23
	s_delay_alu instid0(VALU_DEP_4) | instskip(NEXT) | instid1(VALU_DEP_4)
	v_perm_b32 v18, v18, v144, 0x4010c0c
	v_or_b32_e32 v24, v150, v24
	s_delay_alu instid0(VALU_DEP_4) | instskip(NEXT) | instid1(VALU_DEP_4)
	v_and_b32_e32 v17, 0x4040404, v17
	v_dot4_i32_iu8 v15, v16, v143, v19 neg_lo:[1,1,0]
	v_bfe_u32 v19, v12, 24, 2
	s_delay_alu instid0(VALU_DEP_4)
	v_perm_b32 v24, v149, v24, 0xc0c0401
	v_and_b32_e32 v12, 0x3030303, v12
	v_lshrrev_b32_e32 v22, 24, v17
	v_lshrrev_b32_e32 v23, 16, v17
	v_sub_nc_u16 v19, v19, v20
	v_or_b32_e32 v18, v18, v24
	v_lshrrev_b32_e32 v20, 16, v12
	v_lshrrev_b32_e32 v24, 24, v7
	s_delay_alu instid0(VALU_DEP_4) | instskip(NEXT) | instid1(VALU_DEP_4)
	v_lshlrev_b16 v19, 8, v19
	v_dot4_i32_iu8 v16, v18, v143, v21 neg_lo:[1,1,0]
	v_lshrrev_b32_e32 v21, 16, v3
	v_ashrrev_i32_e32 v18, s18, v155
	s_add_i32 s18, s18, 1
	s_cmp_lt_u32 s19, 30
	s_delay_alu instid0(VALU_DEP_2) | instskip(SKIP_4) | instid1(VALU_DEP_2)
	v_sub_nc_u16 v20, v20, v21
	v_lshrrev_b16 v21, 8, v12
	v_sub_nc_u16 v12, v12, v3
	v_lshrrev_b16 v3, 8, v3
	v_lshlrev_b32_e32 v18, 2, v18
	v_sub_nc_u16 v3, v21, v3
	v_bfe_u32 v21, v5, 24, 2
	v_and_b32_e32 v5, 0x3030303, v5
	s_delay_alu instid0(VALU_DEP_4) | instskip(NEXT) | instid1(VALU_DEP_4)
	v_and_b32_e32 v18, 0x4040404, v18
	v_lshlrev_b16 v3, 8, v3
	s_delay_alu instid0(VALU_DEP_4) | instskip(NEXT) | instid1(VALU_DEP_4)
	v_sub_nc_u16 v21, v21, v22
	v_lshrrev_b32_e32 v22, 16, v5
	s_delay_alu instid0(VALU_DEP_4) | instskip(SKIP_1) | instid1(VALU_DEP_4)
	v_lshrrev_b32_e32 v26, 24, v18
	v_lshrrev_b32_e32 v27, 16, v18
	v_lshlrev_b16 v21, 8, v21
	s_delay_alu instid0(VALU_DEP_4) | instskip(SKIP_3) | instid1(VALU_DEP_1)
	v_sub_nc_u16 v22, v22, v23
	v_lshrrev_b16 v23, 8, v5
	v_sub_nc_u16 v5, v5, v17
	v_lshrrev_b16 v17, 8, v17
	v_sub_nc_u16 v17, v23, v17
	v_bfe_u32 v23, v1, 24, 2
	v_and_b32_e32 v1, 0x3030303, v1
	s_delay_alu instid0(VALU_DEP_3) | instskip(NEXT) | instid1(VALU_DEP_3)
	v_lshlrev_b16 v17, 8, v17
	v_sub_nc_u16 v23, v23, v24
	s_delay_alu instid0(VALU_DEP_3) | instskip(NEXT) | instid1(VALU_DEP_2)
	v_lshrrev_b32_e32 v24, 16, v1
	v_lshlrev_b16 v23, 8, v23
	s_delay_alu instid0(VALU_DEP_2) | instskip(SKIP_3) | instid1(VALU_DEP_1)
	v_sub_nc_u16 v24, v24, v25
	v_lshrrev_b16 v25, 8, v1
	v_sub_nc_u16 v1, v1, v7
	v_lshrrev_b16 v7, 8, v7
	v_sub_nc_u16 v7, v25, v7
	v_bfe_u32 v25, v14, 24, 2
	v_and_b32_e32 v14, 0x3030303, v14
	s_delay_alu instid0(VALU_DEP_3) | instskip(NEXT) | instid1(VALU_DEP_3)
	v_lshlrev_b16 v7, 8, v7
	v_sub_nc_u16 v25, v25, v26
	s_delay_alu instid0(VALU_DEP_3) | instskip(NEXT) | instid1(VALU_DEP_2)
	v_lshrrev_b32_e32 v26, 16, v14
	v_lshlrev_b16 v25, 8, v25
	s_delay_alu instid0(VALU_DEP_2) | instskip(SKIP_3) | instid1(VALU_DEP_1)
	v_sub_nc_u16 v26, v26, v27
	v_lshrrev_b16 v27, 8, v14
	v_sub_nc_u16 v14, v14, v18
	v_lshrrev_b16 v18, 8, v18
	v_sub_nc_u16 v18, v27, v18
	v_and_b32_e32 v27, 0xff, v20
	s_delay_alu instid0(VALU_DEP_2) | instskip(NEXT) | instid1(VALU_DEP_2)
	v_lshlrev_b16 v18, 8, v18
	v_or_b32_e32 v19, v27, v19
	v_and_b32_e32 v27, 0xff, v12
	s_delay_alu instid0(VALU_DEP_2) | instskip(NEXT) | instid1(VALU_DEP_2)
	v_perm_b32 v12, v12, v19, 0x4010c0c
	v_or_b32_e32 v3, v27, v3
	v_and_b32_e32 v27, 0xff, v22
	s_delay_alu instid0(VALU_DEP_2) | instskip(NEXT) | instid1(VALU_DEP_2)
	v_perm_b32 v3, v20, v3, 0xc0c0401
	v_or_b32_e32 v21, v27, v21
	v_and_b32_e32 v27, 0xff, v5
	s_delay_alu instid0(VALU_DEP_3) | instskip(NEXT) | instid1(VALU_DEP_3)
	v_or_b32_e32 v3, v12, v3
	v_perm_b32 v5, v5, v21, 0x4010c0c
	s_delay_alu instid0(VALU_DEP_3) | instskip(SKIP_1) | instid1(VALU_DEP_2)
	v_or_b32_e32 v17, v27, v17
	v_and_b32_e32 v27, 0xff, v24
	v_perm_b32 v17, v22, v17, 0xc0c0401
	s_delay_alu instid0(VALU_DEP_2) | instskip(SKIP_1) | instid1(VALU_DEP_3)
	v_or_b32_e32 v23, v27, v23
	v_and_b32_e32 v27, 0xff, v1
	v_or_b32_e32 v5, v5, v17
	s_delay_alu instid0(VALU_DEP_3) | instskip(NEXT) | instid1(VALU_DEP_3)
	v_perm_b32 v1, v1, v23, 0x4010c0c
	v_or_b32_e32 v7, v27, v7
	v_and_b32_e32 v27, 0xff, v26
	v_dot4_i32_iu8 v17, v3, v140, v2 neg_lo:[1,1,0]
	v_dot4_i32_iu8 v19, v5, v140, v4 neg_lo:[1,1,0]
	v_bfe_i32 v4, v146, 0, 8
	v_perm_b32 v7, v24, v7, 0xc0c0401
	v_or_b32_e32 v25, v27, v25
	v_and_b32_e32 v27, 0xff, v14
	v_bfe_i32 v5, v148, 0, 8
	s_delay_alu instid0(VALU_DEP_4) | instskip(NEXT) | instid1(VALU_DEP_4)
	v_or_b32_e32 v1, v1, v7
	v_perm_b32 v14, v14, v25, 0x4010c0c
	s_delay_alu instid0(VALU_DEP_4) | instskip(SKIP_1) | instid1(VALU_DEP_4)
	v_or_b32_e32 v18, v27, v18
	v_add_nc_u32_e32 v7, s25, v125
	v_dot4_i32_iu8 v20, v1, v140, v0 neg_lo:[1,1,0]
	s_delay_alu instid0(VALU_DEP_3) | instskip(NEXT) | instid1(VALU_DEP_1)
	v_perm_b32 v18, v26, v18, 0xc0c0401
	v_or_b32_e32 v12, v14, v18
	v_add_nc_u32_e32 v14, s25, v123
	ds_load_u16 v7, v7 offset:25330
	ds_load_u16 v14, v14 offset:27378
	ds_load_b32 v18, v139
	v_dot4_i32_iu8 v12, v12, v140, v6 neg_lo:[1,1,0]
	v_add_nc_u32_e32 v139, 4, v139
	s_mov_b32 s25, s19
	s_waitcnt lgkmcnt(2)
	v_bfe_i32 v1, v7, 0, 8
	s_waitcnt lgkmcnt(1)
	v_lshrrev_b16 v0, 8, v14
	v_bfe_i32 v3, v14, 0, 8
	v_lshrrev_b16 v2, 8, v7
	s_delay_alu instid0(VALU_DEP_3) | instskip(SKIP_1) | instid1(VALU_DEP_3)
	v_bfe_i32 v14, v0, 0, 8
	v_lshrrev_b16 v0, 8, v146
	v_bfe_i32 v7, v2, 0, 8
	v_lshrrev_b16 v2, 8, v148
	s_delay_alu instid0(VALU_DEP_3) | instskip(SKIP_2) | instid1(VALU_DEP_4)
	v_bfe_i32 v21, v0, 0, 8
	v_mul_lo_u32 v0, v11, v1
	v_mul_lo_u32 v1, v13, v4
	v_bfe_i32 v22, v2, 0, 8
	v_mul_lo_u32 v2, v15, v3
	v_mul_lo_u32 v3, v16, v5
	s_delay_alu instid0(VALU_DEP_4) | instskip(NEXT) | instid1(VALU_DEP_3)
	v_mad_u64_u32 v[4:5], null, v17, v7, v[0:1]
	v_mad_u64_u32 v[5:6], null, v19, v21, v[1:2]
	s_delay_alu instid0(VALU_DEP_3)
	v_mad_u64_u32 v[0:1], null, v20, v14, v[2:3]
	s_waitcnt lgkmcnt(0)
	v_mul_f32_e32 v6, v18, v145
	v_mul_f32_e32 v7, v18, v147
	v_mad_u64_u32 v[1:2], null, v12, v22, v[3:4]
	v_mul_f32_e32 v2, v18, v141
	v_mul_f32_e32 v3, v18, v142
	v_cvt_f32_i32_e32 v4, v4
	v_cvt_f32_i32_e32 v5, v5
	v_cvt_f32_i32_e32 v0, v0
	v_cvt_f32_i32_e32 v1, v1
	s_delay_alu instid0(VALU_DEP_4) | instskip(NEXT) | instid1(VALU_DEP_3)
	v_fmac_f32_e32 v33, v2, v4
	v_dual_fmac_f32 v98, v6, v5 :: v_dual_fmac_f32 v95, v3, v0
	s_delay_alu instid0(VALU_DEP_3)
	v_fmac_f32_e32 v8, v7, v1
	s_cbranch_scc1 .LBB189_36
; %bb.37:                               ;   in Loop: Header=BB189_5 Depth=1
	s_barrier
	buffer_gl0_inv
	s_branch .LBB189_4
.LBB189_38:
	s_mul_i32 s0, s7, s4
	s_waitcnt vmcnt(0)
	v_cmp_gt_i32_e32 vcc_lo, s0, v31
	s_and_saveexec_b32 s0, vcc_lo
	s_cbranch_execz .LBB189_47
; %bb.39:
	v_mul_lo_u32 v0, v31, s6
	v_add_nc_u32_e32 v1, s20, v32
	s_mov_b32 s0, exec_lo
	s_delay_alu instid0(VALU_DEP_1)
	v_cmpx_gt_u32_e64 s6, v1
	s_cbranch_execz .LBB189_41
; %bb.40:
	s_delay_alu instid0(VALU_DEP_3) | instskip(NEXT) | instid1(VALU_DEP_1)
	v_dual_mov_b32 v3, 0 :: v_dual_add_nc_u32 v2, v0, v1
	v_lshlrev_b64 v[2:3], 2, v[2:3]
	s_delay_alu instid0(VALU_DEP_1) | instskip(NEXT) | instid1(VALU_DEP_2)
	v_add_co_u32 v2, vcc_lo, s8, v2
	v_add_co_ci_u32_e32 v3, vcc_lo, s9, v3, vcc_lo
	global_store_b32 v[2:3], v33, off
.LBB189_41:
	s_or_b32 exec_lo, exec_lo, s0
	v_add_nc_u32_e32 v2, 32, v1
	s_mov_b32 s0, exec_lo
	s_delay_alu instid0(VALU_DEP_1)
	v_cmpx_gt_u32_e64 s6, v2
	s_cbranch_execz .LBB189_43
; %bb.42:
	v_dual_mov_b32 v3, 0 :: v_dual_add_nc_u32 v2, v0, v2
	s_delay_alu instid0(VALU_DEP_1) | instskip(NEXT) | instid1(VALU_DEP_1)
	v_lshlrev_b64 v[2:3], 2, v[2:3]
	v_add_co_u32 v2, vcc_lo, s8, v2
	s_delay_alu instid0(VALU_DEP_2)
	v_add_co_ci_u32_e32 v3, vcc_lo, s9, v3, vcc_lo
	global_store_b32 v[2:3], v98, off
.LBB189_43:
	s_or_b32 exec_lo, exec_lo, s0
	v_add_nc_u32_e32 v2, 64, v1
	s_mov_b32 s0, exec_lo
	s_delay_alu instid0(VALU_DEP_1)
	v_cmpx_gt_u32_e64 s6, v2
	s_cbranch_execz .LBB189_45
; %bb.44:
	v_dual_mov_b32 v3, 0 :: v_dual_add_nc_u32 v2, v0, v2
	s_delay_alu instid0(VALU_DEP_1) | instskip(NEXT) | instid1(VALU_DEP_1)
	v_lshlrev_b64 v[2:3], 2, v[2:3]
	v_add_co_u32 v2, vcc_lo, s8, v2
	s_delay_alu instid0(VALU_DEP_2)
	v_add_co_ci_u32_e32 v3, vcc_lo, s9, v3, vcc_lo
	global_store_b32 v[2:3], v95, off
.LBB189_45:
	s_or_b32 exec_lo, exec_lo, s0
	v_add_nc_u32_e32 v1, 0x60, v1
	s_delay_alu instid0(VALU_DEP_1)
	v_cmp_gt_u32_e32 vcc_lo, s6, v1
	s_and_b32 exec_lo, exec_lo, vcc_lo
	s_cbranch_execz .LBB189_47
; %bb.46:
	v_dual_mov_b32 v1, 0 :: v_dual_add_nc_u32 v0, v0, v1
	s_delay_alu instid0(VALU_DEP_1) | instskip(NEXT) | instid1(VALU_DEP_1)
	v_lshlrev_b64 v[0:1], 2, v[0:1]
	v_add_co_u32 v0, vcc_lo, s8, v0
	s_delay_alu instid0(VALU_DEP_2)
	v_add_co_ci_u32_e32 v1, vcc_lo, s9, v1, vcc_lo
	global_store_b32 v[0:1], v8, off
.LBB189_47:
	s_nop 0
	s_sendmsg sendmsg(MSG_DEALLOC_VGPRS)
	s_endpgm
	.section	.rodata,"a",@progbits
	.p2align	6, 0x0
	.amdhsa_kernel _ZL8moe_q3_KIfLb0EEvPKvS1_PT_PKiS5_S5_iiiiiii
		.amdhsa_group_segment_fixed_size 31776
		.amdhsa_private_segment_fixed_size 0
		.amdhsa_kernarg_size 76
		.amdhsa_user_sgpr_count 14
		.amdhsa_user_sgpr_dispatch_ptr 0
		.amdhsa_user_sgpr_queue_ptr 0
		.amdhsa_user_sgpr_kernarg_segment_ptr 1
		.amdhsa_user_sgpr_dispatch_id 0
		.amdhsa_user_sgpr_private_segment_size 0
		.amdhsa_wavefront_size32 1
		.amdhsa_uses_dynamic_stack 0
		.amdhsa_enable_private_segment 0
		.amdhsa_system_sgpr_workgroup_id_x 1
		.amdhsa_system_sgpr_workgroup_id_y 1
		.amdhsa_system_sgpr_workgroup_id_z 0
		.amdhsa_system_sgpr_workgroup_info 0
		.amdhsa_system_vgpr_workitem_id 1
		.amdhsa_next_free_vgpr 195
		.amdhsa_next_free_sgpr 31
		.amdhsa_reserve_vcc 1
		.amdhsa_float_round_mode_32 0
		.amdhsa_float_round_mode_16_64 0
		.amdhsa_float_denorm_mode_32 3
		.amdhsa_float_denorm_mode_16_64 3
		.amdhsa_dx10_clamp 1
		.amdhsa_ieee_mode 1
		.amdhsa_fp16_overflow 0
		.amdhsa_workgroup_processor_mode 1
		.amdhsa_memory_ordered 1
		.amdhsa_forward_progress 0
		.amdhsa_shared_vgpr_count 0
		.amdhsa_exception_fp_ieee_invalid_op 0
		.amdhsa_exception_fp_denorm_src 0
		.amdhsa_exception_fp_ieee_div_zero 0
		.amdhsa_exception_fp_ieee_overflow 0
		.amdhsa_exception_fp_ieee_underflow 0
		.amdhsa_exception_fp_ieee_inexact 0
		.amdhsa_exception_int_div_zero 0
	.end_amdhsa_kernel
	.section	.text._ZL8moe_q3_KIfLb0EEvPKvS1_PT_PKiS5_S5_iiiiiii,"axG",@progbits,_ZL8moe_q3_KIfLb0EEvPKvS1_PT_PKiS5_S5_iiiiiii,comdat
.Lfunc_end189:
	.size	_ZL8moe_q3_KIfLb0EEvPKvS1_PT_PKiS5_S5_iiiiiii, .Lfunc_end189-_ZL8moe_q3_KIfLb0EEvPKvS1_PT_PKiS5_S5_iiiiiii
                                        ; -- End function
	.section	.AMDGPU.csdata,"",@progbits
; Kernel info:
; codeLenInByte = 33544
; NumSgprs: 33
; NumVgprs: 195
; ScratchSize: 0
; MemoryBound: 0
; FloatMode: 240
; IeeeMode: 1
; LDSByteSize: 31776 bytes/workgroup (compile time only)
; SGPRBlocks: 4
; VGPRBlocks: 24
; NumSGPRsForWavesPerEU: 33
; NumVGPRsForWavesPerEU: 195
; Occupancy: 7
; WaveLimiterHint : 1
; COMPUTE_PGM_RSRC2:SCRATCH_EN: 0
; COMPUTE_PGM_RSRC2:USER_SGPR: 14
; COMPUTE_PGM_RSRC2:TRAP_HANDLER: 0
; COMPUTE_PGM_RSRC2:TGID_X_EN: 1
; COMPUTE_PGM_RSRC2:TGID_Y_EN: 1
; COMPUTE_PGM_RSRC2:TGID_Z_EN: 0
; COMPUTE_PGM_RSRC2:TIDIG_COMP_CNT: 1
	.section	.text._ZL8moe_q3_KIfLb1EEvPKvS1_PT_PKiS5_S5_iiiiiii,"axG",@progbits,_ZL8moe_q3_KIfLb1EEvPKvS1_PT_PKiS5_S5_iiiiiii,comdat
	.globl	_ZL8moe_q3_KIfLb1EEvPKvS1_PT_PKiS5_S5_iiiiiii ; -- Begin function _ZL8moe_q3_KIfLb1EEvPKvS1_PT_PKiS5_S5_iiiiiii
	.p2align	8
	.type	_ZL8moe_q3_KIfLb1EEvPKvS1_PT_PKiS5_S5_iiiiiii,@function
_ZL8moe_q3_KIfLb1EEvPKvS1_PT_PKiS5_S5_iiiiiii: ; @_ZL8moe_q3_KIfLb1EEvPKvS1_PT_PKiS5_S5_iiiiiii
; %bb.0:
	s_load_b128 s[4:7], s[0:1], 0x18
	s_mov_b32 s2, s15
	s_mov_b32 s3, 0
	s_delay_alu instid0(SALU_CYCLE_1)
	s_lshl_b64 s[8:9], s[2:3], 2
	s_waitcnt lgkmcnt(0)
	s_add_u32 s6, s6, s8
	s_addc_u32 s7, s7, s9
	s_load_b32 s15, s[6:7], 0x0
	s_waitcnt lgkmcnt(0)
	s_cmpk_gt_u32 s15, 0xff
	s_cbranch_scc1 .LBB190_47
; %bb.1:
	s_load_b64 s[6:7], s[0:1], 0x28
	s_lshl_b32 s2, s2, 3
	s_waitcnt lgkmcnt(0)
	s_load_b32 s3, s[6:7], 0x0
	s_waitcnt lgkmcnt(0)
	s_cmp_gt_u32 s2, s3
	s_cbranch_scc1 .LBB190_47
; %bb.2:
	v_bfe_u32 v1, v0, 10, 10
	v_mov_b32_e32 v24, 0
	s_mov_b32 s22, 0
	s_delay_alu instid0(VALU_DEP_2) | instskip(NEXT) | instid1(VALU_DEP_2)
	v_add_nc_u32_e32 v23, s2, v1
	v_dual_mov_b32 v95, v24 :: v_dual_and_b32 v48, 0x3ff, v0
	v_mov_b32_e32 v99, v24
	v_mov_b32_e32 v49, v24
	s_delay_alu instid0(VALU_DEP_4) | instskip(NEXT) | instid1(VALU_DEP_1)
	v_lshlrev_b64 v[2:3], 2, v[23:24]
	v_add_co_u32 v2, vcc_lo, s4, v2
	s_delay_alu instid0(VALU_DEP_2)
	v_add_co_ci_u32_e32 v3, vcc_lo, s5, v3, vcc_lo
	global_load_b32 v47, v[2:3], off
	s_clause 0x1
	s_load_b256 s[4:11], s[0:1], 0x30
	s_load_b64 s[12:13], s[0:1], 0x10
	s_waitcnt lgkmcnt(0)
	s_lshl_b32 s11, s14, 7
	s_cmpk_lt_i32 s5, 0x100
	s_cbranch_scc1 .LBB190_38
; %bb.3:
	s_load_b128 s[0:3], s[0:1], 0x0
	s_ashr_i32 s14, s5, 31
	s_mul_i32 s15, s15, s4
	s_lshr_b32 s4, s14, 24
	s_ashr_i32 s16, s8, 31
	s_add_i32 s4, s5, s4
	s_lshr_b32 s14, s16, 27
	s_ashr_i32 s4, s4, 8
	v_dual_mov_b32 v49, 0 :: v_dual_and_b32 v2, 15, v48
	s_add_i32 s8, s8, s14
	s_mul_i32 s14, s4, s11
	s_ashr_i32 s16, s15, 31
	s_ashr_i32 s8, s8, 5
	s_mul_hi_i32 s17, s14, 0x6e
	s_mulk_i32 s14, 0x6e
	v_cmp_lt_u32_e32 vcc_lo, 7, v2
	v_and_b32_e32 v40, 3, v48
	v_lshlrev_b32_e32 v0, 2, v48
	v_add_nc_u32_e32 v5, 16, v1
	s_waitcnt lgkmcnt(0)
	s_add_u32 s0, s0, s15
	s_addc_u32 s1, s1, s16
	s_add_u32 s23, s0, s14
	s_addc_u32 s24, s1, s17
	s_not_b32 s0, s11
	v_cndmask_b32_e64 v70, 0, 1, vcc_lo
	s_add_i32 s0, s0, s6
	v_add_nc_u16 v42, v40, -2
	v_min_i32_e32 v4, s0, v1
	v_cmp_gt_u32_e32 vcc_lo, 2, v40
	v_add_nc_u32_e32 v3, 8, v1
	v_lshlrev_b32_e32 v6, 4, v1
	v_lshrrev_b32_e32 v7, 1, v48
	v_mul_lo_u32 v52, v4, s4
	v_mad_u64_u32 v[8:9], null, 0x84, v4, v[0:1]
	v_min_i32_e32 v3, s0, v3
	v_min_i32_e32 v4, s0, v5
	v_add_nc_u32_e32 v5, 24, v1
	v_add_nc_u32_e32 v18, v7, v6
	v_lshrrev_b32_e32 v50, 4, v48
	v_mul_lo_u32 v53, v3, s4
	v_mad_u64_u32 v[9:10], null, 0x84, v3, v[0:1]
	v_add_nc_u32_e32 v3, 32, v1
	v_min_i32_e32 v5, s0, v5
	v_mul_lo_u32 v54, v4, s4
	v_mad_u64_u32 v[10:11], null, 0x84, v4, v[0:1]
	v_add_nc_u32_e32 v4, 40, v1
	v_min_i32_e32 v3, s0, v3
	;; [unrolled: 4-line block ×4, first 2 shown]
	v_mad_u64_u32 v[13:14], null, 0x84, v4, v[0:1]
	v_mul_lo_u32 v57, v4, s4
	s_delay_alu instid0(VALU_DEP_4)
	v_min_i32_e32 v3, s0, v3
	v_add_nc_u32_e32 v4, 64, v1
	v_mul_lo_u32 v58, v5, s4
	v_mad_u64_u32 v[14:15], null, 0x84, v5, v[0:1]
	v_add_nc_u32_e32 v5, 0x48, v1
	v_mul_lo_u32 v59, v3, s4
	v_min_i32_e32 v4, s0, v4
	v_mad_u64_u32 v[15:16], null, 0x84, v3, v[0:1]
	s_delay_alu instid0(VALU_DEP_4) | instskip(SKIP_1) | instid1(VALU_DEP_4)
	v_min_i32_e32 v3, s0, v5
	v_add_nc_u32_e32 v5, 0x50, v1
	v_mul_lo_u32 v60, v4, s4
	v_mad_u64_u32 v[16:17], null, 0x84, v4, v[0:1]
	v_and_b32_e32 v19, 0x7f, v18
	s_delay_alu instid0(VALU_DEP_4) | instskip(SKIP_4) | instid1(VALU_DEP_4)
	v_min_i32_e32 v4, s0, v5
	v_add_nc_u32_e32 v5, 0x58, v1
	v_mul_lo_u32 v61, v3, s4
	v_mad_u64_u32 v[17:18], null, 0x84, v3, v[0:1]
	v_min_i32_e32 v25, s0, v19
	v_min_i32_e32 v3, s0, v5
	v_add_nc_u32_e32 v5, 0x60, v1
	v_mul_lo_u32 v62, v4, s4
	v_mad_u64_u32 v[18:19], null, 0x84, v4, v[0:1]
	v_ashrrev_i32_e32 v21, 31, v25
	s_delay_alu instid0(VALU_DEP_4) | instskip(SKIP_4) | instid1(VALU_DEP_4)
	v_min_i32_e32 v4, s0, v5
	v_add_nc_u32_e32 v5, 0x68, v1
	v_mul_lo_u32 v63, v3, s4
	v_mad_u64_u32 v[19:20], null, 0x84, v3, v[0:1]
	v_lshrrev_b32_e32 v22, 28, v21
	v_min_i32_e32 v3, s0, v5
	v_add_nc_u32_e32 v5, 0x70, v1
	v_mul_lo_u32 v64, v4, s4
	v_mad_u64_u32 v[20:21], null, 0x84, v4, v[0:1]
	v_lshl_add_u32 v26, v1, 1, v50
	s_delay_alu instid0(VALU_DEP_4) | instskip(SKIP_4) | instid1(VALU_DEP_4)
	v_min_i32_e32 v4, s0, v5
	v_add_nc_u32_e32 v5, 0x78, v1
	v_add_nc_u32_e32 v23, v25, v22
	v_mul_lo_u32 v65, v3, s4
	v_mad_u64_u32 v[21:22], null, 0x84, v3, v[0:1]
	v_min_i32_e32 v3, s0, v5
	v_min_i32_e32 v27, s0, v26
	v_ashrrev_i32_e32 v5, 4, v23
	v_mad_u64_u32 v[22:23], null, 0x84, v4, v[0:1]
	s_delay_alu instid0(VALU_DEP_4)
	v_mul_lo_u32 v68, v3, s4
	v_mad_u64_u32 v[23:24], null, 0x84, v3, v[0:1]
	v_lshrrev_b32_e32 v3, 31, v27
	v_add_nc_u32_e32 v29, 32, v26
	v_lshlrev_b32_e32 v51, 2, v2
	v_add_nc_u32_e32 v28, 16, v26
	v_add_nc_u32_e32 v31, 64, v26
	v_add_lshl_u32 v3, v27, v3, 1
	v_add_nc_u32_e32 v33, 0x50, v26
	v_add_nc_u32_e32 v35, 0x60, v26
	v_lshlrev_b32_e32 v39, 2, v1
	v_lshrrev_b32_e32 v78, 3, v48
	v_and_b32_e32 v2, -4, v3
	v_min_i32_e32 v3, s0, v29
	v_add_nc_u32_e32 v29, 48, v26
	v_add_nc_u32_e32 v26, 0x70, v26
	;; [unrolled: 1-line block ×3, first 2 shown]
	v_and_b32_e32 v67, 1, v48
	v_mul_lo_u32 v66, v4, s4
	v_lshlrev_b32_e32 v4, 2, v5
	v_min_i32_e32 v26, s0, v26
	v_min_i32_e32 v43, s0, v41
	v_lshlrev_b32_e32 v5, 2, v67
	v_add_nc_u32_e32 v45, 32, v41
	v_mul_lo_u32 v69, v25, s4
	v_lshrrev_b32_e32 v38, 31, v26
	v_mul_lo_u32 v80, v26, s4
	v_lshlrev_b32_e32 v44, 6, v26
	v_add3_u32 v4, v4, v5, 0x7380
	v_lshlrev_b32_e32 v5, 3, v25
	v_add_lshl_u32 v38, v26, v38, 1
	v_cndmask_b32_e32 v26, v42, v40, vcc_lo
	v_ashrrev_i32_e32 v42, 31, v43
	v_and_b32_e32 v25, 7, v48
	v_cmp_lt_u32_e32 vcc_lo, 1, v40
	v_min_i32_e32 v45, s0, v45
	v_and_b32_e32 v26, 0xff, v26
	v_lshrrev_b32_e32 v42, 30, v42
	s_abs_i32 s1, s10
	v_lshlrev_b32_e32 v84, 1, v40
	v_cvt_f32_u32_e32 v40, s1
	v_lshlrev_b32_e32 v71, 2, v25
	v_cndmask_b32_e64 v46, 0, 1, vcc_lo
	v_cmp_lt_u32_e32 vcc_lo, 3, v25
	v_lshlrev_b32_e32 v83, 2, v26
	v_add_nc_u32_e32 v25, v43, v42
	v_ashrrev_i32_e32 v26, 31, v45
	v_add_nc_u32_e32 v42, 64, v41
	v_rcp_iflag_f32_e32 v40, v40
	v_add_nc_u32_e32 v41, 0x60, v41
	v_lshlrev_b32_e32 v82, 2, v46
	v_lshrrev_b32_e32 v26, 30, v26
	v_min_i32_e32 v42, s0, v42
	v_and_b32_e32 v25, -4, v25
	v_min_i32_e32 v41, s0, v41
	v_min_i32_e32 v24, s0, v28
	v_add_nc_u32_e32 v26, v45, v26
	v_ashrrev_i32_e32 v46, 31, v42
	v_mul_f32_e32 v40, 0x4f7ffffe, v40
	v_add3_u32 v95, v25, v71, 0x6300
	v_min_i32_e32 v29, s0, v29
	v_and_b32_e32 v26, -4, v26
	v_lshrrev_b32_e32 v25, 30, v46
	v_ashrrev_i32_e32 v46, 31, v41
	v_cvt_u32_f32_e32 v40, v40
	v_min_i32_e32 v31, s0, v31
	v_add3_u32 v99, v26, v71, 0x6300
	v_add_nc_u32_e32 v25, v42, v25
	v_lshrrev_b32_e32 v26, 30, v46
	v_min_i32_e32 v33, s0, v33
	v_min_i32_e32 v35, s0, v35
	s_sub_i32 s0, 0, s1
	v_and_b32_e32 v25, -4, v25
	v_mul_lo_u32 v46, s0, v40
	v_add_nc_u32_e32 v26, v41, v26
	v_mul_lo_u32 v86, v45, s4
	v_lshlrev_b32_e32 v45, 5, v45
	v_add3_u32 v136, v25, v71, 0x6300
	v_or_b32_e32 v39, v39, v48
	v_and_b32_e32 v25, -4, v26
	v_and_b32_e32 v26, 31, v48
	v_mul_hi_u32 v46, v40, v46
	v_add_nc_u32_e32 v135, v99, v45
	v_mov_b32_e32 v99, 0
	v_add3_u32 v137, v25, v71, 0x6300
	s_waitcnt vmcnt(0)
	v_sub_nc_u32_e32 v25, 0, v47
	v_and_b32_e32 v0, 28, v0
	v_lshlrev_b32_e32 v1, 7, v1
	v_lshl_add_u32 v90, v39, 2, 0x7ba0
	v_add_nc_u32_e32 v40, v40, v46
	v_max_i32_e32 v94, v47, v25
	v_add_co_u32 v25, s0, s2, v0
	v_add_nc_u32_e32 v39, 32, v48
	v_lshlrev_b32_e32 v98, 2, v50
	s_delay_alu instid0(VALU_DEP_4)
	v_mul_hi_u32 v0, v94, v40
	v_lshlrev_b32_e32 v101, 3, v48
	v_lshl_add_u32 v92, v48, 4, v7
	v_lshl_or_b32 v89, v26, 2, v1
	v_add_co_ci_u32_e64 v26, null, s3, 0, s0
	v_lshrrev_b32_e32 v97, 1, v39
	v_lshrrev_b32_e32 v28, 31, v24
	v_mul_lo_u32 v96, v0, s1
	v_add_nc_u32_e32 v40, 64, v48
	v_lshrrev_b32_e32 v30, 31, v3
	v_lshrrev_b32_e32 v32, 31, v29
	v_add_lshl_u32 v28, v24, v28, 1
	v_lshrrev_b32_e32 v34, 31, v31
	v_lshrrev_b32_e32 v36, 31, v33
	;; [unrolled: 1-line block ×3, first 2 shown]
	v_sub_nc_u32_e32 v7, v94, v96
	v_add3_u32 v94, v98, v101, 0x7380
	v_add_nc_u32_e32 v98, 1, v0
	v_lshl_add_u32 v96, v39, 4, v97
	v_lshrrev_b32_e32 v97, 2, v39
	v_subrev_nc_u32_e32 v101, s1, v7
	v_cmp_le_u32_e64 s0, s1, v7
	v_add_nc_u32_e32 v46, 0x60, v48
	v_lshlrev_b32_e32 v102, 3, v39
	v_lshrrev_b32_e32 v103, 2, v40
	v_and_b32_e32 v28, -4, v28
	v_cndmask_b32_e64 v0, v0, v98, s0
	v_cndmask_b32_e64 v7, v7, v101, s0
	v_and_b32_e32 v98, 0x7c, v97
	v_xor_b32_e32 v97, s10, v47
	v_add_lshl_u32 v30, v3, v30, 1
	v_add_nc_u32_e32 v101, 1, v0
	v_cmp_le_u32_e64 s0, s1, v7
	v_add_lshl_u32 v32, v29, v32, 1
	v_ashrrev_i32_e32 v105, 31, v97
	v_add_lshl_u32 v34, v31, v34, 1
	v_add_lshl_u32 v36, v33, v36, 1
	v_cndmask_b32_e64 v0, v0, v101, s0
	v_add_lshl_u32 v37, v35, v37, 1
	v_add3_u32 v98, v102, v98, 0x7380
	v_and_b32_e32 v7, 0x7c, v103
	v_lshlrev_b32_e32 v102, 3, v40
	v_xor_b32_e32 v0, v0, v105
	v_lshrrev_b32_e32 v103, 2, v46
	v_mul_lo_u32 v73, v24, s4
	v_add3_u32 v28, v28, v51, 0x4200
	v_lshlrev_b32_e32 v24, 6, v24
	v_sub_nc_u32_e32 v0, v0, v105
	v_and_b32_e32 v30, -4, v30
	v_and_b32_e32 v32, -4, v32
	v_and_b32_e32 v34, -4, v34
	v_and_b32_e32 v36, -4, v36
	v_and_b32_e32 v37, -4, v37
	v_and_b32_e32 v38, -4, v38
	v_add3_u32 v102, v102, v7, 0x7380
	v_and_b32_e32 v7, 0x7c, v103
	v_mul_lo_u32 v103, v0, s8
	v_mul_lo_u32 v72, v27, s4
	v_lshlrev_b32_e32 v27, 6, v27
	v_mul_lo_u32 v74, v3, s4
	v_lshlrev_b32_e32 v3, 6, v3
	;; [unrolled: 2-line block ×9, first 2 shown]
	v_lshlrev_b32_e32 v91, 5, v48
	v_lshrrev_b32_e32 v100, 1, v40
	v_lshrrev_b32_e32 v104, 1, v46
	v_lshlrev_b32_e32 v106, 3, v46
	v_and_b32_e32 v111, 0x1fc, v46
	v_and_b32_e32 v112, 0x1fc, v40
	;; [unrolled: 1-line block ×4, first 2 shown]
	v_dual_mov_b32 v24, 0 :: v_dual_add_nc_u32 v127, v28, v24
	v_add3_u32 v2, v2, v51, 0x4200
	v_add3_u32 v30, v30, v51, 0x4200
	;; [unrolled: 1-line block ×7, first 2 shown]
	s_movk_i32 s0, 0x2100
	s_movk_i32 s6, 0x1080
	v_mad_u32_u24 v101, 0x84, v48, s0
	s_movk_i32 s0, 0x3180
	s_add_u32 s14, s2, 0x90
	s_addc_u32 s15, s3, 0
	v_cndmask_b32_e64 v81, 0, 1, vcc_lo
	v_add_nc_u32_e32 v89, 0x77a0, v89
	v_cmp_gt_u32_e32 vcc_lo, 4, v48
	v_mul_u32_u24_e32 v93, 0x84, v48
	v_mad_u32_u24 v97, 0x84, v48, s6
	v_lshl_add_u32 v100, v40, 4, v100
	v_lshl_add_u32 v104, v46, 4, v104
	v_mad_u32_u24 v105, 0x84, v48, s0
	v_add3_u32 v106, v106, v7, 0x7380
	v_lshrrev_b32_e32 v107, 3, v39
	v_lshrrev_b32_e32 v108, 3, v40
	;; [unrolled: 1-line block ×3, first 2 shown]
	v_cmp_gt_i32_e64 s0, s7, v0
	v_ashrrev_i32_e32 v110, 31, v103
	s_add_u32 s16, s2, 0x120
	v_add_nc_u32_e32 v115, 0x77a0, v1
	v_add_nc_u32_e32 v116, 0x7ba0, v6
	;; [unrolled: 1-line block ×21, first 2 shown]
	v_mov_b32_e32 v95, 0
	s_addc_u32 s17, s3, 0
	s_add_u32 s18, s2, 0x1b0
	s_addc_u32 s19, s3, 0
	s_branch .LBB190_5
.LBB190_4:                              ;   in Loop: Header=BB190_5 Depth=1
	s_add_i32 s22, s22, 2
	s_delay_alu instid0(SALU_CYCLE_1)
	s_cmp_ge_i32 s22, s4
	s_cbranch_scc1 .LBB190_38
.LBB190_5:                              ; =>This Loop Header: Depth=1
                                        ;     Child Loop BB190_12 Depth 2
                                        ;     Child Loop BB190_20 Depth 2
	;; [unrolled: 1-line block ×4, first 2 shown]
	s_mul_i32 s1, s22, 0x6e
	s_mul_hi_u32 s6, s22, 0x6e
	s_add_u32 s20, s23, s1
	s_addc_u32 s21, s24, s6
	s_lshl_b32 s6, s22, 8
	v_mad_u64_u32 v[0:1], null, 0x6e, v50, s[20:21]
	v_mad_u64_u32 v[45:46], null, 0x6e, v81, s[20:21]
	v_mad_i64_i32 v[37:38], null, 0x6e, v69, s[20:21]
	s_cmp_lt_i32 s6, s5
	s_delay_alu instid0(VALU_DEP_3) | instskip(NEXT) | instid1(VALU_DEP_1)
	v_add_co_u32 v0, s1, v0, v51
	v_add_co_ci_u32_e64 v1, s1, 0, v1, s1
	s_delay_alu instid0(VALU_DEP_2) | instskip(NEXT) | instid1(VALU_DEP_1)
	v_add_co_u32 v0, s1, v0, 32
	v_add_co_ci_u32_e64 v1, s1, 0, v1, s1
	s_delay_alu instid0(VALU_DEP_1)
	v_mad_i64_i32 v[2:3], null, 0x6e, v52, v[0:1]
	v_mad_i64_i32 v[4:5], null, 0x6e, v53, v[0:1]
	;; [unrolled: 1-line block ×8, first 2 shown]
	s_clause 0x7
	global_load_b32 v148, v[2:3], off
	global_load_b32 v149, v[4:5], off
	;; [unrolled: 1-line block ×8, first 2 shown]
	v_mad_u64_u32 v[31:32], null, 0x6e, v70, s[20:21]
	v_mad_i64_i32 v[2:3], null, 0x6e, v60, v[0:1]
	v_mad_i64_i32 v[4:5], null, 0x6e, v61, v[0:1]
	;; [unrolled: 1-line block ×3, first 2 shown]
	s_delay_alu instid0(VALU_DEP_4) | instskip(NEXT) | instid1(VALU_DEP_1)
	v_add_co_u32 v31, s1, v31, v71
	v_add_co_ci_u32_e64 v32, s1, 0, v32, s1
	v_add_co_u32 v45, s1, 0x60, v45
	v_mad_i64_i32 v[27:28], null, 0x6e, v63, v[0:1]
	v_mad_i64_i32 v[29:30], null, 0x6e, v64, v[0:1]
	;; [unrolled: 1-line block ×5, first 2 shown]
	v_mad_u64_u32 v[0:1], null, 0x6e, v67, v[37:38]
	v_add_co_ci_u32_e64 v46, s1, 0, v46, s1
	v_mad_i64_i32 v[37:38], null, 0x6e, v72, v[31:32]
	v_mad_i64_i32 v[41:42], null, 0x6e, v73, v[31:32]
	;; [unrolled: 1-line block ×9, first 2 shown]
	s_clause 0x8
	global_load_u16 v156, v[0:1], off offset:108
	global_load_b32 v157, v[37:38], off
	global_load_b32 v158, v[41:42], off
	;; [unrolled: 1-line block ×8, first 2 shown]
	v_mad_i64_i32 v[37:38], null, 0x6e, v86, v[45:46]
	v_mad_i64_i32 v[41:42], null, 0x6e, v87, v[45:46]
	;; [unrolled: 1-line block ×3, first 2 shown]
	v_add_co_u32 v0, s1, v31, v83
	s_delay_alu instid0(VALU_DEP_1)
	v_add_co_ci_u32_e64 v1, s1, 0, v32, s1
	s_clause 0xc
	global_load_b32 v45, v[2:3], off
	global_load_b32 v46, v[4:5], off
	;; [unrolled: 1-line block ×8, first 2 shown]
	global_load_b32 v33, v[43:44], off offset:8
	global_load_b32 v34, v[41:42], off offset:8
	;; [unrolled: 1-line block ×3, first 2 shown]
	global_load_b32 v36, v[0:1], off
	global_load_b32 v31, v[31:32], off offset:8
	v_add_co_u32 v0, s1, v37, v83
	s_delay_alu instid0(VALU_DEP_1) | instskip(SKIP_1) | instid1(VALU_DEP_1)
	v_add_co_ci_u32_e64 v1, s1, 0, v38, s1
	v_add_co_u32 v2, s1, v41, v83
	v_add_co_ci_u32_e64 v3, s1, 0, v42, s1
	v_add_co_u32 v4, s1, v43, v83
	s_delay_alu instid0(VALU_DEP_1)
	v_add_co_ci_u32_e64 v5, s1, 0, v44, s1
	s_clause 0x2
	global_load_b32 v0, v[0:1], off
	global_load_b32 v1, v[2:3], off
	;; [unrolled: 1-line block ×3, first 2 shown]
	s_waitcnt vmcnt(24)
	v_cvt_f32_f16_e64 v3, v156
	s_waitcnt vmcnt(23)
	v_not_b32_e32 v4, v157
	s_waitcnt vmcnt(22)
	v_not_b32_e32 v5, v158
	;; [unrolled: 2-line block ×5, first 2 shown]
	ds_store_b32 v8, v148
	ds_store_b32 v9, v149
	;; [unrolled: 1-line block ×8, first 2 shown]
	s_waitcnt vmcnt(15)
	ds_store_b32 v16, v45
	s_waitcnt vmcnt(14)
	ds_store_b32 v17, v46
	;; [unrolled: 2-line block ×8, first 2 shown]
	ds_store_b32 v125, v3
	ds_store_b32 v126, v4
	;; [unrolled: 1-line block ×6, first 2 shown]
	s_waitcnt vmcnt(7)
	v_ashrrev_i32_e32 v7, v84, v33
	s_waitcnt vmcnt(6)
	v_ashrrev_i32_e32 v6, v84, v34
	;; [unrolled: 2-line block ×5, first 2 shown]
	v_lshlrev_b32_e32 v7, 4, v7
	v_lshlrev_b32_e32 v6, 4, v6
	;; [unrolled: 1-line block ×3, first 2 shown]
	v_and_b32_e32 v3, 0xf0f0f0f, v3
	v_lshlrev_b32_e32 v4, 4, v4
	v_not_b32_e32 v39, v140
	v_not_b32_e32 v40, v141
	;; [unrolled: 1-line block ×3, first 2 shown]
	s_delay_alu instid0(VALU_DEP_4)
	v_and_or_b32 v3, 0x30303030, v4, v3
	ds_store_b32 v131, v39
	s_waitcnt vmcnt(2)
	v_ashrrev_i32_e32 v0, v82, v0
	s_waitcnt vmcnt(1)
	v_ashrrev_i32_e32 v1, v82, v1
	s_waitcnt vmcnt(0)
	v_ashrrev_i32_e32 v2, v82, v2
	v_lshrrev_b32_e32 v4, 16, v3
	ds_store_b32 v132, v40
	v_and_b32_e32 v0, 0xf0f0f0f, v0
	v_and_b32_e32 v1, 0xf0f0f0f, v1
	;; [unrolled: 1-line block ×4, first 2 shown]
	v_lshlrev_b16 v4, 8, v4
	v_and_or_b32 v0, 0x30303030, v5, v0
	v_and_or_b32 v1, 0x30303030, v6, v1
	;; [unrolled: 1-line block ×3, first 2 shown]
	v_and_b32_e32 v5, 0x3f00, v3
	v_lshlrev_b16 v3, 8, v3
	v_lshrrev_b32_e32 v6, 16, v0
	v_lshrrev_b32_e32 v27, 16, v1
	v_and_b32_e32 v7, 0x3f00, v0
	v_lshlrev_b16 v0, 8, v0
	v_lshrrev_b32_e32 v29, 16, v2
	v_add_nc_u16 v3, v3, 0xe000
	v_and_b32_e32 v32, 0x3f00, v6
	v_lshlrev_b16 v6, 8, v6
	v_and_b32_e32 v28, 0x3f00, v1
	v_lshlrev_b16 v1, 8, v1
	;; [unrolled: 2-line block ×4, first 2 shown]
	v_add_nc_u16 v0, v0, 0xe000
	v_and_b32_e32 v34, 0x3f00, v29
	v_lshlrev_b16 v29, 8, v29
	v_add_nc_u16 v4, v4, 0xe000
	v_lshrrev_b16 v3, 8, v3
	v_add_nc_u16 v6, v6, 0xe000
	v_add_nc_u16 v1, v1, 0xe000
	;; [unrolled: 1-line block ×4, first 2 shown]
	v_lshrrev_b16 v0, 8, v0
	v_add_nc_u16 v29, v29, 0xe000
	v_lshrrev_b16 v4, 8, v4
	v_or_b32_e32 v3, v5, v3
	v_lshrrev_b16 v5, 8, v6
	v_lshrrev_b16 v1, 8, v1
	;; [unrolled: 1-line block ×4, first 2 shown]
	v_or_b32_e32 v0, v7, v0
	v_lshrrev_b16 v7, 8, v29
	v_or_b32_e32 v4, v31, v4
	v_or_b32_e32 v5, v32, v5
	;; [unrolled: 1-line block ×6, first 2 shown]
	v_add_nc_u16 v3, v3, 0xe000
	v_add_nc_u16 v4, v4, 0xe000
	;; [unrolled: 1-line block ×8, first 2 shown]
	v_and_b32_e32 v3, 0xffff, v3
	v_lshlrev_b32_e32 v4, 16, v4
	v_and_b32_e32 v0, 0xffff, v0
	v_lshlrev_b32_e32 v5, 16, v5
	v_and_b32_e32 v1, 0xffff, v1
	v_lshlrev_b32_e32 v6, 16, v6
	v_and_b32_e32 v2, 0xffff, v2
	v_lshlrev_b32_e32 v7, 16, v7
	v_or_b32_e32 v3, v3, v4
	v_or_b32_e32 v0, v0, v5
	;; [unrolled: 1-line block ×3, first 2 shown]
	s_delay_alu instid0(VALU_DEP_4)
	v_or_b32_e32 v2, v2, v7
	ds_store_b32 v133, v41
	ds_store_b32 v134, v3
	;; [unrolled: 1-line block ×5, first 2 shown]
	s_cbranch_scc0 .LBB190_4
; %bb.6:                                ;   in Loop: Header=BB190_5 Depth=1
	s_lshl_b32 s20, s22, 3
	s_delay_alu instid0(SALU_CYCLE_1) | instskip(NEXT) | instid1(VALU_DEP_1)
	v_add_nc_u32_e32 v0, s20, v78
	v_cmp_gt_i32_e64 s1, s8, v0
	s_delay_alu instid0(VALU_DEP_1) | instskip(NEXT) | instid1(SALU_CYCLE_1)
	s_and_b32 s21, s0, s1
	s_and_saveexec_b32 s1, s21
	s_cbranch_execz .LBB190_8
; %bb.7:                                ;   in Loop: Header=BB190_5 Depth=1
	v_add_nc_u32_e32 v2, v103, v0
	s_delay_alu instid0(VALU_DEP_1)
	v_mad_i64_i32 v[0:1], null, v2, 36, v[25:26]
	global_load_b32 v0, v[0:1], off offset:4
	s_waitcnt vmcnt(0)
	ds_store_b32 v89, v0
.LBB190_8:                              ;   in Loop: Header=BB190_5 Depth=1
	s_or_b32 exec_lo, exec_lo, s1
	s_and_saveexec_b32 s21, vcc_lo
	s_cbranch_execz .LBB190_11
; %bb.9:                                ;   in Loop: Header=BB190_5 Depth=1
	v_or_b32_e32 v0, s20, v48
	s_delay_alu instid0(VALU_DEP_1) | instskip(NEXT) | instid1(VALU_DEP_1)
	v_cmp_gt_i32_e64 s1, s8, v0
	s_and_b32 s1, s0, s1
	s_delay_alu instid0(SALU_CYCLE_1)
	s_and_b32 exec_lo, exec_lo, s1
	s_cbranch_execz .LBB190_11
; %bb.10:                               ;   in Loop: Header=BB190_5 Depth=1
	v_add_nc_u32_e32 v2, v103, v0
	s_delay_alu instid0(VALU_DEP_1)
	v_mad_i64_i32 v[0:1], null, v2, 36, s[2:3]
	global_load_b32 v0, v[0:1], off
	s_waitcnt vmcnt(0)
	v_cvt_f32_f16_e32 v0, v0
	ds_store_b32 v90, v0
.LBB190_11:                             ;   in Loop: Header=BB190_5 Depth=1
	s_or_b32 exec_lo, exec_lo, s21
	v_dual_mov_b32 v138, v116 :: v_dual_mov_b32 v139, v115
	s_mov_b32 s26, -2
	s_mov_b32 s1, 0
	s_mov_b32 s21, 0
	s_waitcnt lgkmcnt(0)
	s_barrier
	buffer_gl0_inv
.LBB190_12:                             ;   Parent Loop BB190_5 Depth=1
                                        ; =>  This Inner Loop Header: Depth=2
	ds_load_b128 v[0:3], v139 offset:16
	s_add_i32 s25, s26, 2
	ds_load_b128 v[4:7], v139
	ds_load_b32 v140, v138
	s_and_b32 s27, s25, 0x3ffffff8
	s_lshr_b32 s28, s25, 4
	s_lshl_b32 s29, s27, 2
	s_lshl_b32 s27, s28, 2
	v_add_nc_u32_e32 v148, s29, v93
	v_add_nc_u32_e32 v149, s29, v97
	;; [unrolled: 1-line block ×4, first 2 shown]
	ds_load_2addr_b32 v[29:30], v148 offset1:1
	ds_load_2addr_b32 v[27:28], v148 offset0:6 offset1:7
	ds_load_2addr_b32 v[31:32], v148 offset0:2 offset1:3
	v_add_nc_u32_e32 v162, s29, v105
	s_lshl_b32 s28, s28, 3
	v_add_nc_u32_e32 v139, 32, v139
	v_add_lshl_u32 v165, v92, s28, 2
	v_add_lshl_u32 v168, v96, s28, 2
	;; [unrolled: 1-line block ×3, first 2 shown]
	s_waitcnt lgkmcnt(5)
	v_perm_b32 v158, v0, v0, 0x30201
	v_perm_b32 v159, v1, v1, 0x30201
	ds_load_2addr_b32 v[33:34], v149 offset0:2 offset1:3
	ds_load_b32 v142, v35
	ds_load_2addr_b32 v[0:1], v149 offset1:1
	v_perm_b32 v145, v2, v2, 0x30201
	v_perm_b32 v141, v3, v3, 0x30201
	s_waitcnt lgkmcnt(7)
	v_perm_b32 v150, v6, v6, 0x30201
	v_add_nc_u32_e32 v6, 0x4208, v165
	v_perm_b32 v151, v4, v4, 0x30201
	v_perm_b32 v152, v5, v5, 0x30201
	;; [unrolled: 1-line block ×3, first 2 shown]
	v_add_nc_u32_e32 v43, 0x4208, v171
	s_waitcnt lgkmcnt(5)
	v_ashrrev_i32_e32 v153, s25, v29
	v_ashrrev_i32_e32 v154, s25, v30
	v_add_lshl_u32 v174, v104, s28, 2
	s_and_b32 s28, s21, -16
	s_waitcnt lgkmcnt(3)
	v_ashrrev_i32_e32 v31, s25, v31
	v_bfe_u32 v175, v153, 24, 2
	v_and_b32_e32 v153, 0x3030303, v153
	v_ashrrev_i32_e32 v27, s25, v27
	v_ashrrev_i32_e32 v28, s25, v28
	s_waitcnt lgkmcnt(2)
	v_ashrrev_i32_e32 v33, s25, v33
	v_add_nc_u32_e32 v138, 4, v138
	s_waitcnt lgkmcnt(0)
	v_ashrrev_i32_e32 v155, s25, v0
	v_ashrrev_i32_e32 v156, s25, v1
	ds_load_2addr_b32 v[2:3], v157 offset1:1
	ds_load_2addr_b32 v[0:1], v157 offset0:6 offset1:7
	ds_load_2addr_b32 v[35:36], v157 offset0:2 offset1:3
	s_add_i32 s21, s21, 2
	s_waitcnt lgkmcnt(2)
	v_ashrrev_i32_e32 v160, s25, v2
	v_add_nc_u32_e32 v2, s27, v102
	v_ashrrev_i32_e32 v161, s25, v3
	ds_load_2addr_b32 v[37:38], v162 offset0:2 offset1:3
	ds_load_b32 v143, v2
	ds_load_2addr_b32 v[2:3], v162 offset1:1
	s_waitcnt lgkmcnt(3)
	v_ashrrev_i32_e32 v35, s25, v35
	v_ashrrev_i32_e32 v0, s25, v0
	;; [unrolled: 1-line block ×3, first 2 shown]
	s_waitcnt lgkmcnt(2)
	v_ashrrev_i32_e32 v37, s25, v37
	s_waitcnt lgkmcnt(0)
	v_ashrrev_i32_e32 v163, s25, v2
	v_add_nc_u32_e32 v2, 0x4200, v165
	v_ashrrev_i32_e32 v164, s25, v3
	v_add_nc_u32_e32 v3, 0x4218, v165
	ds_load_2addr_b32 v[4:5], v2 offset1:1
	ds_load_2addr_b32 v[2:3], v3 offset1:1
	;; [unrolled: 1-line block ×3, first 2 shown]
	s_waitcnt lgkmcnt(2)
	v_ashrrev_i32_e32 v166, s1, v4
	v_add_nc_u32_e32 v4, 0x4200, v168
	v_ashrrev_i32_e32 v167, s1, v5
	v_add_nc_u32_e32 v5, 0x4208, v168
	ds_load_2addr_b32 v[6:7], v4 offset1:1
	ds_load_2addr_b32 v[41:42], v5 offset1:1
	ds_load_2addr_b32 v[4:5], v149 offset0:6 offset1:7
	v_lshlrev_b32_e32 v166, 2, v166
	v_lshlrev_b32_e32 v167, 2, v167
	s_waitcnt lgkmcnt(3)
	v_ashrrev_i32_e32 v39, s1, v39
	v_ashrrev_i32_e32 v2, s1, v2
	;; [unrolled: 1-line block ×3, first 2 shown]
	v_and_b32_e32 v166, 0x4040404, v166
	v_and_b32_e32 v167, 0x4040404, v167
	v_lshlrev_b32_e32 v39, 2, v39
	v_lshlrev_b32_e32 v2, 2, v2
	;; [unrolled: 1-line block ×3, first 2 shown]
	v_lshrrev_b32_e32 v176, 24, v166
	v_lshrrev_b32_e32 v177, 16, v166
	;; [unrolled: 1-line block ×4, first 2 shown]
	v_and_b32_e32 v39, 0x4040404, v39
	v_sub_nc_u16 v175, v175, v176
	v_lshrrev_b32_e32 v176, 16, v153
	s_waitcnt lgkmcnt(2)
	v_ashrrev_i32_e32 v169, s1, v6
	v_add_nc_u32_e32 v6, 0x4200, v171
	v_ashrrev_i32_e32 v170, s1, v7
	v_add_nc_u32_e32 v7, 0x4218, v171
	v_sub_nc_u16 v176, v176, v177
	v_lshrrev_b16 v177, 8, v153
	v_sub_nc_u16 v153, v153, v166
	v_lshrrev_b16 v166, 8, v166
	v_lshlrev_b32_e32 v169, 2, v169
	ds_load_2addr_b32 v[29:30], v6 offset1:1
	ds_load_2addr_b32 v[6:7], v7 offset1:1
	;; [unrolled: 1-line block ×3, first 2 shown]
	v_lshlrev_b32_e32 v170, 2, v170
	v_lshlrev_b16 v175, 8, v175
	v_sub_nc_u16 v166, v177, v166
	v_bfe_u32 v177, v154, 24, 2
	v_and_b32_e32 v154, 0x3030303, v154
	v_and_b32_e32 v169, 0x4040404, v169
	;; [unrolled: 1-line block ×3, first 2 shown]
	v_lshlrev_b16 v166, 8, v166
	v_sub_nc_u16 v177, v177, v178
	v_lshrrev_b32_e32 v178, 16, v154
	v_lshrrev_b32_e32 v180, 24, v169
	;; [unrolled: 1-line block ×5, first 2 shown]
	v_sub_nc_u16 v178, v178, v179
	v_lshrrev_b16 v179, 8, v154
	v_sub_nc_u16 v154, v154, v167
	v_lshrrev_b16 v167, 8, v167
	s_waitcnt lgkmcnt(2)
	v_ashrrev_i32_e32 v172, s1, v29
	v_add_nc_u32_e32 v29, 0x4200, v174
	v_ashrrev_i32_e32 v173, s1, v30
	v_add_nc_u32_e32 v30, 0x4208, v174
	v_sub_nc_u16 v167, v179, v167
	v_bfe_u32 v179, v155, 24, 2
	v_and_b32_e32 v155, 0x3030303, v155
	v_lshlrev_b32_e32 v172, 2, v172
	ds_load_2addr_b32 v[146:147], v29 offset1:1
	ds_load_2addr_b32 v[45:46], v30 offset1:1
	ds_load_2addr_b32 v[29:30], v162 offset0:6 offset1:7
	v_lshlrev_b32_e32 v173, 2, v173
	v_sub_nc_u16 v179, v179, v180
	v_lshrrev_b32_e32 v180, 16, v155
	v_and_b32_e32 v172, 0x4040404, v172
	v_lshlrev_b16 v177, 8, v177
	v_and_b32_e32 v173, 0x4040404, v173
	v_lshlrev_b16 v167, 8, v167
	v_sub_nc_u16 v180, v180, v181
	v_lshrrev_b16 v181, 8, v155
	v_sub_nc_u16 v155, v155, v169
	v_lshrrev_b16 v169, 8, v169
	v_lshrrev_b32_e32 v184, 24, v172
	v_lshrrev_b32_e32 v185, 16, v172
	;; [unrolled: 1-line block ×4, first 2 shown]
	v_sub_nc_u16 v169, v181, v169
	v_bfe_u32 v181, v156, 24, 2
	v_and_b32_e32 v156, 0x3030303, v156
	s_waitcnt lgkmcnt(2)
	v_ashrrev_i32_e32 v146, s1, v146
	v_ashrrev_i32_e32 v147, s1, v147
	v_lshlrev_b16 v179, 8, v179
	v_sub_nc_u16 v181, v181, v182
	v_lshrrev_b32_e32 v182, 16, v156
	v_lshlrev_b32_e32 v146, 2, v146
	v_lshlrev_b32_e32 v147, 2, v147
	v_lshlrev_b16 v169, 8, v169
	v_lshlrev_b16 v181, 8, v181
	v_sub_nc_u16 v182, v182, v183
	v_lshrrev_b16 v183, 8, v156
	v_sub_nc_u16 v156, v156, v170
	v_lshrrev_b16 v170, 8, v170
	v_and_b32_e32 v146, 0x4040404, v146
	v_and_b32_e32 v147, 0x4040404, v147
	v_ashrrev_i32_e32 v41, s1, v41
	v_ashrrev_i32_e32 v43, s1, v43
	v_sub_nc_u16 v170, v183, v170
	v_bfe_u32 v183, v160, 24, 2
	v_and_b32_e32 v160, 0x3030303, v160
	v_lshrrev_b32_e32 v188, 24, v146
	v_lshrrev_b32_e32 v189, 16, v146
	;; [unrolled: 1-line block ×3, first 2 shown]
	v_sub_nc_u16 v183, v183, v184
	v_lshrrev_b32_e32 v184, 16, v160
	v_lshrrev_b32_e32 v191, 16, v147
	v_lshlrev_b16 v170, 8, v170
	v_lshlrev_b32_e32 v41, 2, v41
	v_lshlrev_b16 v183, 8, v183
	v_sub_nc_u16 v184, v184, v185
	v_lshrrev_b16 v185, 8, v160
	v_sub_nc_u16 v160, v160, v172
	v_lshrrev_b16 v172, 8, v172
	v_and_b32_e32 v41, 0x4040404, v41
	v_lshlrev_b32_e32 v43, 2, v43
	s_waitcnt lgkmcnt(1)
	v_ashrrev_i32_e32 v45, s1, v45
	v_and_b32_e32 v2, 0x4040404, v2
	v_sub_nc_u16 v172, v185, v172
	v_bfe_u32 v185, v161, 24, 2
	v_and_b32_e32 v161, 0x3030303, v161
	v_and_b32_e32 v43, 0x4040404, v43
	v_lshlrev_b32_e32 v45, 2, v45
	v_lshlrev_b16 v172, 8, v172
	v_sub_nc_u16 v185, v185, v186
	v_lshrrev_b32_e32 v186, 16, v161
	v_ashrrev_i32_e32 v4, s25, v4
	v_and_b32_e32 v45, 0x4040404, v45
	v_ashrrev_i32_e32 v6, s1, v6
	v_lshlrev_b16 v185, 8, v185
	v_sub_nc_u16 v186, v186, v187
	v_lshrrev_b16 v187, 8, v161
	v_sub_nc_u16 v161, v161, v173
	v_lshrrev_b16 v173, 8, v173
	v_lshlrev_b32_e32 v6, 2, v6
	s_waitcnt lgkmcnt(0)
	v_ashrrev_i32_e32 v29, s25, v29
	v_and_b32_e32 v3, 0x4040404, v3
	v_ashrrev_i32_e32 v5, s25, v5
	v_sub_nc_u16 v173, v187, v173
	v_bfe_u32 v187, v163, 24, 2
	v_and_b32_e32 v163, 0x3030303, v163
	v_and_b32_e32 v6, 0x4040404, v6
	v_ashrrev_i32_e32 v7, s1, v7
	v_lshlrev_b16 v173, 8, v173
	v_sub_nc_u16 v187, v187, v188
	v_lshrrev_b32_e32 v188, 16, v163
	v_ashrrev_i32_e32 v30, s25, v30
	v_lshlrev_b32_e32 v7, 2, v7
	s_delay_alu instid0(VALU_DEP_4) | instskip(NEXT) | instid1(VALU_DEP_4)
	v_lshlrev_b16 v187, 8, v187
	v_sub_nc_u16 v188, v188, v189
	v_lshrrev_b16 v189, 8, v163
	v_sub_nc_u16 v163, v163, v146
	v_lshrrev_b16 v146, 8, v146
	v_and_b32_e32 v7, 0x4040404, v7
	s_delay_alu instid0(VALU_DEP_2) | instskip(SKIP_2) | instid1(VALU_DEP_3)
	v_sub_nc_u16 v146, v189, v146
	v_bfe_u32 v189, v164, 24, 2
	v_and_b32_e32 v164, 0x3030303, v164
	v_lshlrev_b16 v146, 8, v146
	s_delay_alu instid0(VALU_DEP_3) | instskip(NEXT) | instid1(VALU_DEP_3)
	v_sub_nc_u16 v189, v189, v190
	v_lshrrev_b32_e32 v190, 16, v164
	s_delay_alu instid0(VALU_DEP_2) | instskip(NEXT) | instid1(VALU_DEP_2)
	v_lshlrev_b16 v189, 8, v189
	v_sub_nc_u16 v190, v190, v191
	v_lshrrev_b16 v191, 8, v164
	v_sub_nc_u16 v164, v164, v147
	v_lshrrev_b16 v147, 8, v147
	s_delay_alu instid0(VALU_DEP_1) | instskip(SKIP_1) | instid1(VALU_DEP_2)
	v_sub_nc_u16 v147, v191, v147
	v_and_b32_e32 v191, 0xff, v176
	v_lshlrev_b16 v147, 8, v147
	s_delay_alu instid0(VALU_DEP_2) | instskip(SKIP_1) | instid1(VALU_DEP_2)
	v_or_b32_e32 v175, v191, v175
	v_and_b32_e32 v191, 0xff, v153
	v_perm_b32 v153, v153, v175, 0x4010c0c
	s_delay_alu instid0(VALU_DEP_2) | instskip(SKIP_1) | instid1(VALU_DEP_2)
	v_or_b32_e32 v166, v191, v166
	v_and_b32_e32 v191, 0xff, v178
	v_perm_b32 v166, v176, v166, 0xc0c0401
	s_delay_alu instid0(VALU_DEP_2) | instskip(SKIP_1) | instid1(VALU_DEP_3)
	v_or_b32_e32 v177, v191, v177
	v_and_b32_e32 v191, 0xff, v154
	v_or_b32_e32 v153, v153, v166
	s_delay_alu instid0(VALU_DEP_3) | instskip(NEXT) | instid1(VALU_DEP_3)
	v_perm_b32 v154, v154, v177, 0x4010c0c
	v_or_b32_e32 v167, v191, v167
	v_and_b32_e32 v191, 0xff, v180
	s_delay_alu instid0(VALU_DEP_4) | instskip(NEXT) | instid1(VALU_DEP_3)
	v_dot4_i32_iu8 v153, v153, v151, 0 neg_lo:[1,1,0]
	v_perm_b32 v167, v178, v167, 0xc0c0401
	s_delay_alu instid0(VALU_DEP_3) | instskip(SKIP_1) | instid1(VALU_DEP_3)
	v_or_b32_e32 v179, v191, v179
	v_and_b32_e32 v191, 0xff, v155
	v_or_b32_e32 v154, v154, v167
	s_delay_alu instid0(VALU_DEP_3) | instskip(NEXT) | instid1(VALU_DEP_3)
	v_perm_b32 v155, v155, v179, 0x4010c0c
	v_or_b32_e32 v169, v191, v169
	v_and_b32_e32 v191, 0xff, v182
	s_delay_alu instid0(VALU_DEP_2) | instskip(NEXT) | instid1(VALU_DEP_2)
	v_perm_b32 v169, v180, v169, 0xc0c0401
	v_or_b32_e32 v181, v191, v181
	v_and_b32_e32 v191, 0xff, v156
	s_delay_alu instid0(VALU_DEP_3) | instskip(NEXT) | instid1(VALU_DEP_3)
	v_or_b32_e32 v155, v155, v169
	v_perm_b32 v156, v156, v181, 0x4010c0c
	s_delay_alu instid0(VALU_DEP_3) | instskip(SKIP_1) | instid1(VALU_DEP_4)
	v_or_b32_e32 v170, v191, v170
	v_and_b32_e32 v191, 0xff, v184
	v_dot4_i32_iu8 v155, v155, v151, 0 neg_lo:[1,1,0]
	s_delay_alu instid0(VALU_DEP_3) | instskip(NEXT) | instid1(VALU_DEP_3)
	v_perm_b32 v170, v182, v170, 0xc0c0401
	v_or_b32_e32 v183, v191, v183
	v_and_b32_e32 v191, 0xff, v160
	s_delay_alu instid0(VALU_DEP_3) | instskip(NEXT) | instid1(VALU_DEP_3)
	v_or_b32_e32 v156, v156, v170
	v_perm_b32 v160, v160, v183, 0x4010c0c
	s_delay_alu instid0(VALU_DEP_3) | instskip(SKIP_1) | instid1(VALU_DEP_2)
	v_or_b32_e32 v172, v191, v172
	v_and_b32_e32 v191, 0xff, v186
	v_perm_b32 v172, v184, v172, 0xc0c0401
	s_delay_alu instid0(VALU_DEP_2) | instskip(SKIP_1) | instid1(VALU_DEP_3)
	v_or_b32_e32 v185, v191, v185
	v_and_b32_e32 v191, 0xff, v161
	v_or_b32_e32 v160, v160, v172
	s_delay_alu instid0(VALU_DEP_3) | instskip(NEXT) | instid1(VALU_DEP_3)
	v_perm_b32 v161, v161, v185, 0x4010c0c
	v_or_b32_e32 v173, v191, v173
	v_and_b32_e32 v191, 0xff, v188
	s_delay_alu instid0(VALU_DEP_4) | instskip(NEXT) | instid1(VALU_DEP_3)
	v_dot4_i32_iu8 v160, v160, v151, 0 neg_lo:[1,1,0]
	v_perm_b32 v173, v186, v173, 0xc0c0401
	s_delay_alu instid0(VALU_DEP_3) | instskip(SKIP_1) | instid1(VALU_DEP_3)
	v_or_b32_e32 v187, v191, v187
	v_and_b32_e32 v191, 0xff, v163
	v_or_b32_e32 v161, v161, v173
	s_delay_alu instid0(VALU_DEP_3) | instskip(NEXT) | instid1(VALU_DEP_3)
	v_perm_b32 v163, v163, v187, 0x4010c0c
	v_or_b32_e32 v146, v191, v146
	v_and_b32_e32 v191, 0xff, v190
	s_delay_alu instid0(VALU_DEP_4) | instskip(NEXT) | instid1(VALU_DEP_3)
	v_dot4_i32_iu8 v160, v161, v152, v160 neg_lo:[1,1,0]
	v_perm_b32 v146, v188, v146, 0xc0c0401
	s_delay_alu instid0(VALU_DEP_3) | instskip(SKIP_1) | instid1(VALU_DEP_3)
	v_or_b32_e32 v189, v191, v189
	v_and_b32_e32 v191, 0xff, v164
	v_or_b32_e32 v146, v163, v146
	s_delay_alu instid0(VALU_DEP_3) | instskip(NEXT) | instid1(VALU_DEP_3)
	v_perm_b32 v164, v164, v189, 0x4010c0c
	v_or_b32_e32 v147, v191, v147
	v_dot4_i32_iu8 v163, v154, v152, v153 neg_lo:[1,1,0]
	s_delay_alu instid0(VALU_DEP_4) | instskip(SKIP_1) | instid1(VALU_DEP_4)
	v_dot4_i32_iu8 v146, v146, v151, 0 neg_lo:[1,1,0]
	v_add_nc_u32_e32 v151, s28, v91
	v_perm_b32 v147, v190, v147, 0xc0c0401
	s_delay_alu instid0(VALU_DEP_1) | instskip(SKIP_2) | instid1(VALU_DEP_3)
	v_or_b32_e32 v147, v164, v147
	v_dot4_i32_iu8 v164, v156, v152, v155 neg_lo:[1,1,0]
	v_add_nc_u32_e32 v156, 0x4218, v174
	v_dot4_i32_iu8 v161, v147, v152, v146 neg_lo:[1,1,0]
	ds_load_2addr_b32 v[146:147], v148 offset0:4 offset1:5
	s_waitcnt lgkmcnt(0)
	v_ashrrev_i32_e32 v166, s25, v146
	v_ashrrev_i32_e32 v167, s25, v147
	ds_load_2addr_b32 v[146:147], v149 offset0:4 offset1:5
	v_add_nc_u32_e32 v149, 0x4218, v168
	s_waitcnt lgkmcnt(0)
	v_ashrrev_i32_e32 v169, s25, v146
	v_ashrrev_i32_e32 v170, s25, v147
	ds_load_2addr_b32 v[146:147], v157 offset0:4 offset1:5
	s_waitcnt lgkmcnt(0)
	v_ashrrev_i32_e32 v172, s25, v146
	v_ashrrev_i32_e32 v173, s25, v147
	ds_load_2addr_b32 v[146:147], v162 offset0:4 offset1:5
	s_waitcnt lgkmcnt(0)
	v_ashrrev_i32_e32 v162, s25, v146
	v_add_nc_u32_e32 v146, 0x4210, v165
	v_ashrrev_i32_e32 v175, s25, v147
	ds_load_2addr_b32 v[146:147], v146 offset1:1
	s_waitcnt lgkmcnt(0)
	v_ashrrev_i32_e32 v165, s1, v146
	v_add3_u32 v146, v113, s26, v151
	v_ashrrev_i32_e32 v176, s1, v147
	v_add_nc_u32_e32 v147, 0x4210, v168
	s_delay_alu instid0(VALU_DEP_4)
	v_lshlrev_b32_e32 v165, 2, v165
	ds_load_u16 v148, v146 offset:26370
	v_add_nc_u32_e32 v146, s27, v98
	ds_load_b32 v146, v146
	ds_load_2addr_b32 v[152:153], v147 offset1:1
	ds_load_2addr_b32 v[154:155], v149 offset1:1
	v_add_nc_u32_e32 v147, 0x4210, v171
	v_and_b32_e32 v165, 0x4040404, v165
	v_lshlrev_b32_e32 v176, 2, v176
	s_delay_alu instid0(VALU_DEP_2) | instskip(SKIP_1) | instid1(VALU_DEP_3)
	v_lshrrev_b32_e32 v179, 24, v165
	v_lshrrev_b32_e32 v180, 16, v165
	v_and_b32_e32 v176, 0x4040404, v176
	s_delay_alu instid0(VALU_DEP_1)
	v_lshrrev_b32_e32 v181, 24, v176
	v_lshrrev_b32_e32 v182, 16, v176
	s_waitcnt lgkmcnt(1)
	v_ashrrev_i32_e32 v168, s1, v152
	v_ashrrev_i32_e32 v177, s1, v153
	ds_load_2addr_b32 v[152:153], v147 offset1:1
	v_add3_u32 v147, v111, s26, v151
	v_lshlrev_b32_e32 v168, 2, v168
	v_lshlrev_b32_e32 v177, 2, v177
	ds_load_u16 v149, v147 offset:28418
	v_add_nc_u32_e32 v147, s27, v106
	v_and_b32_e32 v168, 0x4040404, v168
	v_and_b32_e32 v177, 0x4040404, v177
	s_delay_alu instid0(VALU_DEP_2) | instskip(SKIP_1) | instid1(VALU_DEP_3)
	v_lshrrev_b32_e32 v183, 24, v168
	v_lshrrev_b32_e32 v184, 16, v168
	;; [unrolled: 1-line block ×4, first 2 shown]
	s_waitcnt lgkmcnt(1)
	v_ashrrev_i32_e32 v171, s1, v152
	v_add_nc_u32_e32 v152, 0x4210, v174
	v_bfe_u32 v174, v166, 24, 2
	v_and_b32_e32 v166, 0x3030303, v166
	v_ashrrev_i32_e32 v178, s1, v153
	v_lshlrev_b32_e32 v171, 2, v171
	ds_load_b32 v147, v147
	ds_load_2addr_b32 v[152:153], v152 offset1:1
	ds_load_2addr_b32 v[156:157], v156 offset1:1
	v_sub_nc_u16 v174, v174, v179
	v_lshrrev_b32_e32 v179, 16, v166
	v_lshlrev_b32_e32 v178, 2, v178
	v_and_b32_e32 v171, 0x4040404, v171
	s_delay_alu instid0(VALU_DEP_4) | instskip(NEXT) | instid1(VALU_DEP_4)
	v_lshlrev_b16 v174, 8, v174
	v_sub_nc_u16 v179, v179, v180
	v_lshrrev_b16 v180, 8, v166
	v_sub_nc_u16 v166, v166, v165
	v_lshrrev_b16 v165, 8, v165
	v_lshrrev_b32_e32 v187, 24, v171
	v_lshrrev_b32_e32 v188, 16, v171
	v_and_b32_e32 v178, 0x4040404, v178
	s_delay_alu instid0(VALU_DEP_4) | instskip(SKIP_2) | instid1(VALU_DEP_4)
	v_sub_nc_u16 v165, v180, v165
	v_bfe_u32 v180, v167, 24, 2
	v_and_b32_e32 v167, 0x3030303, v167
	v_lshrrev_b32_e32 v189, 24, v178
	s_waitcnt lgkmcnt(1)
	v_ashrrev_i32_e32 v152, s1, v152
	v_lshrrev_b32_e32 v190, 16, v178
	v_sub_nc_u16 v180, v180, v181
	v_lshrrev_b32_e32 v181, 16, v167
	v_ashrrev_i32_e32 v153, s1, v153
	v_lshlrev_b32_e32 v152, 2, v152
	v_lshlrev_b16 v165, 8, v165
	v_lshlrev_b16 v180, 8, v180
	v_sub_nc_u16 v181, v181, v182
	v_lshrrev_b16 v182, 8, v167
	v_sub_nc_u16 v167, v167, v176
	v_lshrrev_b16 v176, 8, v176
	v_and_b32_e32 v152, 0x4040404, v152
	v_lshlrev_b32_e32 v153, 2, v153
	s_waitcnt lgkmcnt(0)
	v_ashrrev_i32_e32 v156, s1, v156
	v_sub_nc_u16 v176, v182, v176
	v_bfe_u32 v182, v169, 24, 2
	v_and_b32_e32 v169, 0x3030303, v169
	v_lshrrev_b32_e32 v191, 24, v152
	v_lshrrev_b32_e32 v192, 16, v152
	v_and_b32_e32 v153, 0x4040404, v153
	v_sub_nc_u16 v182, v182, v183
	v_lshrrev_b32_e32 v183, 16, v169
	v_lshlrev_b16 v176, 8, v176
	v_lshlrev_b32_e32 v156, 2, v156
	v_lshrrev_b32_e32 v193, 24, v153
	v_lshrrev_b32_e32 v194, 16, v153
	v_sub_nc_u16 v183, v183, v184
	v_lshrrev_b16 v184, 8, v169
	v_sub_nc_u16 v169, v169, v168
	v_lshrrev_b16 v168, 8, v168
	v_lshlrev_b16 v182, 8, v182
	v_and_b32_e32 v156, 0x4040404, v156
	s_delay_alu instid0(VALU_DEP_3) | instskip(SKIP_2) | instid1(VALU_DEP_3)
	v_sub_nc_u16 v168, v184, v168
	v_bfe_u32 v184, v170, 24, 2
	v_and_b32_e32 v170, 0x3030303, v170
	v_lshlrev_b16 v168, 8, v168
	s_delay_alu instid0(VALU_DEP_3) | instskip(NEXT) | instid1(VALU_DEP_3)
	v_sub_nc_u16 v184, v184, v185
	v_lshrrev_b32_e32 v185, 16, v170
	s_delay_alu instid0(VALU_DEP_2) | instskip(NEXT) | instid1(VALU_DEP_2)
	v_lshlrev_b16 v184, 8, v184
	v_sub_nc_u16 v185, v185, v186
	v_lshrrev_b16 v186, 8, v170
	v_sub_nc_u16 v170, v170, v177
	v_lshrrev_b16 v177, 8, v177
	s_delay_alu instid0(VALU_DEP_1) | instskip(SKIP_2) | instid1(VALU_DEP_3)
	v_sub_nc_u16 v177, v186, v177
	v_bfe_u32 v186, v172, 24, 2
	v_and_b32_e32 v172, 0x3030303, v172
	v_lshlrev_b16 v177, 8, v177
	s_delay_alu instid0(VALU_DEP_3) | instskip(NEXT) | instid1(VALU_DEP_3)
	v_sub_nc_u16 v186, v186, v187
	v_lshrrev_b32_e32 v187, 16, v172
	s_delay_alu instid0(VALU_DEP_2) | instskip(NEXT) | instid1(VALU_DEP_2)
	v_lshlrev_b16 v186, 8, v186
	v_sub_nc_u16 v187, v187, v188
	v_lshrrev_b16 v188, 8, v172
	v_sub_nc_u16 v172, v172, v171
	v_lshrrev_b16 v171, 8, v171
	s_delay_alu instid0(VALU_DEP_1) | instskip(SKIP_2) | instid1(VALU_DEP_3)
	;; [unrolled: 14-line block ×4, first 2 shown]
	v_sub_nc_u16 v152, v192, v152
	v_bfe_u32 v192, v175, 24, 2
	v_and_b32_e32 v175, 0x3030303, v175
	v_lshlrev_b16 v152, 8, v152
	s_delay_alu instid0(VALU_DEP_3) | instskip(NEXT) | instid1(VALU_DEP_3)
	v_sub_nc_u16 v192, v192, v193
	v_lshrrev_b32_e32 v193, 16, v175
	s_delay_alu instid0(VALU_DEP_2) | instskip(NEXT) | instid1(VALU_DEP_2)
	v_lshlrev_b16 v192, 8, v192
	v_sub_nc_u16 v193, v193, v194
	v_lshrrev_b16 v194, 8, v175
	v_sub_nc_u16 v175, v175, v153
	v_lshrrev_b16 v153, 8, v153
	s_delay_alu instid0(VALU_DEP_1) | instskip(SKIP_1) | instid1(VALU_DEP_2)
	v_sub_nc_u16 v153, v194, v153
	v_and_b32_e32 v194, 0xff, v179
	v_lshlrev_b16 v153, 8, v153
	s_delay_alu instid0(VALU_DEP_2) | instskip(SKIP_1) | instid1(VALU_DEP_2)
	v_or_b32_e32 v174, v194, v174
	v_and_b32_e32 v194, 0xff, v166
	v_perm_b32 v166, v166, v174, 0x4010c0c
	s_delay_alu instid0(VALU_DEP_2) | instskip(SKIP_1) | instid1(VALU_DEP_2)
	v_or_b32_e32 v165, v194, v165
	v_and_b32_e32 v194, 0xff, v181
	v_perm_b32 v165, v179, v165, 0xc0c0401
	s_delay_alu instid0(VALU_DEP_2) | instskip(SKIP_1) | instid1(VALU_DEP_3)
	v_or_b32_e32 v180, v194, v180
	v_and_b32_e32 v194, 0xff, v167
	v_or_b32_e32 v165, v166, v165
	s_delay_alu instid0(VALU_DEP_3) | instskip(NEXT) | instid1(VALU_DEP_3)
	v_perm_b32 v167, v167, v180, 0x4010c0c
	v_or_b32_e32 v176, v194, v176
	v_and_b32_e32 v194, 0xff, v183
	s_delay_alu instid0(VALU_DEP_2) | instskip(NEXT) | instid1(VALU_DEP_2)
	v_perm_b32 v174, v181, v176, 0xc0c0401
	v_or_b32_e32 v182, v194, v182
	v_and_b32_e32 v194, 0xff, v169
	s_delay_alu instid0(VALU_DEP_3) | instskip(NEXT) | instid1(VALU_DEP_3)
	v_or_b32_e32 v166, v167, v174
	v_perm_b32 v169, v169, v182, 0x4010c0c
	s_delay_alu instid0(VALU_DEP_3) | instskip(SKIP_1) | instid1(VALU_DEP_2)
	v_or_b32_e32 v168, v194, v168
	v_and_b32_e32 v194, 0xff, v185
	v_perm_b32 v168, v183, v168, 0xc0c0401
	s_delay_alu instid0(VALU_DEP_2) | instskip(SKIP_1) | instid1(VALU_DEP_3)
	v_or_b32_e32 v184, v194, v184
	v_and_b32_e32 v194, 0xff, v170
	v_or_b32_e32 v167, v169, v168
	s_delay_alu instid0(VALU_DEP_3) | instskip(NEXT) | instid1(VALU_DEP_3)
	v_perm_b32 v170, v170, v184, 0x4010c0c
	v_or_b32_e32 v177, v194, v177
	v_and_b32_e32 v194, 0xff, v187
	s_delay_alu instid0(VALU_DEP_2) | instskip(NEXT) | instid1(VALU_DEP_2)
	v_perm_b32 v176, v185, v177, 0xc0c0401
	v_or_b32_e32 v186, v194, v186
	v_and_b32_e32 v194, 0xff, v172
	s_delay_alu instid0(VALU_DEP_3) | instskip(NEXT) | instid1(VALU_DEP_3)
	v_or_b32_e32 v168, v170, v176
	v_perm_b32 v172, v172, v186, 0x4010c0c
	s_delay_alu instid0(VALU_DEP_3) | instskip(SKIP_1) | instid1(VALU_DEP_2)
	v_or_b32_e32 v171, v194, v171
	v_and_b32_e32 v194, 0xff, v189
	v_perm_b32 v171, v187, v171, 0xc0c0401
	s_delay_alu instid0(VALU_DEP_2) | instskip(SKIP_1) | instid1(VALU_DEP_3)
	v_or_b32_e32 v188, v194, v188
	v_and_b32_e32 v194, 0xff, v173
	v_or_b32_e32 v169, v172, v171
	s_delay_alu instid0(VALU_DEP_3) | instskip(NEXT) | instid1(VALU_DEP_3)
	v_perm_b32 v173, v173, v188, 0x4010c0c
	v_or_b32_e32 v178, v194, v178
	v_and_b32_e32 v194, 0xff, v191
	v_lshrrev_b32_e32 v171, 24, v45
	v_lshrrev_b32_e32 v172, 16, v45
	s_delay_alu instid0(VALU_DEP_4) | instskip(NEXT) | instid1(VALU_DEP_4)
	v_perm_b32 v177, v189, v178, 0xc0c0401
	v_or_b32_e32 v190, v194, v190
	v_and_b32_e32 v194, 0xff, v162
	s_delay_alu instid0(VALU_DEP_3) | instskip(NEXT) | instid1(VALU_DEP_3)
	v_or_b32_e32 v170, v173, v177
	v_perm_b32 v162, v162, v190, 0x4010c0c
	s_delay_alu instid0(VALU_DEP_3) | instskip(SKIP_1) | instid1(VALU_DEP_2)
	v_or_b32_e32 v152, v194, v152
	v_and_b32_e32 v194, 0xff, v193
	v_perm_b32 v152, v191, v152, 0xc0c0401
	s_delay_alu instid0(VALU_DEP_2) | instskip(SKIP_1) | instid1(VALU_DEP_3)
	v_or_b32_e32 v192, v194, v192
	v_and_b32_e32 v194, 0xff, v175
	v_or_b32_e32 v152, v162, v152
	s_delay_alu instid0(VALU_DEP_3) | instskip(NEXT) | instid1(VALU_DEP_3)
	v_perm_b32 v175, v175, v192, 0x4010c0c
	v_or_b32_e32 v153, v194, v153
	v_dot4_i32_iu8 v162, v165, v158, 0 neg_lo:[1,1,0]
	v_dot4_i32_iu8 v165, v167, v158, 0 neg_lo:[1,1,0]
	;; [unrolled: 1-line block ×4, first 2 shown]
	v_perm_b32 v153, v193, v153, 0xc0c0401
	v_dot4_i32_iu8 v158, v166, v159, v162 neg_lo:[1,1,0]
	v_dot4_i32_iu8 v162, v168, v159, v165 neg_lo:[1,1,0]
	;; [unrolled: 1-line block ×3, first 2 shown]
	v_lshrrev_b32_e32 v166, 16, v39
	v_or_b32_e32 v153, v175, v153
	v_lshrrev_b32_e32 v167, 24, v41
	v_lshrrev_b32_e32 v168, 16, v41
	;; [unrolled: 1-line block ×4, first 2 shown]
	v_dot4_i32_iu8 v152, v153, v159, v152 neg_lo:[1,1,0]
	v_bfe_u32 v153, v31, 24, 2
	v_lshrrev_b32_e32 v159, 24, v39
	v_and_b32_e32 v31, 0x3030303, v31
	s_delay_alu instid0(VALU_DEP_2) | instskip(NEXT) | instid1(VALU_DEP_2)
	v_sub_nc_u16 v153, v153, v159
	v_lshrrev_b32_e32 v159, 16, v31
	s_delay_alu instid0(VALU_DEP_2) | instskip(NEXT) | instid1(VALU_DEP_2)
	v_lshlrev_b16 v153, 8, v153
	v_sub_nc_u16 v159, v159, v166
	v_lshrrev_b16 v166, 8, v31
	v_sub_nc_u16 v31, v31, v39
	v_lshrrev_b16 v39, 8, v39
	s_delay_alu instid0(VALU_DEP_1) | instskip(SKIP_2) | instid1(VALU_DEP_3)
	v_sub_nc_u16 v39, v166, v39
	v_bfe_u32 v166, v33, 24, 2
	v_and_b32_e32 v33, 0x3030303, v33
	v_lshlrev_b16 v39, 8, v39
	s_delay_alu instid0(VALU_DEP_3) | instskip(NEXT) | instid1(VALU_DEP_3)
	v_sub_nc_u16 v166, v166, v167
	v_lshrrev_b32_e32 v167, 16, v33
	s_delay_alu instid0(VALU_DEP_2) | instskip(NEXT) | instid1(VALU_DEP_2)
	v_lshlrev_b16 v166, 8, v166
	v_sub_nc_u16 v167, v167, v168
	v_lshrrev_b16 v168, 8, v33
	v_sub_nc_u16 v33, v33, v41
	v_lshrrev_b16 v41, 8, v41
	s_delay_alu instid0(VALU_DEP_1) | instskip(SKIP_2) | instid1(VALU_DEP_3)
	v_sub_nc_u16 v41, v168, v41
	v_bfe_u32 v168, v35, 24, 2
	v_and_b32_e32 v35, 0x3030303, v35
	v_lshlrev_b16 v41, 8, v41
	s_delay_alu instid0(VALU_DEP_3) | instskip(NEXT) | instid1(VALU_DEP_3)
	;; [unrolled: 14-line block ×3, first 2 shown]
	v_sub_nc_u16 v170, v170, v171
	v_lshrrev_b32_e32 v171, 16, v37
	s_delay_alu instid0(VALU_DEP_2) | instskip(NEXT) | instid1(VALU_DEP_2)
	v_lshlrev_b16 v170, 8, v170
	v_sub_nc_u16 v171, v171, v172
	v_lshrrev_b16 v172, 8, v37
	v_sub_nc_u16 v37, v37, v45
	v_lshrrev_b16 v45, 8, v45
	s_delay_alu instid0(VALU_DEP_1) | instskip(SKIP_1) | instid1(VALU_DEP_2)
	v_sub_nc_u16 v45, v172, v45
	v_and_b32_e32 v172, 0xff, v159
	v_lshlrev_b16 v45, 8, v45
	s_delay_alu instid0(VALU_DEP_2) | instskip(SKIP_1) | instid1(VALU_DEP_2)
	v_or_b32_e32 v153, v172, v153
	v_and_b32_e32 v172, 0xff, v31
	v_perm_b32 v31, v31, v153, 0x4010c0c
	s_delay_alu instid0(VALU_DEP_2) | instskip(SKIP_1) | instid1(VALU_DEP_2)
	v_or_b32_e32 v39, v172, v39
	v_and_b32_e32 v172, 0xff, v167
	v_perm_b32 v39, v159, v39, 0xc0c0401
	s_delay_alu instid0(VALU_DEP_2) | instskip(SKIP_2) | instid1(VALU_DEP_4)
	v_or_b32_e32 v166, v172, v166
	v_and_b32_e32 v172, 0xff, v33
	v_lshrrev_b32_e32 v159, 16, v6
	v_or_b32_e32 v31, v31, v39
	s_delay_alu instid0(VALU_DEP_4) | instskip(NEXT) | instid1(VALU_DEP_4)
	v_perm_b32 v33, v33, v166, 0x4010c0c
	v_or_b32_e32 v41, v172, v41
	v_and_b32_e32 v172, 0xff, v169
	v_bfe_u32 v39, v27, 24, 2
	v_and_b32_e32 v27, 0x3030303, v27
	v_dot4_i32_iu8 v31, v31, v150, v163 neg_lo:[1,1,0]
	v_perm_b32 v41, v167, v41, 0xc0c0401
	v_or_b32_e32 v168, v172, v168
	v_and_b32_e32 v172, 0xff, v35
	s_delay_alu instid0(VALU_DEP_3) | instskip(NEXT) | instid1(VALU_DEP_3)
	v_or_b32_e32 v33, v33, v41
	v_perm_b32 v35, v35, v168, 0x4010c0c
	s_delay_alu instid0(VALU_DEP_3) | instskip(SKIP_3) | instid1(VALU_DEP_4)
	v_or_b32_e32 v43, v172, v43
	v_lshrrev_b32_e32 v41, 24, v2
	v_and_b32_e32 v172, 0xff, v171
	v_dot4_i32_iu8 v33, v33, v150, v164 neg_lo:[1,1,0]
	v_perm_b32 v43, v169, v43, 0xc0c0401
	s_delay_alu instid0(VALU_DEP_4)
	v_sub_nc_u16 v39, v39, v41
	v_lshrrev_b32_e32 v41, 16, v27
	v_or_b32_e32 v170, v172, v170
	v_and_b32_e32 v172, 0xff, v37
	v_or_b32_e32 v35, v35, v43
	v_lshrrev_b32_e32 v43, 16, v2
	v_lshlrev_b16 v39, 8, v39
	v_perm_b32 v37, v37, v170, 0x4010c0c
	v_or_b32_e32 v45, v172, v45
	v_dot4_i32_iu8 v35, v35, v150, v160 neg_lo:[1,1,0]
	v_sub_nc_u16 v41, v41, v43
	v_lshrrev_b16 v43, 8, v27
	v_sub_nc_u16 v27, v27, v2
	v_lshrrev_b16 v2, 8, v2
	v_perm_b32 v45, v171, v45, 0xc0c0401
	v_lshrrev_b32_e32 v160, 24, v156
	s_delay_alu instid0(VALU_DEP_3) | instskip(SKIP_1) | instid1(VALU_DEP_4)
	v_sub_nc_u16 v2, v43, v2
	v_ashrrev_i32_e32 v43, s1, v154
	v_or_b32_e32 v37, v37, v45
	v_bfe_u32 v45, v4, 24, 2
	v_and_b32_e32 v4, 0x3030303, v4
	v_lshrrev_b32_e32 v154, 24, v6
	v_lshlrev_b32_e32 v43, 2, v43
	v_dot4_i32_iu8 v37, v37, v150, v161 neg_lo:[1,1,0]
	v_lshrrev_b32_e32 v161, 16, v156
	v_lshlrev_b16 v2, 8, v2
	s_delay_alu instid0(VALU_DEP_4) | instskip(NEXT) | instid1(VALU_DEP_1)
	v_and_b32_e32 v43, 0x4040404, v43
	v_lshrrev_b32_e32 v150, 24, v43
	v_lshrrev_b32_e32 v153, 16, v43
	s_delay_alu instid0(VALU_DEP_2) | instskip(SKIP_1) | instid1(VALU_DEP_2)
	v_sub_nc_u16 v45, v45, v150
	v_lshrrev_b32_e32 v150, 16, v4
	v_lshlrev_b16 v45, 8, v45
	s_delay_alu instid0(VALU_DEP_2) | instskip(SKIP_3) | instid1(VALU_DEP_1)
	v_sub_nc_u16 v150, v150, v153
	v_lshrrev_b16 v153, 8, v4
	v_sub_nc_u16 v4, v4, v43
	v_lshrrev_b16 v43, 8, v43
	v_sub_nc_u16 v43, v153, v43
	v_bfe_u32 v153, v0, 24, 2
	v_and_b32_e32 v0, 0x3030303, v0
	s_delay_alu instid0(VALU_DEP_3) | instskip(NEXT) | instid1(VALU_DEP_3)
	v_lshlrev_b16 v43, 8, v43
	v_sub_nc_u16 v153, v153, v154
	s_delay_alu instid0(VALU_DEP_3) | instskip(NEXT) | instid1(VALU_DEP_2)
	v_lshrrev_b32_e32 v154, 16, v0
	v_lshlrev_b16 v153, 8, v153
	s_delay_alu instid0(VALU_DEP_2) | instskip(SKIP_3) | instid1(VALU_DEP_1)
	v_sub_nc_u16 v154, v154, v159
	v_lshrrev_b16 v159, 8, v0
	v_sub_nc_u16 v0, v0, v6
	v_lshrrev_b16 v6, 8, v6
	v_sub_nc_u16 v6, v159, v6
	v_bfe_u32 v159, v29, 24, 2
	v_and_b32_e32 v29, 0x3030303, v29
	s_delay_alu instid0(VALU_DEP_3) | instskip(NEXT) | instid1(VALU_DEP_3)
	v_lshlrev_b16 v6, 8, v6
	v_sub_nc_u16 v159, v159, v160
	s_delay_alu instid0(VALU_DEP_3) | instskip(NEXT) | instid1(VALU_DEP_2)
	v_lshrrev_b32_e32 v160, 16, v29
	v_lshlrev_b16 v159, 8, v159
	s_delay_alu instid0(VALU_DEP_2) | instskip(SKIP_3) | instid1(VALU_DEP_1)
	v_sub_nc_u16 v160, v160, v161
	v_lshrrev_b16 v161, 8, v29
	v_sub_nc_u16 v29, v29, v156
	v_lshrrev_b16 v156, 8, v156
	v_sub_nc_u16 v156, v161, v156
	v_and_b32_e32 v161, 0xff, v41
	s_delay_alu instid0(VALU_DEP_2) | instskip(NEXT) | instid1(VALU_DEP_2)
	v_lshlrev_b16 v156, 8, v156
	v_or_b32_e32 v39, v161, v39
	v_and_b32_e32 v161, 0xff, v27
	s_delay_alu instid0(VALU_DEP_2) | instskip(NEXT) | instid1(VALU_DEP_2)
	v_perm_b32 v27, v27, v39, 0x4010c0c
	v_or_b32_e32 v2, v161, v2
	v_and_b32_e32 v161, 0xff, v150
	s_delay_alu instid0(VALU_DEP_2) | instskip(NEXT) | instid1(VALU_DEP_2)
	v_perm_b32 v2, v41, v2, 0xc0c0401
	v_or_b32_e32 v45, v161, v45
	v_and_b32_e32 v161, 0xff, v4
	s_delay_alu instid0(VALU_DEP_3) | instskip(SKIP_1) | instid1(VALU_DEP_3)
	v_or_b32_e32 v2, v27, v2
	v_ashrrev_i32_e32 v27, s25, v32
	v_or_b32_e32 v43, v161, v43
	v_and_b32_e32 v161, 0xff, v154
	v_ashrrev_i32_e32 v32, s25, v36
	v_ashrrev_i32_e32 v36, s1, v40
	v_perm_b32 v4, v4, v45, 0x4010c0c
	v_perm_b32 v39, v150, v43, 0xc0c0401
	v_or_b32_e32 v153, v161, v153
	v_and_b32_e32 v161, 0xff, v0
	v_lshlrev_b32_e32 v36, 2, v36
	v_ashrrev_i32_e32 v40, s1, v46
	v_or_b32_e32 v4, v4, v39
	v_perm_b32 v0, v0, v153, 0x4010c0c
	v_or_b32_e32 v6, v161, v6
	v_and_b32_e32 v161, 0xff, v160
	v_and_b32_e32 v36, 0x4040404, v36
	v_ashrrev_i32_e32 v39, s1, v44
	v_dot4_i32_iu8 v2, v2, v145, v158 neg_lo:[1,1,0]
	v_perm_b32 v6, v154, v6, 0xc0c0401
	v_or_b32_e32 v159, v161, v159
	v_and_b32_e32 v161, 0xff, v29
	v_lshrrev_b32_e32 v43, 16, v36
	v_lshlrev_b32_e32 v39, 2, v39
	v_or_b32_e32 v0, v0, v6
	v_perm_b32 v29, v29, v159, 0x4010c0c
	v_or_b32_e32 v156, v161, v156
	v_dot4_i32_iu8 v4, v4, v145, v162 neg_lo:[1,1,0]
	v_and_b32_e32 v39, 0x4040404, v39
	v_dot4_i32_iu8 v0, v0, v145, v165 neg_lo:[1,1,0]
	v_lshlrev_b32_e32 v40, 2, v40
	v_perm_b32 v41, v160, v156, 0xc0c0401
	s_delay_alu instid0(VALU_DEP_4) | instskip(NEXT) | instid1(VALU_DEP_3)
	v_lshrrev_b32_e32 v46, 24, v39
	v_and_b32_e32 v40, 0x4040404, v40
	s_delay_alu instid0(VALU_DEP_3)
	v_or_b32_e32 v6, v29, v41
	v_ashrrev_i32_e32 v29, s25, v34
	v_ashrrev_i32_e32 v34, s25, v38
	;; [unrolled: 1-line block ×3, first 2 shown]
	v_bfe_u32 v41, v27, 24, 2
	v_lshrrev_b32_e32 v42, 24, v36
	v_and_b32_e32 v27, 0x3030303, v27
	v_dot4_i32_iu8 v6, v6, v145, v152 neg_lo:[1,1,0]
	v_lshlrev_b32_e32 v38, 2, v38
	v_lshrrev_b32_e32 v145, 16, v39
	v_sub_nc_u16 v41, v41, v42
	v_lshrrev_b32_e32 v42, 16, v27
	v_lshrrev_b32_e32 v150, 24, v40
	v_and_b32_e32 v38, 0x4040404, v38
	v_lshrrev_b32_e32 v152, 16, v40
	v_lshlrev_b16 v41, 8, v41
	v_sub_nc_u16 v42, v42, v43
	v_lshrrev_b16 v43, 8, v27
	v_sub_nc_u16 v27, v27, v36
	v_lshrrev_b16 v36, 8, v36
	v_lshrrev_b32_e32 v44, 24, v38
	v_lshrrev_b32_e32 v45, 16, v38
	s_delay_alu instid0(VALU_DEP_3) | instskip(SKIP_2) | instid1(VALU_DEP_3)
	v_sub_nc_u16 v36, v43, v36
	v_bfe_u32 v43, v29, 24, 2
	v_and_b32_e32 v29, 0x3030303, v29
	v_lshlrev_b16 v36, 8, v36
	s_delay_alu instid0(VALU_DEP_3) | instskip(NEXT) | instid1(VALU_DEP_3)
	v_sub_nc_u16 v43, v43, v44
	v_lshrrev_b32_e32 v44, 16, v29
	s_delay_alu instid0(VALU_DEP_2) | instskip(NEXT) | instid1(VALU_DEP_2)
	v_lshlrev_b16 v43, 8, v43
	v_sub_nc_u16 v44, v44, v45
	v_lshrrev_b16 v45, 8, v29
	v_sub_nc_u16 v29, v29, v38
	v_lshrrev_b16 v38, 8, v38
	s_delay_alu instid0(VALU_DEP_1) | instskip(SKIP_2) | instid1(VALU_DEP_3)
	v_sub_nc_u16 v38, v45, v38
	v_bfe_u32 v45, v32, 24, 2
	v_and_b32_e32 v32, 0x3030303, v32
	v_lshlrev_b16 v38, 8, v38
	s_delay_alu instid0(VALU_DEP_3) | instskip(NEXT) | instid1(VALU_DEP_3)
	v_sub_nc_u16 v45, v45, v46
	v_lshrrev_b32_e32 v46, 16, v32
	s_delay_alu instid0(VALU_DEP_2) | instskip(NEXT) | instid1(VALU_DEP_2)
	v_lshlrev_b16 v45, 8, v45
	v_sub_nc_u16 v46, v46, v145
	v_lshrrev_b16 v145, 8, v32
	v_sub_nc_u16 v32, v32, v39
	v_lshrrev_b16 v39, 8, v39
	s_delay_alu instid0(VALU_DEP_1) | instskip(SKIP_2) | instid1(VALU_DEP_3)
	v_sub_nc_u16 v39, v145, v39
	v_bfe_u32 v145, v34, 24, 2
	v_and_b32_e32 v34, 0x3030303, v34
	v_lshlrev_b16 v39, 8, v39
	s_delay_alu instid0(VALU_DEP_3) | instskip(NEXT) | instid1(VALU_DEP_3)
	v_sub_nc_u16 v145, v145, v150
	v_lshrrev_b32_e32 v150, 16, v34
	s_delay_alu instid0(VALU_DEP_2) | instskip(NEXT) | instid1(VALU_DEP_2)
	v_lshlrev_b16 v145, 8, v145
	v_sub_nc_u16 v150, v150, v152
	v_lshrrev_b16 v152, 8, v34
	v_sub_nc_u16 v34, v34, v40
	v_lshrrev_b16 v40, 8, v40
	s_delay_alu instid0(VALU_DEP_1) | instskip(SKIP_1) | instid1(VALU_DEP_2)
	v_sub_nc_u16 v40, v152, v40
	v_and_b32_e32 v152, 0xff, v42
	v_lshlrev_b16 v40, 8, v40
	s_delay_alu instid0(VALU_DEP_2) | instskip(SKIP_1) | instid1(VALU_DEP_2)
	v_or_b32_e32 v41, v152, v41
	v_and_b32_e32 v152, 0xff, v27
	v_perm_b32 v27, v27, v41, 0x4010c0c
	s_delay_alu instid0(VALU_DEP_2) | instskip(SKIP_2) | instid1(VALU_DEP_3)
	v_or_b32_e32 v36, v152, v36
	v_and_b32_e32 v152, 0xff, v44
	v_lshrrev_b32_e32 v41, 16, v7
	v_perm_b32 v36, v42, v36, 0xc0c0401
	s_delay_alu instid0(VALU_DEP_3) | instskip(SKIP_1) | instid1(VALU_DEP_3)
	v_or_b32_e32 v43, v152, v43
	v_and_b32_e32 v152, 0xff, v29
	v_or_b32_e32 v27, v27, v36
	s_delay_alu instid0(VALU_DEP_3) | instskip(NEXT) | instid1(VALU_DEP_3)
	v_perm_b32 v29, v29, v43, 0x4010c0c
	v_or_b32_e32 v38, v152, v38
	v_and_b32_e32 v152, 0xff, v46
	v_lshrrev_b32_e32 v36, 24, v3
	v_dot4_i32_iu8 v27, v27, v144, v31 neg_lo:[1,1,0]
	s_delay_alu instid0(VALU_DEP_4) | instskip(NEXT) | instid1(VALU_DEP_4)
	v_perm_b32 v38, v44, v38, 0xc0c0401
	v_or_b32_e32 v45, v152, v45
	v_and_b32_e32 v152, 0xff, v32
	s_delay_alu instid0(VALU_DEP_3) | instskip(NEXT) | instid1(VALU_DEP_3)
	v_or_b32_e32 v29, v29, v38
	v_perm_b32 v32, v32, v45, 0x4010c0c
	s_delay_alu instid0(VALU_DEP_3) | instskip(SKIP_1) | instid1(VALU_DEP_4)
	v_or_b32_e32 v39, v152, v39
	v_and_b32_e32 v152, 0xff, v150
	v_dot4_i32_iu8 v29, v29, v144, v33 neg_lo:[1,1,0]
	v_ashrrev_i32_e32 v33, s1, v155
	s_delay_alu instid0(VALU_DEP_4) | instskip(NEXT) | instid1(VALU_DEP_4)
	v_perm_b32 v39, v46, v39, 0xc0c0401
	v_or_b32_e32 v145, v152, v145
	v_and_b32_e32 v152, 0xff, v34
	s_delay_alu instid0(VALU_DEP_4) | instskip(NEXT) | instid1(VALU_DEP_4)
	v_lshlrev_b32_e32 v33, 2, v33
	v_or_b32_e32 v32, v32, v39
	s_delay_alu instid0(VALU_DEP_4) | instskip(NEXT) | instid1(VALU_DEP_4)
	v_perm_b32 v34, v34, v145, 0x4010c0c
	v_or_b32_e32 v40, v152, v40
	s_delay_alu instid0(VALU_DEP_4) | instskip(NEXT) | instid1(VALU_DEP_4)
	v_and_b32_e32 v33, 0x4040404, v33
	v_dot4_i32_iu8 v31, v32, v144, v35 neg_lo:[1,1,0]
	v_bfe_u32 v35, v28, 24, 2
	s_delay_alu instid0(VALU_DEP_4)
	v_perm_b32 v40, v150, v40, 0xc0c0401
	v_and_b32_e32 v28, 0x3030303, v28
	v_lshrrev_b32_e32 v38, 24, v33
	v_lshrrev_b32_e32 v39, 16, v33
	v_sub_nc_u16 v35, v35, v36
	v_or_b32_e32 v34, v34, v40
	v_lshrrev_b32_e32 v36, 16, v28
	v_lshrrev_b32_e32 v40, 24, v7
	s_delay_alu instid0(VALU_DEP_4) | instskip(NEXT) | instid1(VALU_DEP_4)
	v_lshlrev_b16 v35, 8, v35
	v_dot4_i32_iu8 v32, v34, v144, v37 neg_lo:[1,1,0]
	v_lshrrev_b32_e32 v37, 16, v3
	v_ashrrev_i32_e32 v34, s1, v157
	s_add_i32 s1, s1, 1
	s_cmp_lt_u32 s25, 6
	s_delay_alu instid0(VALU_DEP_2) | instskip(SKIP_4) | instid1(VALU_DEP_2)
	v_sub_nc_u16 v36, v36, v37
	v_lshrrev_b16 v37, 8, v28
	v_sub_nc_u16 v28, v28, v3
	v_lshrrev_b16 v3, 8, v3
	v_lshlrev_b32_e32 v34, 2, v34
	v_sub_nc_u16 v3, v37, v3
	v_bfe_u32 v37, v5, 24, 2
	v_and_b32_e32 v5, 0x3030303, v5
	s_delay_alu instid0(VALU_DEP_4) | instskip(NEXT) | instid1(VALU_DEP_4)
	v_and_b32_e32 v34, 0x4040404, v34
	v_lshlrev_b16 v3, 8, v3
	s_delay_alu instid0(VALU_DEP_4) | instskip(NEXT) | instid1(VALU_DEP_4)
	v_sub_nc_u16 v37, v37, v38
	v_lshrrev_b32_e32 v38, 16, v5
	s_delay_alu instid0(VALU_DEP_4) | instskip(SKIP_1) | instid1(VALU_DEP_4)
	v_lshrrev_b32_e32 v42, 24, v34
	v_lshrrev_b32_e32 v43, 16, v34
	v_lshlrev_b16 v37, 8, v37
	s_delay_alu instid0(VALU_DEP_4) | instskip(SKIP_3) | instid1(VALU_DEP_1)
	v_sub_nc_u16 v38, v38, v39
	v_lshrrev_b16 v39, 8, v5
	v_sub_nc_u16 v5, v5, v33
	v_lshrrev_b16 v33, 8, v33
	v_sub_nc_u16 v33, v39, v33
	v_bfe_u32 v39, v1, 24, 2
	v_and_b32_e32 v1, 0x3030303, v1
	s_delay_alu instid0(VALU_DEP_3) | instskip(NEXT) | instid1(VALU_DEP_3)
	v_lshlrev_b16 v33, 8, v33
	v_sub_nc_u16 v39, v39, v40
	s_delay_alu instid0(VALU_DEP_3) | instskip(NEXT) | instid1(VALU_DEP_2)
	v_lshrrev_b32_e32 v40, 16, v1
	v_lshlrev_b16 v39, 8, v39
	s_delay_alu instid0(VALU_DEP_2) | instskip(SKIP_3) | instid1(VALU_DEP_1)
	v_sub_nc_u16 v40, v40, v41
	v_lshrrev_b16 v41, 8, v1
	v_sub_nc_u16 v1, v1, v7
	v_lshrrev_b16 v7, 8, v7
	v_sub_nc_u16 v7, v41, v7
	v_bfe_u32 v41, v30, 24, 2
	v_and_b32_e32 v30, 0x3030303, v30
	s_delay_alu instid0(VALU_DEP_3) | instskip(NEXT) | instid1(VALU_DEP_3)
	v_lshlrev_b16 v7, 8, v7
	v_sub_nc_u16 v41, v41, v42
	s_delay_alu instid0(VALU_DEP_3) | instskip(NEXT) | instid1(VALU_DEP_2)
	v_lshrrev_b32_e32 v42, 16, v30
	v_lshlrev_b16 v41, 8, v41
	s_delay_alu instid0(VALU_DEP_2) | instskip(SKIP_3) | instid1(VALU_DEP_1)
	v_sub_nc_u16 v42, v42, v43
	v_lshrrev_b16 v43, 8, v30
	v_sub_nc_u16 v30, v30, v34
	v_lshrrev_b16 v34, 8, v34
	v_sub_nc_u16 v34, v43, v34
	v_and_b32_e32 v43, 0xff, v36
	s_delay_alu instid0(VALU_DEP_2) | instskip(NEXT) | instid1(VALU_DEP_2)
	v_lshlrev_b16 v34, 8, v34
	v_or_b32_e32 v35, v43, v35
	v_and_b32_e32 v43, 0xff, v28
	s_delay_alu instid0(VALU_DEP_2) | instskip(NEXT) | instid1(VALU_DEP_2)
	v_perm_b32 v28, v28, v35, 0x4010c0c
	v_or_b32_e32 v3, v43, v3
	v_and_b32_e32 v43, 0xff, v38
	s_delay_alu instid0(VALU_DEP_2) | instskip(NEXT) | instid1(VALU_DEP_2)
	v_perm_b32 v3, v36, v3, 0xc0c0401
	v_or_b32_e32 v37, v43, v37
	v_and_b32_e32 v43, 0xff, v5
	s_delay_alu instid0(VALU_DEP_3) | instskip(NEXT) | instid1(VALU_DEP_3)
	v_or_b32_e32 v3, v28, v3
	v_perm_b32 v5, v5, v37, 0x4010c0c
	s_delay_alu instid0(VALU_DEP_3) | instskip(SKIP_1) | instid1(VALU_DEP_4)
	v_or_b32_e32 v33, v43, v33
	v_and_b32_e32 v43, 0xff, v40
	v_dot4_i32_iu8 v3, v3, v141, v2 neg_lo:[1,1,0]
	v_add3_u32 v2, v114, s26, v151
	s_delay_alu instid0(VALU_DEP_4) | instskip(NEXT) | instid1(VALU_DEP_4)
	v_perm_b32 v33, v38, v33, 0xc0c0401
	v_or_b32_e32 v39, v43, v39
	v_and_b32_e32 v43, 0xff, v1
	s_delay_alu instid0(VALU_DEP_3) | instskip(NEXT) | instid1(VALU_DEP_3)
	v_or_b32_e32 v5, v5, v33
	v_perm_b32 v1, v1, v39, 0x4010c0c
	s_delay_alu instid0(VALU_DEP_3) | instskip(SKIP_1) | instid1(VALU_DEP_4)
	v_or_b32_e32 v7, v43, v7
	v_and_b32_e32 v43, 0xff, v42
	v_dot4_i32_iu8 v28, v5, v141, v4 neg_lo:[1,1,0]
	v_add3_u32 v4, v112, s26, v151
	ds_load_u16 v2, v2 offset:25346
	ds_load_u16 v4, v4 offset:27394
	v_or_b32_e32 v41, v43, v41
	v_and_b32_e32 v43, 0xff, v30
	v_perm_b32 v7, v40, v7, 0xc0c0401
	s_mov_b32 s26, s25
	s_delay_alu instid0(VALU_DEP_3) | instskip(NEXT) | instid1(VALU_DEP_3)
	v_perm_b32 v30, v30, v41, 0x4010c0c
	v_or_b32_e32 v34, v43, v34
	s_delay_alu instid0(VALU_DEP_3) | instskip(NEXT) | instid1(VALU_DEP_2)
	v_or_b32_e32 v1, v1, v7
	v_perm_b32 v34, v42, v34, 0xc0c0401
	s_delay_alu instid0(VALU_DEP_1) | instskip(NEXT) | instid1(VALU_DEP_3)
	v_or_b32_e32 v7, v30, v34
	v_dot4_i32_iu8 v30, v1, v141, v0 neg_lo:[1,1,0]
	s_waitcnt lgkmcnt(1)
	v_lshrrev_b16 v0, 8, v2
	v_bfe_i32 v1, v2, 0, 8
	s_waitcnt lgkmcnt(0)
	v_lshrrev_b16 v5, 8, v4
	v_dot4_i32_iu8 v33, v7, v141, v6 neg_lo:[1,1,0]
	v_bfe_i32 v7, v148, 0, 8
	v_bfe_i32 v34, v0, 0, 8
	v_mul_lo_u32 v0, v27, v1
	v_lshrrev_b16 v6, 8, v148
	v_bfe_i32 v4, v4, 0, 8
	v_lshrrev_b16 v27, 8, v149
	s_delay_alu instid0(VALU_DEP_3)
	v_bfe_i32 v6, v6, 0, 8
	v_mad_u64_u32 v[1:2], null, v3, v34, v[0:1]
	v_mul_lo_u32 v0, v29, v7
	v_bfe_i32 v3, v149, 0, 8
	v_mul_lo_u32 v2, v31, v4
	v_bfe_i32 v34, v5, 0, 8
	v_bfe_i32 v27, v27, 0, 8
	s_delay_alu instid0(VALU_DEP_4) | instskip(SKIP_3) | instid1(VALU_DEP_4)
	v_mul_lo_u32 v3, v32, v3
	v_mad_u64_u32 v[4:5], null, v28, v6, v[0:1]
	v_mul_f32_e32 v0, v140, v142
	v_cvt_f32_i32_e32 v1, v1
	v_mad_u64_u32 v[5:6], null, v30, v34, v[2:3]
	s_delay_alu instid0(VALU_DEP_4)
	v_mad_u64_u32 v[6:7], null, v33, v27, v[3:4]
	v_mul_f32_e32 v2, v140, v143
	v_mul_f32_e32 v3, v140, v146
	;; [unrolled: 1-line block ×3, first 2 shown]
	v_cvt_f32_i32_e32 v4, v4
	v_cvt_f32_i32_e32 v5, v5
	v_fmac_f32_e32 v49, v0, v1
	v_cvt_f32_i32_e32 v6, v6
	s_delay_alu instid0(VALU_DEP_4) | instskip(NEXT) | instid1(VALU_DEP_2)
	v_fmac_f32_e32 v99, v3, v4
	v_dual_fmac_f32 v95, v2, v5 :: v_dual_fmac_f32 v24, v7, v6
	s_cbranch_scc1 .LBB190_12
; %bb.13:                               ;   in Loop: Header=BB190_5 Depth=1
	s_or_b32 s1, s6, 0x80
	s_delay_alu instid0(SALU_CYCLE_1)
	s_cmp_ge_i32 s1, s5
	s_barrier
	buffer_gl0_inv
	s_cbranch_scc1 .LBB190_4
; %bb.14:                               ;   in Loop: Header=BB190_5 Depth=1
	v_add_nc_u32_e32 v0, s20, v107
	s_delay_alu instid0(VALU_DEP_1) | instskip(NEXT) | instid1(VALU_DEP_1)
	v_cmp_gt_i32_e64 s1, s8, v0
	s_and_b32 s21, s0, s1
	s_delay_alu instid0(SALU_CYCLE_1)
	s_and_saveexec_b32 s1, s21
	s_cbranch_execz .LBB190_16
; %bb.15:                               ;   in Loop: Header=BB190_5 Depth=1
	v_add_nc_u32_e32 v2, v103, v0
	s_delay_alu instid0(VALU_DEP_1)
	v_mad_i64_i32 v[0:1], null, v2, 36, v[25:26]
	global_load_b32 v0, v[0:1], off offset:4
	s_waitcnt vmcnt(0)
	ds_store_b32 v89, v0
.LBB190_16:                             ;   in Loop: Header=BB190_5 Depth=1
	s_or_b32 exec_lo, exec_lo, s1
	s_and_saveexec_b32 s21, vcc_lo
	s_cbranch_execz .LBB190_19
; %bb.17:                               ;   in Loop: Header=BB190_5 Depth=1
	v_or_b32_e32 v0, s20, v48
	s_delay_alu instid0(VALU_DEP_1) | instskip(NEXT) | instid1(VALU_DEP_1)
	v_or_b32_e32 v1, 4, v0
	v_cmp_gt_i32_e64 s1, s8, v1
	s_delay_alu instid0(VALU_DEP_1) | instskip(NEXT) | instid1(SALU_CYCLE_1)
	s_and_b32 s1, s0, s1
	s_and_b32 exec_lo, exec_lo, s1
	s_cbranch_execz .LBB190_19
; %bb.18:                               ;   in Loop: Header=BB190_5 Depth=1
	v_ashrrev_i32_e32 v1, 31, v0
	v_add_co_u32 v2, s1, v103, v0
	s_delay_alu instid0(VALU_DEP_1) | instskip(NEXT) | instid1(VALU_DEP_2)
	v_add_co_ci_u32_e64 v3, s1, v110, v1, s1
	v_mad_u64_u32 v[0:1], null, v2, 36, s[14:15]
	s_delay_alu instid0(VALU_DEP_1)
	v_mad_i32_i24 v1, v3, 36, v1
	global_load_b32 v0, v[0:1], off
	s_waitcnt vmcnt(0)
	v_cvt_f32_f16_e32 v0, v0
	ds_store_b32 v90, v0
.LBB190_19:                             ;   in Loop: Header=BB190_5 Depth=1
	s_or_b32 exec_lo, exec_lo, s21
	v_dual_mov_b32 v138, v115 :: v_dual_mov_b32 v139, v116
	s_mov_b32 s1, 8
	s_mov_b32 s21, 0
	s_mov_b32 s25, 4
	s_waitcnt lgkmcnt(0)
	s_barrier
	buffer_gl0_inv
.LBB190_20:                             ;   Parent Loop BB190_5 Depth=1
                                        ; =>  This Inner Loop Header: Depth=2
	ds_load_b128 v[4:7], v138
	ds_load_b128 v[0:3], v138 offset:16
	s_add_i32 s26, s21, 8
	v_add_nc_u32_e32 v138, 32, v138
	s_and_b32 s28, s26, 0x3ffffff8
	s_lshr_b32 s27, s26, 4
	s_lshl_b32 s28, s28, 2
	s_lshl_b32 s29, s27, 2
	v_add_nc_u32_e32 v147, s28, v93
	v_add_nc_u32_e32 v148, s28, v97
	;; [unrolled: 1-line block ×4, first 2 shown]
	ds_load_2addr_b32 v[29:30], v147 offset1:1
	ds_load_2addr_b32 v[27:28], v147 offset0:6 offset1:7
	ds_load_2addr_b32 v[31:32], v147 offset0:2 offset1:3
	;; [unrolled: 1-line block ×3, first 2 shown]
	ds_load_b32 v140, v35
	v_add_nc_u32_e32 v161, s28, v105
	s_lshl_b32 s27, s27, 3
	s_delay_alu instid0(SALU_CYCLE_1)
	v_add_lshl_u32 v164, v92, s27, 2
	v_add_lshl_u32 v167, v96, s27, 2
	s_waitcnt lgkmcnt(6)
	v_perm_b32 v150, v6, v6, 0x30201
	s_waitcnt lgkmcnt(5)
	v_perm_b32 v157, v0, v0, 0x30201
	v_perm_b32 v158, v1, v1, 0x30201
	ds_load_2addr_b32 v[0:1], v148 offset1:1
	v_perm_b32 v144, v2, v2, 0x30201
	v_perm_b32 v141, v3, v3, 0x30201
	v_add_nc_u32_e32 v6, 0x4208, v164
	v_perm_b32 v149, v4, v4, 0x30201
	v_perm_b32 v151, v5, v5, 0x30201
	;; [unrolled: 1-line block ×3, first 2 shown]
	v_add_lshl_u32 v170, v100, s27, 2
	s_waitcnt lgkmcnt(5)
	v_ashrrev_i32_e32 v152, s21, v29
	v_ashrrev_i32_e32 v153, s21, v30
	v_add_lshl_u32 v173, v104, s27, 2
	s_and_b32 s27, s1, -16
	v_add_nc_u32_e32 v43, 0x4208, v170
	v_bfe_u32 v174, v152, 24, 2
	v_and_b32_e32 v152, 0x3030303, v152
	s_waitcnt lgkmcnt(3)
	v_ashrrev_i32_e32 v31, s21, v31
	s_waitcnt lgkmcnt(2)
	v_ashrrev_i32_e32 v33, s21, v33
	v_ashrrev_i32_e32 v27, s21, v27
	;; [unrolled: 1-line block ×3, first 2 shown]
	s_add_i32 s1, s1, 2
	s_waitcnt lgkmcnt(0)
	v_ashrrev_i32_e32 v154, s21, v0
	v_ashrrev_i32_e32 v155, s21, v1
	ds_load_2addr_b32 v[2:3], v156 offset1:1
	ds_load_2addr_b32 v[0:1], v156 offset0:6 offset1:7
	ds_load_2addr_b32 v[35:36], v156 offset0:2 offset1:3
	s_waitcnt lgkmcnt(2)
	v_ashrrev_i32_e32 v159, s21, v2
	v_add_nc_u32_e32 v2, s29, v102
	v_ashrrev_i32_e32 v160, s21, v3
	ds_load_2addr_b32 v[37:38], v161 offset0:2 offset1:3
	ds_load_b32 v142, v2
	ds_load_2addr_b32 v[2:3], v161 offset1:1
	s_waitcnt lgkmcnt(3)
	v_ashrrev_i32_e32 v35, s21, v35
	v_ashrrev_i32_e32 v0, s21, v0
	;; [unrolled: 1-line block ×3, first 2 shown]
	s_waitcnt lgkmcnt(2)
	v_ashrrev_i32_e32 v37, s21, v37
	s_waitcnt lgkmcnt(0)
	v_ashrrev_i32_e32 v162, s21, v2
	v_add_nc_u32_e32 v2, 0x4200, v164
	v_ashrrev_i32_e32 v163, s21, v3
	v_add_nc_u32_e32 v3, 0x4218, v164
	ds_load_2addr_b32 v[4:5], v2 offset1:1
	ds_load_2addr_b32 v[2:3], v3 offset1:1
	;; [unrolled: 1-line block ×3, first 2 shown]
	s_waitcnt lgkmcnt(2)
	v_ashrrev_i32_e32 v165, s25, v4
	v_add_nc_u32_e32 v4, 0x4200, v167
	v_ashrrev_i32_e32 v166, s25, v5
	v_add_nc_u32_e32 v5, 0x4208, v167
	ds_load_2addr_b32 v[6:7], v4 offset1:1
	ds_load_2addr_b32 v[41:42], v5 offset1:1
	ds_load_2addr_b32 v[4:5], v148 offset0:6 offset1:7
	v_lshlrev_b32_e32 v165, 2, v165
	v_lshlrev_b32_e32 v166, 2, v166
	s_waitcnt lgkmcnt(3)
	v_ashrrev_i32_e32 v39, s25, v39
	v_ashrrev_i32_e32 v2, s25, v2
	;; [unrolled: 1-line block ×3, first 2 shown]
	v_and_b32_e32 v165, 0x4040404, v165
	v_and_b32_e32 v166, 0x4040404, v166
	v_lshlrev_b32_e32 v39, 2, v39
	v_lshlrev_b32_e32 v2, 2, v2
	;; [unrolled: 1-line block ×3, first 2 shown]
	v_lshrrev_b32_e32 v175, 24, v165
	v_lshrrev_b32_e32 v176, 16, v165
	v_lshrrev_b32_e32 v177, 24, v166
	v_lshrrev_b32_e32 v178, 16, v166
	v_and_b32_e32 v39, 0x4040404, v39
	v_sub_nc_u16 v174, v174, v175
	v_lshrrev_b32_e32 v175, 16, v152
	s_waitcnt lgkmcnt(2)
	v_ashrrev_i32_e32 v168, s25, v6
	v_add_nc_u32_e32 v6, 0x4200, v170
	v_ashrrev_i32_e32 v169, s25, v7
	v_add_nc_u32_e32 v7, 0x4218, v170
	v_sub_nc_u16 v175, v175, v176
	v_lshrrev_b16 v176, 8, v152
	v_sub_nc_u16 v152, v152, v165
	v_lshrrev_b16 v165, 8, v165
	v_lshlrev_b32_e32 v168, 2, v168
	ds_load_2addr_b32 v[29:30], v6 offset1:1
	ds_load_2addr_b32 v[6:7], v7 offset1:1
	;; [unrolled: 1-line block ×3, first 2 shown]
	v_lshlrev_b32_e32 v169, 2, v169
	v_lshlrev_b16 v174, 8, v174
	v_sub_nc_u16 v165, v176, v165
	v_bfe_u32 v176, v153, 24, 2
	v_and_b32_e32 v153, 0x3030303, v153
	v_and_b32_e32 v168, 0x4040404, v168
	;; [unrolled: 1-line block ×3, first 2 shown]
	v_lshlrev_b16 v165, 8, v165
	v_sub_nc_u16 v176, v176, v177
	v_lshrrev_b32_e32 v177, 16, v153
	v_lshrrev_b32_e32 v179, 24, v168
	;; [unrolled: 1-line block ×5, first 2 shown]
	v_sub_nc_u16 v177, v177, v178
	v_lshrrev_b16 v178, 8, v153
	v_sub_nc_u16 v153, v153, v166
	v_lshrrev_b16 v166, 8, v166
	s_waitcnt lgkmcnt(2)
	v_ashrrev_i32_e32 v171, s25, v29
	v_add_nc_u32_e32 v29, 0x4200, v173
	v_ashrrev_i32_e32 v172, s25, v30
	v_add_nc_u32_e32 v30, 0x4208, v173
	v_sub_nc_u16 v166, v178, v166
	v_bfe_u32 v178, v154, 24, 2
	v_and_b32_e32 v154, 0x3030303, v154
	v_lshlrev_b32_e32 v171, 2, v171
	ds_load_2addr_b32 v[145:146], v29 offset1:1
	ds_load_2addr_b32 v[45:46], v30 offset1:1
	ds_load_2addr_b32 v[29:30], v161 offset0:6 offset1:7
	v_lshlrev_b32_e32 v172, 2, v172
	v_sub_nc_u16 v178, v178, v179
	v_lshrrev_b32_e32 v179, 16, v154
	v_and_b32_e32 v171, 0x4040404, v171
	v_lshlrev_b16 v176, 8, v176
	v_and_b32_e32 v172, 0x4040404, v172
	v_lshlrev_b16 v166, 8, v166
	v_sub_nc_u16 v179, v179, v180
	v_lshrrev_b16 v180, 8, v154
	v_sub_nc_u16 v154, v154, v168
	v_lshrrev_b16 v168, 8, v168
	v_lshrrev_b32_e32 v183, 24, v171
	v_lshrrev_b32_e32 v184, 16, v171
	;; [unrolled: 1-line block ×4, first 2 shown]
	v_sub_nc_u16 v168, v180, v168
	v_bfe_u32 v180, v155, 24, 2
	v_and_b32_e32 v155, 0x3030303, v155
	s_waitcnt lgkmcnt(2)
	v_ashrrev_i32_e32 v145, s25, v145
	v_ashrrev_i32_e32 v146, s25, v146
	v_lshlrev_b16 v178, 8, v178
	v_sub_nc_u16 v180, v180, v181
	v_lshrrev_b32_e32 v181, 16, v155
	v_lshlrev_b32_e32 v145, 2, v145
	v_lshlrev_b32_e32 v146, 2, v146
	v_lshlrev_b16 v168, 8, v168
	v_lshlrev_b16 v180, 8, v180
	v_sub_nc_u16 v181, v181, v182
	v_lshrrev_b16 v182, 8, v155
	v_sub_nc_u16 v155, v155, v169
	v_lshrrev_b16 v169, 8, v169
	v_and_b32_e32 v145, 0x4040404, v145
	v_and_b32_e32 v146, 0x4040404, v146
	v_ashrrev_i32_e32 v41, s25, v41
	v_ashrrev_i32_e32 v43, s25, v43
	v_sub_nc_u16 v169, v182, v169
	v_bfe_u32 v182, v159, 24, 2
	v_and_b32_e32 v159, 0x3030303, v159
	v_lshrrev_b32_e32 v187, 24, v145
	v_lshrrev_b32_e32 v188, 16, v145
	;; [unrolled: 1-line block ×3, first 2 shown]
	v_sub_nc_u16 v182, v182, v183
	v_lshrrev_b32_e32 v183, 16, v159
	v_lshrrev_b32_e32 v190, 16, v146
	v_lshlrev_b16 v169, 8, v169
	v_lshlrev_b32_e32 v41, 2, v41
	v_lshlrev_b16 v182, 8, v182
	v_sub_nc_u16 v183, v183, v184
	v_lshrrev_b16 v184, 8, v159
	v_sub_nc_u16 v159, v159, v171
	v_lshrrev_b16 v171, 8, v171
	v_and_b32_e32 v41, 0x4040404, v41
	v_lshlrev_b32_e32 v43, 2, v43
	s_waitcnt lgkmcnt(1)
	v_ashrrev_i32_e32 v45, s25, v45
	v_and_b32_e32 v2, 0x4040404, v2
	v_sub_nc_u16 v171, v184, v171
	v_bfe_u32 v184, v160, 24, 2
	v_and_b32_e32 v160, 0x3030303, v160
	v_and_b32_e32 v43, 0x4040404, v43
	v_lshlrev_b32_e32 v45, 2, v45
	v_lshlrev_b16 v171, 8, v171
	v_sub_nc_u16 v184, v184, v185
	v_lshrrev_b32_e32 v185, 16, v160
	v_ashrrev_i32_e32 v4, s21, v4
	v_and_b32_e32 v45, 0x4040404, v45
	v_ashrrev_i32_e32 v6, s25, v6
	v_lshlrev_b16 v184, 8, v184
	v_sub_nc_u16 v185, v185, v186
	v_lshrrev_b16 v186, 8, v160
	v_sub_nc_u16 v160, v160, v172
	v_lshrrev_b16 v172, 8, v172
	v_lshlrev_b32_e32 v6, 2, v6
	s_waitcnt lgkmcnt(0)
	v_ashrrev_i32_e32 v29, s21, v29
	v_and_b32_e32 v3, 0x4040404, v3
	v_ashrrev_i32_e32 v5, s21, v5
	v_sub_nc_u16 v172, v186, v172
	v_bfe_u32 v186, v162, 24, 2
	v_and_b32_e32 v162, 0x3030303, v162
	v_and_b32_e32 v6, 0x4040404, v6
	v_ashrrev_i32_e32 v7, s25, v7
	v_lshlrev_b16 v172, 8, v172
	v_sub_nc_u16 v186, v186, v187
	v_lshrrev_b32_e32 v187, 16, v162
	v_ashrrev_i32_e32 v30, s21, v30
	v_lshlrev_b32_e32 v7, 2, v7
	s_delay_alu instid0(VALU_DEP_4) | instskip(NEXT) | instid1(VALU_DEP_4)
	v_lshlrev_b16 v186, 8, v186
	v_sub_nc_u16 v187, v187, v188
	v_lshrrev_b16 v188, 8, v162
	v_sub_nc_u16 v162, v162, v145
	v_lshrrev_b16 v145, 8, v145
	v_and_b32_e32 v7, 0x4040404, v7
	s_delay_alu instid0(VALU_DEP_2) | instskip(SKIP_2) | instid1(VALU_DEP_3)
	v_sub_nc_u16 v145, v188, v145
	v_bfe_u32 v188, v163, 24, 2
	v_and_b32_e32 v163, 0x3030303, v163
	v_lshlrev_b16 v145, 8, v145
	s_delay_alu instid0(VALU_DEP_3) | instskip(NEXT) | instid1(VALU_DEP_3)
	v_sub_nc_u16 v188, v188, v189
	v_lshrrev_b32_e32 v189, 16, v163
	s_delay_alu instid0(VALU_DEP_2) | instskip(NEXT) | instid1(VALU_DEP_2)
	v_lshlrev_b16 v188, 8, v188
	v_sub_nc_u16 v189, v189, v190
	v_lshrrev_b16 v190, 8, v163
	v_sub_nc_u16 v163, v163, v146
	v_lshrrev_b16 v146, 8, v146
	s_delay_alu instid0(VALU_DEP_1) | instskip(SKIP_1) | instid1(VALU_DEP_2)
	v_sub_nc_u16 v146, v190, v146
	v_and_b32_e32 v190, 0xff, v175
	v_lshlrev_b16 v146, 8, v146
	s_delay_alu instid0(VALU_DEP_2) | instskip(SKIP_1) | instid1(VALU_DEP_2)
	v_or_b32_e32 v174, v190, v174
	v_and_b32_e32 v190, 0xff, v152
	v_perm_b32 v152, v152, v174, 0x4010c0c
	s_delay_alu instid0(VALU_DEP_2) | instskip(SKIP_1) | instid1(VALU_DEP_2)
	v_or_b32_e32 v165, v190, v165
	v_and_b32_e32 v190, 0xff, v177
	v_perm_b32 v165, v175, v165, 0xc0c0401
	s_delay_alu instid0(VALU_DEP_2) | instskip(SKIP_1) | instid1(VALU_DEP_3)
	v_or_b32_e32 v176, v190, v176
	v_and_b32_e32 v190, 0xff, v153
	v_or_b32_e32 v152, v152, v165
	s_delay_alu instid0(VALU_DEP_3) | instskip(NEXT) | instid1(VALU_DEP_3)
	v_perm_b32 v153, v153, v176, 0x4010c0c
	v_or_b32_e32 v166, v190, v166
	v_and_b32_e32 v190, 0xff, v179
	s_delay_alu instid0(VALU_DEP_4) | instskip(NEXT) | instid1(VALU_DEP_3)
	v_dot4_i32_iu8 v152, v152, v149, 0 neg_lo:[1,1,0]
	v_perm_b32 v166, v177, v166, 0xc0c0401
	s_delay_alu instid0(VALU_DEP_3) | instskip(SKIP_1) | instid1(VALU_DEP_3)
	v_or_b32_e32 v178, v190, v178
	v_and_b32_e32 v190, 0xff, v154
	v_or_b32_e32 v153, v153, v166
	s_delay_alu instid0(VALU_DEP_3) | instskip(NEXT) | instid1(VALU_DEP_3)
	v_perm_b32 v154, v154, v178, 0x4010c0c
	v_or_b32_e32 v168, v190, v168
	v_and_b32_e32 v190, 0xff, v181
	s_delay_alu instid0(VALU_DEP_2) | instskip(NEXT) | instid1(VALU_DEP_2)
	v_perm_b32 v168, v179, v168, 0xc0c0401
	v_or_b32_e32 v180, v190, v180
	v_and_b32_e32 v190, 0xff, v155
	s_delay_alu instid0(VALU_DEP_3) | instskip(NEXT) | instid1(VALU_DEP_3)
	v_or_b32_e32 v154, v154, v168
	v_perm_b32 v155, v155, v180, 0x4010c0c
	s_delay_alu instid0(VALU_DEP_3) | instskip(SKIP_1) | instid1(VALU_DEP_4)
	v_or_b32_e32 v169, v190, v169
	v_and_b32_e32 v190, 0xff, v183
	v_dot4_i32_iu8 v154, v154, v149, 0 neg_lo:[1,1,0]
	s_delay_alu instid0(VALU_DEP_3) | instskip(NEXT) | instid1(VALU_DEP_3)
	v_perm_b32 v169, v181, v169, 0xc0c0401
	v_or_b32_e32 v182, v190, v182
	v_and_b32_e32 v190, 0xff, v159
	s_delay_alu instid0(VALU_DEP_3) | instskip(NEXT) | instid1(VALU_DEP_3)
	v_or_b32_e32 v155, v155, v169
	v_perm_b32 v159, v159, v182, 0x4010c0c
	s_delay_alu instid0(VALU_DEP_3) | instskip(SKIP_1) | instid1(VALU_DEP_2)
	v_or_b32_e32 v171, v190, v171
	v_and_b32_e32 v190, 0xff, v185
	v_perm_b32 v171, v183, v171, 0xc0c0401
	s_delay_alu instid0(VALU_DEP_2) | instskip(SKIP_1) | instid1(VALU_DEP_3)
	v_or_b32_e32 v184, v190, v184
	v_and_b32_e32 v190, 0xff, v160
	v_or_b32_e32 v159, v159, v171
	s_delay_alu instid0(VALU_DEP_3) | instskip(NEXT) | instid1(VALU_DEP_3)
	v_perm_b32 v160, v160, v184, 0x4010c0c
	v_or_b32_e32 v172, v190, v172
	v_and_b32_e32 v190, 0xff, v187
	s_delay_alu instid0(VALU_DEP_4) | instskip(NEXT) | instid1(VALU_DEP_3)
	v_dot4_i32_iu8 v159, v159, v149, 0 neg_lo:[1,1,0]
	v_perm_b32 v172, v185, v172, 0xc0c0401
	s_delay_alu instid0(VALU_DEP_3) | instskip(SKIP_1) | instid1(VALU_DEP_3)
	v_or_b32_e32 v186, v190, v186
	v_and_b32_e32 v190, 0xff, v162
	v_or_b32_e32 v160, v160, v172
	s_delay_alu instid0(VALU_DEP_3) | instskip(NEXT) | instid1(VALU_DEP_3)
	v_perm_b32 v162, v162, v186, 0x4010c0c
	v_or_b32_e32 v145, v190, v145
	v_and_b32_e32 v190, 0xff, v189
	s_delay_alu instid0(VALU_DEP_4) | instskip(NEXT) | instid1(VALU_DEP_3)
	v_dot4_i32_iu8 v159, v160, v151, v159 neg_lo:[1,1,0]
	v_perm_b32 v145, v187, v145, 0xc0c0401
	s_delay_alu instid0(VALU_DEP_3) | instskip(SKIP_1) | instid1(VALU_DEP_3)
	v_or_b32_e32 v188, v190, v188
	v_and_b32_e32 v190, 0xff, v163
	v_or_b32_e32 v145, v162, v145
	s_delay_alu instid0(VALU_DEP_3) | instskip(NEXT) | instid1(VALU_DEP_3)
	v_perm_b32 v163, v163, v188, 0x4010c0c
	v_or_b32_e32 v146, v190, v146
	v_dot4_i32_iu8 v162, v153, v151, v152 neg_lo:[1,1,0]
	v_add_nc_u32_e32 v153, 0x4210, v173
	v_dot4_i32_iu8 v145, v145, v149, 0 neg_lo:[1,1,0]
	v_add_nc_u32_e32 v149, s21, v91
	v_perm_b32 v146, v189, v146, 0xc0c0401
	s_delay_alu instid0(VALU_DEP_1) | instskip(SKIP_2) | instid1(VALU_DEP_3)
	v_or_b32_e32 v146, v163, v146
	v_dot4_i32_iu8 v163, v155, v151, v154 neg_lo:[1,1,0]
	v_add_nc_u32_e32 v155, 0x4218, v173
	v_dot4_i32_iu8 v160, v146, v151, v145 neg_lo:[1,1,0]
	ds_load_2addr_b32 v[145:146], v147 offset0:4 offset1:5
	v_add_nc_u32_e32 v147, 0x4210, v167
	v_add_nc_u32_e32 v151, 0x4218, v167
	s_waitcnt lgkmcnt(0)
	v_ashrrev_i32_e32 v165, s21, v145
	v_ashrrev_i32_e32 v166, s21, v146
	ds_load_2addr_b32 v[145:146], v148 offset0:4 offset1:5
	v_bfe_u32 v173, v165, 24, 2
	v_and_b32_e32 v165, 0x3030303, v165
	s_waitcnt lgkmcnt(0)
	v_ashrrev_i32_e32 v168, s21, v145
	v_ashrrev_i32_e32 v169, s21, v146
	ds_load_2addr_b32 v[145:146], v156 offset0:4 offset1:5
	s_waitcnt lgkmcnt(0)
	v_ashrrev_i32_e32 v171, s21, v145
	v_ashrrev_i32_e32 v172, s21, v146
	ds_load_2addr_b32 v[145:146], v161 offset0:4 offset1:5
	s_waitcnt lgkmcnt(0)
	v_ashrrev_i32_e32 v161, s21, v145
	v_add_nc_u32_e32 v145, 0x4210, v164
	v_ashrrev_i32_e32 v174, s21, v146
	ds_load_2addr_b32 v[145:146], v145 offset1:1
	s_waitcnt lgkmcnt(0)
	v_ashrrev_i32_e32 v164, s25, v145
	v_add3_u32 v145, v119, s27, v149
	v_ashrrev_i32_e32 v175, s25, v146
	s_delay_alu instid0(VALU_DEP_3)
	v_lshlrev_b32_e32 v164, 2, v164
	ds_load_u16 v146, v145
	v_add_nc_u32_e32 v145, s29, v98
	ds_load_b32 v145, v145
	ds_load_2addr_b32 v[147:148], v147 offset1:1
	ds_load_2addr_b32 v[151:152], v151 offset1:1
	v_and_b32_e32 v164, 0x4040404, v164
	v_lshlrev_b32_e32 v175, 2, v175
	s_delay_alu instid0(VALU_DEP_2) | instskip(SKIP_1) | instid1(VALU_DEP_3)
	v_lshrrev_b32_e32 v178, 24, v164
	v_lshrrev_b32_e32 v179, 16, v164
	v_and_b32_e32 v175, 0x4040404, v175
	s_delay_alu instid0(VALU_DEP_3) | instskip(SKIP_1) | instid1(VALU_DEP_3)
	v_sub_nc_u16 v173, v173, v178
	v_lshrrev_b32_e32 v178, 16, v165
	v_lshrrev_b32_e32 v180, 24, v175
	;; [unrolled: 1-line block ×3, first 2 shown]
	s_delay_alu instid0(VALU_DEP_4) | instskip(NEXT) | instid1(VALU_DEP_4)
	v_lshlrev_b16 v173, 8, v173
	v_sub_nc_u16 v178, v178, v179
	v_lshrrev_b16 v179, 8, v165
	v_sub_nc_u16 v165, v165, v164
	v_lshrrev_b16 v164, 8, v164
	s_waitcnt lgkmcnt(1)
	v_ashrrev_i32_e32 v167, s25, v147
	v_add_nc_u32_e32 v147, 0x4210, v170
	v_ashrrev_i32_e32 v176, s25, v148
	v_sub_nc_u16 v164, v179, v164
	v_bfe_u32 v179, v166, 24, 2
	v_and_b32_e32 v166, 0x3030303, v166
	v_lshlrev_b32_e32 v167, 2, v167
	ds_load_2addr_b32 v[147:148], v147 offset1:1
	v_lshlrev_b32_e32 v176, 2, v176
	v_sub_nc_u16 v179, v179, v180
	v_lshrrev_b32_e32 v180, 16, v166
	v_and_b32_e32 v167, 0x4040404, v167
	v_lshlrev_b16 v164, 8, v164
	v_and_b32_e32 v176, 0x4040404, v176
	v_lshlrev_b16 v179, 8, v179
	v_sub_nc_u16 v180, v180, v181
	v_lshrrev_b16 v181, 8, v166
	v_sub_nc_u16 v166, v166, v175
	v_lshrrev_b16 v175, 8, v175
	v_lshrrev_b32_e32 v182, 24, v167
	v_lshrrev_b32_e32 v183, 16, v167
	;; [unrolled: 1-line block ×4, first 2 shown]
	v_sub_nc_u16 v175, v181, v175
	v_bfe_u32 v181, v168, 24, 2
	v_and_b32_e32 v168, 0x3030303, v168
	s_waitcnt lgkmcnt(0)
	v_ashrrev_i32_e32 v170, s25, v147
	v_add3_u32 v147, v117, s27, v149
	v_sub_nc_u16 v181, v181, v182
	v_lshrrev_b32_e32 v182, 16, v168
	v_ashrrev_i32_e32 v177, s25, v148
	v_lshlrev_b32_e32 v170, 2, v170
	ds_load_u16 v148, v147
	v_add_nc_u32_e32 v147, s29, v106
	v_sub_nc_u16 v182, v182, v183
	v_lshrrev_b16 v183, 8, v168
	v_sub_nc_u16 v168, v168, v167
	v_lshrrev_b16 v167, 8, v167
	v_and_b32_e32 v170, 0x4040404, v170
	ds_load_b32 v147, v147
	ds_load_2addr_b32 v[153:154], v153 offset1:1
	ds_load_2addr_b32 v[155:156], v155 offset1:1
	v_lshlrev_b32_e32 v177, 2, v177
	v_lshlrev_b16 v175, 8, v175
	v_sub_nc_u16 v167, v183, v167
	v_bfe_u32 v183, v169, 24, 2
	v_and_b32_e32 v169, 0x3030303, v169
	v_lshrrev_b32_e32 v186, 24, v170
	v_lshrrev_b32_e32 v187, 16, v170
	v_and_b32_e32 v177, 0x4040404, v177
	v_sub_nc_u16 v183, v183, v184
	v_lshrrev_b32_e32 v184, 16, v169
	v_lshlrev_b16 v181, 8, v181
	v_lshlrev_b16 v167, 8, v167
	v_lshrrev_b32_e32 v188, 24, v177
	v_lshrrev_b32_e32 v189, 16, v177
	v_sub_nc_u16 v184, v184, v185
	v_lshrrev_b16 v185, 8, v169
	v_sub_nc_u16 v169, v169, v176
	v_lshrrev_b16 v176, 8, v176
	s_waitcnt lgkmcnt(1)
	v_ashrrev_i32_e32 v153, s25, v153
	v_ashrrev_i32_e32 v154, s25, v154
	v_lshlrev_b16 v183, 8, v183
	s_waitcnt lgkmcnt(0)
	v_ashrrev_i32_e32 v155, s25, v155
	v_sub_nc_u16 v176, v185, v176
	v_bfe_u32 v185, v171, 24, 2
	v_and_b32_e32 v171, 0x3030303, v171
	v_lshlrev_b32_e32 v153, 2, v153
	v_lshlrev_b32_e32 v154, 2, v154
	v_lshlrev_b16 v176, 8, v176
	v_sub_nc_u16 v185, v185, v186
	v_lshrrev_b32_e32 v186, 16, v171
	v_and_b32_e32 v153, 0x4040404, v153
	v_and_b32_e32 v154, 0x4040404, v154
	v_lshlrev_b32_e32 v155, 2, v155
	v_lshlrev_b16 v185, 8, v185
	v_sub_nc_u16 v186, v186, v187
	v_lshrrev_b16 v187, 8, v171
	v_sub_nc_u16 v171, v171, v170
	v_lshrrev_b16 v170, 8, v170
	v_lshrrev_b32_e32 v190, 24, v153
	v_lshrrev_b32_e32 v191, 16, v153
	v_lshrrev_b32_e32 v192, 24, v154
	v_lshrrev_b32_e32 v193, 16, v154
	v_sub_nc_u16 v170, v187, v170
	v_bfe_u32 v187, v172, 24, 2
	v_and_b32_e32 v172, 0x3030303, v172
	v_and_b32_e32 v155, 0x4040404, v155
	s_delay_alu instid0(VALU_DEP_4) | instskip(NEXT) | instid1(VALU_DEP_4)
	v_lshlrev_b16 v170, 8, v170
	v_sub_nc_u16 v187, v187, v188
	s_delay_alu instid0(VALU_DEP_4) | instskip(NEXT) | instid1(VALU_DEP_2)
	v_lshrrev_b32_e32 v188, 16, v172
	v_lshlrev_b16 v187, 8, v187
	s_delay_alu instid0(VALU_DEP_2) | instskip(SKIP_3) | instid1(VALU_DEP_1)
	v_sub_nc_u16 v188, v188, v189
	v_lshrrev_b16 v189, 8, v172
	v_sub_nc_u16 v172, v172, v177
	v_lshrrev_b16 v177, 8, v177
	v_sub_nc_u16 v177, v189, v177
	v_bfe_u32 v189, v161, 24, 2
	v_and_b32_e32 v161, 0x3030303, v161
	s_delay_alu instid0(VALU_DEP_3) | instskip(NEXT) | instid1(VALU_DEP_3)
	v_lshlrev_b16 v177, 8, v177
	v_sub_nc_u16 v189, v189, v190
	s_delay_alu instid0(VALU_DEP_3) | instskip(NEXT) | instid1(VALU_DEP_2)
	v_lshrrev_b32_e32 v190, 16, v161
	v_lshlrev_b16 v189, 8, v189
	s_delay_alu instid0(VALU_DEP_2) | instskip(SKIP_3) | instid1(VALU_DEP_1)
	v_sub_nc_u16 v190, v190, v191
	v_lshrrev_b16 v191, 8, v161
	v_sub_nc_u16 v161, v161, v153
	v_lshrrev_b16 v153, 8, v153
	v_sub_nc_u16 v153, v191, v153
	v_bfe_u32 v191, v174, 24, 2
	v_and_b32_e32 v174, 0x3030303, v174
	s_delay_alu instid0(VALU_DEP_3) | instskip(NEXT) | instid1(VALU_DEP_3)
	v_lshlrev_b16 v153, 8, v153
	v_sub_nc_u16 v191, v191, v192
	s_delay_alu instid0(VALU_DEP_3) | instskip(NEXT) | instid1(VALU_DEP_2)
	v_lshrrev_b32_e32 v192, 16, v174
	v_lshlrev_b16 v191, 8, v191
	s_delay_alu instid0(VALU_DEP_2) | instskip(SKIP_3) | instid1(VALU_DEP_1)
	v_sub_nc_u16 v192, v192, v193
	v_lshrrev_b16 v193, 8, v174
	v_sub_nc_u16 v174, v174, v154
	v_lshrrev_b16 v154, 8, v154
	v_sub_nc_u16 v154, v193, v154
	v_and_b32_e32 v193, 0xff, v178
	s_delay_alu instid0(VALU_DEP_2) | instskip(NEXT) | instid1(VALU_DEP_2)
	v_lshlrev_b16 v154, 8, v154
	v_or_b32_e32 v173, v193, v173
	v_and_b32_e32 v193, 0xff, v165
	s_delay_alu instid0(VALU_DEP_2) | instskip(NEXT) | instid1(VALU_DEP_2)
	v_perm_b32 v165, v165, v173, 0x4010c0c
	v_or_b32_e32 v164, v193, v164
	v_and_b32_e32 v193, 0xff, v180
	s_delay_alu instid0(VALU_DEP_2) | instskip(NEXT) | instid1(VALU_DEP_2)
	v_perm_b32 v164, v178, v164, 0xc0c0401
	v_or_b32_e32 v179, v193, v179
	v_and_b32_e32 v193, 0xff, v166
	s_delay_alu instid0(VALU_DEP_3) | instskip(NEXT) | instid1(VALU_DEP_3)
	v_or_b32_e32 v164, v165, v164
	v_perm_b32 v166, v166, v179, 0x4010c0c
	s_delay_alu instid0(VALU_DEP_3) | instskip(SKIP_1) | instid1(VALU_DEP_2)
	v_or_b32_e32 v175, v193, v175
	v_and_b32_e32 v193, 0xff, v182
	v_perm_b32 v173, v180, v175, 0xc0c0401
	s_delay_alu instid0(VALU_DEP_2) | instskip(SKIP_1) | instid1(VALU_DEP_3)
	v_or_b32_e32 v181, v193, v181
	v_and_b32_e32 v193, 0xff, v168
	v_or_b32_e32 v165, v166, v173
	s_delay_alu instid0(VALU_DEP_3) | instskip(NEXT) | instid1(VALU_DEP_3)
	v_perm_b32 v168, v168, v181, 0x4010c0c
	v_or_b32_e32 v167, v193, v167
	v_and_b32_e32 v193, 0xff, v184
	s_delay_alu instid0(VALU_DEP_2) | instskip(NEXT) | instid1(VALU_DEP_2)
	v_perm_b32 v167, v182, v167, 0xc0c0401
	v_or_b32_e32 v183, v193, v183
	v_and_b32_e32 v193, 0xff, v169
	s_delay_alu instid0(VALU_DEP_3) | instskip(NEXT) | instid1(VALU_DEP_3)
	v_or_b32_e32 v166, v168, v167
	v_perm_b32 v169, v169, v183, 0x4010c0c
	s_delay_alu instid0(VALU_DEP_3) | instskip(SKIP_1) | instid1(VALU_DEP_2)
	v_or_b32_e32 v176, v193, v176
	v_and_b32_e32 v193, 0xff, v186
	v_perm_b32 v175, v184, v176, 0xc0c0401
	s_delay_alu instid0(VALU_DEP_2) | instskip(SKIP_1) | instid1(VALU_DEP_3)
	v_or_b32_e32 v185, v193, v185
	v_and_b32_e32 v193, 0xff, v171
	v_or_b32_e32 v167, v169, v175
	s_delay_alu instid0(VALU_DEP_3) | instskip(NEXT) | instid1(VALU_DEP_3)
	v_perm_b32 v171, v171, v185, 0x4010c0c
	v_or_b32_e32 v170, v193, v170
	v_and_b32_e32 v193, 0xff, v188
	s_delay_alu instid0(VALU_DEP_2) | instskip(NEXT) | instid1(VALU_DEP_2)
	v_perm_b32 v170, v186, v170, 0xc0c0401
	v_or_b32_e32 v187, v193, v187
	v_and_b32_e32 v193, 0xff, v172
	s_delay_alu instid0(VALU_DEP_3) | instskip(NEXT) | instid1(VALU_DEP_3)
	v_or_b32_e32 v168, v171, v170
	v_perm_b32 v172, v172, v187, 0x4010c0c
	s_delay_alu instid0(VALU_DEP_3) | instskip(SKIP_3) | instid1(VALU_DEP_4)
	v_or_b32_e32 v177, v193, v177
	v_and_b32_e32 v193, 0xff, v190
	v_lshrrev_b32_e32 v170, 24, v45
	v_lshrrev_b32_e32 v171, 16, v45
	v_perm_b32 v176, v188, v177, 0xc0c0401
	s_delay_alu instid0(VALU_DEP_4) | instskip(SKIP_1) | instid1(VALU_DEP_3)
	v_or_b32_e32 v189, v193, v189
	v_and_b32_e32 v193, 0xff, v161
	v_or_b32_e32 v169, v172, v176
	s_delay_alu instid0(VALU_DEP_3) | instskip(NEXT) | instid1(VALU_DEP_3)
	v_perm_b32 v161, v161, v189, 0x4010c0c
	v_or_b32_e32 v153, v193, v153
	v_and_b32_e32 v193, 0xff, v192
	s_delay_alu instid0(VALU_DEP_2) | instskip(NEXT) | instid1(VALU_DEP_2)
	v_perm_b32 v153, v190, v153, 0xc0c0401
	v_or_b32_e32 v191, v193, v191
	v_and_b32_e32 v193, 0xff, v174
	s_delay_alu instid0(VALU_DEP_3) | instskip(NEXT) | instid1(VALU_DEP_3)
	v_or_b32_e32 v153, v161, v153
	v_perm_b32 v174, v174, v191, 0x4010c0c
	s_delay_alu instid0(VALU_DEP_3)
	v_or_b32_e32 v154, v193, v154
	v_dot4_i32_iu8 v161, v164, v157, 0 neg_lo:[1,1,0]
	v_dot4_i32_iu8 v164, v166, v157, 0 neg_lo:[1,1,0]
	;; [unrolled: 1-line block ×4, first 2 shown]
	v_perm_b32 v154, v192, v154, 0xc0c0401
	v_dot4_i32_iu8 v157, v165, v158, v161 neg_lo:[1,1,0]
	v_dot4_i32_iu8 v161, v167, v158, v164 neg_lo:[1,1,0]
	;; [unrolled: 1-line block ×3, first 2 shown]
	v_lshrrev_b32_e32 v165, 16, v39
	v_or_b32_e32 v154, v174, v154
	v_lshrrev_b32_e32 v166, 24, v41
	v_lshrrev_b32_e32 v167, 16, v41
	;; [unrolled: 1-line block ×4, first 2 shown]
	v_dot4_i32_iu8 v153, v154, v158, v153 neg_lo:[1,1,0]
	v_bfe_u32 v154, v31, 24, 2
	v_lshrrev_b32_e32 v158, 24, v39
	v_and_b32_e32 v31, 0x3030303, v31
	s_delay_alu instid0(VALU_DEP_2) | instskip(NEXT) | instid1(VALU_DEP_2)
	v_sub_nc_u16 v154, v154, v158
	v_lshrrev_b32_e32 v158, 16, v31
	s_delay_alu instid0(VALU_DEP_2) | instskip(NEXT) | instid1(VALU_DEP_2)
	v_lshlrev_b16 v154, 8, v154
	v_sub_nc_u16 v158, v158, v165
	v_lshrrev_b16 v165, 8, v31
	v_sub_nc_u16 v31, v31, v39
	v_lshrrev_b16 v39, 8, v39
	s_delay_alu instid0(VALU_DEP_1) | instskip(SKIP_2) | instid1(VALU_DEP_3)
	v_sub_nc_u16 v39, v165, v39
	v_bfe_u32 v165, v33, 24, 2
	v_and_b32_e32 v33, 0x3030303, v33
	v_lshlrev_b16 v39, 8, v39
	s_delay_alu instid0(VALU_DEP_3) | instskip(NEXT) | instid1(VALU_DEP_3)
	v_sub_nc_u16 v165, v165, v166
	v_lshrrev_b32_e32 v166, 16, v33
	s_delay_alu instid0(VALU_DEP_2) | instskip(NEXT) | instid1(VALU_DEP_2)
	v_lshlrev_b16 v165, 8, v165
	v_sub_nc_u16 v166, v166, v167
	v_lshrrev_b16 v167, 8, v33
	v_sub_nc_u16 v33, v33, v41
	v_lshrrev_b16 v41, 8, v41
	s_delay_alu instid0(VALU_DEP_1) | instskip(SKIP_2) | instid1(VALU_DEP_3)
	v_sub_nc_u16 v41, v167, v41
	v_bfe_u32 v167, v35, 24, 2
	v_and_b32_e32 v35, 0x3030303, v35
	v_lshlrev_b16 v41, 8, v41
	s_delay_alu instid0(VALU_DEP_3) | instskip(NEXT) | instid1(VALU_DEP_3)
	;; [unrolled: 14-line block ×3, first 2 shown]
	v_sub_nc_u16 v169, v169, v170
	v_lshrrev_b32_e32 v170, 16, v37
	s_delay_alu instid0(VALU_DEP_2) | instskip(NEXT) | instid1(VALU_DEP_2)
	v_lshlrev_b16 v169, 8, v169
	v_sub_nc_u16 v170, v170, v171
	v_lshrrev_b16 v171, 8, v37
	v_sub_nc_u16 v37, v37, v45
	v_lshrrev_b16 v45, 8, v45
	s_delay_alu instid0(VALU_DEP_1) | instskip(SKIP_1) | instid1(VALU_DEP_2)
	v_sub_nc_u16 v45, v171, v45
	v_and_b32_e32 v171, 0xff, v158
	v_lshlrev_b16 v45, 8, v45
	s_delay_alu instid0(VALU_DEP_2) | instskip(SKIP_1) | instid1(VALU_DEP_2)
	v_or_b32_e32 v154, v171, v154
	v_and_b32_e32 v171, 0xff, v31
	v_perm_b32 v31, v31, v154, 0x4010c0c
	s_delay_alu instid0(VALU_DEP_2) | instskip(SKIP_2) | instid1(VALU_DEP_3)
	v_or_b32_e32 v39, v171, v39
	v_and_b32_e32 v171, 0xff, v166
	v_lshrrev_b32_e32 v154, 24, v6
	v_perm_b32 v39, v158, v39, 0xc0c0401
	s_delay_alu instid0(VALU_DEP_3) | instskip(SKIP_2) | instid1(VALU_DEP_4)
	v_or_b32_e32 v165, v171, v165
	v_and_b32_e32 v171, 0xff, v33
	v_lshrrev_b32_e32 v158, 16, v6
	v_or_b32_e32 v31, v31, v39
	s_delay_alu instid0(VALU_DEP_4) | instskip(NEXT) | instid1(VALU_DEP_4)
	v_perm_b32 v33, v33, v165, 0x4010c0c
	v_or_b32_e32 v41, v171, v41
	v_and_b32_e32 v171, 0xff, v168
	v_bfe_u32 v39, v27, 24, 2
	v_and_b32_e32 v27, 0x3030303, v27
	v_dot4_i32_iu8 v31, v31, v150, v162 neg_lo:[1,1,0]
	v_perm_b32 v41, v166, v41, 0xc0c0401
	v_or_b32_e32 v167, v171, v167
	v_and_b32_e32 v171, 0xff, v35
	s_delay_alu instid0(VALU_DEP_3) | instskip(NEXT) | instid1(VALU_DEP_3)
	v_or_b32_e32 v33, v33, v41
	v_perm_b32 v35, v35, v167, 0x4010c0c
	s_delay_alu instid0(VALU_DEP_3) | instskip(SKIP_3) | instid1(VALU_DEP_4)
	v_or_b32_e32 v43, v171, v43
	v_lshrrev_b32_e32 v41, 24, v2
	v_and_b32_e32 v171, 0xff, v170
	v_dot4_i32_iu8 v33, v33, v150, v163 neg_lo:[1,1,0]
	v_perm_b32 v43, v168, v43, 0xc0c0401
	s_delay_alu instid0(VALU_DEP_4)
	v_sub_nc_u16 v39, v39, v41
	v_lshrrev_b32_e32 v41, 16, v27
	v_or_b32_e32 v169, v171, v169
	v_and_b32_e32 v171, 0xff, v37
	v_or_b32_e32 v35, v35, v43
	v_lshrrev_b32_e32 v43, 16, v2
	v_lshlrev_b16 v39, 8, v39
	v_perm_b32 v37, v37, v169, 0x4010c0c
	v_or_b32_e32 v45, v171, v45
	v_dot4_i32_iu8 v35, v35, v150, v159 neg_lo:[1,1,0]
	v_sub_nc_u16 v41, v41, v43
	v_lshrrev_b16 v43, 8, v27
	v_sub_nc_u16 v27, v27, v2
	v_lshrrev_b16 v2, 8, v2
	v_perm_b32 v45, v170, v45, 0xc0c0401
	v_lshrrev_b32_e32 v159, 24, v155
	s_delay_alu instid0(VALU_DEP_3) | instskip(SKIP_1) | instid1(VALU_DEP_4)
	v_sub_nc_u16 v2, v43, v2
	v_ashrrev_i32_e32 v43, s25, v151
	v_or_b32_e32 v37, v37, v45
	v_bfe_u32 v45, v4, 24, 2
	v_and_b32_e32 v4, 0x3030303, v4
	v_lshlrev_b16 v2, 8, v2
	v_lshlrev_b32_e32 v43, 2, v43
	v_dot4_i32_iu8 v37, v37, v150, v160 neg_lo:[1,1,0]
	v_lshrrev_b32_e32 v160, 16, v155
	s_delay_alu instid0(VALU_DEP_3) | instskip(NEXT) | instid1(VALU_DEP_1)
	v_and_b32_e32 v43, 0x4040404, v43
	v_lshrrev_b32_e32 v150, 24, v43
	v_lshrrev_b32_e32 v151, 16, v43
	s_delay_alu instid0(VALU_DEP_2) | instskip(SKIP_1) | instid1(VALU_DEP_2)
	v_sub_nc_u16 v45, v45, v150
	v_lshrrev_b32_e32 v150, 16, v4
	v_lshlrev_b16 v45, 8, v45
	s_delay_alu instid0(VALU_DEP_2) | instskip(SKIP_3) | instid1(VALU_DEP_1)
	v_sub_nc_u16 v150, v150, v151
	v_lshrrev_b16 v151, 8, v4
	v_sub_nc_u16 v4, v4, v43
	v_lshrrev_b16 v43, 8, v43
	v_sub_nc_u16 v43, v151, v43
	v_bfe_u32 v151, v0, 24, 2
	v_and_b32_e32 v0, 0x3030303, v0
	s_delay_alu instid0(VALU_DEP_3) | instskip(NEXT) | instid1(VALU_DEP_3)
	v_lshlrev_b16 v43, 8, v43
	v_sub_nc_u16 v151, v151, v154
	s_delay_alu instid0(VALU_DEP_3) | instskip(NEXT) | instid1(VALU_DEP_2)
	v_lshrrev_b32_e32 v154, 16, v0
	v_lshlrev_b16 v151, 8, v151
	s_delay_alu instid0(VALU_DEP_2) | instskip(SKIP_3) | instid1(VALU_DEP_1)
	v_sub_nc_u16 v154, v154, v158
	v_lshrrev_b16 v158, 8, v0
	v_sub_nc_u16 v0, v0, v6
	v_lshrrev_b16 v6, 8, v6
	v_sub_nc_u16 v6, v158, v6
	v_bfe_u32 v158, v29, 24, 2
	v_and_b32_e32 v29, 0x3030303, v29
	s_delay_alu instid0(VALU_DEP_3) | instskip(NEXT) | instid1(VALU_DEP_3)
	v_lshlrev_b16 v6, 8, v6
	v_sub_nc_u16 v158, v158, v159
	s_delay_alu instid0(VALU_DEP_3) | instskip(NEXT) | instid1(VALU_DEP_2)
	v_lshrrev_b32_e32 v159, 16, v29
	v_lshlrev_b16 v158, 8, v158
	s_delay_alu instid0(VALU_DEP_2) | instskip(SKIP_3) | instid1(VALU_DEP_1)
	v_sub_nc_u16 v159, v159, v160
	v_lshrrev_b16 v160, 8, v29
	v_sub_nc_u16 v29, v29, v155
	v_lshrrev_b16 v155, 8, v155
	v_sub_nc_u16 v155, v160, v155
	v_and_b32_e32 v160, 0xff, v41
	s_delay_alu instid0(VALU_DEP_2) | instskip(NEXT) | instid1(VALU_DEP_2)
	v_lshlrev_b16 v155, 8, v155
	v_or_b32_e32 v39, v160, v39
	v_and_b32_e32 v160, 0xff, v27
	s_delay_alu instid0(VALU_DEP_2) | instskip(NEXT) | instid1(VALU_DEP_2)
	v_perm_b32 v27, v27, v39, 0x4010c0c
	v_or_b32_e32 v2, v160, v2
	v_and_b32_e32 v160, 0xff, v150
	s_delay_alu instid0(VALU_DEP_2) | instskip(NEXT) | instid1(VALU_DEP_2)
	v_perm_b32 v2, v41, v2, 0xc0c0401
	v_or_b32_e32 v45, v160, v45
	v_and_b32_e32 v160, 0xff, v4
	s_delay_alu instid0(VALU_DEP_3) | instskip(SKIP_1) | instid1(VALU_DEP_3)
	v_or_b32_e32 v2, v27, v2
	v_ashrrev_i32_e32 v27, s21, v32
	v_or_b32_e32 v43, v160, v43
	v_and_b32_e32 v160, 0xff, v154
	v_ashrrev_i32_e32 v32, s21, v36
	v_ashrrev_i32_e32 v36, s25, v40
	v_perm_b32 v4, v4, v45, 0x4010c0c
	v_perm_b32 v39, v150, v43, 0xc0c0401
	v_or_b32_e32 v151, v160, v151
	v_and_b32_e32 v160, 0xff, v0
	v_lshlrev_b32_e32 v36, 2, v36
	v_ashrrev_i32_e32 v40, s25, v46
	v_or_b32_e32 v4, v4, v39
	v_perm_b32 v0, v0, v151, 0x4010c0c
	v_or_b32_e32 v6, v160, v6
	v_and_b32_e32 v160, 0xff, v159
	v_and_b32_e32 v36, 0x4040404, v36
	v_ashrrev_i32_e32 v39, s25, v44
	v_dot4_i32_iu8 v2, v2, v144, v157 neg_lo:[1,1,0]
	v_perm_b32 v6, v154, v6, 0xc0c0401
	v_or_b32_e32 v158, v160, v158
	v_and_b32_e32 v160, 0xff, v29
	v_lshrrev_b32_e32 v43, 16, v36
	v_lshlrev_b32_e32 v39, 2, v39
	v_or_b32_e32 v0, v0, v6
	v_perm_b32 v29, v29, v158, 0x4010c0c
	v_or_b32_e32 v155, v160, v155
	v_dot4_i32_iu8 v4, v4, v144, v161 neg_lo:[1,1,0]
	v_and_b32_e32 v39, 0x4040404, v39
	v_dot4_i32_iu8 v0, v0, v144, v164 neg_lo:[1,1,0]
	v_lshlrev_b32_e32 v40, 2, v40
	v_perm_b32 v41, v159, v155, 0xc0c0401
	s_delay_alu instid0(VALU_DEP_4) | instskip(NEXT) | instid1(VALU_DEP_3)
	v_lshrrev_b32_e32 v46, 24, v39
	v_and_b32_e32 v40, 0x4040404, v40
	s_delay_alu instid0(VALU_DEP_3)
	v_or_b32_e32 v6, v29, v41
	v_ashrrev_i32_e32 v29, s21, v34
	v_ashrrev_i32_e32 v34, s21, v38
	;; [unrolled: 1-line block ×3, first 2 shown]
	v_bfe_u32 v41, v27, 24, 2
	v_lshrrev_b32_e32 v42, 24, v36
	v_and_b32_e32 v27, 0x3030303, v27
	v_dot4_i32_iu8 v6, v6, v144, v153 neg_lo:[1,1,0]
	v_lshlrev_b32_e32 v38, 2, v38
	v_lshrrev_b32_e32 v144, 16, v39
	v_sub_nc_u16 v41, v41, v42
	v_lshrrev_b32_e32 v42, 16, v27
	v_lshrrev_b32_e32 v150, 24, v40
	v_and_b32_e32 v38, 0x4040404, v38
	v_lshrrev_b32_e32 v151, 16, v40
	v_lshlrev_b16 v41, 8, v41
	v_sub_nc_u16 v42, v42, v43
	v_lshrrev_b16 v43, 8, v27
	v_sub_nc_u16 v27, v27, v36
	v_lshrrev_b16 v36, 8, v36
	v_lshrrev_b32_e32 v44, 24, v38
	v_lshrrev_b32_e32 v45, 16, v38
	s_add_i32 s21, s21, 2
	s_delay_alu instid0(VALU_DEP_3) | instskip(SKIP_2) | instid1(VALU_DEP_3)
	v_sub_nc_u16 v36, v43, v36
	v_bfe_u32 v43, v29, 24, 2
	v_and_b32_e32 v29, 0x3030303, v29
	v_lshlrev_b16 v36, 8, v36
	s_delay_alu instid0(VALU_DEP_3) | instskip(NEXT) | instid1(VALU_DEP_3)
	v_sub_nc_u16 v43, v43, v44
	v_lshrrev_b32_e32 v44, 16, v29
	s_delay_alu instid0(VALU_DEP_2) | instskip(NEXT) | instid1(VALU_DEP_2)
	v_lshlrev_b16 v43, 8, v43
	v_sub_nc_u16 v44, v44, v45
	v_lshrrev_b16 v45, 8, v29
	v_sub_nc_u16 v29, v29, v38
	v_lshrrev_b16 v38, 8, v38
	s_delay_alu instid0(VALU_DEP_1) | instskip(SKIP_2) | instid1(VALU_DEP_3)
	v_sub_nc_u16 v38, v45, v38
	v_bfe_u32 v45, v32, 24, 2
	v_and_b32_e32 v32, 0x3030303, v32
	v_lshlrev_b16 v38, 8, v38
	s_delay_alu instid0(VALU_DEP_3) | instskip(NEXT) | instid1(VALU_DEP_3)
	v_sub_nc_u16 v45, v45, v46
	v_lshrrev_b32_e32 v46, 16, v32
	s_delay_alu instid0(VALU_DEP_2) | instskip(NEXT) | instid1(VALU_DEP_2)
	v_lshlrev_b16 v45, 8, v45
	v_sub_nc_u16 v46, v46, v144
	v_lshrrev_b16 v144, 8, v32
	v_sub_nc_u16 v32, v32, v39
	v_lshrrev_b16 v39, 8, v39
	s_delay_alu instid0(VALU_DEP_1) | instskip(SKIP_2) | instid1(VALU_DEP_3)
	v_sub_nc_u16 v39, v144, v39
	v_bfe_u32 v144, v34, 24, 2
	v_and_b32_e32 v34, 0x3030303, v34
	v_lshlrev_b16 v39, 8, v39
	s_delay_alu instid0(VALU_DEP_3) | instskip(NEXT) | instid1(VALU_DEP_3)
	v_sub_nc_u16 v144, v144, v150
	v_lshrrev_b32_e32 v150, 16, v34
	s_delay_alu instid0(VALU_DEP_2) | instskip(NEXT) | instid1(VALU_DEP_2)
	v_lshlrev_b16 v144, 8, v144
	v_sub_nc_u16 v150, v150, v151
	v_lshrrev_b16 v151, 8, v34
	v_sub_nc_u16 v34, v34, v40
	v_lshrrev_b16 v40, 8, v40
	s_delay_alu instid0(VALU_DEP_1) | instskip(SKIP_1) | instid1(VALU_DEP_2)
	v_sub_nc_u16 v40, v151, v40
	v_and_b32_e32 v151, 0xff, v42
	v_lshlrev_b16 v40, 8, v40
	s_delay_alu instid0(VALU_DEP_2) | instskip(SKIP_1) | instid1(VALU_DEP_2)
	v_or_b32_e32 v41, v151, v41
	v_and_b32_e32 v151, 0xff, v27
	v_perm_b32 v27, v27, v41, 0x4010c0c
	s_delay_alu instid0(VALU_DEP_2) | instskip(SKIP_2) | instid1(VALU_DEP_3)
	v_or_b32_e32 v36, v151, v36
	v_and_b32_e32 v151, 0xff, v44
	v_lshrrev_b32_e32 v41, 16, v7
	v_perm_b32 v36, v42, v36, 0xc0c0401
	s_delay_alu instid0(VALU_DEP_3) | instskip(SKIP_1) | instid1(VALU_DEP_3)
	v_or_b32_e32 v43, v151, v43
	v_and_b32_e32 v151, 0xff, v29
	v_or_b32_e32 v27, v27, v36
	s_delay_alu instid0(VALU_DEP_3) | instskip(NEXT) | instid1(VALU_DEP_3)
	v_perm_b32 v29, v29, v43, 0x4010c0c
	v_or_b32_e32 v38, v151, v38
	v_and_b32_e32 v151, 0xff, v46
	v_lshrrev_b32_e32 v36, 24, v3
	v_dot4_i32_iu8 v27, v27, v143, v31 neg_lo:[1,1,0]
	s_delay_alu instid0(VALU_DEP_4) | instskip(NEXT) | instid1(VALU_DEP_4)
	v_perm_b32 v38, v44, v38, 0xc0c0401
	v_or_b32_e32 v45, v151, v45
	v_and_b32_e32 v151, 0xff, v32
	s_delay_alu instid0(VALU_DEP_3) | instskip(NEXT) | instid1(VALU_DEP_3)
	v_or_b32_e32 v29, v29, v38
	v_perm_b32 v32, v32, v45, 0x4010c0c
	s_delay_alu instid0(VALU_DEP_3) | instskip(SKIP_1) | instid1(VALU_DEP_4)
	v_or_b32_e32 v39, v151, v39
	v_and_b32_e32 v151, 0xff, v150
	v_dot4_i32_iu8 v29, v29, v143, v33 neg_lo:[1,1,0]
	v_ashrrev_i32_e32 v33, s25, v152
	s_delay_alu instid0(VALU_DEP_4) | instskip(NEXT) | instid1(VALU_DEP_4)
	v_perm_b32 v39, v46, v39, 0xc0c0401
	v_or_b32_e32 v144, v151, v144
	v_and_b32_e32 v151, 0xff, v34
	s_delay_alu instid0(VALU_DEP_4) | instskip(NEXT) | instid1(VALU_DEP_4)
	v_lshlrev_b32_e32 v33, 2, v33
	v_or_b32_e32 v32, v32, v39
	s_delay_alu instid0(VALU_DEP_4) | instskip(NEXT) | instid1(VALU_DEP_4)
	v_perm_b32 v34, v34, v144, 0x4010c0c
	v_or_b32_e32 v40, v151, v40
	s_delay_alu instid0(VALU_DEP_4) | instskip(NEXT) | instid1(VALU_DEP_4)
	v_and_b32_e32 v33, 0x4040404, v33
	v_dot4_i32_iu8 v31, v32, v143, v35 neg_lo:[1,1,0]
	v_bfe_u32 v35, v28, 24, 2
	s_delay_alu instid0(VALU_DEP_4)
	v_perm_b32 v40, v150, v40, 0xc0c0401
	v_and_b32_e32 v28, 0x3030303, v28
	v_lshrrev_b32_e32 v38, 24, v33
	v_lshrrev_b32_e32 v39, 16, v33
	v_sub_nc_u16 v35, v35, v36
	v_or_b32_e32 v34, v34, v40
	v_lshrrev_b32_e32 v36, 16, v28
	v_lshrrev_b32_e32 v40, 24, v7
	s_delay_alu instid0(VALU_DEP_4) | instskip(NEXT) | instid1(VALU_DEP_4)
	v_lshlrev_b16 v35, 8, v35
	v_dot4_i32_iu8 v32, v34, v143, v37 neg_lo:[1,1,0]
	v_lshrrev_b32_e32 v37, 16, v3
	v_ashrrev_i32_e32 v34, s25, v156
	s_add_i32 s25, s25, 1
	s_cmp_lt_u32 s26, 14
	s_delay_alu instid0(VALU_DEP_2) | instskip(SKIP_4) | instid1(VALU_DEP_2)
	v_sub_nc_u16 v36, v36, v37
	v_lshrrev_b16 v37, 8, v28
	v_sub_nc_u16 v28, v28, v3
	v_lshrrev_b16 v3, 8, v3
	v_lshlrev_b32_e32 v34, 2, v34
	v_sub_nc_u16 v3, v37, v3
	v_bfe_u32 v37, v5, 24, 2
	v_and_b32_e32 v5, 0x3030303, v5
	s_delay_alu instid0(VALU_DEP_4) | instskip(NEXT) | instid1(VALU_DEP_4)
	v_and_b32_e32 v34, 0x4040404, v34
	v_lshlrev_b16 v3, 8, v3
	s_delay_alu instid0(VALU_DEP_4) | instskip(NEXT) | instid1(VALU_DEP_4)
	v_sub_nc_u16 v37, v37, v38
	v_lshrrev_b32_e32 v38, 16, v5
	s_delay_alu instid0(VALU_DEP_4) | instskip(SKIP_1) | instid1(VALU_DEP_4)
	v_lshrrev_b32_e32 v42, 24, v34
	v_lshrrev_b32_e32 v43, 16, v34
	v_lshlrev_b16 v37, 8, v37
	s_delay_alu instid0(VALU_DEP_4) | instskip(SKIP_3) | instid1(VALU_DEP_1)
	v_sub_nc_u16 v38, v38, v39
	v_lshrrev_b16 v39, 8, v5
	v_sub_nc_u16 v5, v5, v33
	v_lshrrev_b16 v33, 8, v33
	v_sub_nc_u16 v33, v39, v33
	v_bfe_u32 v39, v1, 24, 2
	v_and_b32_e32 v1, 0x3030303, v1
	s_delay_alu instid0(VALU_DEP_3) | instskip(NEXT) | instid1(VALU_DEP_3)
	v_lshlrev_b16 v33, 8, v33
	v_sub_nc_u16 v39, v39, v40
	s_delay_alu instid0(VALU_DEP_3) | instskip(NEXT) | instid1(VALU_DEP_2)
	v_lshrrev_b32_e32 v40, 16, v1
	v_lshlrev_b16 v39, 8, v39
	s_delay_alu instid0(VALU_DEP_2) | instskip(SKIP_3) | instid1(VALU_DEP_1)
	v_sub_nc_u16 v40, v40, v41
	v_lshrrev_b16 v41, 8, v1
	v_sub_nc_u16 v1, v1, v7
	v_lshrrev_b16 v7, 8, v7
	v_sub_nc_u16 v7, v41, v7
	v_bfe_u32 v41, v30, 24, 2
	v_and_b32_e32 v30, 0x3030303, v30
	s_delay_alu instid0(VALU_DEP_3) | instskip(NEXT) | instid1(VALU_DEP_3)
	v_lshlrev_b16 v7, 8, v7
	v_sub_nc_u16 v41, v41, v42
	s_delay_alu instid0(VALU_DEP_3) | instskip(NEXT) | instid1(VALU_DEP_2)
	v_lshrrev_b32_e32 v42, 16, v30
	v_lshlrev_b16 v41, 8, v41
	s_delay_alu instid0(VALU_DEP_2) | instskip(SKIP_3) | instid1(VALU_DEP_1)
	v_sub_nc_u16 v42, v42, v43
	v_lshrrev_b16 v43, 8, v30
	v_sub_nc_u16 v30, v30, v34
	v_lshrrev_b16 v34, 8, v34
	v_sub_nc_u16 v34, v43, v34
	v_and_b32_e32 v43, 0xff, v36
	s_delay_alu instid0(VALU_DEP_2) | instskip(NEXT) | instid1(VALU_DEP_2)
	v_lshlrev_b16 v34, 8, v34
	v_or_b32_e32 v35, v43, v35
	v_and_b32_e32 v43, 0xff, v28
	s_delay_alu instid0(VALU_DEP_2) | instskip(NEXT) | instid1(VALU_DEP_2)
	v_perm_b32 v28, v28, v35, 0x4010c0c
	v_or_b32_e32 v3, v43, v3
	v_and_b32_e32 v43, 0xff, v38
	s_delay_alu instid0(VALU_DEP_2) | instskip(NEXT) | instid1(VALU_DEP_2)
	v_perm_b32 v3, v36, v3, 0xc0c0401
	v_or_b32_e32 v37, v43, v37
	v_and_b32_e32 v43, 0xff, v5
	s_delay_alu instid0(VALU_DEP_3) | instskip(SKIP_1) | instid1(VALU_DEP_3)
	v_or_b32_e32 v3, v28, v3
	v_add3_u32 v28, v118, s27, v149
	v_or_b32_e32 v33, v43, v33
	v_and_b32_e32 v43, 0xff, v40
	v_perm_b32 v5, v5, v37, 0x4010c0c
	v_dot4_i32_iu8 v3, v3, v141, v2 neg_lo:[1,1,0]
	v_add3_u32 v2, v120, s27, v149
	ds_load_u16 v2, v2
	ds_load_u16 v28, v28
	v_or_b32_e32 v39, v43, v39
	v_and_b32_e32 v43, 0xff, v1
	v_perm_b32 v33, v38, v33, 0xc0c0401
	s_delay_alu instid0(VALU_DEP_3) | instskip(NEXT) | instid1(VALU_DEP_3)
	v_perm_b32 v1, v1, v39, 0x4010c0c
	v_or_b32_e32 v7, v43, v7
	v_and_b32_e32 v43, 0xff, v42
	s_delay_alu instid0(VALU_DEP_4)
	v_or_b32_e32 v5, v5, v33
	ds_load_b32 v33, v139
	v_add_nc_u32_e32 v139, 4, v139
	v_perm_b32 v7, v40, v7, 0xc0c0401
	v_or_b32_e32 v41, v43, v41
	v_and_b32_e32 v43, 0xff, v30
	s_delay_alu instid0(VALU_DEP_3) | instskip(NEXT) | instid1(VALU_DEP_3)
	v_or_b32_e32 v1, v1, v7
	v_perm_b32 v30, v30, v41, 0x4010c0c
	s_delay_alu instid0(VALU_DEP_3) | instskip(NEXT) | instid1(VALU_DEP_1)
	v_or_b32_e32 v34, v43, v34
	v_perm_b32 v34, v42, v34, 0xc0c0401
	s_delay_alu instid0(VALU_DEP_1)
	v_or_b32_e32 v7, v30, v34
	v_dot4_i32_iu8 v34, v1, v141, v0 neg_lo:[1,1,0]
	s_waitcnt lgkmcnt(2)
	v_lshrrev_b16 v0, 8, v2
	v_bfe_i32 v2, v2, 0, 8
	v_dot4_i32_iu8 v30, v5, v141, v4 neg_lo:[1,1,0]
	s_waitcnt lgkmcnt(1)
	v_lshrrev_b16 v1, 8, v28
	v_dot4_i32_iu8 v35, v7, v141, v6 neg_lo:[1,1,0]
	v_bfe_i32 v5, v0, 0, 8
	v_mul_lo_u32 v0, v27, v2
	v_bfe_i32 v6, v146, 0, 8
	v_bfe_i32 v7, v1, 0, 8
	;; [unrolled: 1-line block ×3, first 2 shown]
	v_lshrrev_b16 v27, 8, v148
	v_mad_u64_u32 v[1:2], null, v3, v5, v[0:1]
	v_lshrrev_b16 v5, 8, v146
	v_mul_lo_u32 v0, v29, v6
	v_bfe_i32 v3, v148, 0, 8
	v_mul_lo_u32 v2, v31, v4
	v_bfe_i32 v27, v27, 0, 8
	v_bfe_i32 v6, v5, 0, 8
	s_delay_alu instid0(VALU_DEP_4) | instskip(NEXT) | instid1(VALU_DEP_2)
	v_mul_lo_u32 v3, v32, v3
	v_mad_u64_u32 v[4:5], null, v30, v6, v[0:1]
	s_waitcnt lgkmcnt(0)
	v_mul_f32_e32 v0, v33, v140
	v_cvt_f32_i32_e32 v1, v1
	s_delay_alu instid0(VALU_DEP_4)
	v_mad_u64_u32 v[5:6], null, v34, v7, v[2:3]
	v_mul_f32_e32 v2, v33, v142
	v_mad_u64_u32 v[6:7], null, v35, v27, v[3:4]
	v_mul_f32_e32 v3, v33, v145
	v_mul_f32_e32 v7, v33, v147
	v_cvt_f32_i32_e32 v4, v4
	v_cvt_f32_i32_e32 v5, v5
	v_fmac_f32_e32 v49, v0, v1
	v_cvt_f32_i32_e32 v6, v6
	s_delay_alu instid0(VALU_DEP_4) | instskip(NEXT) | instid1(VALU_DEP_2)
	v_fmac_f32_e32 v99, v3, v4
	v_dual_fmac_f32 v95, v2, v5 :: v_dual_fmac_f32 v24, v7, v6
	s_cbranch_scc1 .LBB190_20
; %bb.21:                               ;   in Loop: Header=BB190_5 Depth=1
	s_or_b32 s1, s6, 0x100
	s_delay_alu instid0(SALU_CYCLE_1)
	s_cmp_ge_i32 s1, s5
	s_barrier
	buffer_gl0_inv
	s_cbranch_scc1 .LBB190_4
; %bb.22:                               ;   in Loop: Header=BB190_5 Depth=1
	v_add_nc_u32_e32 v0, s20, v108
	s_delay_alu instid0(VALU_DEP_1) | instskip(NEXT) | instid1(VALU_DEP_1)
	v_cmp_gt_i32_e64 s1, s8, v0
	s_and_b32 s21, s0, s1
	s_delay_alu instid0(SALU_CYCLE_1)
	s_and_saveexec_b32 s1, s21
	s_cbranch_execz .LBB190_24
; %bb.23:                               ;   in Loop: Header=BB190_5 Depth=1
	v_add_nc_u32_e32 v2, v103, v0
	s_delay_alu instid0(VALU_DEP_1)
	v_mad_i64_i32 v[0:1], null, v2, 36, v[25:26]
	global_load_b32 v0, v[0:1], off offset:4
	s_waitcnt vmcnt(0)
	ds_store_b32 v89, v0
.LBB190_24:                             ;   in Loop: Header=BB190_5 Depth=1
	s_or_b32 exec_lo, exec_lo, s1
	s_and_saveexec_b32 s21, vcc_lo
	s_cbranch_execz .LBB190_27
; %bb.25:                               ;   in Loop: Header=BB190_5 Depth=1
	v_or_b32_e32 v0, s20, v48
	s_delay_alu instid0(VALU_DEP_1) | instskip(NEXT) | instid1(VALU_DEP_1)
	v_or_b32_e32 v1, 8, v0
	v_cmp_gt_i32_e64 s1, s8, v1
	s_delay_alu instid0(VALU_DEP_1) | instskip(NEXT) | instid1(SALU_CYCLE_1)
	s_and_b32 s1, s0, s1
	s_and_b32 exec_lo, exec_lo, s1
	s_cbranch_execz .LBB190_27
; %bb.26:                               ;   in Loop: Header=BB190_5 Depth=1
	v_ashrrev_i32_e32 v1, 31, v0
	v_add_co_u32 v2, s1, v103, v0
	s_delay_alu instid0(VALU_DEP_1) | instskip(NEXT) | instid1(VALU_DEP_2)
	v_add_co_ci_u32_e64 v3, s1, v110, v1, s1
	v_mad_u64_u32 v[0:1], null, v2, 36, s[16:17]
	s_delay_alu instid0(VALU_DEP_1)
	v_mad_i32_i24 v1, v3, 36, v1
	global_load_b32 v0, v[0:1], off
	s_waitcnt vmcnt(0)
	v_cvt_f32_f16_e32 v0, v0
	ds_store_b32 v90, v0
.LBB190_27:                             ;   in Loop: Header=BB190_5 Depth=1
	s_or_b32 exec_lo, exec_lo, s21
	v_dual_mov_b32 v138, v115 :: v_dual_mov_b32 v139, v116
	s_mov_b32 s1, 16
	s_mov_b32 s27, 14
	;; [unrolled: 1-line block ×3, first 2 shown]
	s_waitcnt lgkmcnt(0)
	s_barrier
	buffer_gl0_inv
.LBB190_28:                             ;   Parent Loop BB190_5 Depth=1
                                        ; =>  This Inner Loop Header: Depth=2
	s_add_i32 s25, s27, 2
	ds_load_b128 v[4:7], v138
	ds_load_b128 v[0:3], v138 offset:16
	s_and_b32 s29, s25, 0x3ffffff8
	s_lshr_b32 s28, s25, 4
	s_lshl_b32 s29, s29, 2
	s_lshl_b32 s30, s28, 2
	v_add_nc_u32_e32 v147, s29, v93
	v_add_nc_u32_e32 v148, s29, v97
	;; [unrolled: 1-line block ×4, first 2 shown]
	s_add_i32 s26, s27, -14
	ds_load_2addr_b32 v[29:30], v147 offset1:1
	ds_load_2addr_b32 v[35:36], v148 offset1:1
	ds_load_2addr_b32 v[27:28], v147 offset0:6 offset1:7
	ds_load_2addr_b32 v[31:32], v147 offset0:2 offset1:3
	;; [unrolled: 1-line block ×3, first 2 shown]
	ds_load_b32 v141, v37
	v_add_nc_u32_e32 v161, s29, v105
	s_lshl_b32 s28, s28, 3
	v_add_nc_u32_e32 v138, 32, v138
	v_add_lshl_u32 v164, v92, s28, 2
	v_add_lshl_u32 v167, v96, s28, 2
	v_add_lshl_u32 v170, v100, s28, 2
	s_waitcnt lgkmcnt(7)
	v_perm_b32 v149, v6, v6, 0x30201
	s_waitcnt lgkmcnt(6)
	v_perm_b32 v156, v0, v0, 0x30201
	v_perm_b32 v157, v1, v1, 0x30201
	;; [unrolled: 1-line block ×4, first 2 shown]
	v_add_nc_u32_e32 v6, 0x4208, v164
	v_perm_b32 v150, v4, v4, 0x30201
	v_perm_b32 v151, v5, v5, 0x30201
	;; [unrolled: 1-line block ×3, first 2 shown]
	s_waitcnt lgkmcnt(5)
	v_ashrrev_i32_e32 v152, s26, v29
	s_waitcnt lgkmcnt(4)
	v_ashrrev_i32_e32 v154, s26, v35
	v_ashrrev_i32_e32 v155, s26, v36
	ds_load_2addr_b32 v[2:3], v158 offset1:1
	ds_load_2addr_b32 v[0:1], v158 offset0:6 offset1:7
	ds_load_2addr_b32 v[35:36], v158 offset0:2 offset1:3
	v_ashrrev_i32_e32 v153, s26, v30
	v_bfe_u32 v174, v152, 24, 2
	v_and_b32_e32 v152, 0x3030303, v152
	v_add_nc_u32_e32 v43, 0x4208, v170
	v_add_lshl_u32 v173, v104, s28, 2
	s_and_b32 s28, s1, -16
	s_waitcnt lgkmcnt(5)
	v_ashrrev_i32_e32 v31, s26, v31
	s_add_i32 s27, s27, s28
	s_waitcnt lgkmcnt(4)
	v_ashrrev_i32_e32 v33, s26, v33
	v_ashrrev_i32_e32 v27, s26, v27
	;; [unrolled: 1-line block ×3, first 2 shown]
	s_add_i32 s1, s1, 2
	s_waitcnt lgkmcnt(2)
	v_ashrrev_i32_e32 v159, s26, v2
	v_add_nc_u32_e32 v2, s30, v102
	v_ashrrev_i32_e32 v160, s26, v3
	ds_load_2addr_b32 v[37:38], v161 offset0:2 offset1:3
	ds_load_b32 v142, v2
	ds_load_2addr_b32 v[2:3], v161 offset1:1
	s_waitcnt lgkmcnt(3)
	v_ashrrev_i32_e32 v35, s26, v35
	v_ashrrev_i32_e32 v0, s26, v0
	;; [unrolled: 1-line block ×3, first 2 shown]
	s_waitcnt lgkmcnt(2)
	v_ashrrev_i32_e32 v37, s26, v37
	s_waitcnt lgkmcnt(0)
	v_ashrrev_i32_e32 v162, s26, v2
	v_add_nc_u32_e32 v2, 0x4200, v164
	v_ashrrev_i32_e32 v163, s26, v3
	v_add_nc_u32_e32 v3, 0x4218, v164
	ds_load_2addr_b32 v[4:5], v2 offset1:1
	ds_load_2addr_b32 v[2:3], v3 offset1:1
	;; [unrolled: 1-line block ×3, first 2 shown]
	s_waitcnt lgkmcnt(2)
	v_ashrrev_i32_e32 v165, s21, v4
	v_add_nc_u32_e32 v4, 0x4200, v167
	v_ashrrev_i32_e32 v166, s21, v5
	v_add_nc_u32_e32 v5, 0x4208, v167
	ds_load_2addr_b32 v[6:7], v4 offset1:1
	ds_load_2addr_b32 v[41:42], v5 offset1:1
	ds_load_2addr_b32 v[4:5], v148 offset0:6 offset1:7
	v_lshlrev_b32_e32 v165, 2, v165
	v_lshlrev_b32_e32 v166, 2, v166
	s_waitcnt lgkmcnt(3)
	v_ashrrev_i32_e32 v39, s21, v39
	v_ashrrev_i32_e32 v2, s21, v2
	;; [unrolled: 1-line block ×3, first 2 shown]
	v_and_b32_e32 v165, 0x4040404, v165
	v_and_b32_e32 v166, 0x4040404, v166
	v_lshlrev_b32_e32 v39, 2, v39
	v_lshlrev_b32_e32 v2, 2, v2
	;; [unrolled: 1-line block ×3, first 2 shown]
	v_lshrrev_b32_e32 v175, 24, v165
	v_lshrrev_b32_e32 v176, 16, v165
	;; [unrolled: 1-line block ×4, first 2 shown]
	v_and_b32_e32 v39, 0x4040404, v39
	v_sub_nc_u16 v174, v174, v175
	v_lshrrev_b32_e32 v175, 16, v152
	s_waitcnt lgkmcnt(2)
	v_ashrrev_i32_e32 v168, s21, v6
	v_add_nc_u32_e32 v6, 0x4200, v170
	v_ashrrev_i32_e32 v169, s21, v7
	v_add_nc_u32_e32 v7, 0x4218, v170
	v_sub_nc_u16 v175, v175, v176
	v_lshrrev_b16 v176, 8, v152
	v_sub_nc_u16 v152, v152, v165
	v_lshrrev_b16 v165, 8, v165
	v_lshlrev_b32_e32 v168, 2, v168
	ds_load_2addr_b32 v[29:30], v6 offset1:1
	ds_load_2addr_b32 v[6:7], v7 offset1:1
	;; [unrolled: 1-line block ×3, first 2 shown]
	v_lshlrev_b32_e32 v169, 2, v169
	v_lshlrev_b16 v174, 8, v174
	v_sub_nc_u16 v165, v176, v165
	v_bfe_u32 v176, v153, 24, 2
	v_and_b32_e32 v153, 0x3030303, v153
	v_and_b32_e32 v168, 0x4040404, v168
	;; [unrolled: 1-line block ×3, first 2 shown]
	v_lshlrev_b16 v165, 8, v165
	v_sub_nc_u16 v176, v176, v177
	v_lshrrev_b32_e32 v177, 16, v153
	v_lshrrev_b32_e32 v179, 24, v168
	;; [unrolled: 1-line block ×5, first 2 shown]
	v_sub_nc_u16 v177, v177, v178
	v_lshrrev_b16 v178, 8, v153
	v_sub_nc_u16 v153, v153, v166
	v_lshrrev_b16 v166, 8, v166
	s_waitcnt lgkmcnt(2)
	v_ashrrev_i32_e32 v171, s21, v29
	v_add_nc_u32_e32 v29, 0x4200, v173
	v_ashrrev_i32_e32 v172, s21, v30
	v_add_nc_u32_e32 v30, 0x4208, v173
	v_sub_nc_u16 v166, v178, v166
	v_bfe_u32 v178, v154, 24, 2
	v_and_b32_e32 v154, 0x3030303, v154
	v_lshlrev_b32_e32 v171, 2, v171
	ds_load_2addr_b32 v[145:146], v29 offset1:1
	ds_load_2addr_b32 v[45:46], v30 offset1:1
	ds_load_2addr_b32 v[29:30], v161 offset0:6 offset1:7
	v_lshlrev_b32_e32 v172, 2, v172
	v_sub_nc_u16 v178, v178, v179
	v_lshrrev_b32_e32 v179, 16, v154
	v_and_b32_e32 v171, 0x4040404, v171
	v_lshlrev_b16 v176, 8, v176
	v_and_b32_e32 v172, 0x4040404, v172
	v_lshlrev_b16 v166, 8, v166
	v_sub_nc_u16 v179, v179, v180
	v_lshrrev_b16 v180, 8, v154
	v_sub_nc_u16 v154, v154, v168
	v_lshrrev_b16 v168, 8, v168
	v_lshrrev_b32_e32 v183, 24, v171
	v_lshrrev_b32_e32 v184, 16, v171
	v_lshrrev_b32_e32 v185, 24, v172
	v_lshrrev_b32_e32 v186, 16, v172
	v_sub_nc_u16 v168, v180, v168
	v_bfe_u32 v180, v155, 24, 2
	v_and_b32_e32 v155, 0x3030303, v155
	s_waitcnt lgkmcnt(2)
	v_ashrrev_i32_e32 v145, s21, v145
	v_ashrrev_i32_e32 v146, s21, v146
	v_lshlrev_b16 v178, 8, v178
	v_sub_nc_u16 v180, v180, v181
	v_lshrrev_b32_e32 v181, 16, v155
	v_lshlrev_b32_e32 v145, 2, v145
	v_lshlrev_b32_e32 v146, 2, v146
	v_lshlrev_b16 v168, 8, v168
	v_lshlrev_b16 v180, 8, v180
	v_sub_nc_u16 v181, v181, v182
	v_lshrrev_b16 v182, 8, v155
	v_sub_nc_u16 v155, v155, v169
	v_lshrrev_b16 v169, 8, v169
	v_and_b32_e32 v145, 0x4040404, v145
	v_and_b32_e32 v146, 0x4040404, v146
	v_ashrrev_i32_e32 v41, s21, v41
	v_ashrrev_i32_e32 v43, s21, v43
	v_sub_nc_u16 v169, v182, v169
	v_bfe_u32 v182, v159, 24, 2
	v_and_b32_e32 v159, 0x3030303, v159
	v_lshrrev_b32_e32 v187, 24, v145
	v_lshrrev_b32_e32 v188, 16, v145
	v_lshrrev_b32_e32 v189, 24, v146
	v_sub_nc_u16 v182, v182, v183
	v_lshrrev_b32_e32 v183, 16, v159
	v_lshrrev_b32_e32 v190, 16, v146
	v_lshlrev_b16 v169, 8, v169
	v_lshlrev_b32_e32 v41, 2, v41
	v_lshlrev_b16 v182, 8, v182
	v_sub_nc_u16 v183, v183, v184
	v_lshrrev_b16 v184, 8, v159
	v_sub_nc_u16 v159, v159, v171
	v_lshrrev_b16 v171, 8, v171
	v_and_b32_e32 v41, 0x4040404, v41
	v_lshlrev_b32_e32 v43, 2, v43
	s_waitcnt lgkmcnt(1)
	v_ashrrev_i32_e32 v45, s21, v45
	v_and_b32_e32 v2, 0x4040404, v2
	v_sub_nc_u16 v171, v184, v171
	v_bfe_u32 v184, v160, 24, 2
	v_and_b32_e32 v160, 0x3030303, v160
	v_and_b32_e32 v43, 0x4040404, v43
	v_lshlrev_b32_e32 v45, 2, v45
	v_lshlrev_b16 v171, 8, v171
	v_sub_nc_u16 v184, v184, v185
	v_lshrrev_b32_e32 v185, 16, v160
	v_ashrrev_i32_e32 v4, s26, v4
	v_and_b32_e32 v45, 0x4040404, v45
	v_ashrrev_i32_e32 v6, s21, v6
	v_lshlrev_b16 v184, 8, v184
	v_sub_nc_u16 v185, v185, v186
	v_lshrrev_b16 v186, 8, v160
	v_sub_nc_u16 v160, v160, v172
	v_lshrrev_b16 v172, 8, v172
	v_lshlrev_b32_e32 v6, 2, v6
	s_waitcnt lgkmcnt(0)
	v_ashrrev_i32_e32 v29, s26, v29
	v_and_b32_e32 v3, 0x4040404, v3
	v_ashrrev_i32_e32 v5, s26, v5
	v_sub_nc_u16 v172, v186, v172
	v_bfe_u32 v186, v162, 24, 2
	v_and_b32_e32 v162, 0x3030303, v162
	v_and_b32_e32 v6, 0x4040404, v6
	v_ashrrev_i32_e32 v7, s21, v7
	v_lshlrev_b16 v172, 8, v172
	v_sub_nc_u16 v186, v186, v187
	v_lshrrev_b32_e32 v187, 16, v162
	v_ashrrev_i32_e32 v30, s26, v30
	v_lshlrev_b32_e32 v7, 2, v7
	s_delay_alu instid0(VALU_DEP_4) | instskip(NEXT) | instid1(VALU_DEP_4)
	v_lshlrev_b16 v186, 8, v186
	v_sub_nc_u16 v187, v187, v188
	v_lshrrev_b16 v188, 8, v162
	v_sub_nc_u16 v162, v162, v145
	v_lshrrev_b16 v145, 8, v145
	v_and_b32_e32 v7, 0x4040404, v7
	s_delay_alu instid0(VALU_DEP_2) | instskip(SKIP_2) | instid1(VALU_DEP_3)
	v_sub_nc_u16 v145, v188, v145
	v_bfe_u32 v188, v163, 24, 2
	v_and_b32_e32 v163, 0x3030303, v163
	v_lshlrev_b16 v145, 8, v145
	s_delay_alu instid0(VALU_DEP_3) | instskip(NEXT) | instid1(VALU_DEP_3)
	v_sub_nc_u16 v188, v188, v189
	v_lshrrev_b32_e32 v189, 16, v163
	s_delay_alu instid0(VALU_DEP_2) | instskip(NEXT) | instid1(VALU_DEP_2)
	v_lshlrev_b16 v188, 8, v188
	v_sub_nc_u16 v189, v189, v190
	v_lshrrev_b16 v190, 8, v163
	v_sub_nc_u16 v163, v163, v146
	v_lshrrev_b16 v146, 8, v146
	s_delay_alu instid0(VALU_DEP_1) | instskip(SKIP_1) | instid1(VALU_DEP_2)
	v_sub_nc_u16 v146, v190, v146
	v_and_b32_e32 v190, 0xff, v175
	v_lshlrev_b16 v146, 8, v146
	s_delay_alu instid0(VALU_DEP_2) | instskip(SKIP_1) | instid1(VALU_DEP_2)
	v_or_b32_e32 v174, v190, v174
	v_and_b32_e32 v190, 0xff, v152
	v_perm_b32 v152, v152, v174, 0x4010c0c
	s_delay_alu instid0(VALU_DEP_2) | instskip(SKIP_1) | instid1(VALU_DEP_2)
	v_or_b32_e32 v165, v190, v165
	v_and_b32_e32 v190, 0xff, v177
	v_perm_b32 v165, v175, v165, 0xc0c0401
	s_delay_alu instid0(VALU_DEP_2) | instskip(SKIP_1) | instid1(VALU_DEP_3)
	v_or_b32_e32 v176, v190, v176
	v_and_b32_e32 v190, 0xff, v153
	v_or_b32_e32 v152, v152, v165
	s_delay_alu instid0(VALU_DEP_3) | instskip(NEXT) | instid1(VALU_DEP_3)
	v_perm_b32 v153, v153, v176, 0x4010c0c
	v_or_b32_e32 v166, v190, v166
	v_and_b32_e32 v190, 0xff, v179
	s_delay_alu instid0(VALU_DEP_4) | instskip(NEXT) | instid1(VALU_DEP_3)
	v_dot4_i32_iu8 v152, v152, v150, 0 neg_lo:[1,1,0]
	v_perm_b32 v166, v177, v166, 0xc0c0401
	s_delay_alu instid0(VALU_DEP_3) | instskip(SKIP_1) | instid1(VALU_DEP_3)
	v_or_b32_e32 v178, v190, v178
	v_and_b32_e32 v190, 0xff, v154
	v_or_b32_e32 v153, v153, v166
	s_delay_alu instid0(VALU_DEP_3) | instskip(NEXT) | instid1(VALU_DEP_3)
	v_perm_b32 v154, v154, v178, 0x4010c0c
	v_or_b32_e32 v168, v190, v168
	v_and_b32_e32 v190, 0xff, v181
	s_delay_alu instid0(VALU_DEP_2) | instskip(NEXT) | instid1(VALU_DEP_2)
	v_perm_b32 v168, v179, v168, 0xc0c0401
	v_or_b32_e32 v180, v190, v180
	v_and_b32_e32 v190, 0xff, v155
	s_delay_alu instid0(VALU_DEP_3) | instskip(NEXT) | instid1(VALU_DEP_3)
	v_or_b32_e32 v154, v154, v168
	v_perm_b32 v155, v155, v180, 0x4010c0c
	s_delay_alu instid0(VALU_DEP_3) | instskip(SKIP_1) | instid1(VALU_DEP_4)
	v_or_b32_e32 v169, v190, v169
	v_and_b32_e32 v190, 0xff, v183
	v_dot4_i32_iu8 v154, v154, v150, 0 neg_lo:[1,1,0]
	s_delay_alu instid0(VALU_DEP_3) | instskip(NEXT) | instid1(VALU_DEP_3)
	v_perm_b32 v169, v181, v169, 0xc0c0401
	v_or_b32_e32 v182, v190, v182
	v_and_b32_e32 v190, 0xff, v159
	s_delay_alu instid0(VALU_DEP_3) | instskip(NEXT) | instid1(VALU_DEP_3)
	v_or_b32_e32 v155, v155, v169
	v_perm_b32 v159, v159, v182, 0x4010c0c
	s_delay_alu instid0(VALU_DEP_3) | instskip(SKIP_1) | instid1(VALU_DEP_2)
	v_or_b32_e32 v171, v190, v171
	v_and_b32_e32 v190, 0xff, v185
	v_perm_b32 v171, v183, v171, 0xc0c0401
	s_delay_alu instid0(VALU_DEP_2) | instskip(SKIP_1) | instid1(VALU_DEP_3)
	v_or_b32_e32 v184, v190, v184
	v_and_b32_e32 v190, 0xff, v160
	v_or_b32_e32 v159, v159, v171
	s_delay_alu instid0(VALU_DEP_3) | instskip(NEXT) | instid1(VALU_DEP_3)
	v_perm_b32 v160, v160, v184, 0x4010c0c
	v_or_b32_e32 v172, v190, v172
	v_and_b32_e32 v190, 0xff, v187
	s_delay_alu instid0(VALU_DEP_4) | instskip(NEXT) | instid1(VALU_DEP_3)
	v_dot4_i32_iu8 v159, v159, v150, 0 neg_lo:[1,1,0]
	v_perm_b32 v172, v185, v172, 0xc0c0401
	s_delay_alu instid0(VALU_DEP_3) | instskip(SKIP_1) | instid1(VALU_DEP_3)
	v_or_b32_e32 v186, v190, v186
	v_and_b32_e32 v190, 0xff, v162
	v_or_b32_e32 v160, v160, v172
	s_delay_alu instid0(VALU_DEP_3) | instskip(NEXT) | instid1(VALU_DEP_3)
	v_perm_b32 v162, v162, v186, 0x4010c0c
	v_or_b32_e32 v145, v190, v145
	v_and_b32_e32 v190, 0xff, v189
	s_delay_alu instid0(VALU_DEP_4) | instskip(NEXT) | instid1(VALU_DEP_3)
	v_dot4_i32_iu8 v159, v160, v151, v159 neg_lo:[1,1,0]
	v_perm_b32 v145, v187, v145, 0xc0c0401
	s_delay_alu instid0(VALU_DEP_3) | instskip(SKIP_1) | instid1(VALU_DEP_3)
	v_or_b32_e32 v188, v190, v188
	v_and_b32_e32 v190, 0xff, v163
	v_or_b32_e32 v145, v162, v145
	s_delay_alu instid0(VALU_DEP_3) | instskip(NEXT) | instid1(VALU_DEP_3)
	v_perm_b32 v163, v163, v188, 0x4010c0c
	v_or_b32_e32 v146, v190, v146
	v_dot4_i32_iu8 v162, v153, v151, v152 neg_lo:[1,1,0]
	v_add_nc_u32_e32 v152, 0x4210, v173
	v_dot4_i32_iu8 v145, v145, v150, 0 neg_lo:[1,1,0]
	v_add_nc_u32_e32 v150, 0x4218, v167
	v_perm_b32 v146, v189, v146, 0xc0c0401
	s_delay_alu instid0(VALU_DEP_1) | instskip(SKIP_2) | instid1(VALU_DEP_3)
	v_or_b32_e32 v146, v163, v146
	v_dot4_i32_iu8 v163, v155, v151, v154 neg_lo:[1,1,0]
	v_add_nc_u32_e32 v154, 0x4218, v173
	v_dot4_i32_iu8 v160, v146, v151, v145 neg_lo:[1,1,0]
	ds_load_2addr_b32 v[145:146], v147 offset0:4 offset1:5
	v_add_nc_u32_e32 v147, 0x4210, v167
	s_waitcnt lgkmcnt(0)
	v_ashrrev_i32_e32 v165, s26, v145
	v_ashrrev_i32_e32 v166, s26, v146
	ds_load_2addr_b32 v[145:146], v148 offset0:4 offset1:5
	v_bfe_u32 v173, v165, 24, 2
	v_and_b32_e32 v165, 0x3030303, v165
	s_waitcnt lgkmcnt(0)
	v_ashrrev_i32_e32 v168, s26, v145
	v_ashrrev_i32_e32 v169, s26, v146
	ds_load_2addr_b32 v[145:146], v158 offset0:4 offset1:5
	s_waitcnt lgkmcnt(0)
	v_ashrrev_i32_e32 v158, s26, v145
	v_ashrrev_i32_e32 v171, s26, v146
	ds_load_2addr_b32 v[145:146], v161 offset0:4 offset1:5
	s_waitcnt lgkmcnt(0)
	v_ashrrev_i32_e32 v161, s26, v145
	v_add_nc_u32_e32 v145, 0x4210, v164
	v_ashrrev_i32_e32 v172, s26, v146
	ds_load_2addr_b32 v[145:146], v145 offset1:1
	s_waitcnt lgkmcnt(0)
	v_ashrrev_i32_e32 v164, s21, v145
	v_add_nc_u32_e32 v145, s27, v123
	v_ashrrev_i32_e32 v174, s21, v146
	s_delay_alu instid0(VALU_DEP_3)
	v_lshlrev_b32_e32 v164, 2, v164
	ds_load_u16 v146, v145 offset:26354
	v_add_nc_u32_e32 v145, s30, v98
	ds_load_b32 v145, v145
	ds_load_2addr_b32 v[147:148], v147 offset1:1
	ds_load_2addr_b32 v[150:151], v150 offset1:1
	v_and_b32_e32 v164, 0x4040404, v164
	v_lshlrev_b32_e32 v174, 2, v174
	s_delay_alu instid0(VALU_DEP_2) | instskip(SKIP_1) | instid1(VALU_DEP_3)
	v_lshrrev_b32_e32 v177, 24, v164
	v_lshrrev_b32_e32 v178, 16, v164
	v_and_b32_e32 v174, 0x4040404, v174
	s_delay_alu instid0(VALU_DEP_3) | instskip(SKIP_1) | instid1(VALU_DEP_3)
	v_sub_nc_u16 v173, v173, v177
	v_lshrrev_b32_e32 v177, 16, v165
	v_lshrrev_b32_e32 v179, 24, v174
	;; [unrolled: 1-line block ×3, first 2 shown]
	s_delay_alu instid0(VALU_DEP_4) | instskip(NEXT) | instid1(VALU_DEP_4)
	v_lshlrev_b16 v173, 8, v173
	v_sub_nc_u16 v177, v177, v178
	v_lshrrev_b16 v178, 8, v165
	v_sub_nc_u16 v165, v165, v164
	v_lshrrev_b16 v164, 8, v164
	s_waitcnt lgkmcnt(1)
	v_ashrrev_i32_e32 v167, s21, v147
	v_add_nc_u32_e32 v147, 0x4210, v170
	v_ashrrev_i32_e32 v175, s21, v148
	v_sub_nc_u16 v164, v178, v164
	v_bfe_u32 v178, v166, 24, 2
	v_and_b32_e32 v166, 0x3030303, v166
	v_lshlrev_b32_e32 v167, 2, v167
	ds_load_2addr_b32 v[147:148], v147 offset1:1
	v_lshlrev_b32_e32 v175, 2, v175
	v_sub_nc_u16 v178, v178, v179
	v_lshrrev_b32_e32 v179, 16, v166
	v_and_b32_e32 v167, 0x4040404, v167
	v_lshlrev_b16 v164, 8, v164
	v_and_b32_e32 v175, 0x4040404, v175
	v_lshlrev_b16 v178, 8, v178
	v_sub_nc_u16 v179, v179, v180
	v_lshrrev_b16 v180, 8, v166
	v_sub_nc_u16 v166, v166, v174
	v_lshrrev_b16 v174, 8, v174
	v_lshrrev_b32_e32 v181, 24, v167
	v_lshrrev_b32_e32 v182, 16, v167
	;; [unrolled: 1-line block ×4, first 2 shown]
	v_sub_nc_u16 v174, v180, v174
	v_bfe_u32 v180, v168, 24, 2
	v_and_b32_e32 v168, 0x3030303, v168
	s_waitcnt lgkmcnt(0)
	v_ashrrev_i32_e32 v170, s21, v147
	v_add_nc_u32_e32 v147, s27, v121
	v_sub_nc_u16 v180, v180, v181
	v_lshrrev_b32_e32 v181, 16, v168
	v_ashrrev_i32_e32 v176, s21, v148
	v_lshlrev_b32_e32 v170, 2, v170
	ds_load_u16 v148, v147 offset:28402
	v_add_nc_u32_e32 v147, s30, v106
	v_sub_nc_u16 v181, v181, v182
	v_lshrrev_b16 v182, 8, v168
	v_sub_nc_u16 v168, v168, v167
	v_lshrrev_b16 v167, 8, v167
	v_and_b32_e32 v170, 0x4040404, v170
	ds_load_b32 v147, v147
	ds_load_2addr_b32 v[152:153], v152 offset1:1
	ds_load_2addr_b32 v[154:155], v154 offset1:1
	v_lshlrev_b32_e32 v176, 2, v176
	v_lshlrev_b16 v174, 8, v174
	v_sub_nc_u16 v167, v182, v167
	v_bfe_u32 v182, v169, 24, 2
	v_and_b32_e32 v169, 0x3030303, v169
	v_lshrrev_b32_e32 v185, 24, v170
	v_lshrrev_b32_e32 v186, 16, v170
	v_and_b32_e32 v176, 0x4040404, v176
	v_sub_nc_u16 v182, v182, v183
	v_lshrrev_b32_e32 v183, 16, v169
	v_lshlrev_b16 v180, 8, v180
	v_lshlrev_b16 v167, 8, v167
	v_lshrrev_b32_e32 v187, 24, v176
	v_lshrrev_b32_e32 v188, 16, v176
	v_sub_nc_u16 v183, v183, v184
	v_lshrrev_b16 v184, 8, v169
	v_sub_nc_u16 v169, v169, v175
	v_lshrrev_b16 v175, 8, v175
	s_waitcnt lgkmcnt(1)
	v_ashrrev_i32_e32 v152, s21, v152
	v_ashrrev_i32_e32 v153, s21, v153
	v_lshlrev_b16 v182, 8, v182
	s_waitcnt lgkmcnt(0)
	v_ashrrev_i32_e32 v154, s21, v154
	v_sub_nc_u16 v175, v184, v175
	v_bfe_u32 v184, v158, 24, 2
	v_and_b32_e32 v158, 0x3030303, v158
	v_lshlrev_b32_e32 v152, 2, v152
	v_lshlrev_b32_e32 v153, 2, v153
	v_lshlrev_b16 v175, 8, v175
	v_sub_nc_u16 v184, v184, v185
	v_lshrrev_b32_e32 v185, 16, v158
	v_and_b32_e32 v152, 0x4040404, v152
	v_and_b32_e32 v153, 0x4040404, v153
	v_lshlrev_b32_e32 v154, 2, v154
	v_lshlrev_b16 v184, 8, v184
	v_sub_nc_u16 v185, v185, v186
	v_lshrrev_b16 v186, 8, v158
	v_sub_nc_u16 v158, v158, v170
	v_lshrrev_b16 v170, 8, v170
	v_lshrrev_b32_e32 v189, 24, v152
	v_lshrrev_b32_e32 v190, 16, v152
	;; [unrolled: 1-line block ×4, first 2 shown]
	v_sub_nc_u16 v170, v186, v170
	v_bfe_u32 v186, v171, 24, 2
	v_and_b32_e32 v171, 0x3030303, v171
	v_and_b32_e32 v154, 0x4040404, v154
	s_delay_alu instid0(VALU_DEP_4) | instskip(NEXT) | instid1(VALU_DEP_4)
	v_lshlrev_b16 v170, 8, v170
	v_sub_nc_u16 v186, v186, v187
	s_delay_alu instid0(VALU_DEP_4) | instskip(NEXT) | instid1(VALU_DEP_2)
	v_lshrrev_b32_e32 v187, 16, v171
	v_lshlrev_b16 v186, 8, v186
	s_delay_alu instid0(VALU_DEP_2) | instskip(SKIP_3) | instid1(VALU_DEP_1)
	v_sub_nc_u16 v187, v187, v188
	v_lshrrev_b16 v188, 8, v171
	v_sub_nc_u16 v171, v171, v176
	v_lshrrev_b16 v176, 8, v176
	v_sub_nc_u16 v176, v188, v176
	v_bfe_u32 v188, v161, 24, 2
	v_and_b32_e32 v161, 0x3030303, v161
	s_delay_alu instid0(VALU_DEP_3) | instskip(NEXT) | instid1(VALU_DEP_3)
	v_lshlrev_b16 v176, 8, v176
	v_sub_nc_u16 v188, v188, v189
	s_delay_alu instid0(VALU_DEP_3) | instskip(NEXT) | instid1(VALU_DEP_2)
	v_lshrrev_b32_e32 v189, 16, v161
	v_lshlrev_b16 v188, 8, v188
	s_delay_alu instid0(VALU_DEP_2) | instskip(SKIP_3) | instid1(VALU_DEP_1)
	v_sub_nc_u16 v189, v189, v190
	v_lshrrev_b16 v190, 8, v161
	v_sub_nc_u16 v161, v161, v152
	v_lshrrev_b16 v152, 8, v152
	v_sub_nc_u16 v152, v190, v152
	v_bfe_u32 v190, v172, 24, 2
	v_and_b32_e32 v172, 0x3030303, v172
	s_delay_alu instid0(VALU_DEP_3) | instskip(NEXT) | instid1(VALU_DEP_3)
	v_lshlrev_b16 v152, 8, v152
	v_sub_nc_u16 v190, v190, v191
	s_delay_alu instid0(VALU_DEP_3) | instskip(NEXT) | instid1(VALU_DEP_2)
	v_lshrrev_b32_e32 v191, 16, v172
	v_lshlrev_b16 v190, 8, v190
	s_delay_alu instid0(VALU_DEP_2) | instskip(SKIP_3) | instid1(VALU_DEP_1)
	v_sub_nc_u16 v191, v191, v192
	v_lshrrev_b16 v192, 8, v172
	v_sub_nc_u16 v172, v172, v153
	v_lshrrev_b16 v153, 8, v153
	v_sub_nc_u16 v153, v192, v153
	v_and_b32_e32 v192, 0xff, v177
	s_delay_alu instid0(VALU_DEP_2) | instskip(NEXT) | instid1(VALU_DEP_2)
	v_lshlrev_b16 v153, 8, v153
	v_or_b32_e32 v173, v192, v173
	v_and_b32_e32 v192, 0xff, v165
	s_delay_alu instid0(VALU_DEP_2) | instskip(NEXT) | instid1(VALU_DEP_2)
	v_perm_b32 v165, v165, v173, 0x4010c0c
	v_or_b32_e32 v164, v192, v164
	v_and_b32_e32 v192, 0xff, v179
	s_delay_alu instid0(VALU_DEP_2) | instskip(NEXT) | instid1(VALU_DEP_2)
	v_perm_b32 v164, v177, v164, 0xc0c0401
	v_or_b32_e32 v178, v192, v178
	v_and_b32_e32 v192, 0xff, v166
	s_delay_alu instid0(VALU_DEP_3) | instskip(NEXT) | instid1(VALU_DEP_3)
	v_or_b32_e32 v164, v165, v164
	v_perm_b32 v166, v166, v178, 0x4010c0c
	s_delay_alu instid0(VALU_DEP_3) | instskip(SKIP_1) | instid1(VALU_DEP_2)
	v_or_b32_e32 v174, v192, v174
	v_and_b32_e32 v192, 0xff, v181
	v_perm_b32 v173, v179, v174, 0xc0c0401
	s_delay_alu instid0(VALU_DEP_2) | instskip(SKIP_1) | instid1(VALU_DEP_3)
	v_or_b32_e32 v180, v192, v180
	v_and_b32_e32 v192, 0xff, v168
	v_or_b32_e32 v165, v166, v173
	s_delay_alu instid0(VALU_DEP_3) | instskip(NEXT) | instid1(VALU_DEP_3)
	v_perm_b32 v168, v168, v180, 0x4010c0c
	v_or_b32_e32 v167, v192, v167
	v_and_b32_e32 v192, 0xff, v183
	s_delay_alu instid0(VALU_DEP_2) | instskip(NEXT) | instid1(VALU_DEP_2)
	v_perm_b32 v167, v181, v167, 0xc0c0401
	v_or_b32_e32 v182, v192, v182
	v_and_b32_e32 v192, 0xff, v169
	s_delay_alu instid0(VALU_DEP_3) | instskip(NEXT) | instid1(VALU_DEP_3)
	v_or_b32_e32 v166, v168, v167
	v_perm_b32 v169, v169, v182, 0x4010c0c
	s_delay_alu instid0(VALU_DEP_3) | instskip(SKIP_1) | instid1(VALU_DEP_2)
	v_or_b32_e32 v175, v192, v175
	v_and_b32_e32 v192, 0xff, v185
	v_perm_b32 v174, v183, v175, 0xc0c0401
	s_delay_alu instid0(VALU_DEP_2) | instskip(SKIP_1) | instid1(VALU_DEP_3)
	v_or_b32_e32 v184, v192, v184
	v_and_b32_e32 v192, 0xff, v158
	v_or_b32_e32 v167, v169, v174
	s_delay_alu instid0(VALU_DEP_3) | instskip(NEXT) | instid1(VALU_DEP_3)
	v_perm_b32 v158, v158, v184, 0x4010c0c
	v_or_b32_e32 v170, v192, v170
	v_and_b32_e32 v192, 0xff, v187
	v_lshrrev_b32_e32 v169, 24, v45
	s_delay_alu instid0(VALU_DEP_3) | instskip(NEXT) | instid1(VALU_DEP_3)
	v_perm_b32 v170, v185, v170, 0xc0c0401
	v_or_b32_e32 v186, v192, v186
	v_and_b32_e32 v192, 0xff, v171
	s_delay_alu instid0(VALU_DEP_3) | instskip(NEXT) | instid1(VALU_DEP_3)
	v_or_b32_e32 v158, v158, v170
	v_perm_b32 v171, v171, v186, 0x4010c0c
	s_delay_alu instid0(VALU_DEP_3) | instskip(SKIP_3) | instid1(VALU_DEP_4)
	v_or_b32_e32 v176, v192, v176
	v_and_b32_e32 v192, 0xff, v189
	v_lshrrev_b32_e32 v170, 16, v45
	v_dot4_i32_iu8 v158, v158, v156, 0 neg_lo:[1,1,0]
	v_perm_b32 v175, v187, v176, 0xc0c0401
	s_delay_alu instid0(VALU_DEP_4) | instskip(SKIP_1) | instid1(VALU_DEP_3)
	v_or_b32_e32 v188, v192, v188
	v_and_b32_e32 v192, 0xff, v161
	v_or_b32_e32 v168, v171, v175
	s_delay_alu instid0(VALU_DEP_3) | instskip(NEXT) | instid1(VALU_DEP_3)
	v_perm_b32 v161, v161, v188, 0x4010c0c
	v_or_b32_e32 v152, v192, v152
	v_and_b32_e32 v192, 0xff, v191
	s_delay_alu instid0(VALU_DEP_4) | instskip(SKIP_1) | instid1(VALU_DEP_4)
	v_dot4_i32_iu8 v158, v168, v157, v158 neg_lo:[1,1,0]
	v_lshrrev_b32_e32 v168, 16, v43
	v_perm_b32 v152, v189, v152, 0xc0c0401
	s_delay_alu instid0(VALU_DEP_4) | instskip(SKIP_1) | instid1(VALU_DEP_3)
	v_or_b32_e32 v190, v192, v190
	v_and_b32_e32 v192, 0xff, v172
	v_or_b32_e32 v152, v161, v152
	s_delay_alu instid0(VALU_DEP_3) | instskip(NEXT) | instid1(VALU_DEP_3)
	v_perm_b32 v172, v172, v190, 0x4010c0c
	v_or_b32_e32 v153, v192, v153
	v_dot4_i32_iu8 v161, v164, v156, 0 neg_lo:[1,1,0]
	v_dot4_i32_iu8 v164, v166, v156, 0 neg_lo:[1,1,0]
	;; [unrolled: 1-line block ×3, first 2 shown]
	v_lshrrev_b32_e32 v166, 16, v41
	v_perm_b32 v153, v191, v153, 0xc0c0401
	v_dot4_i32_iu8 v156, v165, v157, v161 neg_lo:[1,1,0]
	v_dot4_i32_iu8 v161, v167, v157, v164 neg_lo:[1,1,0]
	v_lshrrev_b32_e32 v164, 16, v39
	v_lshrrev_b32_e32 v165, 24, v41
	v_or_b32_e32 v153, v172, v153
	v_lshrrev_b32_e32 v167, 24, v43
	s_delay_alu instid0(VALU_DEP_2) | instskip(SKIP_3) | instid1(VALU_DEP_2)
	v_dot4_i32_iu8 v152, v153, v157, v152 neg_lo:[1,1,0]
	v_bfe_u32 v153, v31, 24, 2
	v_lshrrev_b32_e32 v157, 24, v39
	v_and_b32_e32 v31, 0x3030303, v31
	v_sub_nc_u16 v153, v153, v157
	s_delay_alu instid0(VALU_DEP_2) | instskip(NEXT) | instid1(VALU_DEP_2)
	v_lshrrev_b32_e32 v157, 16, v31
	v_lshlrev_b16 v153, 8, v153
	s_delay_alu instid0(VALU_DEP_2) | instskip(SKIP_3) | instid1(VALU_DEP_1)
	v_sub_nc_u16 v157, v157, v164
	v_lshrrev_b16 v164, 8, v31
	v_sub_nc_u16 v31, v31, v39
	v_lshrrev_b16 v39, 8, v39
	v_sub_nc_u16 v39, v164, v39
	v_bfe_u32 v164, v33, 24, 2
	v_and_b32_e32 v33, 0x3030303, v33
	s_delay_alu instid0(VALU_DEP_3) | instskip(NEXT) | instid1(VALU_DEP_3)
	v_lshlrev_b16 v39, 8, v39
	v_sub_nc_u16 v164, v164, v165
	s_delay_alu instid0(VALU_DEP_3) | instskip(NEXT) | instid1(VALU_DEP_2)
	v_lshrrev_b32_e32 v165, 16, v33
	v_lshlrev_b16 v164, 8, v164
	s_delay_alu instid0(VALU_DEP_2) | instskip(SKIP_3) | instid1(VALU_DEP_1)
	v_sub_nc_u16 v165, v165, v166
	v_lshrrev_b16 v166, 8, v33
	v_sub_nc_u16 v33, v33, v41
	v_lshrrev_b16 v41, 8, v41
	v_sub_nc_u16 v41, v166, v41
	v_bfe_u32 v166, v35, 24, 2
	v_and_b32_e32 v35, 0x3030303, v35
	s_delay_alu instid0(VALU_DEP_3) | instskip(NEXT) | instid1(VALU_DEP_3)
	v_lshlrev_b16 v41, 8, v41
	v_sub_nc_u16 v166, v166, v167
	s_delay_alu instid0(VALU_DEP_3) | instskip(NEXT) | instid1(VALU_DEP_2)
	;; [unrolled: 14-line block ×3, first 2 shown]
	v_lshrrev_b32_e32 v169, 16, v37
	v_lshlrev_b16 v168, 8, v168
	s_delay_alu instid0(VALU_DEP_2) | instskip(SKIP_3) | instid1(VALU_DEP_1)
	v_sub_nc_u16 v169, v169, v170
	v_lshrrev_b16 v170, 8, v37
	v_sub_nc_u16 v37, v37, v45
	v_lshrrev_b16 v45, 8, v45
	v_sub_nc_u16 v45, v170, v45
	v_and_b32_e32 v170, 0xff, v157
	s_delay_alu instid0(VALU_DEP_2) | instskip(NEXT) | instid1(VALU_DEP_2)
	v_lshlrev_b16 v45, 8, v45
	v_or_b32_e32 v153, v170, v153
	v_and_b32_e32 v170, 0xff, v31
	s_delay_alu instid0(VALU_DEP_2) | instskip(NEXT) | instid1(VALU_DEP_2)
	v_perm_b32 v31, v31, v153, 0x4010c0c
	v_or_b32_e32 v39, v170, v39
	v_and_b32_e32 v170, 0xff, v165
	v_lshrrev_b32_e32 v153, 24, v6
	s_delay_alu instid0(VALU_DEP_3) | instskip(NEXT) | instid1(VALU_DEP_3)
	v_perm_b32 v39, v157, v39, 0xc0c0401
	v_or_b32_e32 v164, v170, v164
	v_and_b32_e32 v170, 0xff, v33
	v_lshrrev_b32_e32 v157, 16, v6
	s_delay_alu instid0(VALU_DEP_4) | instskip(NEXT) | instid1(VALU_DEP_4)
	v_or_b32_e32 v31, v31, v39
	v_perm_b32 v33, v33, v164, 0x4010c0c
	s_delay_alu instid0(VALU_DEP_4)
	v_or_b32_e32 v41, v170, v41
	v_and_b32_e32 v170, 0xff, v167
	v_bfe_u32 v39, v27, 24, 2
	v_and_b32_e32 v27, 0x3030303, v27
	v_dot4_i32_iu8 v31, v31, v149, v162 neg_lo:[1,1,0]
	v_perm_b32 v41, v165, v41, 0xc0c0401
	v_or_b32_e32 v166, v170, v166
	v_and_b32_e32 v170, 0xff, v35
	s_delay_alu instid0(VALU_DEP_3) | instskip(NEXT) | instid1(VALU_DEP_3)
	v_or_b32_e32 v33, v33, v41
	v_perm_b32 v35, v35, v166, 0x4010c0c
	s_delay_alu instid0(VALU_DEP_3) | instskip(SKIP_3) | instid1(VALU_DEP_4)
	v_or_b32_e32 v43, v170, v43
	v_lshrrev_b32_e32 v41, 24, v2
	v_and_b32_e32 v170, 0xff, v169
	v_dot4_i32_iu8 v33, v33, v149, v163 neg_lo:[1,1,0]
	v_perm_b32 v43, v167, v43, 0xc0c0401
	s_delay_alu instid0(VALU_DEP_4)
	v_sub_nc_u16 v39, v39, v41
	v_lshrrev_b32_e32 v41, 16, v27
	v_or_b32_e32 v168, v170, v168
	v_and_b32_e32 v170, 0xff, v37
	v_or_b32_e32 v35, v35, v43
	v_lshrrev_b32_e32 v43, 16, v2
	v_lshlrev_b16 v39, 8, v39
	v_perm_b32 v37, v37, v168, 0x4010c0c
	v_or_b32_e32 v45, v170, v45
	v_dot4_i32_iu8 v35, v35, v149, v159 neg_lo:[1,1,0]
	v_sub_nc_u16 v41, v41, v43
	v_lshrrev_b16 v43, 8, v27
	v_sub_nc_u16 v27, v27, v2
	v_lshrrev_b16 v2, 8, v2
	v_perm_b32 v45, v169, v45, 0xc0c0401
	v_lshrrev_b32_e32 v159, 24, v154
	s_delay_alu instid0(VALU_DEP_3) | instskip(SKIP_1) | instid1(VALU_DEP_4)
	v_sub_nc_u16 v2, v43, v2
	v_ashrrev_i32_e32 v43, s21, v150
	v_or_b32_e32 v37, v37, v45
	v_bfe_u32 v45, v4, 24, 2
	v_and_b32_e32 v4, 0x3030303, v4
	v_lshlrev_b16 v2, 8, v2
	v_lshlrev_b32_e32 v43, 2, v43
	v_dot4_i32_iu8 v37, v37, v149, v160 neg_lo:[1,1,0]
	v_lshrrev_b32_e32 v160, 16, v154
	s_delay_alu instid0(VALU_DEP_3) | instskip(NEXT) | instid1(VALU_DEP_1)
	v_and_b32_e32 v43, 0x4040404, v43
	v_lshrrev_b32_e32 v149, 24, v43
	v_lshrrev_b32_e32 v150, 16, v43
	s_delay_alu instid0(VALU_DEP_2) | instskip(SKIP_1) | instid1(VALU_DEP_2)
	v_sub_nc_u16 v45, v45, v149
	v_lshrrev_b32_e32 v149, 16, v4
	v_lshlrev_b16 v45, 8, v45
	s_delay_alu instid0(VALU_DEP_2) | instskip(SKIP_3) | instid1(VALU_DEP_1)
	v_sub_nc_u16 v149, v149, v150
	v_lshrrev_b16 v150, 8, v4
	v_sub_nc_u16 v4, v4, v43
	v_lshrrev_b16 v43, 8, v43
	v_sub_nc_u16 v43, v150, v43
	v_bfe_u32 v150, v0, 24, 2
	v_and_b32_e32 v0, 0x3030303, v0
	s_delay_alu instid0(VALU_DEP_3) | instskip(NEXT) | instid1(VALU_DEP_3)
	v_lshlrev_b16 v43, 8, v43
	v_sub_nc_u16 v150, v150, v153
	s_delay_alu instid0(VALU_DEP_3) | instskip(NEXT) | instid1(VALU_DEP_2)
	v_lshrrev_b32_e32 v153, 16, v0
	v_lshlrev_b16 v150, 8, v150
	s_delay_alu instid0(VALU_DEP_2) | instskip(SKIP_3) | instid1(VALU_DEP_1)
	v_sub_nc_u16 v153, v153, v157
	v_lshrrev_b16 v157, 8, v0
	v_sub_nc_u16 v0, v0, v6
	v_lshrrev_b16 v6, 8, v6
	v_sub_nc_u16 v6, v157, v6
	v_bfe_u32 v157, v29, 24, 2
	v_and_b32_e32 v29, 0x3030303, v29
	s_delay_alu instid0(VALU_DEP_3) | instskip(NEXT) | instid1(VALU_DEP_3)
	v_lshlrev_b16 v6, 8, v6
	v_sub_nc_u16 v157, v157, v159
	s_delay_alu instid0(VALU_DEP_3) | instskip(NEXT) | instid1(VALU_DEP_2)
	v_lshrrev_b32_e32 v159, 16, v29
	v_lshlrev_b16 v157, 8, v157
	s_delay_alu instid0(VALU_DEP_2) | instskip(SKIP_3) | instid1(VALU_DEP_1)
	v_sub_nc_u16 v159, v159, v160
	v_lshrrev_b16 v160, 8, v29
	v_sub_nc_u16 v29, v29, v154
	v_lshrrev_b16 v154, 8, v154
	v_sub_nc_u16 v154, v160, v154
	v_and_b32_e32 v160, 0xff, v41
	s_delay_alu instid0(VALU_DEP_2) | instskip(NEXT) | instid1(VALU_DEP_2)
	v_lshlrev_b16 v154, 8, v154
	v_or_b32_e32 v39, v160, v39
	v_and_b32_e32 v160, 0xff, v27
	s_delay_alu instid0(VALU_DEP_2) | instskip(NEXT) | instid1(VALU_DEP_2)
	v_perm_b32 v27, v27, v39, 0x4010c0c
	v_or_b32_e32 v2, v160, v2
	v_and_b32_e32 v160, 0xff, v149
	s_delay_alu instid0(VALU_DEP_2) | instskip(NEXT) | instid1(VALU_DEP_2)
	v_perm_b32 v2, v41, v2, 0xc0c0401
	v_or_b32_e32 v45, v160, v45
	v_and_b32_e32 v160, 0xff, v4
	s_delay_alu instid0(VALU_DEP_3) | instskip(SKIP_1) | instid1(VALU_DEP_3)
	v_or_b32_e32 v2, v27, v2
	v_ashrrev_i32_e32 v27, s26, v32
	v_or_b32_e32 v43, v160, v43
	v_and_b32_e32 v160, 0xff, v153
	v_ashrrev_i32_e32 v32, s26, v36
	v_ashrrev_i32_e32 v36, s21, v40
	v_perm_b32 v4, v4, v45, 0x4010c0c
	v_perm_b32 v39, v149, v43, 0xc0c0401
	v_or_b32_e32 v150, v160, v150
	v_and_b32_e32 v160, 0xff, v0
	v_lshlrev_b32_e32 v36, 2, v36
	v_ashrrev_i32_e32 v40, s21, v46
	v_or_b32_e32 v4, v4, v39
	v_perm_b32 v0, v0, v150, 0x4010c0c
	v_or_b32_e32 v6, v160, v6
	v_and_b32_e32 v160, 0xff, v159
	v_and_b32_e32 v36, 0x4040404, v36
	v_ashrrev_i32_e32 v39, s21, v44
	v_dot4_i32_iu8 v2, v2, v144, v156 neg_lo:[1,1,0]
	v_perm_b32 v6, v153, v6, 0xc0c0401
	v_or_b32_e32 v157, v160, v157
	v_and_b32_e32 v160, 0xff, v29
	v_lshrrev_b32_e32 v43, 16, v36
	v_lshlrev_b32_e32 v39, 2, v39
	v_or_b32_e32 v0, v0, v6
	v_perm_b32 v29, v29, v157, 0x4010c0c
	v_or_b32_e32 v154, v160, v154
	v_dot4_i32_iu8 v4, v4, v144, v161 neg_lo:[1,1,0]
	v_and_b32_e32 v39, 0x4040404, v39
	v_dot4_i32_iu8 v0, v0, v144, v158 neg_lo:[1,1,0]
	v_lshlrev_b32_e32 v40, 2, v40
	v_perm_b32 v41, v159, v154, 0xc0c0401
	s_delay_alu instid0(VALU_DEP_4) | instskip(NEXT) | instid1(VALU_DEP_3)
	v_lshrrev_b32_e32 v46, 24, v39
	v_and_b32_e32 v40, 0x4040404, v40
	s_delay_alu instid0(VALU_DEP_3)
	v_or_b32_e32 v6, v29, v41
	v_ashrrev_i32_e32 v29, s26, v34
	v_ashrrev_i32_e32 v34, s26, v38
	;; [unrolled: 1-line block ×3, first 2 shown]
	v_bfe_u32 v41, v27, 24, 2
	v_lshrrev_b32_e32 v42, 24, v36
	v_and_b32_e32 v27, 0x3030303, v27
	v_dot4_i32_iu8 v6, v6, v144, v152 neg_lo:[1,1,0]
	v_lshlrev_b32_e32 v38, 2, v38
	v_lshrrev_b32_e32 v144, 16, v39
	v_sub_nc_u16 v41, v41, v42
	v_lshrrev_b32_e32 v42, 16, v27
	v_lshrrev_b32_e32 v149, 24, v40
	v_and_b32_e32 v38, 0x4040404, v38
	v_lshrrev_b32_e32 v150, 16, v40
	v_lshlrev_b16 v41, 8, v41
	v_sub_nc_u16 v42, v42, v43
	v_lshrrev_b16 v43, 8, v27
	v_sub_nc_u16 v27, v27, v36
	v_lshrrev_b16 v36, 8, v36
	v_lshrrev_b32_e32 v44, 24, v38
	v_lshrrev_b32_e32 v45, 16, v38
	s_delay_alu instid0(VALU_DEP_3) | instskip(SKIP_2) | instid1(VALU_DEP_3)
	v_sub_nc_u16 v36, v43, v36
	v_bfe_u32 v43, v29, 24, 2
	v_and_b32_e32 v29, 0x3030303, v29
	v_lshlrev_b16 v36, 8, v36
	s_delay_alu instid0(VALU_DEP_3) | instskip(NEXT) | instid1(VALU_DEP_3)
	v_sub_nc_u16 v43, v43, v44
	v_lshrrev_b32_e32 v44, 16, v29
	s_delay_alu instid0(VALU_DEP_2) | instskip(NEXT) | instid1(VALU_DEP_2)
	v_lshlrev_b16 v43, 8, v43
	v_sub_nc_u16 v44, v44, v45
	v_lshrrev_b16 v45, 8, v29
	v_sub_nc_u16 v29, v29, v38
	v_lshrrev_b16 v38, 8, v38
	s_delay_alu instid0(VALU_DEP_1) | instskip(SKIP_2) | instid1(VALU_DEP_3)
	v_sub_nc_u16 v38, v45, v38
	v_bfe_u32 v45, v32, 24, 2
	v_and_b32_e32 v32, 0x3030303, v32
	v_lshlrev_b16 v38, 8, v38
	s_delay_alu instid0(VALU_DEP_3) | instskip(NEXT) | instid1(VALU_DEP_3)
	v_sub_nc_u16 v45, v45, v46
	v_lshrrev_b32_e32 v46, 16, v32
	s_delay_alu instid0(VALU_DEP_2) | instskip(NEXT) | instid1(VALU_DEP_2)
	v_lshlrev_b16 v45, 8, v45
	v_sub_nc_u16 v46, v46, v144
	v_lshrrev_b16 v144, 8, v32
	v_sub_nc_u16 v32, v32, v39
	v_lshrrev_b16 v39, 8, v39
	s_delay_alu instid0(VALU_DEP_1) | instskip(SKIP_2) | instid1(VALU_DEP_3)
	v_sub_nc_u16 v39, v144, v39
	v_bfe_u32 v144, v34, 24, 2
	v_and_b32_e32 v34, 0x3030303, v34
	v_lshlrev_b16 v39, 8, v39
	s_delay_alu instid0(VALU_DEP_3) | instskip(NEXT) | instid1(VALU_DEP_3)
	v_sub_nc_u16 v144, v144, v149
	v_lshrrev_b32_e32 v149, 16, v34
	s_delay_alu instid0(VALU_DEP_2) | instskip(NEXT) | instid1(VALU_DEP_2)
	v_lshlrev_b16 v144, 8, v144
	v_sub_nc_u16 v149, v149, v150
	v_lshrrev_b16 v150, 8, v34
	v_sub_nc_u16 v34, v34, v40
	v_lshrrev_b16 v40, 8, v40
	s_delay_alu instid0(VALU_DEP_1) | instskip(SKIP_1) | instid1(VALU_DEP_2)
	v_sub_nc_u16 v40, v150, v40
	v_and_b32_e32 v150, 0xff, v42
	v_lshlrev_b16 v40, 8, v40
	s_delay_alu instid0(VALU_DEP_2) | instskip(SKIP_1) | instid1(VALU_DEP_2)
	v_or_b32_e32 v41, v150, v41
	v_and_b32_e32 v150, 0xff, v27
	v_perm_b32 v27, v27, v41, 0x4010c0c
	s_delay_alu instid0(VALU_DEP_2) | instskip(SKIP_2) | instid1(VALU_DEP_3)
	v_or_b32_e32 v36, v150, v36
	v_and_b32_e32 v150, 0xff, v44
	v_lshrrev_b32_e32 v41, 16, v7
	v_perm_b32 v36, v42, v36, 0xc0c0401
	s_delay_alu instid0(VALU_DEP_3) | instskip(SKIP_1) | instid1(VALU_DEP_3)
	v_or_b32_e32 v43, v150, v43
	v_and_b32_e32 v150, 0xff, v29
	v_or_b32_e32 v27, v27, v36
	s_delay_alu instid0(VALU_DEP_3) | instskip(NEXT) | instid1(VALU_DEP_3)
	v_perm_b32 v29, v29, v43, 0x4010c0c
	v_or_b32_e32 v38, v150, v38
	v_and_b32_e32 v150, 0xff, v46
	v_lshrrev_b32_e32 v36, 24, v3
	v_dot4_i32_iu8 v27, v27, v143, v31 neg_lo:[1,1,0]
	s_delay_alu instid0(VALU_DEP_4) | instskip(NEXT) | instid1(VALU_DEP_4)
	v_perm_b32 v38, v44, v38, 0xc0c0401
	v_or_b32_e32 v45, v150, v45
	v_and_b32_e32 v150, 0xff, v32
	s_delay_alu instid0(VALU_DEP_3) | instskip(NEXT) | instid1(VALU_DEP_3)
	v_or_b32_e32 v29, v29, v38
	v_perm_b32 v32, v32, v45, 0x4010c0c
	s_delay_alu instid0(VALU_DEP_3) | instskip(SKIP_1) | instid1(VALU_DEP_4)
	v_or_b32_e32 v39, v150, v39
	v_and_b32_e32 v150, 0xff, v149
	v_dot4_i32_iu8 v29, v29, v143, v33 neg_lo:[1,1,0]
	v_ashrrev_i32_e32 v33, s21, v151
	s_delay_alu instid0(VALU_DEP_4) | instskip(NEXT) | instid1(VALU_DEP_4)
	v_perm_b32 v39, v46, v39, 0xc0c0401
	v_or_b32_e32 v144, v150, v144
	v_and_b32_e32 v150, 0xff, v34
	s_delay_alu instid0(VALU_DEP_4) | instskip(NEXT) | instid1(VALU_DEP_4)
	v_lshlrev_b32_e32 v33, 2, v33
	v_or_b32_e32 v32, v32, v39
	s_delay_alu instid0(VALU_DEP_4) | instskip(NEXT) | instid1(VALU_DEP_4)
	v_perm_b32 v34, v34, v144, 0x4010c0c
	v_or_b32_e32 v40, v150, v40
	s_delay_alu instid0(VALU_DEP_4) | instskip(NEXT) | instid1(VALU_DEP_4)
	v_and_b32_e32 v33, 0x4040404, v33
	v_dot4_i32_iu8 v31, v32, v143, v35 neg_lo:[1,1,0]
	v_bfe_u32 v35, v28, 24, 2
	s_delay_alu instid0(VALU_DEP_4)
	v_perm_b32 v40, v149, v40, 0xc0c0401
	v_and_b32_e32 v28, 0x3030303, v28
	v_lshrrev_b32_e32 v38, 24, v33
	v_lshrrev_b32_e32 v39, 16, v33
	v_sub_nc_u16 v35, v35, v36
	v_or_b32_e32 v34, v34, v40
	v_lshrrev_b32_e32 v36, 16, v28
	v_lshrrev_b32_e32 v40, 24, v7
	s_delay_alu instid0(VALU_DEP_4) | instskip(NEXT) | instid1(VALU_DEP_4)
	v_lshlrev_b16 v35, 8, v35
	v_dot4_i32_iu8 v32, v34, v143, v37 neg_lo:[1,1,0]
	v_lshrrev_b32_e32 v37, 16, v3
	v_ashrrev_i32_e32 v34, s21, v155
	s_add_i32 s21, s21, 1
	s_cmp_lt_u32 s25, 22
	s_delay_alu instid0(VALU_DEP_2) | instskip(SKIP_4) | instid1(VALU_DEP_2)
	v_sub_nc_u16 v36, v36, v37
	v_lshrrev_b16 v37, 8, v28
	v_sub_nc_u16 v28, v28, v3
	v_lshrrev_b16 v3, 8, v3
	v_lshlrev_b32_e32 v34, 2, v34
	v_sub_nc_u16 v3, v37, v3
	v_bfe_u32 v37, v5, 24, 2
	v_and_b32_e32 v5, 0x3030303, v5
	s_delay_alu instid0(VALU_DEP_4) | instskip(NEXT) | instid1(VALU_DEP_4)
	v_and_b32_e32 v34, 0x4040404, v34
	v_lshlrev_b16 v3, 8, v3
	s_delay_alu instid0(VALU_DEP_4) | instskip(NEXT) | instid1(VALU_DEP_4)
	v_sub_nc_u16 v37, v37, v38
	v_lshrrev_b32_e32 v38, 16, v5
	s_delay_alu instid0(VALU_DEP_4) | instskip(SKIP_1) | instid1(VALU_DEP_4)
	v_lshrrev_b32_e32 v42, 24, v34
	v_lshrrev_b32_e32 v43, 16, v34
	v_lshlrev_b16 v37, 8, v37
	s_delay_alu instid0(VALU_DEP_4) | instskip(SKIP_3) | instid1(VALU_DEP_1)
	v_sub_nc_u16 v38, v38, v39
	v_lshrrev_b16 v39, 8, v5
	v_sub_nc_u16 v5, v5, v33
	v_lshrrev_b16 v33, 8, v33
	v_sub_nc_u16 v33, v39, v33
	v_bfe_u32 v39, v1, 24, 2
	v_and_b32_e32 v1, 0x3030303, v1
	s_delay_alu instid0(VALU_DEP_3) | instskip(NEXT) | instid1(VALU_DEP_3)
	v_lshlrev_b16 v33, 8, v33
	v_sub_nc_u16 v39, v39, v40
	s_delay_alu instid0(VALU_DEP_3) | instskip(NEXT) | instid1(VALU_DEP_2)
	v_lshrrev_b32_e32 v40, 16, v1
	v_lshlrev_b16 v39, 8, v39
	s_delay_alu instid0(VALU_DEP_2) | instskip(SKIP_3) | instid1(VALU_DEP_1)
	v_sub_nc_u16 v40, v40, v41
	v_lshrrev_b16 v41, 8, v1
	v_sub_nc_u16 v1, v1, v7
	v_lshrrev_b16 v7, 8, v7
	v_sub_nc_u16 v7, v41, v7
	v_bfe_u32 v41, v30, 24, 2
	v_and_b32_e32 v30, 0x3030303, v30
	s_delay_alu instid0(VALU_DEP_3) | instskip(NEXT) | instid1(VALU_DEP_3)
	v_lshlrev_b16 v7, 8, v7
	v_sub_nc_u16 v41, v41, v42
	s_delay_alu instid0(VALU_DEP_3) | instskip(NEXT) | instid1(VALU_DEP_2)
	v_lshrrev_b32_e32 v42, 16, v30
	v_lshlrev_b16 v41, 8, v41
	s_delay_alu instid0(VALU_DEP_2) | instskip(SKIP_3) | instid1(VALU_DEP_1)
	v_sub_nc_u16 v42, v42, v43
	v_lshrrev_b16 v43, 8, v30
	v_sub_nc_u16 v30, v30, v34
	v_lshrrev_b16 v34, 8, v34
	v_sub_nc_u16 v34, v43, v34
	v_and_b32_e32 v43, 0xff, v36
	s_delay_alu instid0(VALU_DEP_2) | instskip(NEXT) | instid1(VALU_DEP_2)
	v_lshlrev_b16 v34, 8, v34
	v_or_b32_e32 v35, v43, v35
	v_and_b32_e32 v43, 0xff, v28
	s_delay_alu instid0(VALU_DEP_2) | instskip(NEXT) | instid1(VALU_DEP_2)
	v_perm_b32 v28, v28, v35, 0x4010c0c
	v_or_b32_e32 v3, v43, v3
	v_and_b32_e32 v43, 0xff, v38
	s_delay_alu instid0(VALU_DEP_2) | instskip(NEXT) | instid1(VALU_DEP_2)
	v_perm_b32 v3, v36, v3, 0xc0c0401
	v_or_b32_e32 v37, v43, v37
	v_and_b32_e32 v43, 0xff, v5
	s_delay_alu instid0(VALU_DEP_3) | instskip(NEXT) | instid1(VALU_DEP_3)
	v_or_b32_e32 v3, v28, v3
	v_perm_b32 v5, v5, v37, 0x4010c0c
	s_delay_alu instid0(VALU_DEP_3) | instskip(SKIP_1) | instid1(VALU_DEP_2)
	v_or_b32_e32 v33, v43, v33
	v_and_b32_e32 v43, 0xff, v40
	v_perm_b32 v33, v38, v33, 0xc0c0401
	s_delay_alu instid0(VALU_DEP_2) | instskip(SKIP_1) | instid1(VALU_DEP_3)
	v_or_b32_e32 v39, v43, v39
	v_and_b32_e32 v43, 0xff, v1
	v_or_b32_e32 v5, v5, v33
	s_delay_alu instid0(VALU_DEP_3) | instskip(NEXT) | instid1(VALU_DEP_3)
	v_perm_b32 v1, v1, v39, 0x4010c0c
	v_or_b32_e32 v7, v43, v7
	v_and_b32_e32 v43, 0xff, v42
	v_dot4_i32_iu8 v33, v3, v140, v2 neg_lo:[1,1,0]
	v_dot4_i32_iu8 v35, v5, v140, v4 neg_lo:[1,1,0]
	v_bfe_i32 v4, v146, 0, 8
	v_perm_b32 v7, v40, v7, 0xc0c0401
	v_or_b32_e32 v41, v43, v41
	v_and_b32_e32 v43, 0xff, v30
	v_bfe_i32 v5, v148, 0, 8
	s_delay_alu instid0(VALU_DEP_4) | instskip(NEXT) | instid1(VALU_DEP_4)
	v_or_b32_e32 v1, v1, v7
	v_perm_b32 v30, v30, v41, 0x4010c0c
	s_delay_alu instid0(VALU_DEP_4) | instskip(SKIP_1) | instid1(VALU_DEP_4)
	v_or_b32_e32 v34, v43, v34
	v_add_nc_u32_e32 v7, s27, v124
	v_dot4_i32_iu8 v36, v1, v140, v0 neg_lo:[1,1,0]
	s_delay_alu instid0(VALU_DEP_3) | instskip(NEXT) | instid1(VALU_DEP_1)
	v_perm_b32 v34, v42, v34, 0xc0c0401
	v_or_b32_e32 v28, v30, v34
	v_add_nc_u32_e32 v30, s27, v122
	ds_load_u16 v7, v7 offset:25330
	ds_load_u16 v30, v30 offset:27378
	ds_load_b32 v34, v139
	v_dot4_i32_iu8 v28, v28, v140, v6 neg_lo:[1,1,0]
	v_add_nc_u32_e32 v139, 4, v139
	s_mov_b32 s27, s25
	s_waitcnt lgkmcnt(2)
	v_bfe_i32 v1, v7, 0, 8
	s_waitcnt lgkmcnt(1)
	v_lshrrev_b16 v0, 8, v30
	v_bfe_i32 v3, v30, 0, 8
	v_lshrrev_b16 v2, 8, v7
	s_delay_alu instid0(VALU_DEP_3) | instskip(SKIP_1) | instid1(VALU_DEP_3)
	v_bfe_i32 v30, v0, 0, 8
	v_lshrrev_b16 v0, 8, v146
	v_bfe_i32 v7, v2, 0, 8
	v_lshrrev_b16 v2, 8, v148
	s_delay_alu instid0(VALU_DEP_3) | instskip(SKIP_2) | instid1(VALU_DEP_4)
	v_bfe_i32 v37, v0, 0, 8
	v_mul_lo_u32 v0, v27, v1
	v_mul_lo_u32 v1, v29, v4
	v_bfe_i32 v38, v2, 0, 8
	v_mul_lo_u32 v2, v31, v3
	v_mul_lo_u32 v3, v32, v5
	s_delay_alu instid0(VALU_DEP_4) | instskip(NEXT) | instid1(VALU_DEP_3)
	v_mad_u64_u32 v[4:5], null, v33, v7, v[0:1]
	v_mad_u64_u32 v[5:6], null, v35, v37, v[1:2]
	s_delay_alu instid0(VALU_DEP_3)
	v_mad_u64_u32 v[0:1], null, v36, v30, v[2:3]
	s_waitcnt lgkmcnt(0)
	v_mul_f32_e32 v6, v34, v145
	v_mul_f32_e32 v7, v34, v147
	v_mad_u64_u32 v[1:2], null, v28, v38, v[3:4]
	v_mul_f32_e32 v2, v34, v141
	v_mul_f32_e32 v3, v34, v142
	v_cvt_f32_i32_e32 v4, v4
	v_cvt_f32_i32_e32 v5, v5
	;; [unrolled: 1-line block ×4, first 2 shown]
	s_delay_alu instid0(VALU_DEP_4) | instskip(NEXT) | instid1(VALU_DEP_4)
	v_fmac_f32_e32 v49, v2, v4
	v_fmac_f32_e32 v99, v6, v5
	s_delay_alu instid0(VALU_DEP_4) | instskip(NEXT) | instid1(VALU_DEP_4)
	v_fmac_f32_e32 v95, v3, v0
	v_fmac_f32_e32 v24, v7, v1
	s_cbranch_scc1 .LBB190_28
; %bb.29:                               ;   in Loop: Header=BB190_5 Depth=1
	s_or_b32 s1, s6, 0x180
	s_delay_alu instid0(SALU_CYCLE_1)
	s_cmp_ge_i32 s1, s5
	s_barrier
	buffer_gl0_inv
	s_cbranch_scc1 .LBB190_4
; %bb.30:                               ;   in Loop: Header=BB190_5 Depth=1
	v_add_nc_u32_e32 v0, s20, v109
	s_delay_alu instid0(VALU_DEP_1) | instskip(NEXT) | instid1(VALU_DEP_1)
	v_cmp_gt_i32_e64 s1, s8, v0
	s_and_b32 s6, s0, s1
	s_delay_alu instid0(SALU_CYCLE_1)
	s_and_saveexec_b32 s1, s6
	s_cbranch_execz .LBB190_32
; %bb.31:                               ;   in Loop: Header=BB190_5 Depth=1
	v_add_nc_u32_e32 v2, v103, v0
	s_delay_alu instid0(VALU_DEP_1)
	v_mad_i64_i32 v[0:1], null, v2, 36, v[25:26]
	global_load_b32 v0, v[0:1], off offset:4
	s_waitcnt vmcnt(0)
	ds_store_b32 v89, v0
.LBB190_32:                             ;   in Loop: Header=BB190_5 Depth=1
	s_or_b32 exec_lo, exec_lo, s1
	s_and_saveexec_b32 s6, vcc_lo
	s_cbranch_execz .LBB190_35
; %bb.33:                               ;   in Loop: Header=BB190_5 Depth=1
	v_or_b32_e32 v0, s20, v48
	s_delay_alu instid0(VALU_DEP_1) | instskip(NEXT) | instid1(VALU_DEP_1)
	v_or_b32_e32 v1, 12, v0
	v_cmp_gt_i32_e64 s1, s8, v1
	s_delay_alu instid0(VALU_DEP_1) | instskip(NEXT) | instid1(SALU_CYCLE_1)
	s_and_b32 s1, s0, s1
	s_and_b32 exec_lo, exec_lo, s1
	s_cbranch_execz .LBB190_35
; %bb.34:                               ;   in Loop: Header=BB190_5 Depth=1
	v_ashrrev_i32_e32 v1, 31, v0
	v_add_co_u32 v2, s1, v103, v0
	s_delay_alu instid0(VALU_DEP_1) | instskip(NEXT) | instid1(VALU_DEP_2)
	v_add_co_ci_u32_e64 v3, s1, v110, v1, s1
	v_mad_u64_u32 v[0:1], null, v2, 36, s[18:19]
	s_delay_alu instid0(VALU_DEP_1)
	v_mad_i32_i24 v1, v3, 36, v1
	global_load_b32 v0, v[0:1], off
	s_waitcnt vmcnt(0)
	v_cvt_f32_f16_e32 v0, v0
	ds_store_b32 v90, v0
.LBB190_35:                             ;   in Loop: Header=BB190_5 Depth=1
	s_or_b32 exec_lo, exec_lo, s6
	v_dual_mov_b32 v138, v115 :: v_dual_mov_b32 v139, v116
	s_mov_b32 s1, 24
	s_mov_b32 s25, 22
	;; [unrolled: 1-line block ×3, first 2 shown]
	s_waitcnt lgkmcnt(0)
	s_barrier
	buffer_gl0_inv
.LBB190_36:                             ;   Parent Loop BB190_5 Depth=1
                                        ; =>  This Inner Loop Header: Depth=2
	s_add_i32 s20, s25, 2
	ds_load_b128 v[4:7], v138
	ds_load_b128 v[0:3], v138 offset:16
	s_and_b32 s27, s20, 0x3ffffff8
	s_lshr_b32 s26, s20, 4
	s_lshl_b32 s27, s27, 2
	s_lshl_b32 s28, s26, 2
	v_add_nc_u32_e32 v147, s27, v93
	v_add_nc_u32_e32 v148, s27, v97
	;; [unrolled: 1-line block ×4, first 2 shown]
	s_sub_i32 s21, s25, 22
	ds_load_2addr_b32 v[29:30], v147 offset1:1
	ds_load_2addr_b32 v[35:36], v148 offset1:1
	ds_load_2addr_b32 v[27:28], v147 offset0:6 offset1:7
	ds_load_2addr_b32 v[31:32], v147 offset0:2 offset1:3
	;; [unrolled: 1-line block ×3, first 2 shown]
	ds_load_b32 v141, v37
	v_add_nc_u32_e32 v161, s27, v105
	s_lshl_b32 s26, s26, 3
	v_add_nc_u32_e32 v138, 32, v138
	v_add_lshl_u32 v164, v92, s26, 2
	v_add_lshl_u32 v167, v96, s26, 2
	;; [unrolled: 1-line block ×3, first 2 shown]
	s_waitcnt lgkmcnt(7)
	v_perm_b32 v149, v6, v6, 0x30201
	s_waitcnt lgkmcnt(6)
	v_perm_b32 v156, v0, v0, 0x30201
	v_perm_b32 v157, v1, v1, 0x30201
	;; [unrolled: 1-line block ×4, first 2 shown]
	v_add_nc_u32_e32 v6, 0x4208, v164
	v_perm_b32 v150, v4, v4, 0x30201
	v_perm_b32 v151, v5, v5, 0x30201
	;; [unrolled: 1-line block ×3, first 2 shown]
	s_waitcnt lgkmcnt(5)
	v_ashrrev_i32_e32 v152, s21, v29
	s_waitcnt lgkmcnt(4)
	v_ashrrev_i32_e32 v154, s21, v35
	v_ashrrev_i32_e32 v155, s21, v36
	ds_load_2addr_b32 v[2:3], v158 offset1:1
	ds_load_2addr_b32 v[0:1], v158 offset0:6 offset1:7
	ds_load_2addr_b32 v[35:36], v158 offset0:2 offset1:3
	v_ashrrev_i32_e32 v153, s21, v30
	v_bfe_u32 v174, v152, 24, 2
	v_and_b32_e32 v152, 0x3030303, v152
	v_add_nc_u32_e32 v43, 0x4208, v170
	v_add_lshl_u32 v173, v104, s26, 2
	s_and_b32 s26, s1, -16
	s_waitcnt lgkmcnt(5)
	v_ashrrev_i32_e32 v31, s21, v31
	s_add_i32 s25, s25, s26
	s_waitcnt lgkmcnt(4)
	v_ashrrev_i32_e32 v33, s21, v33
	v_ashrrev_i32_e32 v27, s21, v27
	;; [unrolled: 1-line block ×3, first 2 shown]
	s_add_i32 s1, s1, 2
	s_waitcnt lgkmcnt(2)
	v_ashrrev_i32_e32 v159, s21, v2
	v_add_nc_u32_e32 v2, s28, v102
	v_ashrrev_i32_e32 v160, s21, v3
	ds_load_2addr_b32 v[37:38], v161 offset0:2 offset1:3
	ds_load_b32 v142, v2
	ds_load_2addr_b32 v[2:3], v161 offset1:1
	s_waitcnt lgkmcnt(3)
	v_ashrrev_i32_e32 v35, s21, v35
	v_ashrrev_i32_e32 v0, s21, v0
	;; [unrolled: 1-line block ×3, first 2 shown]
	s_waitcnt lgkmcnt(2)
	v_ashrrev_i32_e32 v37, s21, v37
	s_waitcnt lgkmcnt(0)
	v_ashrrev_i32_e32 v162, s21, v2
	v_add_nc_u32_e32 v2, 0x4200, v164
	v_ashrrev_i32_e32 v163, s21, v3
	v_add_nc_u32_e32 v3, 0x4218, v164
	ds_load_2addr_b32 v[4:5], v2 offset1:1
	ds_load_2addr_b32 v[2:3], v3 offset1:1
	;; [unrolled: 1-line block ×3, first 2 shown]
	s_waitcnt lgkmcnt(2)
	v_ashrrev_i32_e32 v165, s6, v4
	v_add_nc_u32_e32 v4, 0x4200, v167
	v_ashrrev_i32_e32 v166, s6, v5
	v_add_nc_u32_e32 v5, 0x4208, v167
	ds_load_2addr_b32 v[6:7], v4 offset1:1
	ds_load_2addr_b32 v[41:42], v5 offset1:1
	ds_load_2addr_b32 v[4:5], v148 offset0:6 offset1:7
	v_lshlrev_b32_e32 v165, 2, v165
	v_lshlrev_b32_e32 v166, 2, v166
	s_waitcnt lgkmcnt(3)
	v_ashrrev_i32_e32 v39, s6, v39
	v_ashrrev_i32_e32 v2, s6, v2
	;; [unrolled: 1-line block ×3, first 2 shown]
	v_and_b32_e32 v165, 0x4040404, v165
	v_and_b32_e32 v166, 0x4040404, v166
	v_lshlrev_b32_e32 v39, 2, v39
	v_lshlrev_b32_e32 v2, 2, v2
	;; [unrolled: 1-line block ×3, first 2 shown]
	v_lshrrev_b32_e32 v175, 24, v165
	v_lshrrev_b32_e32 v176, 16, v165
	;; [unrolled: 1-line block ×4, first 2 shown]
	v_and_b32_e32 v39, 0x4040404, v39
	v_sub_nc_u16 v174, v174, v175
	v_lshrrev_b32_e32 v175, 16, v152
	s_waitcnt lgkmcnt(2)
	v_ashrrev_i32_e32 v168, s6, v6
	v_add_nc_u32_e32 v6, 0x4200, v170
	v_ashrrev_i32_e32 v169, s6, v7
	v_add_nc_u32_e32 v7, 0x4218, v170
	v_sub_nc_u16 v175, v175, v176
	v_lshrrev_b16 v176, 8, v152
	v_sub_nc_u16 v152, v152, v165
	v_lshrrev_b16 v165, 8, v165
	v_lshlrev_b32_e32 v168, 2, v168
	ds_load_2addr_b32 v[29:30], v6 offset1:1
	ds_load_2addr_b32 v[6:7], v7 offset1:1
	;; [unrolled: 1-line block ×3, first 2 shown]
	v_lshlrev_b32_e32 v169, 2, v169
	v_lshlrev_b16 v174, 8, v174
	v_sub_nc_u16 v165, v176, v165
	v_bfe_u32 v176, v153, 24, 2
	v_and_b32_e32 v153, 0x3030303, v153
	v_and_b32_e32 v168, 0x4040404, v168
	;; [unrolled: 1-line block ×3, first 2 shown]
	v_lshlrev_b16 v165, 8, v165
	v_sub_nc_u16 v176, v176, v177
	v_lshrrev_b32_e32 v177, 16, v153
	v_lshrrev_b32_e32 v179, 24, v168
	;; [unrolled: 1-line block ×5, first 2 shown]
	v_sub_nc_u16 v177, v177, v178
	v_lshrrev_b16 v178, 8, v153
	v_sub_nc_u16 v153, v153, v166
	v_lshrrev_b16 v166, 8, v166
	s_waitcnt lgkmcnt(2)
	v_ashrrev_i32_e32 v171, s6, v29
	v_add_nc_u32_e32 v29, 0x4200, v173
	v_ashrrev_i32_e32 v172, s6, v30
	v_add_nc_u32_e32 v30, 0x4208, v173
	v_sub_nc_u16 v166, v178, v166
	v_bfe_u32 v178, v154, 24, 2
	v_and_b32_e32 v154, 0x3030303, v154
	v_lshlrev_b32_e32 v171, 2, v171
	ds_load_2addr_b32 v[145:146], v29 offset1:1
	ds_load_2addr_b32 v[45:46], v30 offset1:1
	ds_load_2addr_b32 v[29:30], v161 offset0:6 offset1:7
	v_lshlrev_b32_e32 v172, 2, v172
	v_sub_nc_u16 v178, v178, v179
	v_lshrrev_b32_e32 v179, 16, v154
	v_and_b32_e32 v171, 0x4040404, v171
	v_lshlrev_b16 v176, 8, v176
	v_and_b32_e32 v172, 0x4040404, v172
	v_lshlrev_b16 v166, 8, v166
	v_sub_nc_u16 v179, v179, v180
	v_lshrrev_b16 v180, 8, v154
	v_sub_nc_u16 v154, v154, v168
	v_lshrrev_b16 v168, 8, v168
	v_lshrrev_b32_e32 v183, 24, v171
	v_lshrrev_b32_e32 v184, 16, v171
	;; [unrolled: 1-line block ×4, first 2 shown]
	v_sub_nc_u16 v168, v180, v168
	v_bfe_u32 v180, v155, 24, 2
	v_and_b32_e32 v155, 0x3030303, v155
	s_waitcnt lgkmcnt(2)
	v_ashrrev_i32_e32 v145, s6, v145
	v_ashrrev_i32_e32 v146, s6, v146
	v_lshlrev_b16 v178, 8, v178
	v_sub_nc_u16 v180, v180, v181
	v_lshrrev_b32_e32 v181, 16, v155
	v_lshlrev_b32_e32 v145, 2, v145
	v_lshlrev_b32_e32 v146, 2, v146
	v_lshlrev_b16 v168, 8, v168
	v_lshlrev_b16 v180, 8, v180
	v_sub_nc_u16 v181, v181, v182
	v_lshrrev_b16 v182, 8, v155
	v_sub_nc_u16 v155, v155, v169
	v_lshrrev_b16 v169, 8, v169
	v_and_b32_e32 v145, 0x4040404, v145
	v_and_b32_e32 v146, 0x4040404, v146
	v_ashrrev_i32_e32 v41, s6, v41
	v_ashrrev_i32_e32 v43, s6, v43
	v_sub_nc_u16 v169, v182, v169
	v_bfe_u32 v182, v159, 24, 2
	v_and_b32_e32 v159, 0x3030303, v159
	v_lshrrev_b32_e32 v187, 24, v145
	v_lshrrev_b32_e32 v188, 16, v145
	;; [unrolled: 1-line block ×3, first 2 shown]
	v_sub_nc_u16 v182, v182, v183
	v_lshrrev_b32_e32 v183, 16, v159
	v_lshrrev_b32_e32 v190, 16, v146
	v_lshlrev_b16 v169, 8, v169
	v_lshlrev_b32_e32 v41, 2, v41
	v_lshlrev_b16 v182, 8, v182
	v_sub_nc_u16 v183, v183, v184
	v_lshrrev_b16 v184, 8, v159
	v_sub_nc_u16 v159, v159, v171
	v_lshrrev_b16 v171, 8, v171
	v_and_b32_e32 v41, 0x4040404, v41
	v_lshlrev_b32_e32 v43, 2, v43
	s_waitcnt lgkmcnt(1)
	v_ashrrev_i32_e32 v45, s6, v45
	v_and_b32_e32 v2, 0x4040404, v2
	v_sub_nc_u16 v171, v184, v171
	v_bfe_u32 v184, v160, 24, 2
	v_and_b32_e32 v160, 0x3030303, v160
	v_and_b32_e32 v43, 0x4040404, v43
	v_lshlrev_b32_e32 v45, 2, v45
	v_lshlrev_b16 v171, 8, v171
	v_sub_nc_u16 v184, v184, v185
	v_lshrrev_b32_e32 v185, 16, v160
	v_ashrrev_i32_e32 v4, s21, v4
	v_and_b32_e32 v45, 0x4040404, v45
	v_ashrrev_i32_e32 v6, s6, v6
	v_lshlrev_b16 v184, 8, v184
	v_sub_nc_u16 v185, v185, v186
	v_lshrrev_b16 v186, 8, v160
	v_sub_nc_u16 v160, v160, v172
	v_lshrrev_b16 v172, 8, v172
	v_lshlrev_b32_e32 v6, 2, v6
	s_waitcnt lgkmcnt(0)
	v_ashrrev_i32_e32 v29, s21, v29
	v_and_b32_e32 v3, 0x4040404, v3
	v_ashrrev_i32_e32 v5, s21, v5
	v_sub_nc_u16 v172, v186, v172
	v_bfe_u32 v186, v162, 24, 2
	v_and_b32_e32 v162, 0x3030303, v162
	v_and_b32_e32 v6, 0x4040404, v6
	v_ashrrev_i32_e32 v7, s6, v7
	v_lshlrev_b16 v172, 8, v172
	v_sub_nc_u16 v186, v186, v187
	v_lshrrev_b32_e32 v187, 16, v162
	v_ashrrev_i32_e32 v30, s21, v30
	v_lshlrev_b32_e32 v7, 2, v7
	s_delay_alu instid0(VALU_DEP_4) | instskip(NEXT) | instid1(VALU_DEP_4)
	v_lshlrev_b16 v186, 8, v186
	v_sub_nc_u16 v187, v187, v188
	v_lshrrev_b16 v188, 8, v162
	v_sub_nc_u16 v162, v162, v145
	v_lshrrev_b16 v145, 8, v145
	v_and_b32_e32 v7, 0x4040404, v7
	s_delay_alu instid0(VALU_DEP_2) | instskip(SKIP_2) | instid1(VALU_DEP_3)
	v_sub_nc_u16 v145, v188, v145
	v_bfe_u32 v188, v163, 24, 2
	v_and_b32_e32 v163, 0x3030303, v163
	v_lshlrev_b16 v145, 8, v145
	s_delay_alu instid0(VALU_DEP_3) | instskip(NEXT) | instid1(VALU_DEP_3)
	v_sub_nc_u16 v188, v188, v189
	v_lshrrev_b32_e32 v189, 16, v163
	s_delay_alu instid0(VALU_DEP_2) | instskip(NEXT) | instid1(VALU_DEP_2)
	v_lshlrev_b16 v188, 8, v188
	v_sub_nc_u16 v189, v189, v190
	v_lshrrev_b16 v190, 8, v163
	v_sub_nc_u16 v163, v163, v146
	v_lshrrev_b16 v146, 8, v146
	s_delay_alu instid0(VALU_DEP_1) | instskip(SKIP_1) | instid1(VALU_DEP_2)
	v_sub_nc_u16 v146, v190, v146
	v_and_b32_e32 v190, 0xff, v175
	v_lshlrev_b16 v146, 8, v146
	s_delay_alu instid0(VALU_DEP_2) | instskip(SKIP_1) | instid1(VALU_DEP_2)
	v_or_b32_e32 v174, v190, v174
	v_and_b32_e32 v190, 0xff, v152
	v_perm_b32 v152, v152, v174, 0x4010c0c
	s_delay_alu instid0(VALU_DEP_2) | instskip(SKIP_1) | instid1(VALU_DEP_2)
	v_or_b32_e32 v165, v190, v165
	v_and_b32_e32 v190, 0xff, v177
	v_perm_b32 v165, v175, v165, 0xc0c0401
	s_delay_alu instid0(VALU_DEP_2) | instskip(SKIP_1) | instid1(VALU_DEP_3)
	v_or_b32_e32 v176, v190, v176
	v_and_b32_e32 v190, 0xff, v153
	v_or_b32_e32 v152, v152, v165
	s_delay_alu instid0(VALU_DEP_3) | instskip(NEXT) | instid1(VALU_DEP_3)
	v_perm_b32 v153, v153, v176, 0x4010c0c
	v_or_b32_e32 v166, v190, v166
	v_and_b32_e32 v190, 0xff, v179
	s_delay_alu instid0(VALU_DEP_4) | instskip(NEXT) | instid1(VALU_DEP_3)
	v_dot4_i32_iu8 v152, v152, v150, 0 neg_lo:[1,1,0]
	v_perm_b32 v166, v177, v166, 0xc0c0401
	s_delay_alu instid0(VALU_DEP_3) | instskip(SKIP_1) | instid1(VALU_DEP_3)
	v_or_b32_e32 v178, v190, v178
	v_and_b32_e32 v190, 0xff, v154
	v_or_b32_e32 v153, v153, v166
	s_delay_alu instid0(VALU_DEP_3) | instskip(NEXT) | instid1(VALU_DEP_3)
	v_perm_b32 v154, v154, v178, 0x4010c0c
	v_or_b32_e32 v168, v190, v168
	v_and_b32_e32 v190, 0xff, v181
	s_delay_alu instid0(VALU_DEP_2) | instskip(NEXT) | instid1(VALU_DEP_2)
	v_perm_b32 v168, v179, v168, 0xc0c0401
	v_or_b32_e32 v180, v190, v180
	v_and_b32_e32 v190, 0xff, v155
	s_delay_alu instid0(VALU_DEP_3) | instskip(NEXT) | instid1(VALU_DEP_3)
	v_or_b32_e32 v154, v154, v168
	v_perm_b32 v155, v155, v180, 0x4010c0c
	s_delay_alu instid0(VALU_DEP_3) | instskip(SKIP_1) | instid1(VALU_DEP_4)
	v_or_b32_e32 v169, v190, v169
	v_and_b32_e32 v190, 0xff, v183
	v_dot4_i32_iu8 v154, v154, v150, 0 neg_lo:[1,1,0]
	s_delay_alu instid0(VALU_DEP_3) | instskip(NEXT) | instid1(VALU_DEP_3)
	v_perm_b32 v169, v181, v169, 0xc0c0401
	v_or_b32_e32 v182, v190, v182
	v_and_b32_e32 v190, 0xff, v159
	s_delay_alu instid0(VALU_DEP_3) | instskip(NEXT) | instid1(VALU_DEP_3)
	v_or_b32_e32 v155, v155, v169
	v_perm_b32 v159, v159, v182, 0x4010c0c
	s_delay_alu instid0(VALU_DEP_3) | instskip(SKIP_1) | instid1(VALU_DEP_2)
	v_or_b32_e32 v171, v190, v171
	v_and_b32_e32 v190, 0xff, v185
	v_perm_b32 v171, v183, v171, 0xc0c0401
	s_delay_alu instid0(VALU_DEP_2) | instskip(SKIP_1) | instid1(VALU_DEP_3)
	v_or_b32_e32 v184, v190, v184
	v_and_b32_e32 v190, 0xff, v160
	v_or_b32_e32 v159, v159, v171
	s_delay_alu instid0(VALU_DEP_3) | instskip(NEXT) | instid1(VALU_DEP_3)
	v_perm_b32 v160, v160, v184, 0x4010c0c
	v_or_b32_e32 v172, v190, v172
	v_and_b32_e32 v190, 0xff, v187
	s_delay_alu instid0(VALU_DEP_4) | instskip(NEXT) | instid1(VALU_DEP_3)
	v_dot4_i32_iu8 v159, v159, v150, 0 neg_lo:[1,1,0]
	v_perm_b32 v172, v185, v172, 0xc0c0401
	s_delay_alu instid0(VALU_DEP_3) | instskip(SKIP_1) | instid1(VALU_DEP_3)
	v_or_b32_e32 v186, v190, v186
	v_and_b32_e32 v190, 0xff, v162
	v_or_b32_e32 v160, v160, v172
	s_delay_alu instid0(VALU_DEP_3) | instskip(NEXT) | instid1(VALU_DEP_3)
	v_perm_b32 v162, v162, v186, 0x4010c0c
	v_or_b32_e32 v145, v190, v145
	v_and_b32_e32 v190, 0xff, v189
	s_delay_alu instid0(VALU_DEP_4) | instskip(NEXT) | instid1(VALU_DEP_3)
	v_dot4_i32_iu8 v159, v160, v151, v159 neg_lo:[1,1,0]
	v_perm_b32 v145, v187, v145, 0xc0c0401
	s_delay_alu instid0(VALU_DEP_3) | instskip(SKIP_1) | instid1(VALU_DEP_3)
	v_or_b32_e32 v188, v190, v188
	v_and_b32_e32 v190, 0xff, v163
	v_or_b32_e32 v145, v162, v145
	s_delay_alu instid0(VALU_DEP_3) | instskip(NEXT) | instid1(VALU_DEP_3)
	v_perm_b32 v163, v163, v188, 0x4010c0c
	v_or_b32_e32 v146, v190, v146
	v_dot4_i32_iu8 v162, v153, v151, v152 neg_lo:[1,1,0]
	v_add_nc_u32_e32 v152, 0x4210, v173
	v_dot4_i32_iu8 v145, v145, v150, 0 neg_lo:[1,1,0]
	v_add_nc_u32_e32 v150, 0x4218, v167
	v_perm_b32 v146, v189, v146, 0xc0c0401
	s_delay_alu instid0(VALU_DEP_1) | instskip(SKIP_2) | instid1(VALU_DEP_3)
	v_or_b32_e32 v146, v163, v146
	v_dot4_i32_iu8 v163, v155, v151, v154 neg_lo:[1,1,0]
	v_add_nc_u32_e32 v154, 0x4218, v173
	v_dot4_i32_iu8 v160, v146, v151, v145 neg_lo:[1,1,0]
	ds_load_2addr_b32 v[145:146], v147 offset0:4 offset1:5
	v_add_nc_u32_e32 v147, 0x4210, v167
	s_waitcnt lgkmcnt(0)
	v_ashrrev_i32_e32 v165, s21, v145
	v_ashrrev_i32_e32 v166, s21, v146
	ds_load_2addr_b32 v[145:146], v148 offset0:4 offset1:5
	v_bfe_u32 v173, v165, 24, 2
	v_and_b32_e32 v165, 0x3030303, v165
	s_waitcnt lgkmcnt(0)
	v_ashrrev_i32_e32 v168, s21, v145
	v_ashrrev_i32_e32 v169, s21, v146
	ds_load_2addr_b32 v[145:146], v158 offset0:4 offset1:5
	s_waitcnt lgkmcnt(0)
	v_ashrrev_i32_e32 v158, s21, v145
	v_ashrrev_i32_e32 v171, s21, v146
	ds_load_2addr_b32 v[145:146], v161 offset0:4 offset1:5
	s_waitcnt lgkmcnt(0)
	v_ashrrev_i32_e32 v161, s21, v145
	v_add_nc_u32_e32 v145, 0x4210, v164
	v_ashrrev_i32_e32 v172, s21, v146
	ds_load_2addr_b32 v[145:146], v145 offset1:1
	s_waitcnt lgkmcnt(0)
	v_ashrrev_i32_e32 v164, s6, v145
	v_add_nc_u32_e32 v145, s25, v123
	v_ashrrev_i32_e32 v174, s6, v146
	s_delay_alu instid0(VALU_DEP_3)
	v_lshlrev_b32_e32 v164, 2, v164
	ds_load_u16 v146, v145 offset:26354
	v_add_nc_u32_e32 v145, s28, v98
	ds_load_b32 v145, v145
	ds_load_2addr_b32 v[147:148], v147 offset1:1
	ds_load_2addr_b32 v[150:151], v150 offset1:1
	v_and_b32_e32 v164, 0x4040404, v164
	v_lshlrev_b32_e32 v174, 2, v174
	s_delay_alu instid0(VALU_DEP_2) | instskip(SKIP_1) | instid1(VALU_DEP_3)
	v_lshrrev_b32_e32 v177, 24, v164
	v_lshrrev_b32_e32 v178, 16, v164
	v_and_b32_e32 v174, 0x4040404, v174
	s_delay_alu instid0(VALU_DEP_3) | instskip(SKIP_1) | instid1(VALU_DEP_3)
	v_sub_nc_u16 v173, v173, v177
	v_lshrrev_b32_e32 v177, 16, v165
	v_lshrrev_b32_e32 v179, 24, v174
	;; [unrolled: 1-line block ×3, first 2 shown]
	s_delay_alu instid0(VALU_DEP_4) | instskip(NEXT) | instid1(VALU_DEP_4)
	v_lshlrev_b16 v173, 8, v173
	v_sub_nc_u16 v177, v177, v178
	v_lshrrev_b16 v178, 8, v165
	v_sub_nc_u16 v165, v165, v164
	v_lshrrev_b16 v164, 8, v164
	s_waitcnt lgkmcnt(1)
	v_ashrrev_i32_e32 v167, s6, v147
	v_add_nc_u32_e32 v147, 0x4210, v170
	v_ashrrev_i32_e32 v175, s6, v148
	v_sub_nc_u16 v164, v178, v164
	v_bfe_u32 v178, v166, 24, 2
	v_and_b32_e32 v166, 0x3030303, v166
	v_lshlrev_b32_e32 v167, 2, v167
	ds_load_2addr_b32 v[147:148], v147 offset1:1
	v_lshlrev_b32_e32 v175, 2, v175
	v_sub_nc_u16 v178, v178, v179
	v_lshrrev_b32_e32 v179, 16, v166
	v_and_b32_e32 v167, 0x4040404, v167
	v_lshlrev_b16 v164, 8, v164
	v_and_b32_e32 v175, 0x4040404, v175
	v_lshlrev_b16 v178, 8, v178
	v_sub_nc_u16 v179, v179, v180
	v_lshrrev_b16 v180, 8, v166
	v_sub_nc_u16 v166, v166, v174
	v_lshrrev_b16 v174, 8, v174
	v_lshrrev_b32_e32 v181, 24, v167
	v_lshrrev_b32_e32 v182, 16, v167
	;; [unrolled: 1-line block ×4, first 2 shown]
	v_sub_nc_u16 v174, v180, v174
	v_bfe_u32 v180, v168, 24, 2
	v_and_b32_e32 v168, 0x3030303, v168
	s_waitcnt lgkmcnt(0)
	v_ashrrev_i32_e32 v170, s6, v147
	v_add_nc_u32_e32 v147, s25, v121
	v_sub_nc_u16 v180, v180, v181
	v_lshrrev_b32_e32 v181, 16, v168
	v_ashrrev_i32_e32 v176, s6, v148
	v_lshlrev_b32_e32 v170, 2, v170
	ds_load_u16 v148, v147 offset:28402
	v_add_nc_u32_e32 v147, s28, v106
	v_sub_nc_u16 v181, v181, v182
	v_lshrrev_b16 v182, 8, v168
	v_sub_nc_u16 v168, v168, v167
	v_lshrrev_b16 v167, 8, v167
	v_and_b32_e32 v170, 0x4040404, v170
	ds_load_b32 v147, v147
	ds_load_2addr_b32 v[152:153], v152 offset1:1
	ds_load_2addr_b32 v[154:155], v154 offset1:1
	v_lshlrev_b32_e32 v176, 2, v176
	v_lshlrev_b16 v174, 8, v174
	v_sub_nc_u16 v167, v182, v167
	v_bfe_u32 v182, v169, 24, 2
	v_and_b32_e32 v169, 0x3030303, v169
	v_lshrrev_b32_e32 v185, 24, v170
	v_lshrrev_b32_e32 v186, 16, v170
	v_and_b32_e32 v176, 0x4040404, v176
	v_sub_nc_u16 v182, v182, v183
	v_lshrrev_b32_e32 v183, 16, v169
	v_lshlrev_b16 v180, 8, v180
	v_lshlrev_b16 v167, 8, v167
	v_lshrrev_b32_e32 v187, 24, v176
	v_lshrrev_b32_e32 v188, 16, v176
	v_sub_nc_u16 v183, v183, v184
	v_lshrrev_b16 v184, 8, v169
	v_sub_nc_u16 v169, v169, v175
	v_lshrrev_b16 v175, 8, v175
	s_waitcnt lgkmcnt(1)
	v_ashrrev_i32_e32 v152, s6, v152
	v_ashrrev_i32_e32 v153, s6, v153
	v_lshlrev_b16 v182, 8, v182
	s_waitcnt lgkmcnt(0)
	v_ashrrev_i32_e32 v154, s6, v154
	v_sub_nc_u16 v175, v184, v175
	v_bfe_u32 v184, v158, 24, 2
	v_and_b32_e32 v158, 0x3030303, v158
	v_lshlrev_b32_e32 v152, 2, v152
	v_lshlrev_b32_e32 v153, 2, v153
	v_lshlrev_b16 v175, 8, v175
	v_sub_nc_u16 v184, v184, v185
	v_lshrrev_b32_e32 v185, 16, v158
	v_and_b32_e32 v152, 0x4040404, v152
	v_and_b32_e32 v153, 0x4040404, v153
	v_lshlrev_b32_e32 v154, 2, v154
	v_lshlrev_b16 v184, 8, v184
	v_sub_nc_u16 v185, v185, v186
	v_lshrrev_b16 v186, 8, v158
	v_sub_nc_u16 v158, v158, v170
	v_lshrrev_b16 v170, 8, v170
	v_lshrrev_b32_e32 v189, 24, v152
	v_lshrrev_b32_e32 v190, 16, v152
	;; [unrolled: 1-line block ×4, first 2 shown]
	v_sub_nc_u16 v170, v186, v170
	v_bfe_u32 v186, v171, 24, 2
	v_and_b32_e32 v171, 0x3030303, v171
	v_and_b32_e32 v154, 0x4040404, v154
	s_delay_alu instid0(VALU_DEP_4) | instskip(NEXT) | instid1(VALU_DEP_4)
	v_lshlrev_b16 v170, 8, v170
	v_sub_nc_u16 v186, v186, v187
	s_delay_alu instid0(VALU_DEP_4) | instskip(NEXT) | instid1(VALU_DEP_2)
	v_lshrrev_b32_e32 v187, 16, v171
	v_lshlrev_b16 v186, 8, v186
	s_delay_alu instid0(VALU_DEP_2) | instskip(SKIP_3) | instid1(VALU_DEP_1)
	v_sub_nc_u16 v187, v187, v188
	v_lshrrev_b16 v188, 8, v171
	v_sub_nc_u16 v171, v171, v176
	v_lshrrev_b16 v176, 8, v176
	v_sub_nc_u16 v176, v188, v176
	v_bfe_u32 v188, v161, 24, 2
	v_and_b32_e32 v161, 0x3030303, v161
	s_delay_alu instid0(VALU_DEP_3) | instskip(NEXT) | instid1(VALU_DEP_3)
	v_lshlrev_b16 v176, 8, v176
	v_sub_nc_u16 v188, v188, v189
	s_delay_alu instid0(VALU_DEP_3) | instskip(NEXT) | instid1(VALU_DEP_2)
	v_lshrrev_b32_e32 v189, 16, v161
	v_lshlrev_b16 v188, 8, v188
	s_delay_alu instid0(VALU_DEP_2) | instskip(SKIP_3) | instid1(VALU_DEP_1)
	v_sub_nc_u16 v189, v189, v190
	v_lshrrev_b16 v190, 8, v161
	v_sub_nc_u16 v161, v161, v152
	v_lshrrev_b16 v152, 8, v152
	v_sub_nc_u16 v152, v190, v152
	v_bfe_u32 v190, v172, 24, 2
	v_and_b32_e32 v172, 0x3030303, v172
	s_delay_alu instid0(VALU_DEP_3) | instskip(NEXT) | instid1(VALU_DEP_3)
	v_lshlrev_b16 v152, 8, v152
	v_sub_nc_u16 v190, v190, v191
	s_delay_alu instid0(VALU_DEP_3) | instskip(NEXT) | instid1(VALU_DEP_2)
	v_lshrrev_b32_e32 v191, 16, v172
	v_lshlrev_b16 v190, 8, v190
	s_delay_alu instid0(VALU_DEP_2) | instskip(SKIP_3) | instid1(VALU_DEP_1)
	v_sub_nc_u16 v191, v191, v192
	v_lshrrev_b16 v192, 8, v172
	v_sub_nc_u16 v172, v172, v153
	v_lshrrev_b16 v153, 8, v153
	v_sub_nc_u16 v153, v192, v153
	v_and_b32_e32 v192, 0xff, v177
	s_delay_alu instid0(VALU_DEP_2) | instskip(NEXT) | instid1(VALU_DEP_2)
	v_lshlrev_b16 v153, 8, v153
	v_or_b32_e32 v173, v192, v173
	v_and_b32_e32 v192, 0xff, v165
	s_delay_alu instid0(VALU_DEP_2) | instskip(NEXT) | instid1(VALU_DEP_2)
	v_perm_b32 v165, v165, v173, 0x4010c0c
	v_or_b32_e32 v164, v192, v164
	v_and_b32_e32 v192, 0xff, v179
	s_delay_alu instid0(VALU_DEP_2) | instskip(NEXT) | instid1(VALU_DEP_2)
	v_perm_b32 v164, v177, v164, 0xc0c0401
	v_or_b32_e32 v178, v192, v178
	v_and_b32_e32 v192, 0xff, v166
	s_delay_alu instid0(VALU_DEP_3) | instskip(NEXT) | instid1(VALU_DEP_3)
	v_or_b32_e32 v164, v165, v164
	v_perm_b32 v166, v166, v178, 0x4010c0c
	s_delay_alu instid0(VALU_DEP_3) | instskip(SKIP_1) | instid1(VALU_DEP_2)
	v_or_b32_e32 v174, v192, v174
	v_and_b32_e32 v192, 0xff, v181
	v_perm_b32 v173, v179, v174, 0xc0c0401
	s_delay_alu instid0(VALU_DEP_2) | instskip(SKIP_1) | instid1(VALU_DEP_3)
	v_or_b32_e32 v180, v192, v180
	v_and_b32_e32 v192, 0xff, v168
	v_or_b32_e32 v165, v166, v173
	s_delay_alu instid0(VALU_DEP_3) | instskip(NEXT) | instid1(VALU_DEP_3)
	v_perm_b32 v168, v168, v180, 0x4010c0c
	v_or_b32_e32 v167, v192, v167
	v_and_b32_e32 v192, 0xff, v183
	s_delay_alu instid0(VALU_DEP_2) | instskip(NEXT) | instid1(VALU_DEP_2)
	v_perm_b32 v167, v181, v167, 0xc0c0401
	v_or_b32_e32 v182, v192, v182
	v_and_b32_e32 v192, 0xff, v169
	s_delay_alu instid0(VALU_DEP_3) | instskip(NEXT) | instid1(VALU_DEP_3)
	v_or_b32_e32 v166, v168, v167
	v_perm_b32 v169, v169, v182, 0x4010c0c
	s_delay_alu instid0(VALU_DEP_3) | instskip(SKIP_1) | instid1(VALU_DEP_2)
	v_or_b32_e32 v175, v192, v175
	v_and_b32_e32 v192, 0xff, v185
	v_perm_b32 v174, v183, v175, 0xc0c0401
	s_delay_alu instid0(VALU_DEP_2) | instskip(SKIP_1) | instid1(VALU_DEP_3)
	v_or_b32_e32 v184, v192, v184
	v_and_b32_e32 v192, 0xff, v158
	v_or_b32_e32 v167, v169, v174
	s_delay_alu instid0(VALU_DEP_3) | instskip(NEXT) | instid1(VALU_DEP_3)
	v_perm_b32 v158, v158, v184, 0x4010c0c
	v_or_b32_e32 v170, v192, v170
	v_and_b32_e32 v192, 0xff, v187
	v_lshrrev_b32_e32 v169, 24, v45
	s_delay_alu instid0(VALU_DEP_3) | instskip(NEXT) | instid1(VALU_DEP_3)
	v_perm_b32 v170, v185, v170, 0xc0c0401
	v_or_b32_e32 v186, v192, v186
	v_and_b32_e32 v192, 0xff, v171
	s_delay_alu instid0(VALU_DEP_3) | instskip(NEXT) | instid1(VALU_DEP_3)
	v_or_b32_e32 v158, v158, v170
	v_perm_b32 v171, v171, v186, 0x4010c0c
	s_delay_alu instid0(VALU_DEP_3) | instskip(SKIP_3) | instid1(VALU_DEP_4)
	v_or_b32_e32 v176, v192, v176
	v_and_b32_e32 v192, 0xff, v189
	v_lshrrev_b32_e32 v170, 16, v45
	v_dot4_i32_iu8 v158, v158, v156, 0 neg_lo:[1,1,0]
	v_perm_b32 v175, v187, v176, 0xc0c0401
	s_delay_alu instid0(VALU_DEP_4) | instskip(SKIP_1) | instid1(VALU_DEP_3)
	v_or_b32_e32 v188, v192, v188
	v_and_b32_e32 v192, 0xff, v161
	v_or_b32_e32 v168, v171, v175
	s_delay_alu instid0(VALU_DEP_3) | instskip(NEXT) | instid1(VALU_DEP_3)
	v_perm_b32 v161, v161, v188, 0x4010c0c
	v_or_b32_e32 v152, v192, v152
	v_and_b32_e32 v192, 0xff, v191
	s_delay_alu instid0(VALU_DEP_4) | instskip(SKIP_1) | instid1(VALU_DEP_4)
	v_dot4_i32_iu8 v158, v168, v157, v158 neg_lo:[1,1,0]
	v_lshrrev_b32_e32 v168, 16, v43
	v_perm_b32 v152, v189, v152, 0xc0c0401
	s_delay_alu instid0(VALU_DEP_4) | instskip(SKIP_1) | instid1(VALU_DEP_3)
	v_or_b32_e32 v190, v192, v190
	v_and_b32_e32 v192, 0xff, v172
	v_or_b32_e32 v152, v161, v152
	s_delay_alu instid0(VALU_DEP_3) | instskip(NEXT) | instid1(VALU_DEP_3)
	v_perm_b32 v172, v172, v190, 0x4010c0c
	v_or_b32_e32 v153, v192, v153
	v_dot4_i32_iu8 v161, v164, v156, 0 neg_lo:[1,1,0]
	v_dot4_i32_iu8 v164, v166, v156, 0 neg_lo:[1,1,0]
	;; [unrolled: 1-line block ×3, first 2 shown]
	v_lshrrev_b32_e32 v166, 16, v41
	v_perm_b32 v153, v191, v153, 0xc0c0401
	v_dot4_i32_iu8 v156, v165, v157, v161 neg_lo:[1,1,0]
	v_dot4_i32_iu8 v161, v167, v157, v164 neg_lo:[1,1,0]
	v_lshrrev_b32_e32 v164, 16, v39
	v_lshrrev_b32_e32 v165, 24, v41
	v_or_b32_e32 v153, v172, v153
	v_lshrrev_b32_e32 v167, 24, v43
	s_delay_alu instid0(VALU_DEP_2) | instskip(SKIP_3) | instid1(VALU_DEP_2)
	v_dot4_i32_iu8 v152, v153, v157, v152 neg_lo:[1,1,0]
	v_bfe_u32 v153, v31, 24, 2
	v_lshrrev_b32_e32 v157, 24, v39
	v_and_b32_e32 v31, 0x3030303, v31
	v_sub_nc_u16 v153, v153, v157
	s_delay_alu instid0(VALU_DEP_2) | instskip(NEXT) | instid1(VALU_DEP_2)
	v_lshrrev_b32_e32 v157, 16, v31
	v_lshlrev_b16 v153, 8, v153
	s_delay_alu instid0(VALU_DEP_2) | instskip(SKIP_3) | instid1(VALU_DEP_1)
	v_sub_nc_u16 v157, v157, v164
	v_lshrrev_b16 v164, 8, v31
	v_sub_nc_u16 v31, v31, v39
	v_lshrrev_b16 v39, 8, v39
	v_sub_nc_u16 v39, v164, v39
	v_bfe_u32 v164, v33, 24, 2
	v_and_b32_e32 v33, 0x3030303, v33
	s_delay_alu instid0(VALU_DEP_3) | instskip(NEXT) | instid1(VALU_DEP_3)
	v_lshlrev_b16 v39, 8, v39
	v_sub_nc_u16 v164, v164, v165
	s_delay_alu instid0(VALU_DEP_3) | instskip(NEXT) | instid1(VALU_DEP_2)
	v_lshrrev_b32_e32 v165, 16, v33
	v_lshlrev_b16 v164, 8, v164
	s_delay_alu instid0(VALU_DEP_2) | instskip(SKIP_3) | instid1(VALU_DEP_1)
	v_sub_nc_u16 v165, v165, v166
	v_lshrrev_b16 v166, 8, v33
	v_sub_nc_u16 v33, v33, v41
	v_lshrrev_b16 v41, 8, v41
	v_sub_nc_u16 v41, v166, v41
	v_bfe_u32 v166, v35, 24, 2
	v_and_b32_e32 v35, 0x3030303, v35
	s_delay_alu instid0(VALU_DEP_3) | instskip(NEXT) | instid1(VALU_DEP_3)
	v_lshlrev_b16 v41, 8, v41
	v_sub_nc_u16 v166, v166, v167
	s_delay_alu instid0(VALU_DEP_3) | instskip(NEXT) | instid1(VALU_DEP_2)
	;; [unrolled: 14-line block ×3, first 2 shown]
	v_lshrrev_b32_e32 v169, 16, v37
	v_lshlrev_b16 v168, 8, v168
	s_delay_alu instid0(VALU_DEP_2) | instskip(SKIP_3) | instid1(VALU_DEP_1)
	v_sub_nc_u16 v169, v169, v170
	v_lshrrev_b16 v170, 8, v37
	v_sub_nc_u16 v37, v37, v45
	v_lshrrev_b16 v45, 8, v45
	v_sub_nc_u16 v45, v170, v45
	v_and_b32_e32 v170, 0xff, v157
	s_delay_alu instid0(VALU_DEP_2) | instskip(NEXT) | instid1(VALU_DEP_2)
	v_lshlrev_b16 v45, 8, v45
	v_or_b32_e32 v153, v170, v153
	v_and_b32_e32 v170, 0xff, v31
	s_delay_alu instid0(VALU_DEP_2) | instskip(NEXT) | instid1(VALU_DEP_2)
	v_perm_b32 v31, v31, v153, 0x4010c0c
	v_or_b32_e32 v39, v170, v39
	v_and_b32_e32 v170, 0xff, v165
	v_lshrrev_b32_e32 v153, 24, v6
	s_delay_alu instid0(VALU_DEP_3) | instskip(NEXT) | instid1(VALU_DEP_3)
	v_perm_b32 v39, v157, v39, 0xc0c0401
	v_or_b32_e32 v164, v170, v164
	v_and_b32_e32 v170, 0xff, v33
	v_lshrrev_b32_e32 v157, 16, v6
	s_delay_alu instid0(VALU_DEP_4) | instskip(NEXT) | instid1(VALU_DEP_4)
	v_or_b32_e32 v31, v31, v39
	v_perm_b32 v33, v33, v164, 0x4010c0c
	s_delay_alu instid0(VALU_DEP_4)
	v_or_b32_e32 v41, v170, v41
	v_and_b32_e32 v170, 0xff, v167
	v_bfe_u32 v39, v27, 24, 2
	v_and_b32_e32 v27, 0x3030303, v27
	v_dot4_i32_iu8 v31, v31, v149, v162 neg_lo:[1,1,0]
	v_perm_b32 v41, v165, v41, 0xc0c0401
	v_or_b32_e32 v166, v170, v166
	v_and_b32_e32 v170, 0xff, v35
	s_delay_alu instid0(VALU_DEP_3) | instskip(NEXT) | instid1(VALU_DEP_3)
	v_or_b32_e32 v33, v33, v41
	v_perm_b32 v35, v35, v166, 0x4010c0c
	s_delay_alu instid0(VALU_DEP_3) | instskip(SKIP_3) | instid1(VALU_DEP_4)
	v_or_b32_e32 v43, v170, v43
	v_lshrrev_b32_e32 v41, 24, v2
	v_and_b32_e32 v170, 0xff, v169
	v_dot4_i32_iu8 v33, v33, v149, v163 neg_lo:[1,1,0]
	v_perm_b32 v43, v167, v43, 0xc0c0401
	s_delay_alu instid0(VALU_DEP_4)
	v_sub_nc_u16 v39, v39, v41
	v_lshrrev_b32_e32 v41, 16, v27
	v_or_b32_e32 v168, v170, v168
	v_and_b32_e32 v170, 0xff, v37
	v_or_b32_e32 v35, v35, v43
	v_lshrrev_b32_e32 v43, 16, v2
	v_lshlrev_b16 v39, 8, v39
	v_perm_b32 v37, v37, v168, 0x4010c0c
	v_or_b32_e32 v45, v170, v45
	v_dot4_i32_iu8 v35, v35, v149, v159 neg_lo:[1,1,0]
	v_sub_nc_u16 v41, v41, v43
	v_lshrrev_b16 v43, 8, v27
	v_sub_nc_u16 v27, v27, v2
	v_lshrrev_b16 v2, 8, v2
	v_perm_b32 v45, v169, v45, 0xc0c0401
	v_lshrrev_b32_e32 v159, 24, v154
	s_delay_alu instid0(VALU_DEP_3) | instskip(SKIP_1) | instid1(VALU_DEP_4)
	v_sub_nc_u16 v2, v43, v2
	v_ashrrev_i32_e32 v43, s6, v150
	v_or_b32_e32 v37, v37, v45
	v_bfe_u32 v45, v4, 24, 2
	v_and_b32_e32 v4, 0x3030303, v4
	v_lshlrev_b16 v2, 8, v2
	v_lshlrev_b32_e32 v43, 2, v43
	v_dot4_i32_iu8 v37, v37, v149, v160 neg_lo:[1,1,0]
	v_lshrrev_b32_e32 v160, 16, v154
	s_delay_alu instid0(VALU_DEP_3) | instskip(NEXT) | instid1(VALU_DEP_1)
	v_and_b32_e32 v43, 0x4040404, v43
	v_lshrrev_b32_e32 v149, 24, v43
	v_lshrrev_b32_e32 v150, 16, v43
	s_delay_alu instid0(VALU_DEP_2) | instskip(SKIP_1) | instid1(VALU_DEP_2)
	v_sub_nc_u16 v45, v45, v149
	v_lshrrev_b32_e32 v149, 16, v4
	v_lshlrev_b16 v45, 8, v45
	s_delay_alu instid0(VALU_DEP_2) | instskip(SKIP_3) | instid1(VALU_DEP_1)
	v_sub_nc_u16 v149, v149, v150
	v_lshrrev_b16 v150, 8, v4
	v_sub_nc_u16 v4, v4, v43
	v_lshrrev_b16 v43, 8, v43
	v_sub_nc_u16 v43, v150, v43
	v_bfe_u32 v150, v0, 24, 2
	v_and_b32_e32 v0, 0x3030303, v0
	s_delay_alu instid0(VALU_DEP_3) | instskip(NEXT) | instid1(VALU_DEP_3)
	v_lshlrev_b16 v43, 8, v43
	v_sub_nc_u16 v150, v150, v153
	s_delay_alu instid0(VALU_DEP_3) | instskip(NEXT) | instid1(VALU_DEP_2)
	v_lshrrev_b32_e32 v153, 16, v0
	v_lshlrev_b16 v150, 8, v150
	s_delay_alu instid0(VALU_DEP_2) | instskip(SKIP_3) | instid1(VALU_DEP_1)
	v_sub_nc_u16 v153, v153, v157
	v_lshrrev_b16 v157, 8, v0
	v_sub_nc_u16 v0, v0, v6
	v_lshrrev_b16 v6, 8, v6
	v_sub_nc_u16 v6, v157, v6
	v_bfe_u32 v157, v29, 24, 2
	v_and_b32_e32 v29, 0x3030303, v29
	s_delay_alu instid0(VALU_DEP_3) | instskip(NEXT) | instid1(VALU_DEP_3)
	v_lshlrev_b16 v6, 8, v6
	v_sub_nc_u16 v157, v157, v159
	s_delay_alu instid0(VALU_DEP_3) | instskip(NEXT) | instid1(VALU_DEP_2)
	v_lshrrev_b32_e32 v159, 16, v29
	v_lshlrev_b16 v157, 8, v157
	s_delay_alu instid0(VALU_DEP_2) | instskip(SKIP_3) | instid1(VALU_DEP_1)
	v_sub_nc_u16 v159, v159, v160
	v_lshrrev_b16 v160, 8, v29
	v_sub_nc_u16 v29, v29, v154
	v_lshrrev_b16 v154, 8, v154
	v_sub_nc_u16 v154, v160, v154
	v_and_b32_e32 v160, 0xff, v41
	s_delay_alu instid0(VALU_DEP_2) | instskip(NEXT) | instid1(VALU_DEP_2)
	v_lshlrev_b16 v154, 8, v154
	v_or_b32_e32 v39, v160, v39
	v_and_b32_e32 v160, 0xff, v27
	s_delay_alu instid0(VALU_DEP_2) | instskip(NEXT) | instid1(VALU_DEP_2)
	v_perm_b32 v27, v27, v39, 0x4010c0c
	v_or_b32_e32 v2, v160, v2
	v_and_b32_e32 v160, 0xff, v149
	s_delay_alu instid0(VALU_DEP_2) | instskip(NEXT) | instid1(VALU_DEP_2)
	v_perm_b32 v2, v41, v2, 0xc0c0401
	v_or_b32_e32 v45, v160, v45
	v_and_b32_e32 v160, 0xff, v4
	s_delay_alu instid0(VALU_DEP_3) | instskip(SKIP_1) | instid1(VALU_DEP_3)
	v_or_b32_e32 v2, v27, v2
	v_ashrrev_i32_e32 v27, s21, v32
	v_or_b32_e32 v43, v160, v43
	v_and_b32_e32 v160, 0xff, v153
	v_ashrrev_i32_e32 v32, s21, v36
	v_ashrrev_i32_e32 v36, s6, v40
	v_perm_b32 v4, v4, v45, 0x4010c0c
	v_perm_b32 v39, v149, v43, 0xc0c0401
	v_or_b32_e32 v150, v160, v150
	v_and_b32_e32 v160, 0xff, v0
	v_lshlrev_b32_e32 v36, 2, v36
	v_ashrrev_i32_e32 v40, s6, v46
	v_or_b32_e32 v4, v4, v39
	v_perm_b32 v0, v0, v150, 0x4010c0c
	v_or_b32_e32 v6, v160, v6
	v_and_b32_e32 v160, 0xff, v159
	v_and_b32_e32 v36, 0x4040404, v36
	v_ashrrev_i32_e32 v39, s6, v44
	v_dot4_i32_iu8 v2, v2, v144, v156 neg_lo:[1,1,0]
	v_perm_b32 v6, v153, v6, 0xc0c0401
	v_or_b32_e32 v157, v160, v157
	v_and_b32_e32 v160, 0xff, v29
	v_lshrrev_b32_e32 v43, 16, v36
	v_lshlrev_b32_e32 v39, 2, v39
	v_or_b32_e32 v0, v0, v6
	v_perm_b32 v29, v29, v157, 0x4010c0c
	v_or_b32_e32 v154, v160, v154
	v_dot4_i32_iu8 v4, v4, v144, v161 neg_lo:[1,1,0]
	v_and_b32_e32 v39, 0x4040404, v39
	v_dot4_i32_iu8 v0, v0, v144, v158 neg_lo:[1,1,0]
	v_lshlrev_b32_e32 v40, 2, v40
	v_perm_b32 v41, v159, v154, 0xc0c0401
	s_delay_alu instid0(VALU_DEP_4) | instskip(NEXT) | instid1(VALU_DEP_3)
	v_lshrrev_b32_e32 v46, 24, v39
	v_and_b32_e32 v40, 0x4040404, v40
	s_delay_alu instid0(VALU_DEP_3)
	v_or_b32_e32 v6, v29, v41
	v_ashrrev_i32_e32 v29, s21, v34
	v_ashrrev_i32_e32 v34, s21, v38
	;; [unrolled: 1-line block ×3, first 2 shown]
	v_bfe_u32 v41, v27, 24, 2
	v_lshrrev_b32_e32 v42, 24, v36
	v_and_b32_e32 v27, 0x3030303, v27
	v_dot4_i32_iu8 v6, v6, v144, v152 neg_lo:[1,1,0]
	v_lshlrev_b32_e32 v38, 2, v38
	v_lshrrev_b32_e32 v144, 16, v39
	v_sub_nc_u16 v41, v41, v42
	v_lshrrev_b32_e32 v42, 16, v27
	v_lshrrev_b32_e32 v149, 24, v40
	v_and_b32_e32 v38, 0x4040404, v38
	v_lshrrev_b32_e32 v150, 16, v40
	v_lshlrev_b16 v41, 8, v41
	v_sub_nc_u16 v42, v42, v43
	v_lshrrev_b16 v43, 8, v27
	v_sub_nc_u16 v27, v27, v36
	v_lshrrev_b16 v36, 8, v36
	v_lshrrev_b32_e32 v44, 24, v38
	v_lshrrev_b32_e32 v45, 16, v38
	s_delay_alu instid0(VALU_DEP_3) | instskip(SKIP_2) | instid1(VALU_DEP_3)
	v_sub_nc_u16 v36, v43, v36
	v_bfe_u32 v43, v29, 24, 2
	v_and_b32_e32 v29, 0x3030303, v29
	v_lshlrev_b16 v36, 8, v36
	s_delay_alu instid0(VALU_DEP_3) | instskip(NEXT) | instid1(VALU_DEP_3)
	v_sub_nc_u16 v43, v43, v44
	v_lshrrev_b32_e32 v44, 16, v29
	s_delay_alu instid0(VALU_DEP_2) | instskip(NEXT) | instid1(VALU_DEP_2)
	v_lshlrev_b16 v43, 8, v43
	v_sub_nc_u16 v44, v44, v45
	v_lshrrev_b16 v45, 8, v29
	v_sub_nc_u16 v29, v29, v38
	v_lshrrev_b16 v38, 8, v38
	s_delay_alu instid0(VALU_DEP_1) | instskip(SKIP_2) | instid1(VALU_DEP_3)
	v_sub_nc_u16 v38, v45, v38
	v_bfe_u32 v45, v32, 24, 2
	v_and_b32_e32 v32, 0x3030303, v32
	v_lshlrev_b16 v38, 8, v38
	s_delay_alu instid0(VALU_DEP_3) | instskip(NEXT) | instid1(VALU_DEP_3)
	v_sub_nc_u16 v45, v45, v46
	v_lshrrev_b32_e32 v46, 16, v32
	s_delay_alu instid0(VALU_DEP_2) | instskip(NEXT) | instid1(VALU_DEP_2)
	v_lshlrev_b16 v45, 8, v45
	v_sub_nc_u16 v46, v46, v144
	v_lshrrev_b16 v144, 8, v32
	v_sub_nc_u16 v32, v32, v39
	v_lshrrev_b16 v39, 8, v39
	s_delay_alu instid0(VALU_DEP_1) | instskip(SKIP_2) | instid1(VALU_DEP_3)
	v_sub_nc_u16 v39, v144, v39
	v_bfe_u32 v144, v34, 24, 2
	v_and_b32_e32 v34, 0x3030303, v34
	v_lshlrev_b16 v39, 8, v39
	s_delay_alu instid0(VALU_DEP_3) | instskip(NEXT) | instid1(VALU_DEP_3)
	v_sub_nc_u16 v144, v144, v149
	v_lshrrev_b32_e32 v149, 16, v34
	s_delay_alu instid0(VALU_DEP_2) | instskip(NEXT) | instid1(VALU_DEP_2)
	v_lshlrev_b16 v144, 8, v144
	v_sub_nc_u16 v149, v149, v150
	v_lshrrev_b16 v150, 8, v34
	v_sub_nc_u16 v34, v34, v40
	v_lshrrev_b16 v40, 8, v40
	s_delay_alu instid0(VALU_DEP_1) | instskip(SKIP_1) | instid1(VALU_DEP_2)
	v_sub_nc_u16 v40, v150, v40
	v_and_b32_e32 v150, 0xff, v42
	v_lshlrev_b16 v40, 8, v40
	s_delay_alu instid0(VALU_DEP_2) | instskip(SKIP_1) | instid1(VALU_DEP_2)
	v_or_b32_e32 v41, v150, v41
	v_and_b32_e32 v150, 0xff, v27
	v_perm_b32 v27, v27, v41, 0x4010c0c
	s_delay_alu instid0(VALU_DEP_2) | instskip(SKIP_2) | instid1(VALU_DEP_3)
	v_or_b32_e32 v36, v150, v36
	v_and_b32_e32 v150, 0xff, v44
	v_lshrrev_b32_e32 v41, 16, v7
	v_perm_b32 v36, v42, v36, 0xc0c0401
	s_delay_alu instid0(VALU_DEP_3) | instskip(SKIP_1) | instid1(VALU_DEP_3)
	v_or_b32_e32 v43, v150, v43
	v_and_b32_e32 v150, 0xff, v29
	v_or_b32_e32 v27, v27, v36
	s_delay_alu instid0(VALU_DEP_3) | instskip(NEXT) | instid1(VALU_DEP_3)
	v_perm_b32 v29, v29, v43, 0x4010c0c
	v_or_b32_e32 v38, v150, v38
	v_and_b32_e32 v150, 0xff, v46
	v_lshrrev_b32_e32 v36, 24, v3
	v_dot4_i32_iu8 v27, v27, v143, v31 neg_lo:[1,1,0]
	s_delay_alu instid0(VALU_DEP_4) | instskip(NEXT) | instid1(VALU_DEP_4)
	v_perm_b32 v38, v44, v38, 0xc0c0401
	v_or_b32_e32 v45, v150, v45
	v_and_b32_e32 v150, 0xff, v32
	s_delay_alu instid0(VALU_DEP_3) | instskip(NEXT) | instid1(VALU_DEP_3)
	v_or_b32_e32 v29, v29, v38
	v_perm_b32 v32, v32, v45, 0x4010c0c
	s_delay_alu instid0(VALU_DEP_3) | instskip(SKIP_1) | instid1(VALU_DEP_4)
	v_or_b32_e32 v39, v150, v39
	v_and_b32_e32 v150, 0xff, v149
	v_dot4_i32_iu8 v29, v29, v143, v33 neg_lo:[1,1,0]
	v_ashrrev_i32_e32 v33, s6, v151
	s_delay_alu instid0(VALU_DEP_4) | instskip(NEXT) | instid1(VALU_DEP_4)
	v_perm_b32 v39, v46, v39, 0xc0c0401
	v_or_b32_e32 v144, v150, v144
	v_and_b32_e32 v150, 0xff, v34
	s_delay_alu instid0(VALU_DEP_4) | instskip(NEXT) | instid1(VALU_DEP_4)
	v_lshlrev_b32_e32 v33, 2, v33
	v_or_b32_e32 v32, v32, v39
	s_delay_alu instid0(VALU_DEP_4) | instskip(NEXT) | instid1(VALU_DEP_4)
	v_perm_b32 v34, v34, v144, 0x4010c0c
	v_or_b32_e32 v40, v150, v40
	s_delay_alu instid0(VALU_DEP_4) | instskip(NEXT) | instid1(VALU_DEP_4)
	v_and_b32_e32 v33, 0x4040404, v33
	v_dot4_i32_iu8 v31, v32, v143, v35 neg_lo:[1,1,0]
	v_bfe_u32 v35, v28, 24, 2
	s_delay_alu instid0(VALU_DEP_4)
	v_perm_b32 v40, v149, v40, 0xc0c0401
	v_and_b32_e32 v28, 0x3030303, v28
	v_lshrrev_b32_e32 v38, 24, v33
	v_lshrrev_b32_e32 v39, 16, v33
	v_sub_nc_u16 v35, v35, v36
	v_or_b32_e32 v34, v34, v40
	v_lshrrev_b32_e32 v36, 16, v28
	v_lshrrev_b32_e32 v40, 24, v7
	s_delay_alu instid0(VALU_DEP_4) | instskip(NEXT) | instid1(VALU_DEP_4)
	v_lshlrev_b16 v35, 8, v35
	v_dot4_i32_iu8 v32, v34, v143, v37 neg_lo:[1,1,0]
	v_lshrrev_b32_e32 v37, 16, v3
	v_ashrrev_i32_e32 v34, s6, v155
	s_add_i32 s6, s6, 1
	s_cmp_lt_u32 s20, 30
	s_delay_alu instid0(VALU_DEP_2) | instskip(SKIP_4) | instid1(VALU_DEP_2)
	v_sub_nc_u16 v36, v36, v37
	v_lshrrev_b16 v37, 8, v28
	v_sub_nc_u16 v28, v28, v3
	v_lshrrev_b16 v3, 8, v3
	v_lshlrev_b32_e32 v34, 2, v34
	v_sub_nc_u16 v3, v37, v3
	v_bfe_u32 v37, v5, 24, 2
	v_and_b32_e32 v5, 0x3030303, v5
	s_delay_alu instid0(VALU_DEP_4) | instskip(NEXT) | instid1(VALU_DEP_4)
	v_and_b32_e32 v34, 0x4040404, v34
	v_lshlrev_b16 v3, 8, v3
	s_delay_alu instid0(VALU_DEP_4) | instskip(NEXT) | instid1(VALU_DEP_4)
	v_sub_nc_u16 v37, v37, v38
	v_lshrrev_b32_e32 v38, 16, v5
	s_delay_alu instid0(VALU_DEP_4) | instskip(SKIP_1) | instid1(VALU_DEP_4)
	v_lshrrev_b32_e32 v42, 24, v34
	v_lshrrev_b32_e32 v43, 16, v34
	v_lshlrev_b16 v37, 8, v37
	s_delay_alu instid0(VALU_DEP_4) | instskip(SKIP_3) | instid1(VALU_DEP_1)
	v_sub_nc_u16 v38, v38, v39
	v_lshrrev_b16 v39, 8, v5
	v_sub_nc_u16 v5, v5, v33
	v_lshrrev_b16 v33, 8, v33
	v_sub_nc_u16 v33, v39, v33
	v_bfe_u32 v39, v1, 24, 2
	v_and_b32_e32 v1, 0x3030303, v1
	s_delay_alu instid0(VALU_DEP_3) | instskip(NEXT) | instid1(VALU_DEP_3)
	v_lshlrev_b16 v33, 8, v33
	v_sub_nc_u16 v39, v39, v40
	s_delay_alu instid0(VALU_DEP_3) | instskip(NEXT) | instid1(VALU_DEP_2)
	v_lshrrev_b32_e32 v40, 16, v1
	v_lshlrev_b16 v39, 8, v39
	s_delay_alu instid0(VALU_DEP_2) | instskip(SKIP_3) | instid1(VALU_DEP_1)
	v_sub_nc_u16 v40, v40, v41
	v_lshrrev_b16 v41, 8, v1
	v_sub_nc_u16 v1, v1, v7
	v_lshrrev_b16 v7, 8, v7
	v_sub_nc_u16 v7, v41, v7
	v_bfe_u32 v41, v30, 24, 2
	v_and_b32_e32 v30, 0x3030303, v30
	s_delay_alu instid0(VALU_DEP_3) | instskip(NEXT) | instid1(VALU_DEP_3)
	v_lshlrev_b16 v7, 8, v7
	v_sub_nc_u16 v41, v41, v42
	s_delay_alu instid0(VALU_DEP_3) | instskip(NEXT) | instid1(VALU_DEP_2)
	v_lshrrev_b32_e32 v42, 16, v30
	v_lshlrev_b16 v41, 8, v41
	s_delay_alu instid0(VALU_DEP_2) | instskip(SKIP_3) | instid1(VALU_DEP_1)
	v_sub_nc_u16 v42, v42, v43
	v_lshrrev_b16 v43, 8, v30
	v_sub_nc_u16 v30, v30, v34
	v_lshrrev_b16 v34, 8, v34
	v_sub_nc_u16 v34, v43, v34
	v_and_b32_e32 v43, 0xff, v36
	s_delay_alu instid0(VALU_DEP_2) | instskip(NEXT) | instid1(VALU_DEP_2)
	v_lshlrev_b16 v34, 8, v34
	v_or_b32_e32 v35, v43, v35
	v_and_b32_e32 v43, 0xff, v28
	s_delay_alu instid0(VALU_DEP_2) | instskip(NEXT) | instid1(VALU_DEP_2)
	v_perm_b32 v28, v28, v35, 0x4010c0c
	v_or_b32_e32 v3, v43, v3
	v_and_b32_e32 v43, 0xff, v38
	s_delay_alu instid0(VALU_DEP_2) | instskip(NEXT) | instid1(VALU_DEP_2)
	v_perm_b32 v3, v36, v3, 0xc0c0401
	v_or_b32_e32 v37, v43, v37
	v_and_b32_e32 v43, 0xff, v5
	s_delay_alu instid0(VALU_DEP_3) | instskip(NEXT) | instid1(VALU_DEP_3)
	v_or_b32_e32 v3, v28, v3
	v_perm_b32 v5, v5, v37, 0x4010c0c
	s_delay_alu instid0(VALU_DEP_3) | instskip(SKIP_1) | instid1(VALU_DEP_2)
	v_or_b32_e32 v33, v43, v33
	v_and_b32_e32 v43, 0xff, v40
	v_perm_b32 v33, v38, v33, 0xc0c0401
	s_delay_alu instid0(VALU_DEP_2) | instskip(SKIP_1) | instid1(VALU_DEP_3)
	v_or_b32_e32 v39, v43, v39
	v_and_b32_e32 v43, 0xff, v1
	v_or_b32_e32 v5, v5, v33
	s_delay_alu instid0(VALU_DEP_3) | instskip(NEXT) | instid1(VALU_DEP_3)
	v_perm_b32 v1, v1, v39, 0x4010c0c
	v_or_b32_e32 v7, v43, v7
	v_and_b32_e32 v43, 0xff, v42
	v_dot4_i32_iu8 v33, v3, v140, v2 neg_lo:[1,1,0]
	v_dot4_i32_iu8 v35, v5, v140, v4 neg_lo:[1,1,0]
	v_bfe_i32 v4, v146, 0, 8
	v_perm_b32 v7, v40, v7, 0xc0c0401
	v_or_b32_e32 v41, v43, v41
	v_and_b32_e32 v43, 0xff, v30
	v_bfe_i32 v5, v148, 0, 8
	s_delay_alu instid0(VALU_DEP_4) | instskip(NEXT) | instid1(VALU_DEP_4)
	v_or_b32_e32 v1, v1, v7
	v_perm_b32 v30, v30, v41, 0x4010c0c
	s_delay_alu instid0(VALU_DEP_4) | instskip(SKIP_1) | instid1(VALU_DEP_4)
	v_or_b32_e32 v34, v43, v34
	v_add_nc_u32_e32 v7, s25, v124
	v_dot4_i32_iu8 v36, v1, v140, v0 neg_lo:[1,1,0]
	s_delay_alu instid0(VALU_DEP_3) | instskip(NEXT) | instid1(VALU_DEP_1)
	v_perm_b32 v34, v42, v34, 0xc0c0401
	v_or_b32_e32 v28, v30, v34
	v_add_nc_u32_e32 v30, s25, v122
	ds_load_u16 v7, v7 offset:25330
	ds_load_u16 v30, v30 offset:27378
	ds_load_b32 v34, v139
	v_dot4_i32_iu8 v28, v28, v140, v6 neg_lo:[1,1,0]
	v_add_nc_u32_e32 v139, 4, v139
	s_mov_b32 s25, s20
	s_waitcnt lgkmcnt(2)
	v_bfe_i32 v1, v7, 0, 8
	s_waitcnt lgkmcnt(1)
	v_lshrrev_b16 v0, 8, v30
	v_bfe_i32 v3, v30, 0, 8
	v_lshrrev_b16 v2, 8, v7
	s_delay_alu instid0(VALU_DEP_3) | instskip(SKIP_1) | instid1(VALU_DEP_3)
	v_bfe_i32 v30, v0, 0, 8
	v_lshrrev_b16 v0, 8, v146
	v_bfe_i32 v7, v2, 0, 8
	v_lshrrev_b16 v2, 8, v148
	s_delay_alu instid0(VALU_DEP_3) | instskip(SKIP_2) | instid1(VALU_DEP_4)
	v_bfe_i32 v37, v0, 0, 8
	v_mul_lo_u32 v0, v27, v1
	v_mul_lo_u32 v1, v29, v4
	v_bfe_i32 v38, v2, 0, 8
	v_mul_lo_u32 v2, v31, v3
	v_mul_lo_u32 v3, v32, v5
	s_delay_alu instid0(VALU_DEP_4) | instskip(NEXT) | instid1(VALU_DEP_3)
	v_mad_u64_u32 v[4:5], null, v33, v7, v[0:1]
	v_mad_u64_u32 v[5:6], null, v35, v37, v[1:2]
	s_delay_alu instid0(VALU_DEP_3)
	v_mad_u64_u32 v[0:1], null, v36, v30, v[2:3]
	s_waitcnt lgkmcnt(0)
	v_mul_f32_e32 v6, v34, v145
	v_mul_f32_e32 v7, v34, v147
	v_mad_u64_u32 v[1:2], null, v28, v38, v[3:4]
	v_mul_f32_e32 v2, v34, v141
	v_mul_f32_e32 v3, v34, v142
	v_cvt_f32_i32_e32 v4, v4
	v_cvt_f32_i32_e32 v5, v5
	;; [unrolled: 1-line block ×4, first 2 shown]
	s_delay_alu instid0(VALU_DEP_4) | instskip(NEXT) | instid1(VALU_DEP_4)
	v_fmac_f32_e32 v49, v2, v4
	v_fmac_f32_e32 v99, v6, v5
	s_delay_alu instid0(VALU_DEP_4) | instskip(NEXT) | instid1(VALU_DEP_4)
	v_fmac_f32_e32 v95, v3, v0
	v_fmac_f32_e32 v24, v7, v1
	s_cbranch_scc1 .LBB190_36
; %bb.37:                               ;   in Loop: Header=BB190_5 Depth=1
	s_barrier
	buffer_gl0_inv
	s_branch .LBB190_4
.LBB190_38:
	s_mul_i32 s0, s10, s7
	s_waitcnt vmcnt(0)
	v_cmp_gt_i32_e32 vcc_lo, s0, v47
	s_and_saveexec_b32 s0, vcc_lo
	s_cbranch_execz .LBB190_47
; %bb.39:
	v_mul_lo_u32 v0, v47, s9
	v_add_nc_u32_e32 v1, s11, v48
	s_mov_b32 s0, exec_lo
	s_delay_alu instid0(VALU_DEP_1)
	v_cmpx_gt_u32_e64 s9, v1
	s_cbranch_execz .LBB190_41
; %bb.40:
	s_delay_alu instid0(VALU_DEP_3) | instskip(NEXT) | instid1(VALU_DEP_1)
	v_dual_mov_b32 v3, 0 :: v_dual_add_nc_u32 v2, v0, v1
	v_lshlrev_b64 v[2:3], 2, v[2:3]
	s_delay_alu instid0(VALU_DEP_1) | instskip(NEXT) | instid1(VALU_DEP_2)
	v_add_co_u32 v2, vcc_lo, s12, v2
	v_add_co_ci_u32_e32 v3, vcc_lo, s13, v3, vcc_lo
	global_store_b32 v[2:3], v49, off
.LBB190_41:
	s_or_b32 exec_lo, exec_lo, s0
	v_add_nc_u32_e32 v2, 32, v1
	s_mov_b32 s0, exec_lo
	s_delay_alu instid0(VALU_DEP_1)
	v_cmpx_gt_u32_e64 s9, v2
	s_cbranch_execz .LBB190_43
; %bb.42:
	v_dual_mov_b32 v3, 0 :: v_dual_add_nc_u32 v2, v0, v2
	s_delay_alu instid0(VALU_DEP_1) | instskip(NEXT) | instid1(VALU_DEP_1)
	v_lshlrev_b64 v[2:3], 2, v[2:3]
	v_add_co_u32 v2, vcc_lo, s12, v2
	s_delay_alu instid0(VALU_DEP_2)
	v_add_co_ci_u32_e32 v3, vcc_lo, s13, v3, vcc_lo
	global_store_b32 v[2:3], v99, off
.LBB190_43:
	s_or_b32 exec_lo, exec_lo, s0
	v_add_nc_u32_e32 v2, 64, v1
	s_mov_b32 s0, exec_lo
	s_delay_alu instid0(VALU_DEP_1)
	v_cmpx_gt_u32_e64 s9, v2
	s_cbranch_execz .LBB190_45
; %bb.44:
	v_dual_mov_b32 v3, 0 :: v_dual_add_nc_u32 v2, v0, v2
	s_delay_alu instid0(VALU_DEP_1) | instskip(NEXT) | instid1(VALU_DEP_1)
	v_lshlrev_b64 v[2:3], 2, v[2:3]
	v_add_co_u32 v2, vcc_lo, s12, v2
	s_delay_alu instid0(VALU_DEP_2)
	v_add_co_ci_u32_e32 v3, vcc_lo, s13, v3, vcc_lo
	global_store_b32 v[2:3], v95, off
.LBB190_45:
	s_or_b32 exec_lo, exec_lo, s0
	v_add_nc_u32_e32 v1, 0x60, v1
	s_delay_alu instid0(VALU_DEP_1)
	v_cmp_gt_u32_e32 vcc_lo, s9, v1
	s_and_b32 exec_lo, exec_lo, vcc_lo
	s_cbranch_execz .LBB190_47
; %bb.46:
	v_dual_mov_b32 v1, 0 :: v_dual_add_nc_u32 v0, v0, v1
	s_delay_alu instid0(VALU_DEP_1) | instskip(NEXT) | instid1(VALU_DEP_1)
	v_lshlrev_b64 v[0:1], 2, v[0:1]
	v_add_co_u32 v0, vcc_lo, s12, v0
	s_delay_alu instid0(VALU_DEP_2)
	v_add_co_ci_u32_e32 v1, vcc_lo, s13, v1, vcc_lo
	global_store_b32 v[0:1], v24, off
.LBB190_47:
	s_nop 0
	s_sendmsg sendmsg(MSG_DEALLOC_VGPRS)
	s_endpgm
	.section	.rodata,"a",@progbits
	.p2align	6, 0x0
	.amdhsa_kernel _ZL8moe_q3_KIfLb1EEvPKvS1_PT_PKiS5_S5_iiiiiii
		.amdhsa_group_segment_fixed_size 31776
		.amdhsa_private_segment_fixed_size 0
		.amdhsa_kernarg_size 76
		.amdhsa_user_sgpr_count 14
		.amdhsa_user_sgpr_dispatch_ptr 0
		.amdhsa_user_sgpr_queue_ptr 0
		.amdhsa_user_sgpr_kernarg_segment_ptr 1
		.amdhsa_user_sgpr_dispatch_id 0
		.amdhsa_user_sgpr_private_segment_size 0
		.amdhsa_wavefront_size32 1
		.amdhsa_uses_dynamic_stack 0
		.amdhsa_enable_private_segment 0
		.amdhsa_system_sgpr_workgroup_id_x 1
		.amdhsa_system_sgpr_workgroup_id_y 1
		.amdhsa_system_sgpr_workgroup_id_z 0
		.amdhsa_system_sgpr_workgroup_info 0
		.amdhsa_system_vgpr_workitem_id 1
		.amdhsa_next_free_vgpr 195
		.amdhsa_next_free_sgpr 31
		.amdhsa_reserve_vcc 1
		.amdhsa_float_round_mode_32 0
		.amdhsa_float_round_mode_16_64 0
		.amdhsa_float_denorm_mode_32 3
		.amdhsa_float_denorm_mode_16_64 3
		.amdhsa_dx10_clamp 1
		.amdhsa_ieee_mode 1
		.amdhsa_fp16_overflow 0
		.amdhsa_workgroup_processor_mode 1
		.amdhsa_memory_ordered 1
		.amdhsa_forward_progress 0
		.amdhsa_shared_vgpr_count 0
		.amdhsa_exception_fp_ieee_invalid_op 0
		.amdhsa_exception_fp_denorm_src 0
		.amdhsa_exception_fp_ieee_div_zero 0
		.amdhsa_exception_fp_ieee_overflow 0
		.amdhsa_exception_fp_ieee_underflow 0
		.amdhsa_exception_fp_ieee_inexact 0
		.amdhsa_exception_int_div_zero 0
	.end_amdhsa_kernel
	.section	.text._ZL8moe_q3_KIfLb1EEvPKvS1_PT_PKiS5_S5_iiiiiii,"axG",@progbits,_ZL8moe_q3_KIfLb1EEvPKvS1_PT_PKiS5_S5_iiiiiii,comdat
.Lfunc_end190:
	.size	_ZL8moe_q3_KIfLb1EEvPKvS1_PT_PKiS5_S5_iiiiiii, .Lfunc_end190-_ZL8moe_q3_KIfLb1EEvPKvS1_PT_PKiS5_S5_iiiiiii
                                        ; -- End function
	.section	.AMDGPU.csdata,"",@progbits
; Kernel info:
; codeLenInByte = 33980
; NumSgprs: 33
; NumVgprs: 195
; ScratchSize: 0
; MemoryBound: 0
; FloatMode: 240
; IeeeMode: 1
; LDSByteSize: 31776 bytes/workgroup (compile time only)
; SGPRBlocks: 4
; VGPRBlocks: 24
; NumSGPRsForWavesPerEU: 33
; NumVGPRsForWavesPerEU: 195
; Occupancy: 7
; WaveLimiterHint : 1
; COMPUTE_PGM_RSRC2:SCRATCH_EN: 0
; COMPUTE_PGM_RSRC2:USER_SGPR: 14
; COMPUTE_PGM_RSRC2:TRAP_HANDLER: 0
; COMPUTE_PGM_RSRC2:TGID_X_EN: 1
; COMPUTE_PGM_RSRC2:TGID_Y_EN: 1
; COMPUTE_PGM_RSRC2:TGID_Z_EN: 0
; COMPUTE_PGM_RSRC2:TIDIG_COMP_CNT: 1
	.section	.text._ZL8moe_q4_KIfLb0EEvPKvS1_PT_PKiS5_S5_iiiiiii,"axG",@progbits,_ZL8moe_q4_KIfLb0EEvPKvS1_PT_PKiS5_S5_iiiiiii,comdat
	.globl	_ZL8moe_q4_KIfLb0EEvPKvS1_PT_PKiS5_S5_iiiiiii ; -- Begin function _ZL8moe_q4_KIfLb0EEvPKvS1_PT_PKiS5_S5_iiiiiii
	.p2align	8
	.type	_ZL8moe_q4_KIfLb0EEvPKvS1_PT_PKiS5_S5_iiiiiii,@function
_ZL8moe_q4_KIfLb0EEvPKvS1_PT_PKiS5_S5_iiiiiii: ; @_ZL8moe_q4_KIfLb0EEvPKvS1_PT_PKiS5_S5_iiiiiii
; %bb.0:
	s_load_b128 s[4:7], s[0:1], 0x18
	s_mov_b32 s2, s15
	s_mov_b32 s3, 0
	s_delay_alu instid0(SALU_CYCLE_1)
	s_lshl_b64 s[8:9], s[2:3], 2
	s_waitcnt lgkmcnt(0)
	s_add_u32 s6, s6, s8
	s_addc_u32 s7, s7, s9
	s_load_b32 s12, s[6:7], 0x0
	s_waitcnt lgkmcnt(0)
	s_cmpk_gt_u32 s12, 0xff
	s_cbranch_scc1 .LBB191_33
; %bb.1:
	s_load_b64 s[6:7], s[0:1], 0x28
	s_lshl_b32 s2, s2, 3
	s_waitcnt lgkmcnt(0)
	s_load_b32 s3, s[6:7], 0x0
	s_waitcnt lgkmcnt(0)
	s_cmp_gt_u32 s2, s3
	s_cbranch_scc1 .LBB191_33
; %bb.2:
	v_bfe_u32 v1, v0, 10, 10
	v_mov_b32_e32 v4, 0
	s_lshl_b32 s16, s14, 7
	s_mov_b32 s17, 0
	s_delay_alu instid0(VALU_DEP_2) | instskip(NEXT) | instid1(VALU_DEP_2)
	v_add_nc_u32_e32 v3, s2, v1
	v_dual_mov_b32 v65, v4 :: v_dual_and_b32 v0, 0x3ff, v0
	v_mov_b32_e32 v58, v4
	v_mov_b32_e32 v19, v4
	s_delay_alu instid0(VALU_DEP_4) | instskip(NEXT) | instid1(VALU_DEP_1)
	v_lshlrev_b64 v[2:3], 2, v[3:4]
	v_add_co_u32 v2, vcc_lo, s4, v2
	s_delay_alu instid0(VALU_DEP_2)
	v_add_co_ci_u32_e32 v3, vcc_lo, s5, v3, vcc_lo
	global_load_b32 v13, v[2:3], off
	s_clause 0x2
	s_load_b64 s[10:11], s[0:1], 0x30
	s_load_b64 s[8:9], s[0:1], 0x10
	s_load_b128 s[4:7], s[0:1], 0x3c
	scratch_store_b32 off, v0, off offset:124 ; 4-byte Folded Spill
	s_waitcnt lgkmcnt(0)
	s_cmpk_lt_i32 s11, 0x100
	s_cbranch_scc1 .LBB191_24
; %bb.3:
	scratch_load_b32 v14, off, off offset:124 ; 4-byte Folded Reload
	s_load_b128 s[0:3], s[0:1], 0x0
	s_ashr_i32 s14, s11, 31
	s_mul_i32 s18, s12, s10
	s_lshr_b32 s10, s14, 24
	s_ashr_i32 s15, s5, 31
	s_add_i32 s10, s11, s10
	s_lshr_b32 s14, s15, 27
	s_ashr_i32 s10, s10, 8
	s_add_i32 s5, s5, s14
	s_mul_i32 s14, s10, s16
	s_ashr_i32 s15, s18, 31
	s_ashr_i32 s5, s5, 5
	v_dual_mov_b32 v19, 0 :: v_dual_lshlrev_b32 v0, 3, v1
	s_mul_hi_i32 s19, s14, 0x90
	s_mulk_i32 s14, 0x90
	s_waitcnt vmcnt(1)
	v_sub_nc_u32_e32 v4, 0, v13
	s_movk_i32 s12, 0x1080
	s_movk_i32 s13, 0x2100
	v_mul_i32_i24_e32 v43, s10, v1
	s_waitcnt lgkmcnt(0)
	s_add_u32 s0, s0, s18
	s_addc_u32 s1, s1, s15
	s_add_u32 s18, s0, s14
	s_addc_u32 s19, s1, s19
	s_abs_i32 s15, s7
	s_lshl_b32 s14, s10, 3
	s_sub_i32 s0, 0, s15
	v_mad_i32_i24 v27, s10, v1, s14
	s_movk_i32 s1, 0x3180
	v_dual_mov_b32 v58, 0 :: v_dual_mov_b32 v65, 0
	scratch_store_b32 off, v13, off offset:164 ; 4-byte Folded Spill
	s_waitcnt vmcnt(0)
	v_lshrrev_b32_e32 v2, 2, v14
	v_and_b32_e32 v3, 3, v14
	v_lshrrev_b32_e32 v24, 5, v14
	v_mad_u32_u24 v78, 0x84, v14, s1
	v_lshrrev_b32_e32 v68, 3, v14
	v_add_nc_u32_e32 v5, v2, v0
	v_add_nc_u16 v0, v2, v0
	v_max_i32_e32 v2, v13, v4
	v_cvt_f32_u32_e32 v4, s15
	v_add_nc_u32_e32 v6, 0xfe, v3
	v_cmp_gt_u32_e32 vcc_lo, 2, v3
	v_lshlrev_b32_e32 v23, 5, v1
	v_lshlrev_b32_e32 v9, 2, v3
	v_rcp_iflag_f32_e32 v4, v4
	v_dual_cndmask_b32 v6, v6, v3 :: v_dual_lshlrev_b32 v21, 2, v14
	v_cmp_lt_u32_e32 vcc_lo, 1, v3
	v_add_nc_u32_e32 v7, v23, v14
	v_and_b32_e32 v5, 0x7f, v5
	v_lshrrev_b16 v0, 1, v0
	v_and_b32_e32 v6, 0xff, v6
	v_mul_u32_u24_e32 v75, 0x84, v14
	v_and_b32_e32 v10, 0x7f, v7
	s_delay_alu instid0(TRANS32_DEP_1)
	v_mul_f32_e32 v4, 0x4f7ffffe, v4
	v_and_b32_e32 v8, 4, v21
	v_add_nc_u32_e32 v28, s14, v27
	v_lshrrev_b32_e32 v11, 3, v7
	v_mul_i32_i24_e32 v42, s10, v10
	v_cvt_u32_f32_e32 v4, v4
	v_dual_cndmask_b32 v37, 0, v8 :: v_dual_lshlrev_b32 v10, 2, v10
	s_delay_alu instid0(VALU_DEP_4) | instskip(SKIP_1) | instid1(VALU_DEP_4)
	v_and_b32_e32 v11, 12, v11
	v_xor_b32_e32 v12, 64, v5
	v_mul_lo_u32 v8, s0, v4
	v_and_b32_e32 v0, 60, v0
	v_cmp_ne_u32_e64 s0, 0, v3
	v_add3_u32 v45, v10, v11, 0x4e40
	v_lshl_or_b32 v10, v5, 4, v9
	v_lshrrev_b32_e32 v11, 1, v12
	v_mul_i32_i24_e32 v49, s10, v5
	v_lshl_or_b32 v5, v12, 4, v9
	v_mul_hi_u32 v8, v4, v8
	v_add3_u32 v54, v10, v0, 0x4200
	v_and_b32_e32 v0, 28, v21
	v_add_co_ci_u32_e64 v3, s0, 0, v6, s0
	v_lshlrev_b32_e32 v47, 1, v6
	v_and_b32_e32 v6, 60, v11
	v_and_or_b32 v10, v14, 31, v23
	v_add_nc_u32_e32 v4, v4, v8
	v_add_co_u32 v11, s0, s2, v0
	v_mad_i32_i24 v0, 0xffffffe4, v1, v7
	v_mul_i32_i24_e32 v56, s10, v12
	s_delay_alu instid0(VALU_DEP_4)
	v_mul_hi_u32 v4, v2, v4
	v_add3_u32 v5, v5, v6, 0x4200
	v_add_co_ci_u32_e64 v12, null, s3, 0, s0
	v_lshl_add_u32 v6, v10, 2, 0x4a40
	v_lshl_add_u32 v0, v0, 2, 0x5050
	v_add_nc_u32_e32 v36, s14, v28
	v_cndmask_b32_e64 v8, 0, 1, vcc_lo
	v_mul_lo_u32 v9, v4, s15
	s_clause 0x2
	scratch_store_b64 off, v[11:12], off offset:128
	scratch_store_b32 off, v6, off offset:136
	scratch_store_b32 off, v0, off offset:156
	v_add_nc_u32_e32 v7, 1, v4
	v_add_nc_u32_e32 v39, s14, v36
	;; [unrolled: 1-line block ×4, first 2 shown]
	v_sub_nc_u32_e32 v2, v2, v9
	v_xor_b32_e32 v9, s7, v13
	v_add_nc_u32_e32 v50, s14, v39
	v_lshrrev_b32_e32 v6, 3, v10
	v_mad_u32_u24 v52, 0x84, v1, v21
	v_subrev_nc_u32_e32 v0, s15, v2
	v_cmp_le_u32_e32 vcc_lo, s15, v2
	v_and_b32_e32 v31, 0x7c, v21
	v_add_nc_u32_e32 v26, s14, v50
	v_ashrrev_i32_e32 v9, 31, v9
	v_lshlrev_b32_e32 v10, 2, v10
	v_cndmask_b32_e32 v0, v2, v0, vcc_lo
	v_dual_cndmask_b32 v4, v4, v7 :: v_dual_lshlrev_b32 v7, 2, v24
	v_add_nc_u32_e32 v89, s14, v26
	v_add_nc_u32_e32 v48, 0x420, v52
	s_delay_alu instid0(VALU_DEP_4) | instskip(NEXT) | instid1(VALU_DEP_4)
	v_cmp_le_u32_e32 vcc_lo, s15, v0
	v_add_nc_u32_e32 v2, 1, v4
	v_add_nc_u32_e32 v51, 0x840, v52
	;; [unrolled: 1-line block ×4, first 2 shown]
	s_delay_alu instid0(VALU_DEP_4)
	v_dual_cndmask_b32 v0, v4, v2 :: v_dual_add_nc_u32 v55, 0x1080, v52
	v_add3_u32 v4, v7, v21, 0x4e40
	v_and_b32_e32 v7, 60, v6
	v_add_nc_u32_e32 v2, 0x60, v14
	v_add_nc_u32_e32 v32, s14, v20
	v_xor_b32_e32 v0, v0, v9
	v_add_nc_u32_e32 v57, 0x14a0, v52
	v_add3_u32 v7, v21, v7, 0x4e40
	scratch_store_b32 off, v4, off          ; 4-byte Folded Spill
	v_lshrrev_b32_e32 v4, 3, v11
	v_lshrrev_b32_e32 v12, 3, v2
	v_sub_nc_u32_e32 v0, v0, v9
	v_lshlrev_b32_e32 v9, 2, v11
	v_add_nc_u32_e32 v35, s14, v32
	v_and_b32_e32 v13, 60, v4
	v_lshlrev_b32_e32 v2, 2, v2
	v_cmp_gt_i32_e64 s1, s4, v0
	v_add_nc_u32_e32 v60, 0x18c0, v52
	v_add_nc_u32_e32 v38, s14, v35
	v_add3_u32 v11, v21, v13, 0x4e40
	scratch_store_b32 off, v7, off offset:4 ; 4-byte Folded Spill
	v_and_b32_e32 v7, 60, v12
	v_add_nc_u32_e32 v88, 0x1ce0, v52
	v_add_nc_u32_e32 v40, s14, v38
	;; [unrolled: 1-line block ×4, first 2 shown]
	v_add3_u32 v7, v21, v7, 0x4e40
	scratch_store_b32 off, v11, off offset:8 ; 4-byte Folded Spill
	v_mul_lo_u32 v11, v0, s5
	v_add_nc_u32_e32 v41, s14, v40
	v_add_nc_u32_e32 v22, 0x2940, v52
	scratch_store_b32 off, v7, off offset:12 ; 4-byte Folded Spill
	v_add_nc_u32_e32 v25, 0x2d60, v52
	v_add_nc_u32_e32 v29, 0x3180, v52
	;; [unrolled: 1-line block ×4, first 2 shown]
	s_clause 0x1
	scratch_store_b32 off, v11, off offset:16
	scratch_store_b32 off, v6, off offset:140
	v_ashrrev_i32_e32 v0, 31, v11
	v_add_nc_u32_e32 v33, 0x39c0, v52
	v_add_nc_u32_e32 v34, 0x3de0, v52
	v_add_nc_u32_e32 v46, s14, v44
	v_cmp_gt_u32_e64 s0, 4, v14
	scratch_store_b32 off, v0, off offset:160 ; 4-byte Folded Spill
	v_mad_u32_u24 v0, 0x84, v14, 64
	v_mad_u32_u24 v76, 0x84, v14, s12
	;; [unrolled: 1-line block ×3, first 2 shown]
	v_lshlrev_b32_e32 v83, 4, v14
	v_lshlrev_b32_e32 v84, 2, v12
	scratch_store_b32 off, v0, off offset:144 ; 4-byte Folded Spill
	v_lshl_add_u32 v0, v1, 4, 0x5050
	v_lshlrev_b32_e32 v85, 2, v4
	v_lshlrev_b32_e32 v86, 2, v6
	v_lshl_or_b32 v87, v68, 2, 0x4200
	v_lshlrev_b32_e32 v6, 2, v3
	scratch_store_b32 off, v0, off offset:148 ; 4-byte Folded Spill
	v_lshl_add_u32 v0, v1, 7, 0x4a40
	v_lshlrev_b32_e32 v59, 2, v8
	v_lshlrev_b32_e32 v90, 2, v10
	;; [unrolled: 1-line block ×4, first 2 shown]
	v_mov_b32_e32 v4, 0
	s_add_u32 s12, s2, 0x90
	s_addc_u32 s13, s3, 0
	s_clause 0x1a
	scratch_store_b32 off, v0, off offset:152
	scratch_store_b32 off, v17, off offset:20
	;; [unrolled: 1-line block ×27, first 2 shown]
	s_branch .LBB191_6
.LBB191_4:                              ;   in Loop: Header=BB191_6 Depth=1
	s_clause 0x19
	scratch_load_b32 v17, off, off offset:20
	scratch_load_b32 v18, off, off offset:24
	;; [unrolled: 1-line block ×26, first 2 shown]
.LBB191_5:                              ;   in Loop: Header=BB191_6 Depth=1
	s_add_i32 s17, s17, 1
	s_delay_alu instid0(SALU_CYCLE_1)
	s_cmp_eq_u32 s17, s10
	s_cbranch_scc1 .LBB191_23
.LBB191_6:                              ; =>This Loop Header: Depth=1
                                        ;     Child Loop BB191_13 Depth 2
                                        ;     Child Loop BB191_21 Depth 2
	s_mul_i32 s14, s17, 0x90
	s_mul_hi_u32 s15, s17, 0x90
	s_add_u32 s14, s18, s14
	s_addc_u32 s15, s19, s15
	s_delay_alu instid0(SALU_CYCLE_1) | instskip(SKIP_2) | instid1(VALU_DEP_2)
	v_mad_u64_u32 v[0:1], null, 0x90, v24, s[14:15]
	s_waitcnt vmcnt(5)
	v_mad_u64_u32 v[97:98], null, 0x90, v49, s[14:15]
	v_add_co_u32 v0, vcc_lo, v0, v31
	s_delay_alu instid0(VALU_DEP_3) | instskip(NEXT) | instid1(VALU_DEP_2)
	v_add_co_ci_u32_e32 v1, vcc_lo, 0, v1, vcc_lo
	v_add_co_u32 v0, vcc_lo, v0, 16
	s_delay_alu instid0(VALU_DEP_2) | instskip(NEXT) | instid1(VALU_DEP_1)
	v_add_co_ci_u32_e32 v1, vcc_lo, 0, v1, vcc_lo
	v_mad_u64_u32 v[2:3], null, 0x90, v43, v[0:1]
	v_mad_u64_u32 v[7:8], null, 0x90, v27, v[0:1]
	;; [unrolled: 1-line block ×8, first 2 shown]
	s_clause 0x7
	global_load_b32 v99, v[2:3], off
	global_load_b32 v100, v[7:8], off
	global_load_b32 v101, v[9:10], off
	global_load_b32 v102, v[11:12], off
	global_load_b32 v103, v[13:14], off
	global_load_b32 v104, v[15:16], off
	global_load_b32 v105, v[93:94], off
	global_load_b32 v106, v[95:96], off
	v_add_co_u32 v15, vcc_lo, v97, 4
	s_waitcnt vmcnt(11)
	v_mad_u64_u32 v[9:10], null, 0x90, v56, s[14:15]
	v_add_co_ci_u32_e32 v16, vcc_lo, 0, v98, vcc_lo
	s_waitcnt vmcnt(8)
	v_add_co_u32 v13, vcc_lo, v15, v6
	v_mad_u64_u32 v[2:3], null, 0x90, v20, v[0:1]
	s_delay_alu instid0(VALU_DEP_3) | instskip(SKIP_4) | instid1(VALU_DEP_4)
	v_add_co_ci_u32_e32 v14, vcc_lo, 0, v16, vcc_lo
	v_add_co_u32 v93, vcc_lo, v9, 4
	v_add_co_ci_u32_e32 v94, vcc_lo, 0, v10, vcc_lo
	v_add_co_u32 v9, vcc_lo, v15, v59
	v_add_co_ci_u32_e32 v10, vcc_lo, 0, v16, vcc_lo
	v_add_co_u32 v15, vcc_lo, v93, v6
	s_delay_alu instid0(VALU_DEP_4)
	v_add_co_ci_u32_e32 v16, vcc_lo, 0, v94, vcc_lo
	v_add_co_u32 v93, vcc_lo, v93, v59
	v_add_co_ci_u32_e32 v94, vcc_lo, 0, v94, vcc_lo
	s_clause 0x2
	global_load_b32 v97, v[13:14], off
	global_load_b32 v98, v[9:10], off
	;; [unrolled: 1-line block ×3, first 2 shown]
	v_mad_u64_u32 v[7:8], null, 0x90, v32, v[0:1]
	v_mad_u64_u32 v[11:12], null, 0x90, v35, v[0:1]
	global_load_b32 v108, v[93:94], off
	v_mad_u64_u32 v[9:10], null, 0x90, v38, v[0:1]
	v_mad_u64_u32 v[13:14], null, 0x90, v40, v[0:1]
	v_mad_u64_u32 v[15:16], null, 0x90, v41, v[0:1]
	v_mad_u64_u32 v[93:94], null, 0x90, v44, v[0:1]
	v_mad_u64_u32 v[95:96], null, 0x90, v46, v[0:1]
	v_mad_u64_u32 v[0:1], null, 0x90, v42, s[14:15]
	s_clause 0x8
	global_load_b32 v2, v[2:3], off
	global_load_b32 v3, v[7:8], off
	;; [unrolled: 1-line block ×9, first 2 shown]
	s_lshl_b32 s14, s17, 8
	s_waitcnt vmcnt(20)
	ds_store_b32 v52, v99
	s_waitcnt vmcnt(19)
	ds_store_b32 v48, v100
	;; [unrolled: 2-line block ×14, first 2 shown]
	v_ashrrev_i32_e32 v1, v37, v97
	v_ashrrev_i32_e32 v13, v37, v107
	;; [unrolled: 1-line block ×4, first 2 shown]
	s_cmp_lt_i32 s14, s11
	v_and_b32_e32 v1, 0xf0f0f0f, v1
	v_and_b32_e32 v13, 0xf0f0f0f, v13
	s_delay_alu instid0(VALU_DEP_2) | instskip(NEXT) | instid1(VALU_DEP_2)
	v_and_or_b32 v1, 0x30303030, v14, v1
	v_and_or_b32 v2, 0x30303030, v15, v13
	s_waitcnt vmcnt(2)
	ds_store_b32 v33, v11
	s_waitcnt vmcnt(1)
	ds_store_b32 v34, v12
	s_waitcnt vmcnt(0)
	ds_store_b32 v45, v0
	ds_store_b32 v54, v1
	ds_store_b32 v5, v2
	s_cbranch_scc0 .LBB191_5
; %bb.7:                                ;   in Loop: Header=BB191_6 Depth=1
	s_lshl_b32 s15, s17, 3
	s_delay_alu instid0(SALU_CYCLE_1) | instskip(NEXT) | instid1(VALU_DEP_1)
	v_add_nc_u32_e32 v0, s15, v68
	v_cmp_gt_i32_e32 vcc_lo, s5, v0
	s_and_b32 s21, s1, vcc_lo
	s_delay_alu instid0(SALU_CYCLE_1)
	s_and_saveexec_b32 s20, s21
	s_cbranch_execz .LBB191_9
; %bb.8:                                ;   in Loop: Header=BB191_6 Depth=1
	s_clause 0x1
	scratch_load_b32 v1, off, off offset:16
	scratch_load_b64 v[6:7], off, off offset:128
	s_waitcnt vmcnt(1)
	v_add_nc_u32_e32 v2, v1, v0
	s_waitcnt vmcnt(0)
	s_delay_alu instid0(VALU_DEP_1)
	v_mad_i64_i32 v[0:1], null, v2, 36, v[6:7]
	global_load_b32 v0, v[0:1], off offset:4
	scratch_load_b32 v1, off, off offset:136 ; 4-byte Folded Reload
	s_waitcnt vmcnt(0)
	ds_store_b32 v1, v0
.LBB191_9:                              ;   in Loop: Header=BB191_6 Depth=1
	s_or_b32 exec_lo, exec_lo, s20
	s_and_saveexec_b32 s20, s0
	s_cbranch_execz .LBB191_12
; %bb.10:                               ;   in Loop: Header=BB191_6 Depth=1
	scratch_load_b32 v0, off, off offset:124 ; 4-byte Folded Reload
	s_waitcnt vmcnt(0)
	v_or_b32_e32 v0, s15, v0
	s_delay_alu instid0(VALU_DEP_1) | instskip(SKIP_1) | instid1(SALU_CYCLE_1)
	v_cmp_gt_i32_e32 vcc_lo, s5, v0
	s_and_b32 s21, s1, vcc_lo
	s_and_b32 exec_lo, exec_lo, s21
	s_cbranch_execz .LBB191_12
; %bb.11:                               ;   in Loop: Header=BB191_6 Depth=1
	scratch_load_b32 v1, off, off offset:16 ; 4-byte Folded Reload
	s_waitcnt vmcnt(0)
	v_add_nc_u32_e32 v2, v1, v0
	s_delay_alu instid0(VALU_DEP_1)
	v_mad_i64_i32 v[0:1], null, v2, 36, s[2:3]
	global_load_b32 v0, v[0:1], off
	scratch_load_b32 v1, off, off offset:156 ; 4-byte Folded Reload
	s_waitcnt vmcnt(0)
	ds_store_b32 v1, v0
.LBB191_12:                             ;   in Loop: Header=BB191_6 Depth=1
	s_or_b32 exec_lo, exec_lo, s20
	s_waitcnt lgkmcnt(0)
	s_waitcnt_vscnt null, 0x0
	s_barrier
	buffer_gl0_inv
	s_clause 0x2
	scratch_load_b32 v0, off, off
	scratch_load_b32 v1, off, off offset:4
	scratch_load_b32 v2, off, off offset:8
	s_mov_b32 s22, 0
	s_mov_b32 s20, -1
	s_waitcnt vmcnt(2)
	ds_load_b32 v0, v0
	s_waitcnt vmcnt(1)
	ds_load_b32 v1, v1 offset:128
	s_waitcnt vmcnt(0)
	ds_load_b32 v8, v2 offset:256
	scratch_load_b32 v2, off, off offset:12 ; 4-byte Folded Reload
	s_waitcnt lgkmcnt(1)
	v_cvt_f32_f16_e32 v3, v1
	v_lshrrev_b32_e32 v1, 16, v1
	s_waitcnt lgkmcnt(0)
	v_lshrrev_b32_e32 v11, 16, v8
	v_cvt_f32_f16_e32 v7, v8
	s_delay_alu instid0(VALU_DEP_3) | instskip(NEXT) | instid1(VALU_DEP_3)
	v_cvt_f32_f16_e32 v10, v1
	v_cvt_f32_f16_e32 v11, v11
	s_waitcnt vmcnt(0)
	ds_load_b32 v9, v2 offset:384
	v_cvt_f32_f16_e32 v2, v0
	v_lshrrev_b32_e32 v0, 16, v0
	s_waitcnt lgkmcnt(0)
	v_lshrrev_b32_e32 v12, 16, v9
	v_cvt_f32_f16_e32 v8, v9
	s_delay_alu instid0(VALU_DEP_3) | instskip(NEXT) | instid1(VALU_DEP_3)
	v_cvt_f32_f16_e32 v9, v0
	v_cvt_f32_f16_e32 v12, v12
.LBB191_13:                             ;   Parent Loop BB191_6 Depth=1
                                        ; =>  This Inner Loop Header: Depth=2
	s_lshr_b32 s21, s22, 2
	v_lshl_or_b32 v0, s22, 1, v23
	s_lshl_b32 s22, s22, 2
	v_lshlrev_b32_e32 v1, 2, v68
	v_lshlrev_b32_e32 v13, 2, v21
	v_add_nc_u32_e32 v14, s22, v75
	s_addk_i32 s21, 0x4200
	v_add_nc_u32_e32 v15, s22, v76
	v_add_nc_u32_e32 v102, s22, v77
	;; [unrolled: 1-line block ×3, first 2 shown]
	v_add3_u32 v103, s21, v84, v92
	v_add3_u32 v143, s21, v86, v90
	;; [unrolled: 1-line block ×3, first 2 shown]
	v_lshlrev_b32_e32 v110, 2, v0
	v_add3_u32 v13, s21, v1, v13
	v_lshrrev_b32_e32 v145, 1, v0
	ds_load_2addr_b32 v[0:1], v14 offset1:1
	ds_load_2addr_b32 v[96:97], v14 offset0:2 offset1:3
	ds_load_2addr_b32 v[119:120], v14 offset0:4 offset1:5
	;; [unrolled: 1-line block ×3, first 2 shown]
	ds_load_2addr_b32 v[98:99], v102 offset1:1
	ds_load_2addr_b32 v[123:124], v102 offset0:2 offset1:3
	ds_load_2addr_b32 v[100:101], v15 offset1:1
	ds_load_2addr_b32 v[125:126], v16 offset0:2 offset1:3
	ds_load_2addr_b32 v[127:128], v16 offset0:4 offset1:5
	;; [unrolled: 1-line block ×7, first 2 shown]
	ds_load_u8 v95, v143 offset:9
	ds_load_u8 v93, v144 offset:9
	ds_load_u8 v15, v103 offset:9
	ds_load_2addr_b32 v[139:140], v16 offset1:1
	ds_load_u16 v16, v144
	ds_load_u8 v94, v103 offset:8
	ds_load_u16 v14, v103
	ds_load_2addr_b32 v[141:142], v102 offset0:6 offset1:7
	ds_load_b128 v[102:105], v110 offset:19008
	ds_load_b128 v[106:109], v110 offset:19024
	;; [unrolled: 1-line block ×4, first 2 shown]
	s_waitcnt lgkmcnt(21)
	v_and_b32_e32 v148, 15, v98
	v_and_b32_e32 v149, 15, v1
	v_ashrrev_i32_e32 v155, 4, v1
	v_bfe_u32 v174, v1, 8, 4
	v_bfe_u32 v185, v1, 16, 4
	;; [unrolled: 1-line block ×3, first 2 shown]
	v_and_b32_e32 v151, 15, v99
	v_bfe_u32 v162, v98, 8, 4
	s_waitcnt lgkmcnt(20)
	v_and_b32_e32 v163, 15, v123
	v_and_b32_e32 v146, 15, v0
	s_waitcnt lgkmcnt(19)
	v_and_b32_e32 v147, 15, v100
	s_waitcnt lgkmcnt(8)
	v_and_b32_e32 v63, 15, v139
	v_and_b32_e32 v150, 15, v101
	v_ashrrev_i32_e32 v152, 4, v0
	v_ashrrev_i32_e32 v153, 4, v100
	;; [unrolled: 1-line block ×3, first 2 shown]
	s_waitcnt lgkmcnt(3)
	v_bfe_i32 v1, v102, 0, 8
	v_bfe_i32 v248, v102, 8, 8
	;; [unrolled: 1-line block ×4, first 2 shown]
	v_and_b32_e32 v164, 15, v125
	v_mul_i32_i24_e32 v148, v148, v1
	v_mul_i32_i24_e32 v162, v162, v248
	v_and_b32_e32 v64, 15, v140
	v_mul_i32_i24_e32 v163, v163, v255
	v_mul_i32_i24_e32 v146, v146, v1
	v_mad_i32_i24 v148, v151, v251, v148
	v_mul_i32_i24_e32 v147, v147, v1
	v_mul_i32_i24_e32 v1, v63, v1
	v_ashrrev_i32_e32 v63, 4, v139
	v_ashrrev_i32_e32 v165, 4, v96
	v_add3_u32 v148, v148, v163, v162
	v_bfe_u32 v162, v139, 8, 4
	s_waitcnt lgkmcnt(1)
	v_bfe_i32 v37, v111, 0, 8
	v_mad_i32_i24 v146, v149, v251, v146
	v_mad_i32_i24 v147, v150, v251, v147
	v_and_b32_e32 v150, 15, v152
	v_and_b32_e32 v151, 15, v153
	v_mad_i32_i24 v1, v64, v251, v1
	v_and_b32_e32 v64, 15, v154
	v_and_b32_e32 v251, 15, v63
	v_mul_i32_i24_e32 v162, v162, v248
	v_mul_i32_i24_e32 v164, v164, v255
	v_bfe_i32 v81, v105, 0, 8
	v_bfe_i32 v82, v105, 8, 8
	;; [unrolled: 1-line block ×3, first 2 shown]
	v_ashrrev_i32_e32 v66, 24, v105
	v_bfe_i32 v18, v108, 0, 8
	v_bfe_i32 v25, v108, 8, 8
	;; [unrolled: 1-line block ×3, first 2 shown]
	v_ashrrev_i32_e32 v30, 24, v108
	v_bfe_i32 v38, v111, 8, 8
	v_bfe_i32 v41, v112, 0, 8
	;; [unrolled: 1-line block ×4, first 2 shown]
	v_ashrrev_i32_e32 v105, 24, v112
	v_bfe_i32 v112, v113, 0, 8
	v_mul_i32_i24_e32 v150, v150, v37
	v_mul_i32_i24_e32 v151, v151, v37
	;; [unrolled: 1-line block ×4, first 2 shown]
	v_and_b32_e32 v251, 15, v155
	v_add3_u32 v162, v1, v164, v162
	v_bfe_u32 v1, v152, 8, 4
	v_and_b32_e32 v164, 15, v165
	v_ashrrev_i32_e32 v156, 4, v101
	v_ashrrev_i32_e32 v166, 4, v129
	v_mad_i32_i24 v150, v251, v41, v150
	v_mul_i32_i24_e32 v1, v1, v38
	v_mul_i32_i24_e32 v164, v164, v112
	v_and_b32_e32 v251, 15, v156
	v_ashrrev_i32_e32 v157, 4, v99
	v_ashrrev_i32_e32 v167, 4, v123
	;; [unrolled: 1-line block ×3, first 2 shown]
	v_add3_u32 v150, v150, v164, v1
	v_bfe_u32 v1, v153, 8, 4
	v_and_b32_e32 v164, 15, v166
	v_mad_i32_i24 v151, v251, v41, v151
	v_and_b32_e32 v251, 15, v157
	v_ashrrev_i32_e32 v149, 4, v140
	v_mul_i32_i24_e32 v1, v1, v38
	v_mul_i32_i24_e32 v164, v164, v112
	v_bfe_u32 v158, v0, 8, 4
	v_mad_i32_i24 v64, v251, v41, v64
	v_and_b32_e32 v159, 15, v96
	v_and_b32_e32 v251, 15, v149
	v_add3_u32 v151, v151, v164, v1
	v_bfe_u32 v1, v154, 8, 4
	v_and_b32_e32 v164, 15, v167
	v_bfe_u32 v169, v0, 16, 4
	v_bfe_u32 v0, v0, 24, 4
	v_bfe_i32 v249, v102, 16, 8
	v_mul_i32_i24_e32 v1, v1, v38
	v_mul_i32_i24_e32 v164, v164, v112
	v_ashrrev_i32_e32 v250, 24, v102
	v_mad_i32_i24 v37, v251, v41, v37
	v_mul_i32_i24_e32 v158, v158, v248
	v_mul_i32_i24_e32 v159, v159, v255
	v_add3_u32 v64, v64, v164, v1
	v_and_b32_e32 v1, 15, v168
	v_bfe_u32 v170, v100, 16, 4
	v_bfe_u32 v171, v100, 24, 4
	v_bfe_u32 v172, v98, 16, 4
	v_add3_u32 v146, v146, v159, v158
	v_mul_i32_i24_e32 v1, v1, v112
	v_bfe_u32 v112, v63, 8, 4
	v_mul_i32_i24_e32 v0, v0, v250
	v_bfe_i32 v40, v111, 16, 8
	v_ashrrev_i32_e32 v111, 24, v111
	v_bfe_u32 v160, v100, 8, 4
	v_mul_i32_i24_e32 v38, v112, v38
	ds_load_u16 v112, v143
	ds_load_u8 v143, v143 offset:8
	ds_load_u8 v144, v144 offset:8
	v_and_b32_e32 v161, 15, v129
	v_and_b32_e32 v175, 15, v97
	v_bfe_i32 v252, v103, 8, 8
	v_add3_u32 v37, v37, v1, v38
	v_bfe_u32 v38, v139, 16, 4
	v_mul_i32_i24_e32 v1, v169, v249
	v_bfe_u32 v139, v139, 24, 4
	v_ashrrev_i32_e32 v181, 4, v97
	v_ashrrev_i32_e32 v182, 4, v130
	v_mul_i32_i24_e32 v38, v38, v249
	v_add3_u32 v146, v146, v1, v0
	ds_load_b64 v[0:1], v145 offset:20560
	v_mul_i32_i24_e32 v145, v170, v249
	v_mul_i32_i24_e32 v170, v171, v250
	;; [unrolled: 1-line block ×3, first 2 shown]
	v_bfe_u32 v249, v153, 16, 4
	v_bfe_u32 v153, v153, 24, 4
	v_mul_i32_i24_e32 v139, v139, v250
	v_ashrrev_i32_e32 v183, 4, v124
	v_ashrrev_i32_e32 v184, 4, v126
	v_mul_i32_i24_e32 v249, v249, v40
	v_mul_i32_i24_e32 v153, v153, v111
	v_add3_u32 v38, v162, v38, v139
	v_bfe_u32 v162, v152, 16, 4
	v_mul_i32_i24_e32 v160, v160, v248
	v_mul_i32_i24_e32 v161, v161, v255
	v_add3_u32 v151, v151, v249, v153
	v_bfe_u32 v153, v154, 16, 4
	v_bfe_u32 v154, v154, 24, 4
	;; [unrolled: 1-line block ×3, first 2 shown]
	v_mul_i32_i24_e32 v162, v162, v40
	v_mul_i32_i24_e32 v174, v174, v252
	;; [unrolled: 1-line block ×5, first 2 shown]
	v_bfe_u32 v173, v98, 24, 4
	v_bfe_u32 v176, v101, 8, 4
	v_and_b32_e32 v177, 15, v130
	v_add3_u32 v64, v64, v153, v154
	v_bfe_u32 v154, v63, 16, 4
	v_bfe_u32 v63, v63, 24, 4
	v_bfe_i32 v45, v114, 0, 8
	v_add3_u32 v147, v147, v161, v160
	v_mul_i32_i24_e32 v152, v152, v111
	v_mul_i32_i24_e32 v40, v154, v40
	;; [unrolled: 1-line block ×3, first 2 shown]
	v_and_b32_e32 v153, 15, v181
	v_and_b32_e32 v111, 15, v182
	v_add3_u32 v146, v146, v175, v174
	v_and_b32_e32 v174, 15, v184
	v_add3_u32 v37, v37, v40, v63
	v_and_b32_e32 v63, 15, v183
	v_bfe_u32 v178, v99, 8, 4
	v_and_b32_e32 v179, 15, v124
	v_and_b32_e32 v180, 15, v126
	v_bfe_u32 v187, v101, 16, 4
	v_bfe_u32 v188, v101, 24, 4
	v_bfe_i32 v253, v103, 16, 8
	v_ashrrev_i32_e32 v254, 24, v103
	v_bfe_u32 v169, v140, 8, 4
	v_add3_u32 v145, v147, v145, v170
	v_mul_i32_i24_e32 v172, v173, v250
	v_bfe_u32 v249, v155, 8, 4
	v_bfe_u32 v154, v156, 8, 4
	;; [unrolled: 1-line block ×3, first 2 shown]
	v_mul_i32_i24_e32 v176, v176, v252
	v_mul_i32_i24_e32 v177, v177, v81
	;; [unrolled: 1-line block ×6, first 2 shown]
	v_bfe_u32 v174, v149, 8, 4
	v_bfe_u32 v189, v99, 16, 4
	;; [unrolled: 1-line block ×3, first 2 shown]
	v_and_b32_e32 v192, 15, v119
	v_bfe_u32 v193, v129, 8, 4
	v_and_b32_e32 v194, 15, v131
	v_bfe_u32 v195, v123, 8, 4
	;; [unrolled: 2-line block ×3, first 2 shown]
	v_and_b32_e32 v198, 15, v127
	v_ashrrev_i32_e32 v199, 4, v119
	v_ashrrev_i32_e32 v200, 4, v131
	;; [unrolled: 1-line block ×4, first 2 shown]
	v_bfe_u32 v203, v96, 16, 4
	v_bfe_u32 v204, v96, 24, 4
	;; [unrolled: 1-line block ×12, first 2 shown]
	v_and_b32_e32 v212, 15, v120
	v_bfe_u32 v213, v130, 8, 4
	v_and_b32_e32 v214, 15, v132
	v_bfe_u32 v215, v124, 8, 4
	;; [unrolled: 2-line block ×4, first 2 shown]
	v_bfe_u32 v119, v119, 24, 4
	v_bfe_u32 v221, v120, 8, 4
	;; [unrolled: 1-line block ×6, first 2 shown]
	v_and_b32_e32 v229, 15, v122
	v_bfe_u32 v230, v122, 8, 4
	v_bfe_u32 v231, v126, 16, 4
	;; [unrolled: 1-line block ×5, first 2 shown]
	v_ashrrev_i32_e32 v96, 4, v122
	v_bfe_u32 v122, v131, 8, 4
	v_bfe_u32 v234, v131, 16, 4
	;; [unrolled: 1-line block ×6, first 2 shown]
	v_and_b32_e32 v244, 15, v134
	v_bfe_u32 v245, v134, 8, 4
	v_bfe_u32 v246, v134, 16, 4
	;; [unrolled: 1-line block ×3, first 2 shown]
	v_ashrrev_i32_e32 v97, 4, v134
	v_bfe_u32 v134, v135, 16, 4
	v_bfe_u32 v135, v135, 24, 4
	v_bfe_i32 v79, v104, 8, 8
	v_bfe_i32 v67, v104, 16, 8
	v_ashrrev_i32_e32 v80, 24, v104
	v_bfe_i32 v17, v106, 0, 8
	v_bfe_i32 v73, v106, 8, 8
	v_bfe_i32 v70, v106, 16, 8
	v_ashrrev_i32_e32 v71, 24, v106
	v_bfe_i32 v72, v107, 0, 8
	;; [unrolled: 4-line block ×3, first 2 shown]
	v_bfe_i32 v33, v109, 8, 8
	v_bfe_i32 v34, v109, 16, 8
	v_ashrrev_i32_e32 v35, 24, v109
	s_waitcnt lgkmcnt(4)
	v_bfe_i32 v109, v117, 0, 8
	v_bfe_i32 v107, v117, 8, 8
	;; [unrolled: 1-line block ×3, first 2 shown]
	v_ashrrev_i32_e32 v104, 24, v117
	v_bfe_u32 v117, v136, 8, 4
	v_bfe_u32 v41, v127, 16, 4
	;; [unrolled: 1-line block ×4, first 2 shown]
	v_and_b32_e32 v163, 15, v138
	v_bfe_u32 v22, v140, 16, 4
	v_add3_u32 v148, v148, v171, v172
	v_and_b32_e32 v173, 15, v142
	v_add3_u32 v150, v150, v162, v152
	v_add3_u32 v145, v145, v177, v176
	v_mul_i32_i24_e32 v178, v178, v252
	v_mul_i32_i24_e32 v179, v179, v81
	;; [unrolled: 1-line block ×12, first 2 shown]
	v_bfe_u32 v190, v99, 24, 4
	v_ashrrev_i32_e32 v220, 4, v120
	v_ashrrev_i32_e32 v110, 4, v132
	;; [unrolled: 1-line block ×4, first 2 shown]
	v_bfe_u32 v222, v120, 16, 4
	v_bfe_u32 v120, v120, 24, 4
	;; [unrolled: 1-line block ×4, first 2 shown]
	v_bfe_i32 v46, v114, 8, 8
	v_bfe_i32 v47, v114, 16, 8
	v_ashrrev_i32_e32 v114, 24, v114
	v_bfe_i32 v49, v115, 0, 8
	v_bfe_i32 v54, v115, 8, 8
	;; [unrolled: 1-line block ×6, first 2 shown]
	v_ashrrev_i32_e32 v98, 24, v118
	v_bfe_u32 v118, v136, 16, 4
	v_bfe_u32 v136, v136, 24, 4
	;; [unrolled: 1-line block ×6, first 2 shown]
	v_add3_u32 v148, v148, v179, v178
	v_and_b32_e32 v179, 15, v199
	v_and_b32_e32 v180, 15, v200
	v_add3_u32 v38, v38, v81, v169
	v_and_b32_e32 v169, 15, v201
	v_add3_u32 v150, v150, v153, v249
	v_and_b32_e32 v249, 15, v202
	v_bfe_u32 v174, v181, 8, 4
	v_add3_u32 v20, v37, v45, v20
	v_bfe_u32 v45, v182, 8, 4
	v_add3_u32 v146, v146, v185, v186
	;; [unrolled: 2-line block ×3, first 2 shown]
	v_bfe_u32 v188, v184, 8, 4
	v_mul_i32_i24_e32 v189, v189, v253
	v_mul_i32_i24_e32 v22, v22, v253
	v_bfe_u32 v253, v181, 16, 4
	v_bfe_u32 v181, v181, 24, 4
	v_mul_i32_i24_e32 v191, v191, v79
	v_mul_i32_i24_e32 v193, v193, v79
	v_mul_i32_i24_e32 v195, v195, v79
	v_mul_i32_i24_e32 v79, v197, v79
	v_bfe_u32 v197, v182, 16, 4
	v_bfe_u32 v182, v182, 24, 4
	v_mul_i32_i24_e32 v192, v192, v17
	v_mul_i32_i24_e32 v194, v194, v17
	;; [unrolled: 6-line block ×4, first 2 shown]
	v_mul_i32_i24_e32 v123, v123, v80
	v_mul_i32_i24_e32 v80, v125, v80
	v_bfe_u32 v125, v199, 8, 4
	v_mul_i32_i24_e32 v212, v212, v72
	v_mul_i32_i24_e32 v214, v214, v72
	v_mul_i32_i24_e32 v216, v216, v72
	v_mul_i32_i24_e32 v72, v218, v72
	v_bfe_u32 v218, v200, 8, 4
	v_mul_i32_i24_e32 v210, v210, v66
	v_mul_i32_i24_e32 v130, v130, v66
	;; [unrolled: 5-line block ×7, first 2 shown]
	v_mul_i32_i24_e32 v173, v173, v32
	v_mul_i32_i24_e32 v32, v163, v32
	v_bfe_u32 v163, v202, 16, 4
	v_bfe_i32 v59, v116, 0, 8
	v_bfe_i32 v61, v116, 8, 8
	;; [unrolled: 1-line block ×3, first 2 shown]
	v_ashrrev_i32_e32 v116, 24, v116
	v_and_b32_e32 v37, 15, v220
	v_and_b32_e32 v185, 15, v110
	;; [unrolled: 1-line block ×4, first 2 shown]
	v_mul_i32_i24_e32 v222, v222, v5
	v_mul_i32_i24_e32 v236, v236, v5
	v_mul_i32_i24_e32 v118, v118, v5
	v_mul_i32_i24_e32 v5, v159, v5
	v_bfe_u32 v159, v220, 8, 4
	v_mul_i32_i24_e32 v120, v120, v6
	v_mul_i32_i24_e32 v132, v132, v6
	v_mul_i32_i24_e32 v136, v136, v6
	v_mul_i32_i24_e32 v6, v128, v6
	v_bfe_u32 v128, v220, 16, 4
	v_bfe_u32 v220, v220, 24, 4
	v_mul_i32_i24_e32 v232, v232, v34
	v_mul_i32_i24_e32 v246, v246, v34
	v_mul_i32_i24_e32 v152, v152, v34
	v_mul_i32_i24_e32 v34, v164, v34
	v_bfe_u32 v164, v110, 8, 4
	v_mul_i32_i24_e32 v179, v179, v49
	v_mul_i32_i24_e32 v180, v180, v49
	v_mul_i32_i24_e32 v169, v169, v49
	v_mul_i32_i24_e32 v49, v249, v49
	v_bfe_u32 v249, v110, 16, 4
	v_bfe_u32 v110, v110, 24, 4
	;; [unrolled: 11-line block ×4, first 2 shown]
	v_bfe_u32 v140, v140, 24, 4
	v_and_b32_e32 v223, 15, v121
	v_bfe_u32 v224, v121, 8, 4
	v_bfe_u32 v227, v121, 16, 4
	;; [unrolled: 1-line block ×3, first 2 shown]
	v_ashrrev_i32_e32 v121, 4, v121
	v_and_b32_e32 v237, 15, v133
	v_bfe_u32 v238, v133, 8, 4
	v_bfe_u32 v239, v133, 16, 4
	;; [unrolled: 1-line block ×3, first 2 shown]
	v_and_b32_e32 v243, 15, v137
	v_ashrrev_i32_e32 v133, 4, v133
	v_ashrrev_i32_e32 v251, 4, v137
	v_and_b32_e32 v147, 15, v141
	v_ashrrev_i32_e32 v170, 4, v141
	v_bfe_u32 v175, v155, 16, 4
	v_bfe_u32 v155, v155, 24, 4
	;; [unrolled: 1-line block ×6, first 2 shown]
	v_mul_i32_i24_e32 v220, v220, v116
	v_mul_i32_i24_e32 v110, v110, v116
	;; [unrolled: 1-line block ×4, first 2 shown]
	v_bfe_u32 v116, v149, 16, 4
	v_bfe_u32 v149, v149, 24, 4
	v_mul_i32_i24_e32 v190, v190, v254
	v_mul_i32_i24_e32 v140, v140, v254
	v_bfe_i32 v44, v113, 16, 8
	v_ashrrev_i32_e32 v115, 24, v115
	v_bfe_u32 v160, v137, 8, 4
	v_bfe_u32 v171, v141, 8, 4
	;; [unrolled: 1-line block ×4, first 2 shown]
	v_add3_u32 v111, v151, v111, v154
	v_bfe_u32 v151, v165, 16, 4
	v_bfe_u32 v154, v165, 24, 4
	;; [unrolled: 1-line block ×3, first 2 shown]
	v_add3_u32 v40, v64, v63, v40
	v_bfe_u32 v63, v167, 16, 4
	v_bfe_u32 v64, v167, 24, 4
	;; [unrolled: 1-line block ×3, first 2 shown]
	v_mul_i32_i24_e32 v208, v208, v82
	v_mul_i32_i24_e32 v213, v213, v82
	v_mul_i32_i24_e32 v215, v215, v82
	v_mul_i32_i24_e32 v82, v217, v82
	v_and_b32_e32 v217, 15, v121
	v_mul_i32_i24_e32 v209, v209, v69
	v_mul_i32_i24_e32 v225, v225, v69
	v_mul_i32_i24_e32 v226, v226, v69
	v_mul_i32_i24_e32 v69, v231, v69
	v_and_b32_e32 v231, 15, v133
	;; [unrolled: 5-line block ×3, first 2 shown]
	v_bfe_u32 v199, v199, 24, 4
	v_bfe_u32 v200, v200, 24, 4
	;; [unrolled: 1-line block ×4, first 2 shown]
	v_mul_i32_i24_e32 v155, v155, v105
	v_mul_i32_i24_e32 v156, v156, v105
	;; [unrolled: 1-line block ×4, first 2 shown]
	v_and_b32_e32 v149, 15, v170
	v_bfe_i32 v42, v113, 8, 8
	v_bfe_u32 v250, v166, 8, 4
	v_bfe_u32 v153, v168, 8, 4
	v_mul_i32_i24_e32 v175, v175, v108
	v_mul_i32_i24_e32 v176, v176, v108
	;; [unrolled: 1-line block ×4, first 2 shown]
	v_add3_u32 v148, v148, v189, v190
	v_add3_u32 v22, v38, v22, v140
	v_ashrrev_i32_e32 v113, 24, v113
	v_bfe_u32 v161, v137, 16, 4
	v_bfe_u32 v172, v141, 16, 4
	;; [unrolled: 1-line block ×4, first 2 shown]
	v_mul_i32_i24_e32 v224, v224, v25
	v_mul_i32_i24_e32 v238, v238, v25
	v_mul_i32_i24_e32 v171, v171, v25
	v_mul_i32_i24_e32 v25, v160, v25
	v_bfe_u32 v160, v121, 8, 4
	v_mul_i32_i24_e32 v151, v151, v44
	v_mul_i32_i24_e32 v165, v165, v44
	v_mul_i32_i24_e32 v63, v63, v44
	v_mul_i32_i24_e32 v44, v167, v44
	v_bfe_u32 v167, v133, 8, 4
	;; [unrolled: 5-line block ×4, first 2 shown]
	v_mul_i32_i24_e32 v178, v178, v42
	v_mul_i32_i24_e32 v250, v250, v42
	;; [unrolled: 1-line block ×4, first 2 shown]
	v_add3_u32 v38, v150, v175, v155
	v_add3_u32 v111, v111, v176, v156
	;; [unrolled: 1-line block ×8, first 2 shown]
	v_bfe_u32 v137, v137, 24, 4
	v_bfe_u32 v248, v138, 8, 4
	;; [unrolled: 1-line block ×3, first 2 shown]
	v_ashrrev_i32_e32 v138, 4, v138
	v_bfe_u32 v141, v141, 24, 4
	v_bfe_u32 v139, v142, 8, 4
	;; [unrolled: 1-line block ×3, first 2 shown]
	v_ashrrev_i32_e32 v142, 4, v142
	v_mul_i32_i24_e32 v227, v227, v29
	v_mul_i32_i24_e32 v239, v239, v29
	v_mul_i32_i24_e32 v172, v172, v29
	v_mul_i32_i24_e32 v29, v161, v29
	v_bfe_u32 v161, v121, 16, 4
	v_bfe_u32 v121, v121, 24, 4
	v_mul_i32_i24_e32 v154, v154, v113
	v_mul_i32_i24_e32 v166, v166, v113
	v_mul_i32_i24_e32 v64, v64, v113
	v_mul_i32_i24_e32 v113, v168, v113
	v_bfe_u32 v168, v133, 16, 4
	v_bfe_u32 v133, v133, 24, 4
	;; [unrolled: 6-line block ×4, first 2 shown]
	v_add3_u32 v22, v38, v179, v178
	v_add3_u32 v38, v111, v180, v250
	;; [unrolled: 1-line block ×8, first 2 shown]
	v_mul_i32_i24_e32 v228, v228, v30
	v_mul_i32_i24_e32 v240, v240, v30
	;; [unrolled: 1-line block ×4, first 2 shown]
	v_and_b32_e32 v137, 15, v96
	v_and_b32_e32 v254, 15, v97
	v_mul_i32_i24_e32 v128, v128, v62
	v_mul_i32_i24_e32 v249, v249, v62
	v_mul_i32_i24_e32 v184, v184, v62
	v_mul_i32_i24_e32 v62, v163, v62
	v_and_b32_e32 v163, 15, v138
	v_mul_i32_i24_e32 v121, v121, v104
	v_mul_i32_i24_e32 v133, v133, v104
	v_mul_i32_i24_e32 v251, v251, v104
	v_mul_i32_i24_e32 v104, v170, v104
	;; [unrolled: 5-line block ×3, first 2 shown]
	v_mul_i32_i24_e32 v37, v37, v59
	v_mul_i32_i24_e32 v185, v185, v59
	;; [unrolled: 1-line block ×4, first 2 shown]
	v_add3_u32 v22, v22, v151, v154
	v_add3_u32 v38, v38, v165, v166
	;; [unrolled: 1-line block ×8, first 2 shown]
	v_mul_i32_i24_e32 v230, v230, v33
	v_mul_i32_i24_e32 v245, v245, v33
	;; [unrolled: 1-line block ×4, first 2 shown]
	v_bfe_u32 v248, v96, 8, 4
	v_bfe_u32 v188, v97, 8, 4
	;; [unrolled: 1-line block ×3, first 2 shown]
	v_mul_i32_i24_e32 v137, v137, v103
	v_mul_i32_i24_e32 v254, v254, v103
	;; [unrolled: 1-line block ×4, first 2 shown]
	v_bfe_u32 v170, v142, 8, 4
	v_add3_u32 v22, v22, v37, v174
	v_add3_u32 v37, v38, v185, v45
	;; [unrolled: 1-line block ×8, first 2 shown]
	v_bfe_u32 v153, v96, 16, 4
	v_bfe_u32 v252, v97, 16, 4
	v_mul_i32_i24_e32 v161, v161, v106
	v_mul_i32_i24_e32 v168, v168, v106
	;; [unrolled: 1-line block ×4, first 2 shown]
	v_bfe_u32 v149, v138, 16, 4
	v_mul_i32_i24_e32 v248, v248, v102
	v_mul_i32_i24_e32 v188, v188, v102
	;; [unrolled: 1-line block ×4, first 2 shown]
	v_bfe_u32 v170, v142, 16, 4
	v_bfe_u32 v96, v96, 24, 4
	;; [unrolled: 1-line block ×5, first 2 shown]
	v_add3_u32 v22, v22, v253, v181
	v_add3_u32 v37, v37, v197, v182
	;; [unrolled: 1-line block ×8, first 2 shown]
	v_mul_i32_i24_e32 v153, v153, v100
	v_mul_i32_i24_e32 v252, v252, v100
	;; [unrolled: 1-line block ×4, first 2 shown]
	ds_load_u16 v170, v13
	v_mul_i32_i24_e32 v96, v96, v98
	v_mul_i32_i24_e32 v97, v97, v98
	;; [unrolled: 1-line block ×4, first 2 shown]
	ds_load_u8 v142, v13 offset:8
	ds_load_u8 v13, v13 offset:9
	v_add3_u32 v18, v22, v217, v125
	v_add3_u32 v22, v37, v231, v218
	;; [unrolled: 1-line block ×24, first 2 shown]
	s_waitcnt lgkmcnt(5)
	v_cvt_f32_ubyte0_e32 v143, v143
	s_waitcnt lgkmcnt(4)
	v_cvt_f32_ubyte0_e32 v144, v144
	v_cvt_f32_ubyte0_e32 v94, v94
	s_waitcnt lgkmcnt(1)
	v_cvt_f32_ubyte0_e32 v142, v142
	v_add3_u32 v6, v18, v128, v220
	v_add3_u32 v17, v22, v249, v110
	v_add3_u32 v18, v32, v184, v101
	v_add3_u32 v20, v20, v62, v99
	v_add3_u32 v22, v37, v224, v227
	v_add3_u32 v32, v38, v238, v239
	v_add3_u32 v37, v40, v171, v172
	v_add3_u32 v5, v5, v25, v29
	v_mul_i32_i24_e32 v233, v233, v35
	v_mul_i32_i24_e32 v247, v247, v35
	;; [unrolled: 1-line block ×4, first 2 shown]
	v_cvt_f32_ubyte0_e32 v95, v95
	v_fma_mix_f32 v143, v0, v143, 0 op_sel:[1,0,0] op_sel_hi:[1,0,0]
	v_cvt_f32_ubyte0_e32 v93, v93
	v_fma_mix_f32 v144, v0, v144, 0 op_sel:[1,0,0] op_sel_hi:[1,0,0]
	;; [unrolled: 2-line block ×3, first 2 shown]
	s_waitcnt lgkmcnt(0)
	v_cvt_f32_ubyte0_e32 v13, v13
	v_fma_mix_f32 v142, v0, v142, 0 op_sel:[1,0,0] op_sel_hi:[1,0,0]
	v_add3_u32 v6, v6, v160, v161
	v_add3_u32 v17, v17, v167, v168
	v_add3_u32 v18, v18, v107, v106
	v_add3_u32 v20, v20, v202, v242
	v_add3_u32 v22, v22, v228, v230
	v_add3_u32 v25, v32, v240, v245
	v_add3_u32 v29, v37, v141, v139
	v_add3_u32 v5, v5, v30, v33
	v_fma_mix_f32 v95, v1, v95, v143 op_sel:[1,0,0] op_sel_hi:[1,0,0]
	v_lshrrev_b16 v143, 8, v112
	v_and_b32_e32 v112, 0xff, v112
	v_fma_mix_f32 v93, v1, v93, v144 op_sel:[1,0,0] op_sel_hi:[1,0,0]
	v_lshrrev_b16 v144, 8, v16
	v_and_b32_e32 v16, 0xff, v16
	;; [unrolled: 3-line block ×4, first 2 shown]
	v_add3_u32 v6, v6, v121, v248
	v_add3_u32 v17, v17, v133, v188
	;; [unrolled: 1-line block ×8, first 2 shown]
	v_and_b32_e32 v143, 0xffff, v143
	v_and_b32_e32 v144, 0xffff, v144
	;; [unrolled: 1-line block ×4, first 2 shown]
	v_add3_u32 v6, v6, v153, v96
	v_add3_u32 v17, v17, v252, v97
	v_add3_u32 v18, v18, v100, v98
	v_add3_u32 v20, v20, v149, v138
	v_mul_lo_u32 v22, v22, v170
	v_mul_lo_u32 v25, v25, v112
	;; [unrolled: 1-line block ×8, first 2 shown]
	v_cvt_f32_i32_e32 v20, v22
	v_cvt_f32_i32_e32 v22, v25
	;; [unrolled: 1-line block ×8, first 2 shown]
	v_fma_mix_f32 v20, v0, v20, 0 op_sel_hi:[1,0,0]
	v_fma_mix_f32 v22, v0, v22, 0 op_sel_hi:[1,0,0]
	;; [unrolled: 1-line block ×4, first 2 shown]
	v_mul_f32_e32 v95, v95, v10
	v_mul_f32_e32 v93, v93, v11
	;; [unrolled: 1-line block ×4, first 2 shown]
	v_fma_mix_f32 v6, v1, v6, v20 op_sel_hi:[1,0,0]
	v_fma_mix_f32 v13, v1, v14, v22 op_sel_hi:[1,0,0]
	;; [unrolled: 1-line block ×4, first 2 shown]
	s_mov_b32 s22, 8
	v_fma_f32 v1, v6, v2, -v5
	v_fma_f32 v5, v13, v3, -v95
	;; [unrolled: 1-line block ×4, first 2 shown]
	s_and_b32 vcc_lo, exec_lo, s20
	v_add_f32_e32 v19, v19, v1
	s_delay_alu instid0(VALU_DEP_3) | instskip(NEXT) | instid1(VALU_DEP_3)
	v_dual_add_f32 v65, v65, v5 :: v_dual_add_f32 v58, v58, v6
	v_add_f32_e32 v4, v4, v0
	s_mov_b32 s20, 0
	s_cbranch_vccnz .LBB191_13
; %bb.14:                               ;   in Loop: Header=BB191_6 Depth=1
	s_bitset1_b32 s14, 7
	s_delay_alu instid0(SALU_CYCLE_1)
	s_cmp_ge_i32 s14, s11
	s_barrier
	buffer_gl0_inv
	s_cbranch_scc1 .LBB191_4
; %bb.15:                               ;   in Loop: Header=BB191_6 Depth=1
	scratch_load_b32 v0, off, off offset:140 ; 4-byte Folded Reload
	s_waitcnt vmcnt(0)
	v_add_nc_u32_e32 v0, s15, v0
	s_delay_alu instid0(VALU_DEP_1)
	v_cmp_gt_i32_e32 vcc_lo, s5, v0
	s_and_b32 s20, s1, vcc_lo
	s_mov_b32 s14, exec_lo
	s_clause 0x3
	scratch_load_b32 v49, off, off offset:100
	scratch_load_b32 v54, off, off offset:104
	;; [unrolled: 1-line block ×4, first 2 shown]
	s_and_b32 s20, s14, s20
	s_delay_alu instid0(SALU_CYCLE_1)
	s_mov_b32 exec_lo, s20
	s_cbranch_execz .LBB191_17
; %bb.16:                               ;   in Loop: Header=BB191_6 Depth=1
	s_clause 0x1
	scratch_load_b32 v1, off, off offset:16
	scratch_load_b64 v[5:6], off, off offset:128
	s_waitcnt vmcnt(1)
	v_add_nc_u32_e32 v2, v1, v0
	s_waitcnt vmcnt(0)
	s_delay_alu instid0(VALU_DEP_1)
	v_mad_i64_i32 v[0:1], null, v2, 36, v[5:6]
	global_load_b32 v0, v[0:1], off offset:4
	scratch_load_b32 v1, off, off offset:136 ; 4-byte Folded Reload
	s_waitcnt vmcnt(0)
	ds_store_b32 v1, v0
.LBB191_17:                             ;   in Loop: Header=BB191_6 Depth=1
	s_or_b32 exec_lo, exec_lo, s14
	s_and_saveexec_b32 s14, s0
	s_cbranch_execz .LBB191_20
; %bb.18:                               ;   in Loop: Header=BB191_6 Depth=1
	scratch_load_b32 v0, off, off offset:124 ; 4-byte Folded Reload
	s_waitcnt vmcnt(0)
	v_or_b32_e32 v0, s15, v0
	s_delay_alu instid0(VALU_DEP_1) | instskip(NEXT) | instid1(VALU_DEP_1)
	v_or_b32_e32 v1, 4, v0
	v_cmp_gt_i32_e32 vcc_lo, s5, v1
	s_and_b32 s15, s1, vcc_lo
	s_delay_alu instid0(SALU_CYCLE_1)
	s_and_b32 exec_lo, exec_lo, s15
	s_cbranch_execz .LBB191_20
; %bb.19:                               ;   in Loop: Header=BB191_6 Depth=1
	scratch_load_b32 v2, off, off offset:16 ; 4-byte Folded Reload
	v_ashrrev_i32_e32 v1, 31, v0
	s_waitcnt vmcnt(0)
	v_add_co_u32 v2, vcc_lo, v2, v0
	scratch_load_b32 v0, off, off offset:160 ; 4-byte Folded Reload
	s_waitcnt vmcnt(0)
	v_add_co_ci_u32_e32 v3, vcc_lo, v0, v1, vcc_lo
	v_mad_u64_u32 v[0:1], null, v2, 36, s[12:13]
	s_delay_alu instid0(VALU_DEP_1)
	v_mad_i32_i24 v1, v3, 36, v1
	global_load_b32 v0, v[0:1], off
	scratch_load_b32 v1, off, off offset:156 ; 4-byte Folded Reload
	s_waitcnt vmcnt(0)
	ds_store_b32 v1, v0
.LBB191_20:                             ;   in Loop: Header=BB191_6 Depth=1
	s_or_b32 exec_lo, exec_lo, s14
	s_waitcnt vmcnt(0) lgkmcnt(0)
	s_barrier
	buffer_gl0_inv
	s_clause 0x3
	scratch_load_b32 v0, off, off
	scratch_load_b32 v1, off, off offset:4
	scratch_load_b32 v2, off, off offset:8
	;; [unrolled: 1-line block ×3, first 2 shown]
	s_mov_b32 s14, 16
	s_mov_b32 s15, 0
	;; [unrolled: 1-line block ×3, first 2 shown]
	s_waitcnt vmcnt(3)
	ds_load_b32 v0, v0
	s_waitcnt vmcnt(2)
	ds_load_b32 v1, v1 offset:128
	s_waitcnt vmcnt(1)
	ds_load_b32 v2, v2 offset:256
	;; [unrolled: 2-line block ×3, first 2 shown]
	s_clause 0x2
	scratch_load_b32 v93, off, off offset:152
	scratch_load_b32 v94, off, off offset:148
	;; [unrolled: 1-line block ×3, first 2 shown]
	s_waitcnt lgkmcnt(3)
	v_cvt_f32_f16_e32 v95, v0
	v_lshrrev_b32_e32 v0, 16, v0
	s_waitcnt lgkmcnt(2)
	v_cvt_f32_f16_e32 v96, v1
	v_lshrrev_b32_e32 v1, 16, v1
	;; [unrolled: 3-line block ×3, first 2 shown]
	s_waitcnt lgkmcnt(0)
	v_lshrrev_b32_e32 v5, 16, v3
	v_cvt_f32_f16_e32 v98, v3
	v_cvt_f32_f16_e32 v99, v0
	;; [unrolled: 1-line block ×5, first 2 shown]
.LBB191_21:                             ;   Parent Loop BB191_6 Depth=1
                                        ; =>  This Inner Loop Header: Depth=2
	s_waitcnt vmcnt(2)
	ds_load_b128 v[0:3], v93
	ds_load_b128 v[7:10], v93 offset:16
	v_add_nc_u32_e32 v168, s15, v83
	s_lshr_b32 s21, s14, 2
	s_waitcnt vmcnt(0)
	v_add_nc_u32_e32 v15, 0x2108, v103
	s_and_b32 s21, s21, 0x3ffffffc
	v_add_nc_u32_e32 v18, 0x3180, v103
	v_add3_u32 v167, v86, s21, v168
	v_add_nc_u32_e32 v16, 0x2110, v103
	v_add_nc_u32_e32 v32, 0x1098, v103
	;; [unrolled: 1-line block ×3, first 2 shown]
	s_add_i32 s22, s20, 8
	s_add_i32 s20, s20, 16
	s_add_i32 s14, s14, 8
	s_add_i32 s15, s15, 2
	s_cmp_lt_u32 s20, 24
	s_mov_b32 s20, s22
	s_waitcnt lgkmcnt(1)
	v_bfe_i32 v13, v0, 0, 8
	v_bfe_i32 v11, v0, 8, 8
	v_bfe_i32 v157, v0, 16, 8
	v_ashrrev_i32_e32 v156, 24, v0
	v_bfe_i32 v12, v1, 0, 8
	v_bfe_i32 v152, v1, 8, 8
	v_bfe_i32 v148, v1, 16, 8
	v_ashrrev_i32_e32 v149, 24, v1
	;; [unrolled: 4-line block ×4, first 2 shown]
	s_waitcnt lgkmcnt(0)
	v_bfe_i32 v146, v7, 0, 8
	v_bfe_i32 v128, v7, 8, 8
	v_bfe_i32 v125, v7, 16, 8
	v_ashrrev_i32_e32 v124, 24, v7
	v_bfe_i32 v138, v8, 0, 8
	v_bfe_i32 v120, v8, 8, 8
	v_bfe_i32 v116, v8, 16, 8
	v_ashrrev_i32_e32 v117, 24, v8
	;; [unrolled: 4-line block ×4, first 2 shown]
	ds_load_b128 v[0:3], v93 offset:32
	ds_load_b128 v[7:10], v93 offset:48
	v_add_nc_u32_e32 v93, 64, v93
	s_waitcnt lgkmcnt(1)
	v_bfe_i32 v164, v0, 0, 8
	v_bfe_i32 v160, v0, 8, 8
	v_bfe_i32 v159, v0, 16, 8
	v_ashrrev_i32_e32 v158, 24, v0
	v_bfe_i32 v163, v1, 0, 8
	v_bfe_i32 v153, v1, 8, 8
	v_bfe_i32 v151, v1, 16, 8
	v_ashrrev_i32_e32 v150, 24, v1
	;; [unrolled: 4-line block ×4, first 2 shown]
	s_waitcnt lgkmcnt(0)
	v_bfe_i32 v147, v7, 0, 8
	v_bfe_i32 v129, v7, 8, 8
	v_bfe_i32 v127, v7, 16, 8
	v_ashrrev_i32_e32 v126, 24, v7
	v_bfe_i32 v139, v8, 0, 8
	v_bfe_i32 v121, v8, 8, 8
	v_bfe_i32 v119, v8, 16, 8
	v_ashrrev_i32_e32 v118, 24, v8
	;; [unrolled: 4-line block ×4, first 2 shown]
	ds_load_2addr_b32 v[2:3], v103 offset1:1
	ds_load_2addr_b32 v[0:1], v103 offset0:2 offset1:3
	ds_load_2addr_b32 v[7:8], v103 offset0:4 offset1:5
	ds_load_b64 v[9:10], v94
	ds_load_u16 v165, v167 offset:17416
	v_add_nc_u32_e32 v94, 8, v94
	s_waitcnt lgkmcnt(4)
	v_and_b32_e32 v5, 15, v2
	v_and_b32_e32 v6, 15, v3
	s_waitcnt lgkmcnt(3)
	v_and_b32_e32 v14, 15, v0
	v_ashrrev_i32_e32 v22, 4, v2
	v_ashrrev_i32_e32 v25, 4, v3
	v_mul_i32_i24_e32 v5, v5, v13
	v_ashrrev_i32_e32 v29, 4, v0
	v_mul_i32_i24_e32 v14, v14, v162
	v_and_b32_e32 v45, 15, v1
	s_delay_alu instid0(VALU_DEP_4) | instskip(SKIP_1) | instid1(VALU_DEP_3)
	v_mad_i32_i24 v5, v6, v12, v5
	v_bfe_u32 v6, v2, 8, 4
	v_mul_i32_i24_e32 v45, v45, v154
	s_delay_alu instid0(VALU_DEP_2) | instskip(NEXT) | instid1(VALU_DEP_1)
	v_mul_i32_i24_e32 v6, v6, v11
	v_add3_u32 v5, v5, v14, v6
	v_add_nc_u32_e32 v6, 0x1080, v103
	v_add_nc_u32_e32 v14, 0x2100, v103
	ds_load_2addr_b32 v[170:171], v6 offset1:1
	ds_load_2addr_b32 v[172:173], v14 offset1:1
	v_add3_u32 v14, v85, s21, v168
	ds_load_2addr_b32 v[174:175], v15 offset1:1
	ds_load_2addr_b32 v[15:16], v16 offset1:1
	ds_load_u16 v166, v14 offset:17928
	ds_load_2addr_b32 v[176:177], v18 offset1:1
	v_add3_u32 v18, v84, s21, v168
	ds_load_u16 v169, v18 offset:18440
	s_waitcnt lgkmcnt(6)
	v_and_b32_e32 v6, 15, v170
	s_waitcnt lgkmcnt(5)
	v_and_b32_e32 v17, 15, v172
	v_ashrrev_i32_e32 v40, 4, v171
	v_ashrrev_i32_e32 v34, 4, v172
	v_mul_i32_i24_e32 v6, v6, v13
	s_waitcnt lgkmcnt(1)
	v_and_b32_e32 v20, 15, v176
	v_mul_i32_i24_e32 v17, v17, v13
	v_and_b32_e32 v41, 15, v40
	v_and_b32_e32 v35, 15, v34
	v_ashrrev_i32_e32 v37, 4, v176
	v_mul_i32_i24_e32 v13, v20, v13
	v_and_b32_e32 v20, 15, v171
	s_delay_alu instid0(VALU_DEP_4) | instskip(NEXT) | instid1(VALU_DEP_4)
	v_mul_i32_i24_e32 v35, v35, v164
	v_and_b32_e32 v38, 15, v37
	s_delay_alu instid0(VALU_DEP_3) | instskip(SKIP_1) | instid1(VALU_DEP_3)
	v_mad_i32_i24 v6, v20, v12, v6
	v_and_b32_e32 v20, 15, v173
	v_mul_i32_i24_e32 v38, v38, v164
	s_delay_alu instid0(VALU_DEP_2) | instskip(SKIP_1) | instid1(VALU_DEP_1)
	v_mad_i32_i24 v17, v20, v12, v17
	v_and_b32_e32 v20, 15, v177
	v_mad_i32_i24 v20, v20, v12, v13
	v_bfe_u32 v12, v2, 16, 4
	v_bfe_u32 v13, v2, 24, 4
	v_and_b32_e32 v2, 15, v22
	s_delay_alu instid0(VALU_DEP_3) | instskip(NEXT) | instid1(VALU_DEP_3)
	v_mul_i32_i24_e32 v12, v12, v157
	v_mul_i32_i24_e32 v13, v13, v156
	s_delay_alu instid0(VALU_DEP_3) | instskip(NEXT) | instid1(VALU_DEP_2)
	v_mul_i32_i24_e32 v2, v2, v164
	v_add3_u32 v5, v5, v12, v13
	v_and_b32_e32 v12, 15, v25
	v_and_b32_e32 v13, 15, v29
	s_delay_alu instid0(VALU_DEP_2) | instskip(SKIP_1) | instid1(VALU_DEP_3)
	v_mad_i32_i24 v2, v12, v163, v2
	v_bfe_u32 v12, v22, 8, 4
	v_mul_i32_i24_e32 v13, v13, v161
	s_delay_alu instid0(VALU_DEP_2) | instskip(NEXT) | instid1(VALU_DEP_1)
	v_mul_i32_i24_e32 v12, v12, v160
	v_add3_u32 v30, v2, v13, v12
	v_add_nc_u32_e32 v13, 0x1088, v103
	ds_load_u16 v2, v14 offset:17920
	v_add_nc_u32_e32 v14, 0x1090, v103
	ds_load_2addr_b32 v[178:179], v13 offset1:1
	ds_load_2addr_b32 v[180:181], v14 offset1:1
	;; [unrolled: 1-line block ×3, first 2 shown]
	v_bfe_u32 v12, v170, 8, 4
	s_delay_alu instid0(VALU_DEP_1) | instskip(SKIP_2) | instid1(VALU_DEP_1)
	v_mul_i32_i24_e32 v12, v12, v11
	s_waitcnt lgkmcnt(2)
	v_and_b32_e32 v32, 15, v178
	v_mul_i32_i24_e32 v32, v32, v162
	s_delay_alu instid0(VALU_DEP_1) | instskip(SKIP_2) | instid1(VALU_DEP_2)
	v_add3_u32 v6, v6, v32, v12
	v_bfe_u32 v12, v172, 8, 4
	v_and_b32_e32 v32, 15, v174
	v_mul_i32_i24_e32 v12, v12, v11
	s_delay_alu instid0(VALU_DEP_2) | instskip(NEXT) | instid1(VALU_DEP_1)
	v_mul_i32_i24_e32 v32, v32, v162
	v_add3_u32 v17, v17, v32, v12
	v_bfe_u32 v12, v176, 8, 4
	s_delay_alu instid0(VALU_DEP_1)
	v_mul_i32_i24_e32 v32, v12, v11
	v_add_nc_u32_e32 v11, 0x3188, v103
	v_add_nc_u32_e32 v12, 0x3190, v103
	ds_load_2addr_b32 v[182:183], v11 offset1:1
	ds_load_2addr_b32 v[184:185], v12 offset1:1
	ds_load_2addr_b32 v[11:12], v33 offset1:1
	ds_load_u16 v18, v18 offset:18432
	s_waitcnt lgkmcnt(3)
	v_and_b32_e32 v33, 15, v182
	s_delay_alu instid0(VALU_DEP_1) | instskip(NEXT) | instid1(VALU_DEP_1)
	v_mul_i32_i24_e32 v33, v33, v162
	v_add3_u32 v20, v20, v33, v32
	v_ashrrev_i32_e32 v32, 4, v170
	s_delay_alu instid0(VALU_DEP_1) | instskip(NEXT) | instid1(VALU_DEP_1)
	v_and_b32_e32 v33, 15, v32
	v_mul_i32_i24_e32 v33, v33, v164
	s_delay_alu instid0(VALU_DEP_1) | instskip(SKIP_1) | instid1(VALU_DEP_1)
	v_mad_i32_i24 v33, v41, v163, v33
	v_ashrrev_i32_e32 v41, 4, v173
	v_and_b32_e32 v42, 15, v41
	s_delay_alu instid0(VALU_DEP_1) | instskip(SKIP_1) | instid1(VALU_DEP_1)
	v_mad_i32_i24 v35, v42, v163, v35
	v_ashrrev_i32_e32 v42, 4, v177
	v_and_b32_e32 v44, 15, v42
	s_delay_alu instid0(VALU_DEP_1) | instskip(SKIP_1) | instid1(VALU_DEP_1)
	v_mad_i32_i24 v38, v44, v163, v38
	v_bfe_u32 v44, v3, 8, 4
	v_mul_i32_i24_e32 v44, v44, v152
	s_delay_alu instid0(VALU_DEP_1) | instskip(SKIP_2) | instid1(VALU_DEP_2)
	v_add3_u32 v5, v5, v45, v44
	v_bfe_u32 v44, v22, 16, 4
	v_bfe_u32 v22, v22, 24, 4
	v_mul_i32_i24_e32 v44, v44, v159
	s_delay_alu instid0(VALU_DEP_2) | instskip(NEXT) | instid1(VALU_DEP_1)
	v_mul_i32_i24_e32 v22, v22, v158
	v_add3_u32 v22, v30, v44, v22
	v_bfe_u32 v30, v170, 16, 4
	v_bfe_u32 v44, v170, 24, 4
	s_delay_alu instid0(VALU_DEP_2) | instskip(NEXT) | instid1(VALU_DEP_2)
	v_mul_i32_i24_e32 v30, v30, v157
	v_mul_i32_i24_e32 v44, v44, v156
	s_delay_alu instid0(VALU_DEP_1) | instskip(SKIP_2) | instid1(VALU_DEP_2)
	v_add3_u32 v6, v6, v30, v44
	v_ashrrev_i32_e32 v44, 4, v178
	v_bfe_u32 v30, v32, 8, 4
	v_and_b32_e32 v45, 15, v44
	s_delay_alu instid0(VALU_DEP_2) | instskip(NEXT) | instid1(VALU_DEP_2)
	v_mul_i32_i24_e32 v30, v30, v160
	v_mul_i32_i24_e32 v45, v45, v161
	s_delay_alu instid0(VALU_DEP_1) | instskip(SKIP_2) | instid1(VALU_DEP_2)
	v_add3_u32 v30, v33, v45, v30
	v_bfe_u32 v33, v172, 16, 4
	v_bfe_u32 v45, v172, 24, 4
	v_mul_i32_i24_e32 v33, v33, v157
	s_delay_alu instid0(VALU_DEP_2) | instskip(NEXT) | instid1(VALU_DEP_1)
	v_mul_i32_i24_e32 v45, v45, v156
	v_add3_u32 v17, v17, v33, v45
	v_ashrrev_i32_e32 v45, 4, v174
	v_bfe_u32 v33, v34, 8, 4
	s_delay_alu instid0(VALU_DEP_2) | instskip(NEXT) | instid1(VALU_DEP_2)
	v_and_b32_e32 v46, 15, v45
	v_mul_i32_i24_e32 v33, v33, v160
	s_delay_alu instid0(VALU_DEP_2) | instskip(NEXT) | instid1(VALU_DEP_1)
	v_mul_i32_i24_e32 v46, v46, v161
	v_add3_u32 v33, v35, v46, v33
	v_bfe_u32 v35, v176, 16, 4
	v_bfe_u32 v46, v176, 24, 4
	s_delay_alu instid0(VALU_DEP_2) | instskip(NEXT) | instid1(VALU_DEP_2)
	v_mul_i32_i24_e32 v35, v35, v157
	v_mul_i32_i24_e32 v46, v46, v156
	s_delay_alu instid0(VALU_DEP_1) | instskip(SKIP_2) | instid1(VALU_DEP_2)
	v_add3_u32 v20, v20, v35, v46
	v_ashrrev_i32_e32 v46, 4, v182
	v_bfe_u32 v35, v37, 8, 4
	v_and_b32_e32 v47, 15, v46
	s_delay_alu instid0(VALU_DEP_2) | instskip(NEXT) | instid1(VALU_DEP_2)
	v_mul_i32_i24_e32 v35, v35, v160
	v_mul_i32_i24_e32 v47, v47, v161
	s_delay_alu instid0(VALU_DEP_1) | instskip(SKIP_2) | instid1(VALU_DEP_2)
	v_add3_u32 v35, v38, v47, v35
	v_bfe_u32 v38, v3, 16, 4
	v_bfe_u32 v3, v3, 24, 4
	v_mul_i32_i24_e32 v38, v38, v148
	s_delay_alu instid0(VALU_DEP_2) | instskip(NEXT) | instid1(VALU_DEP_1)
	v_mul_i32_i24_e32 v3, v3, v149
	v_add3_u32 v3, v5, v38, v3
	v_ashrrev_i32_e32 v38, 4, v1
	v_bfe_u32 v5, v25, 8, 4
	s_delay_alu instid0(VALU_DEP_2) | instskip(NEXT) | instid1(VALU_DEP_2)
	v_and_b32_e32 v47, 15, v38
	v_mul_i32_i24_e32 v5, v5, v153
	s_delay_alu instid0(VALU_DEP_2) | instskip(NEXT) | instid1(VALU_DEP_1)
	v_mul_i32_i24_e32 v47, v47, v155
	v_add3_u32 v5, v22, v47, v5
	v_bfe_u32 v22, v171, 8, 4
	v_and_b32_e32 v47, 15, v179
	s_delay_alu instid0(VALU_DEP_2) | instskip(NEXT) | instid1(VALU_DEP_2)
	v_mul_i32_i24_e32 v22, v22, v152
	v_mul_i32_i24_e32 v47, v47, v154
	s_delay_alu instid0(VALU_DEP_1) | instskip(SKIP_2) | instid1(VALU_DEP_2)
	v_add3_u32 v6, v6, v47, v22
	v_bfe_u32 v22, v32, 16, 4
	v_bfe_u32 v32, v32, 24, 4
	v_mul_i32_i24_e32 v22, v22, v159
	s_delay_alu instid0(VALU_DEP_2) | instskip(NEXT) | instid1(VALU_DEP_1)
	v_mul_i32_i24_e32 v32, v32, v158
	v_add3_u32 v22, v30, v22, v32
	v_bfe_u32 v30, v173, 8, 4
	v_and_b32_e32 v32, 15, v175
	s_delay_alu instid0(VALU_DEP_2) | instskip(NEXT) | instid1(VALU_DEP_2)
	v_mul_i32_i24_e32 v30, v30, v152
	v_mul_i32_i24_e32 v32, v32, v154
	s_delay_alu instid0(VALU_DEP_1) | instskip(SKIP_3) | instid1(VALU_DEP_3)
	v_add3_u32 v17, v17, v32, v30
	v_bfe_u32 v30, v34, 16, 4
	v_bfe_u32 v32, v34, 24, 4
	v_and_b32_e32 v34, 15, v7
	v_mul_i32_i24_e32 v30, v30, v159
	s_delay_alu instid0(VALU_DEP_3) | instskip(NEXT) | instid1(VALU_DEP_3)
	v_mul_i32_i24_e32 v32, v32, v158
	v_mul_i32_i24_e32 v34, v34, v146
	s_delay_alu instid0(VALU_DEP_2) | instskip(SKIP_2) | instid1(VALU_DEP_2)
	v_add3_u32 v30, v33, v30, v32
	v_bfe_u32 v32, v177, 8, 4
	v_and_b32_e32 v33, 15, v183
	v_mul_i32_i24_e32 v32, v32, v152
	s_delay_alu instid0(VALU_DEP_2) | instskip(NEXT) | instid1(VALU_DEP_1)
	v_mul_i32_i24_e32 v33, v33, v154
	v_add3_u32 v20, v20, v33, v32
	v_bfe_u32 v32, v37, 16, 4
	v_bfe_u32 v33, v37, 24, 4
	s_delay_alu instid0(VALU_DEP_2) | instskip(NEXT) | instid1(VALU_DEP_2)
	v_mul_i32_i24_e32 v32, v32, v159
	v_mul_i32_i24_e32 v33, v33, v158
	s_delay_alu instid0(VALU_DEP_1) | instskip(SKIP_1) | instid1(VALU_DEP_1)
	v_add3_u32 v32, v35, v32, v33
	v_bfe_u32 v33, v0, 8, 4
	v_mul_i32_i24_e32 v33, v33, v144
	s_delay_alu instid0(VALU_DEP_1) | instskip(SKIP_2) | instid1(VALU_DEP_2)
	v_add3_u32 v3, v3, v34, v33
	v_bfe_u32 v33, v25, 16, 4
	v_bfe_u32 v25, v25, 24, 4
	v_mul_i32_i24_e32 v33, v33, v151
	s_delay_alu instid0(VALU_DEP_2) | instskip(NEXT) | instid1(VALU_DEP_1)
	v_mul_i32_i24_e32 v25, v25, v150
	v_add3_u32 v5, v5, v33, v25
	v_bfe_u32 v25, v171, 16, 4
	v_bfe_u32 v33, v171, 24, 4
	s_delay_alu instid0(VALU_DEP_2) | instskip(NEXT) | instid1(VALU_DEP_2)
	v_mul_i32_i24_e32 v25, v25, v148
	v_mul_i32_i24_e32 v33, v33, v149
	s_delay_alu instid0(VALU_DEP_1) | instskip(SKIP_2) | instid1(VALU_DEP_2)
	v_add3_u32 v6, v6, v25, v33
	v_ashrrev_i32_e32 v33, 4, v179
	v_bfe_u32 v25, v40, 8, 4
	v_and_b32_e32 v34, 15, v33
	s_delay_alu instid0(VALU_DEP_2) | instskip(NEXT) | instid1(VALU_DEP_2)
	v_mul_i32_i24_e32 v25, v25, v153
	v_mul_i32_i24_e32 v34, v34, v155
	s_delay_alu instid0(VALU_DEP_1) | instskip(SKIP_2) | instid1(VALU_DEP_2)
	v_add3_u32 v22, v22, v34, v25
	v_bfe_u32 v25, v173, 16, 4
	v_bfe_u32 v34, v173, 24, 4
	v_mul_i32_i24_e32 v25, v25, v148
	s_delay_alu instid0(VALU_DEP_2) | instskip(NEXT) | instid1(VALU_DEP_1)
	v_mul_i32_i24_e32 v34, v34, v149
	v_add3_u32 v17, v17, v25, v34
	v_ashrrev_i32_e32 v34, 4, v175
	v_bfe_u32 v25, v41, 8, 4
	s_delay_alu instid0(VALU_DEP_2) | instskip(NEXT) | instid1(VALU_DEP_2)
	v_and_b32_e32 v35, 15, v34
	v_mul_i32_i24_e32 v25, v25, v153
	s_delay_alu instid0(VALU_DEP_2) | instskip(NEXT) | instid1(VALU_DEP_1)
	v_mul_i32_i24_e32 v35, v35, v155
	v_add3_u32 v25, v30, v35, v25
	v_bfe_u32 v30, v177, 16, 4
	v_bfe_u32 v35, v177, 24, 4
	s_delay_alu instid0(VALU_DEP_2) | instskip(NEXT) | instid1(VALU_DEP_2)
	v_mul_i32_i24_e32 v30, v30, v148
	v_mul_i32_i24_e32 v35, v35, v149
	s_delay_alu instid0(VALU_DEP_1) | instskip(SKIP_2) | instid1(VALU_DEP_2)
	v_add3_u32 v20, v20, v30, v35
	v_ashrrev_i32_e32 v35, 4, v183
	v_bfe_u32 v30, v42, 8, 4
	v_and_b32_e32 v37, 15, v35
	s_delay_alu instid0(VALU_DEP_2) | instskip(NEXT) | instid1(VALU_DEP_2)
	v_mul_i32_i24_e32 v30, v30, v153
	v_mul_i32_i24_e32 v37, v37, v155
	s_delay_alu instid0(VALU_DEP_1) | instskip(SKIP_2) | instid1(VALU_DEP_2)
	v_add3_u32 v30, v32, v37, v30
	v_bfe_u32 v32, v0, 16, 4
	v_bfe_u32 v0, v0, 24, 4
	v_mul_i32_i24_e32 v32, v32, v141
	s_delay_alu instid0(VALU_DEP_2) | instskip(NEXT) | instid1(VALU_DEP_1)
	v_mul_i32_i24_e32 v0, v0, v140
	v_add3_u32 v0, v3, v32, v0
	v_ashrrev_i32_e32 v32, 4, v7
	v_bfe_u32 v3, v29, 8, 4
	s_delay_alu instid0(VALU_DEP_2) | instskip(NEXT) | instid1(VALU_DEP_2)
	v_and_b32_e32 v37, 15, v32
	v_mul_i32_i24_e32 v3, v3, v145
	s_delay_alu instid0(VALU_DEP_2) | instskip(NEXT) | instid1(VALU_DEP_1)
	v_mul_i32_i24_e32 v37, v37, v147
	v_add3_u32 v3, v5, v37, v3
	v_bfe_u32 v5, v178, 8, 4
	v_and_b32_e32 v37, 15, v180
	s_delay_alu instid0(VALU_DEP_2) | instskip(NEXT) | instid1(VALU_DEP_2)
	v_mul_i32_i24_e32 v5, v5, v144
	v_mul_i32_i24_e32 v37, v37, v146
	s_delay_alu instid0(VALU_DEP_1) | instskip(SKIP_2) | instid1(VALU_DEP_2)
	v_add3_u32 v5, v6, v37, v5
	v_bfe_u32 v6, v40, 16, 4
	v_bfe_u32 v37, v40, 24, 4
	v_mul_i32_i24_e32 v6, v6, v151
	s_delay_alu instid0(VALU_DEP_2) | instskip(NEXT) | instid1(VALU_DEP_1)
	v_mul_i32_i24_e32 v37, v37, v150
	v_add3_u32 v6, v22, v6, v37
	v_bfe_u32 v22, v174, 8, 4
	v_and_b32_e32 v37, 15, v15
	s_delay_alu instid0(VALU_DEP_2) | instskip(NEXT) | instid1(VALU_DEP_2)
	v_mul_i32_i24_e32 v22, v22, v144
	v_mul_i32_i24_e32 v37, v37, v146
	s_delay_alu instid0(VALU_DEP_1) | instskip(SKIP_2) | instid1(VALU_DEP_2)
	v_add3_u32 v17, v17, v37, v22
	v_bfe_u32 v22, v41, 16, 4
	v_bfe_u32 v37, v41, 24, 4
	v_mul_i32_i24_e32 v22, v22, v151
	s_delay_alu instid0(VALU_DEP_2) | instskip(NEXT) | instid1(VALU_DEP_1)
	v_mul_i32_i24_e32 v37, v37, v150
	v_add3_u32 v22, v25, v22, v37
	v_bfe_u32 v25, v182, 8, 4
	s_waitcnt lgkmcnt(2)
	v_and_b32_e32 v37, 15, v184
	s_delay_alu instid0(VALU_DEP_2) | instskip(NEXT) | instid1(VALU_DEP_2)
	v_mul_i32_i24_e32 v25, v25, v144
	v_mul_i32_i24_e32 v37, v37, v146
	s_delay_alu instid0(VALU_DEP_1) | instskip(SKIP_2) | instid1(VALU_DEP_2)
	v_add3_u32 v20, v20, v37, v25
	v_bfe_u32 v25, v42, 16, 4
	v_bfe_u32 v37, v42, 24, 4
	v_mul_i32_i24_e32 v25, v25, v151
	s_delay_alu instid0(VALU_DEP_2) | instskip(NEXT) | instid1(VALU_DEP_1)
	v_mul_i32_i24_e32 v37, v37, v150
	v_add3_u32 v25, v30, v25, v37
	v_bfe_u32 v30, v1, 8, 4
	v_and_b32_e32 v37, 15, v8
	s_delay_alu instid0(VALU_DEP_2) | instskip(NEXT) | instid1(VALU_DEP_2)
	v_mul_i32_i24_e32 v30, v30, v136
	v_mul_i32_i24_e32 v37, v37, v138
	s_delay_alu instid0(VALU_DEP_1) | instskip(SKIP_2) | instid1(VALU_DEP_2)
	v_add3_u32 v0, v0, v37, v30
	v_bfe_u32 v30, v29, 16, 4
	v_bfe_u32 v29, v29, 24, 4
	v_mul_i32_i24_e32 v30, v30, v143
	s_delay_alu instid0(VALU_DEP_2) | instskip(NEXT) | instid1(VALU_DEP_1)
	v_mul_i32_i24_e32 v29, v29, v142
	v_add3_u32 v3, v3, v30, v29
	v_bfe_u32 v29, v178, 16, 4
	v_bfe_u32 v30, v178, 24, 4
	s_delay_alu instid0(VALU_DEP_2) | instskip(NEXT) | instid1(VALU_DEP_2)
	v_mul_i32_i24_e32 v29, v29, v141
	v_mul_i32_i24_e32 v30, v30, v140
	s_delay_alu instid0(VALU_DEP_1) | instskip(SKIP_2) | instid1(VALU_DEP_2)
	v_add3_u32 v5, v5, v29, v30
	v_ashrrev_i32_e32 v30, 4, v180
	v_bfe_u32 v29, v44, 8, 4
	v_and_b32_e32 v37, 15, v30
	s_delay_alu instid0(VALU_DEP_2) | instskip(NEXT) | instid1(VALU_DEP_2)
	v_mul_i32_i24_e32 v29, v29, v145
	v_mul_i32_i24_e32 v37, v37, v147
	s_delay_alu instid0(VALU_DEP_1) | instskip(SKIP_2) | instid1(VALU_DEP_2)
	v_add3_u32 v6, v6, v37, v29
	v_bfe_u32 v29, v174, 16, 4
	v_bfe_u32 v37, v174, 24, 4
	v_mul_i32_i24_e32 v29, v29, v141
	s_delay_alu instid0(VALU_DEP_2) | instskip(NEXT) | instid1(VALU_DEP_1)
	v_mul_i32_i24_e32 v37, v37, v140
	v_add3_u32 v17, v17, v29, v37
	v_ashrrev_i32_e32 v37, 4, v15
	v_bfe_u32 v29, v45, 8, 4
	s_delay_alu instid0(VALU_DEP_2) | instskip(NEXT) | instid1(VALU_DEP_2)
	v_and_b32_e32 v40, 15, v37
	v_mul_i32_i24_e32 v29, v29, v145
	s_delay_alu instid0(VALU_DEP_2) | instskip(NEXT) | instid1(VALU_DEP_1)
	v_mul_i32_i24_e32 v40, v40, v147
	v_add3_u32 v22, v22, v40, v29
	v_bfe_u32 v29, v182, 16, 4
	v_bfe_u32 v40, v182, 24, 4
	s_delay_alu instid0(VALU_DEP_2) | instskip(NEXT) | instid1(VALU_DEP_2)
	v_mul_i32_i24_e32 v29, v29, v141
	v_mul_i32_i24_e32 v40, v40, v140
	s_delay_alu instid0(VALU_DEP_1) | instskip(SKIP_2) | instid1(VALU_DEP_2)
	v_add3_u32 v20, v20, v29, v40
	v_ashrrev_i32_e32 v40, 4, v184
	v_bfe_u32 v29, v46, 8, 4
	v_and_b32_e32 v41, 15, v40
	s_delay_alu instid0(VALU_DEP_2) | instskip(NEXT) | instid1(VALU_DEP_2)
	v_mul_i32_i24_e32 v29, v29, v145
	v_mul_i32_i24_e32 v41, v41, v147
	s_delay_alu instid0(VALU_DEP_1) | instskip(SKIP_3) | instid1(VALU_DEP_3)
	v_add3_u32 v25, v25, v41, v29
	v_bfe_u32 v29, v1, 16, 4
	v_bfe_u32 v1, v1, 24, 4
	v_ashrrev_i32_e32 v41, 4, v8
	v_mul_i32_i24_e32 v29, v29, v134
	s_delay_alu instid0(VALU_DEP_3) | instskip(NEXT) | instid1(VALU_DEP_1)
	v_mul_i32_i24_e32 v1, v1, v135
	v_add3_u32 v29, v0, v29, v1
	v_bfe_u32 v0, v38, 8, 4
	v_and_b32_e32 v1, 15, v41
	s_delay_alu instid0(VALU_DEP_2) | instskip(NEXT) | instid1(VALU_DEP_2)
	v_mul_i32_i24_e32 v0, v0, v137
	v_mul_i32_i24_e32 v1, v1, v139
	s_delay_alu instid0(VALU_DEP_1) | instskip(SKIP_2) | instid1(VALU_DEP_2)
	v_add3_u32 v3, v3, v1, v0
	v_bfe_u32 v0, v179, 8, 4
	v_and_b32_e32 v1, 15, v181
	v_mul_i32_i24_e32 v0, v0, v136
	s_delay_alu instid0(VALU_DEP_2) | instskip(NEXT) | instid1(VALU_DEP_1)
	v_mul_i32_i24_e32 v1, v1, v138
	v_add3_u32 v5, v5, v1, v0
	v_bfe_u32 v0, v44, 16, 4
	v_bfe_u32 v1, v44, 24, 4
	s_delay_alu instid0(VALU_DEP_2) | instskip(NEXT) | instid1(VALU_DEP_2)
	v_mul_i32_i24_e32 v0, v0, v143
	v_mul_i32_i24_e32 v1, v1, v142
	s_delay_alu instid0(VALU_DEP_1) | instskip(SKIP_2) | instid1(VALU_DEP_2)
	v_add3_u32 v6, v6, v0, v1
	v_bfe_u32 v0, v175, 8, 4
	v_and_b32_e32 v1, 15, v16
	v_mul_i32_i24_e32 v0, v0, v136
	s_delay_alu instid0(VALU_DEP_2) | instskip(NEXT) | instid1(VALU_DEP_1)
	v_mul_i32_i24_e32 v1, v1, v138
	v_add3_u32 v17, v17, v1, v0
	v_bfe_u32 v0, v45, 16, 4
	v_bfe_u32 v1, v45, 24, 4
	;; [unrolled: 13-line block ×3, first 2 shown]
	s_delay_alu instid0(VALU_DEP_2) | instskip(NEXT) | instid1(VALU_DEP_2)
	v_mul_i32_i24_e32 v0, v0, v143
	v_mul_i32_i24_e32 v1, v1, v142
	s_delay_alu instid0(VALU_DEP_1) | instskip(SKIP_1) | instid1(VALU_DEP_1)
	v_add3_u32 v25, v25, v0, v1
	v_bfe_u32 v0, v7, 8, 4
	v_mul_i32_i24_e32 v42, v0, v128
	ds_load_2addr_b32 v[0:1], v103 offset0:6 offset1:7
	s_waitcnt lgkmcnt(0)
	v_and_b32_e32 v44, 15, v0
	s_delay_alu instid0(VALU_DEP_1) | instskip(NEXT) | instid1(VALU_DEP_1)
	v_mul_i32_i24_e32 v44, v44, v130
	v_add3_u32 v29, v29, v44, v42
	v_bfe_u32 v42, v38, 16, 4
	v_bfe_u32 v38, v38, 24, 4
	s_delay_alu instid0(VALU_DEP_2) | instskip(NEXT) | instid1(VALU_DEP_2)
	v_mul_i32_i24_e32 v42, v42, v133
	v_mul_i32_i24_e32 v38, v38, v132
	s_delay_alu instid0(VALU_DEP_1) | instskip(SKIP_2) | instid1(VALU_DEP_2)
	v_add3_u32 v3, v3, v42, v38
	v_bfe_u32 v38, v179, 16, 4
	v_bfe_u32 v42, v179, 24, 4
	v_mul_i32_i24_e32 v38, v38, v134
	s_delay_alu instid0(VALU_DEP_2) | instskip(NEXT) | instid1(VALU_DEP_1)
	v_mul_i32_i24_e32 v42, v42, v135
	v_add3_u32 v5, v5, v38, v42
	v_ashrrev_i32_e32 v42, 4, v181
	v_bfe_u32 v38, v33, 8, 4
	s_delay_alu instid0(VALU_DEP_2) | instskip(NEXT) | instid1(VALU_DEP_2)
	v_and_b32_e32 v44, 15, v42
	v_mul_i32_i24_e32 v38, v38, v137
	s_delay_alu instid0(VALU_DEP_2) | instskip(NEXT) | instid1(VALU_DEP_1)
	v_mul_i32_i24_e32 v44, v44, v139
	v_add3_u32 v6, v6, v44, v38
	v_bfe_u32 v38, v175, 16, 4
	v_bfe_u32 v44, v175, 24, 4
	s_delay_alu instid0(VALU_DEP_2) | instskip(NEXT) | instid1(VALU_DEP_2)
	v_mul_i32_i24_e32 v38, v38, v134
	v_mul_i32_i24_e32 v44, v44, v135
	s_delay_alu instid0(VALU_DEP_1) | instskip(SKIP_2) | instid1(VALU_DEP_2)
	v_add3_u32 v17, v17, v38, v44
	v_ashrrev_i32_e32 v44, 4, v16
	v_bfe_u32 v38, v34, 8, 4
	v_and_b32_e32 v45, 15, v44
	s_delay_alu instid0(VALU_DEP_2) | instskip(NEXT) | instid1(VALU_DEP_2)
	v_mul_i32_i24_e32 v38, v38, v137
	v_mul_i32_i24_e32 v45, v45, v139
	s_delay_alu instid0(VALU_DEP_1) | instskip(SKIP_2) | instid1(VALU_DEP_2)
	v_add3_u32 v22, v22, v45, v38
	v_bfe_u32 v38, v183, 16, 4
	v_bfe_u32 v45, v183, 24, 4
	v_mul_i32_i24_e32 v38, v38, v134
	s_delay_alu instid0(VALU_DEP_2) | instskip(NEXT) | instid1(VALU_DEP_1)
	v_mul_i32_i24_e32 v45, v45, v135
	v_add3_u32 v20, v20, v38, v45
	v_ashrrev_i32_e32 v45, 4, v185
	v_bfe_u32 v38, v35, 8, 4
	s_delay_alu instid0(VALU_DEP_2) | instskip(NEXT) | instid1(VALU_DEP_2)
	v_and_b32_e32 v46, 15, v45
	v_mul_i32_i24_e32 v38, v38, v137
	s_delay_alu instid0(VALU_DEP_2) | instskip(NEXT) | instid1(VALU_DEP_1)
	v_mul_i32_i24_e32 v46, v46, v139
	v_add3_u32 v25, v25, v46, v38
	v_bfe_u32 v38, v7, 16, 4
	v_bfe_u32 v7, v7, 24, 4
	s_delay_alu instid0(VALU_DEP_2) | instskip(NEXT) | instid1(VALU_DEP_2)
	v_mul_i32_i24_e32 v38, v38, v125
	v_mul_i32_i24_e32 v7, v7, v124
	s_delay_alu instid0(VALU_DEP_1) | instskip(SKIP_2) | instid1(VALU_DEP_2)
	v_add3_u32 v7, v29, v38, v7
	v_ashrrev_i32_e32 v38, 4, v0
	v_bfe_u32 v29, v32, 8, 4
	v_and_b32_e32 v46, 15, v38
	s_delay_alu instid0(VALU_DEP_2) | instskip(NEXT) | instid1(VALU_DEP_2)
	v_mul_i32_i24_e32 v29, v29, v129
	v_mul_i32_i24_e32 v46, v46, v131
	s_delay_alu instid0(VALU_DEP_1) | instskip(SKIP_2) | instid1(VALU_DEP_2)
	v_add3_u32 v3, v3, v46, v29
	v_bfe_u32 v29, v180, 8, 4
	v_and_b32_e32 v46, 15, v13
	v_mul_i32_i24_e32 v29, v29, v128
	s_delay_alu instid0(VALU_DEP_2) | instskip(NEXT) | instid1(VALU_DEP_1)
	v_mul_i32_i24_e32 v46, v46, v130
	v_add3_u32 v5, v5, v46, v29
	v_bfe_u32 v29, v33, 16, 4
	v_bfe_u32 v33, v33, 24, 4
	s_delay_alu instid0(VALU_DEP_2) | instskip(NEXT) | instid1(VALU_DEP_2)
	v_mul_i32_i24_e32 v29, v29, v133
	v_mul_i32_i24_e32 v33, v33, v132
	s_delay_alu instid0(VALU_DEP_1)
	v_add3_u32 v6, v6, v29, v33
	v_add_nc_u32_e32 v33, 0x2118, v103
	v_bfe_u32 v29, v15, 8, 4
	v_add_nc_u32_e32 v103, 32, v103
	ds_load_2addr_b32 v[134:135], v33 offset1:1
	v_mul_i32_i24_e32 v29, v29, v128
	s_waitcnt lgkmcnt(0)
	v_and_b32_e32 v33, 15, v134
	s_delay_alu instid0(VALU_DEP_1) | instskip(NEXT) | instid1(VALU_DEP_1)
	v_mul_i32_i24_e32 v33, v33, v130
	v_add3_u32 v17, v17, v33, v29
	v_bfe_u32 v29, v34, 16, 4
	v_bfe_u32 v33, v34, 24, 4
	s_delay_alu instid0(VALU_DEP_2) | instskip(NEXT) | instid1(VALU_DEP_2)
	v_mul_i32_i24_e32 v29, v29, v133
	v_mul_i32_i24_e32 v33, v33, v132
	s_delay_alu instid0(VALU_DEP_1) | instskip(SKIP_2) | instid1(VALU_DEP_2)
	v_add3_u32 v22, v22, v29, v33
	v_bfe_u32 v29, v184, 8, 4
	v_and_b32_e32 v33, 15, v11
	v_mul_i32_i24_e32 v29, v29, v128
	s_delay_alu instid0(VALU_DEP_2) | instskip(NEXT) | instid1(VALU_DEP_1)
	v_mul_i32_i24_e32 v33, v33, v130
	v_add3_u32 v20, v20, v33, v29
	v_bfe_u32 v29, v35, 16, 4
	v_bfe_u32 v33, v35, 24, 4
	s_delay_alu instid0(VALU_DEP_2) | instskip(NEXT) | instid1(VALU_DEP_2)
	v_mul_i32_i24_e32 v29, v29, v133
	v_mul_i32_i24_e32 v33, v33, v132
	s_delay_alu instid0(VALU_DEP_1) | instskip(SKIP_2) | instid1(VALU_DEP_2)
	v_add3_u32 v25, v25, v29, v33
	v_bfe_u32 v29, v8, 8, 4
	v_and_b32_e32 v33, 15, v1
	v_mul_i32_i24_e32 v29, v29, v120
	s_delay_alu instid0(VALU_DEP_2) | instskip(NEXT) | instid1(VALU_DEP_1)
	v_mul_i32_i24_e32 v33, v33, v122
	v_add3_u32 v7, v7, v33, v29
	v_bfe_u32 v29, v32, 16, 4
	v_bfe_u32 v32, v32, 24, 4
	s_delay_alu instid0(VALU_DEP_2) | instskip(NEXT) | instid1(VALU_DEP_2)
	v_mul_i32_i24_e32 v29, v29, v127
	v_mul_i32_i24_e32 v32, v32, v126
	s_delay_alu instid0(VALU_DEP_1) | instskip(SKIP_2) | instid1(VALU_DEP_2)
	v_add3_u32 v3, v3, v29, v32
	v_bfe_u32 v29, v180, 16, 4
	v_bfe_u32 v32, v180, 24, 4
	v_mul_i32_i24_e32 v29, v29, v125
	s_delay_alu instid0(VALU_DEP_2) | instskip(NEXT) | instid1(VALU_DEP_1)
	v_mul_i32_i24_e32 v32, v32, v124
	v_add3_u32 v5, v5, v29, v32
	v_ashrrev_i32_e32 v32, 4, v13
	v_bfe_u32 v29, v30, 8, 4
	s_delay_alu instid0(VALU_DEP_2) | instskip(NEXT) | instid1(VALU_DEP_2)
	v_and_b32_e32 v33, 15, v32
	v_mul_i32_i24_e32 v29, v29, v129
	s_delay_alu instid0(VALU_DEP_2) | instskip(NEXT) | instid1(VALU_DEP_1)
	v_mul_i32_i24_e32 v33, v33, v131
	v_add3_u32 v6, v6, v33, v29
	v_bfe_u32 v29, v15, 16, 4
	v_bfe_u32 v15, v15, 24, 4
	s_delay_alu instid0(VALU_DEP_2) | instskip(NEXT) | instid1(VALU_DEP_2)
	v_mul_i32_i24_e32 v29, v29, v125
	v_mul_i32_i24_e32 v15, v15, v124
	s_delay_alu instid0(VALU_DEP_1) | instskip(SKIP_2) | instid1(VALU_DEP_2)
	v_add3_u32 v15, v17, v29, v15
	v_ashrrev_i32_e32 v29, 4, v134
	v_bfe_u32 v17, v37, 8, 4
	v_and_b32_e32 v33, 15, v29
	s_delay_alu instid0(VALU_DEP_2) | instskip(NEXT) | instid1(VALU_DEP_2)
	v_mul_i32_i24_e32 v17, v17, v129
	v_mul_i32_i24_e32 v33, v33, v131
	s_delay_alu instid0(VALU_DEP_1) | instskip(SKIP_2) | instid1(VALU_DEP_2)
	v_add3_u32 v17, v22, v33, v17
	v_bfe_u32 v22, v184, 16, 4
	v_bfe_u32 v33, v184, 24, 4
	v_mul_i32_i24_e32 v22, v22, v125
	s_delay_alu instid0(VALU_DEP_2) | instskip(NEXT) | instid1(VALU_DEP_1)
	v_mul_i32_i24_e32 v33, v33, v124
	v_add3_u32 v20, v20, v22, v33
	v_ashrrev_i32_e32 v33, 4, v11
	v_bfe_u32 v22, v40, 8, 4
	s_delay_alu instid0(VALU_DEP_2) | instskip(NEXT) | instid1(VALU_DEP_2)
	v_and_b32_e32 v34, 15, v33
	v_mul_i32_i24_e32 v22, v22, v129
	s_delay_alu instid0(VALU_DEP_2) | instskip(NEXT) | instid1(VALU_DEP_1)
	v_mul_i32_i24_e32 v34, v34, v131
	v_add3_u32 v22, v25, v34, v22
	v_bfe_u32 v25, v8, 16, 4
	v_bfe_u32 v8, v8, 24, 4
	s_delay_alu instid0(VALU_DEP_2) | instskip(NEXT) | instid1(VALU_DEP_2)
	v_mul_i32_i24_e32 v25, v25, v116
	v_mul_i32_i24_e32 v8, v8, v117
	s_delay_alu instid0(VALU_DEP_1) | instskip(SKIP_2) | instid1(VALU_DEP_2)
	v_add3_u32 v7, v7, v25, v8
	v_ashrrev_i32_e32 v25, 4, v1
	v_bfe_u32 v8, v41, 8, 4
	v_and_b32_e32 v34, 15, v25
	s_delay_alu instid0(VALU_DEP_2) | instskip(NEXT) | instid1(VALU_DEP_2)
	v_mul_i32_i24_e32 v8, v8, v121
	v_mul_i32_i24_e32 v34, v34, v123
	s_delay_alu instid0(VALU_DEP_1) | instskip(SKIP_2) | instid1(VALU_DEP_2)
	v_add3_u32 v3, v3, v34, v8
	v_bfe_u32 v8, v181, 8, 4
	v_and_b32_e32 v34, 15, v14
	v_mul_i32_i24_e32 v8, v8, v120
	s_delay_alu instid0(VALU_DEP_2) | instskip(NEXT) | instid1(VALU_DEP_1)
	v_mul_i32_i24_e32 v34, v34, v122
	v_add3_u32 v5, v5, v34, v8
	v_bfe_u32 v8, v30, 16, 4
	v_bfe_u32 v30, v30, 24, 4
	s_delay_alu instid0(VALU_DEP_2) | instskip(NEXT) | instid1(VALU_DEP_2)
	v_mul_i32_i24_e32 v8, v8, v127
	v_mul_i32_i24_e32 v30, v30, v126
	s_delay_alu instid0(VALU_DEP_1) | instskip(SKIP_2) | instid1(VALU_DEP_2)
	v_add3_u32 v6, v6, v8, v30
	v_bfe_u32 v8, v16, 8, 4
	v_and_b32_e32 v30, 15, v135
	v_mul_i32_i24_e32 v8, v8, v120
	s_delay_alu instid0(VALU_DEP_2) | instskip(NEXT) | instid1(VALU_DEP_1)
	v_mul_i32_i24_e32 v30, v30, v122
	v_add3_u32 v8, v15, v30, v8
	v_bfe_u32 v15, v37, 16, 4
	v_bfe_u32 v30, v37, 24, 4
	;; [unrolled: 13-line block ×3, first 2 shown]
	s_delay_alu instid0(VALU_DEP_2) | instskip(NEXT) | instid1(VALU_DEP_2)
	v_mul_i32_i24_e32 v20, v20, v127
	v_mul_i32_i24_e32 v30, v30, v126
	s_delay_alu instid0(VALU_DEP_1) | instskip(SKIP_3) | instid1(VALU_DEP_3)
	v_add3_u32 v20, v22, v20, v30
	v_bfe_u32 v22, v0, 8, 4
	v_bfe_u32 v30, v0, 16, 4
	;; [unrolled: 1-line block ×3, first 2 shown]
	v_mul_i32_i24_e32 v22, v22, v113
	s_delay_alu instid0(VALU_DEP_3) | instskip(NEXT) | instid1(VALU_DEP_3)
	v_mul_i32_i24_e32 v30, v30, v112
	v_mul_i32_i24_e32 v0, v0, v108
	s_delay_alu instid0(VALU_DEP_2) | instskip(SKIP_2) | instid1(VALU_DEP_2)
	v_add3_u32 v7, v7, v22, v30
	v_bfe_u32 v22, v41, 16, 4
	v_bfe_u32 v30, v41, 24, 4
	v_mul_i32_i24_e32 v22, v22, v119
	s_delay_alu instid0(VALU_DEP_2) | instskip(NEXT) | instid1(VALU_DEP_1)
	v_mul_i32_i24_e32 v30, v30, v118
	v_add3_u32 v3, v3, v22, v30
	v_bfe_u32 v22, v181, 16, 4
	v_bfe_u32 v30, v181, 24, 4
	s_delay_alu instid0(VALU_DEP_2) | instskip(NEXT) | instid1(VALU_DEP_2)
	v_mul_i32_i24_e32 v22, v22, v116
	v_mul_i32_i24_e32 v30, v30, v117
	s_delay_alu instid0(VALU_DEP_1) | instskip(SKIP_2) | instid1(VALU_DEP_2)
	v_add3_u32 v5, v5, v22, v30
	v_ashrrev_i32_e32 v30, 4, v14
	v_bfe_u32 v22, v42, 8, 4
	v_and_b32_e32 v34, 15, v30
	s_delay_alu instid0(VALU_DEP_2) | instskip(NEXT) | instid1(VALU_DEP_2)
	v_mul_i32_i24_e32 v22, v22, v121
	v_mul_i32_i24_e32 v34, v34, v123
	s_delay_alu instid0(VALU_DEP_1) | instskip(SKIP_2) | instid1(VALU_DEP_2)
	v_add3_u32 v6, v6, v34, v22
	v_bfe_u32 v22, v16, 16, 4
	v_bfe_u32 v16, v16, 24, 4
	v_mul_i32_i24_e32 v22, v22, v116
	s_delay_alu instid0(VALU_DEP_2) | instskip(NEXT) | instid1(VALU_DEP_1)
	v_mul_i32_i24_e32 v16, v16, v117
	v_add3_u32 v8, v8, v22, v16
	v_ashrrev_i32_e32 v22, 4, v135
	v_bfe_u32 v16, v44, 8, 4
	s_delay_alu instid0(VALU_DEP_2) | instskip(NEXT) | instid1(VALU_DEP_2)
	v_and_b32_e32 v34, 15, v22
	v_mul_i32_i24_e32 v16, v16, v121
	s_delay_alu instid0(VALU_DEP_2) | instskip(NEXT) | instid1(VALU_DEP_1)
	v_mul_i32_i24_e32 v34, v34, v123
	v_add3_u32 v15, v15, v34, v16
	v_bfe_u32 v16, v185, 16, 4
	v_bfe_u32 v34, v185, 24, 4
	s_delay_alu instid0(VALU_DEP_2) | instskip(NEXT) | instid1(VALU_DEP_2)
	v_mul_i32_i24_e32 v16, v16, v116
	v_mul_i32_i24_e32 v34, v34, v117
	s_delay_alu instid0(VALU_DEP_1) | instskip(SKIP_2) | instid1(VALU_DEP_2)
	v_add3_u32 v16, v17, v16, v34
	v_ashrrev_i32_e32 v34, 4, v12
	v_bfe_u32 v17, v45, 8, 4
	v_and_b32_e32 v35, 15, v34
	s_delay_alu instid0(VALU_DEP_2) | instskip(NEXT) | instid1(VALU_DEP_2)
	v_mul_i32_i24_e32 v17, v17, v121
	v_mul_i32_i24_e32 v35, v35, v123
	s_delay_alu instid0(VALU_DEP_1) | instskip(SKIP_1) | instid1(VALU_DEP_1)
	v_add3_u32 v17, v20, v35, v17
	v_bfe_u32 v20, v1, 8, 4
	v_mul_i32_i24_e32 v20, v20, v109
	s_delay_alu instid0(VALU_DEP_1) | instskip(SKIP_2) | instid1(VALU_DEP_2)
	v_add3_u32 v0, v7, v0, v20
	v_bfe_u32 v7, v38, 8, 4
	v_bfe_u32 v20, v38, 16, 4
	v_mul_i32_i24_e32 v7, v7, v115
	s_delay_alu instid0(VALU_DEP_2) | instskip(NEXT) | instid1(VALU_DEP_1)
	v_mul_i32_i24_e32 v20, v20, v114
	v_add3_u32 v3, v3, v7, v20
	v_bfe_u32 v7, v13, 8, 4
	v_bfe_u32 v20, v13, 16, 4
	s_delay_alu instid0(VALU_DEP_2) | instskip(NEXT) | instid1(VALU_DEP_2)
	v_mul_i32_i24_e32 v7, v7, v113
	v_mul_i32_i24_e32 v20, v20, v112
	s_delay_alu instid0(VALU_DEP_1) | instskip(SKIP_2) | instid1(VALU_DEP_2)
	v_add3_u32 v5, v5, v7, v20
	v_bfe_u32 v7, v42, 16, 4
	v_bfe_u32 v20, v42, 24, 4
	v_mul_i32_i24_e32 v7, v7, v119
	s_delay_alu instid0(VALU_DEP_2) | instskip(NEXT) | instid1(VALU_DEP_1)
	v_mul_i32_i24_e32 v20, v20, v118
	v_add3_u32 v6, v6, v7, v20
	v_bfe_u32 v7, v134, 8, 4
	v_bfe_u32 v20, v134, 16, 4
	s_delay_alu instid0(VALU_DEP_2) | instskip(NEXT) | instid1(VALU_DEP_2)
	v_mul_i32_i24_e32 v7, v7, v113
	;; [unrolled: 13-line block ×3, first 2 shown]
	v_mul_i32_i24_e32 v20, v20, v112
	s_delay_alu instid0(VALU_DEP_1) | instskip(SKIP_2) | instid1(VALU_DEP_2)
	v_add3_u32 v15, v16, v15, v20
	v_bfe_u32 v16, v45, 16, 4
	v_bfe_u32 v20, v45, 24, 4
	v_mul_i32_i24_e32 v16, v16, v119
	s_delay_alu instid0(VALU_DEP_2) | instskip(NEXT) | instid1(VALU_DEP_1)
	v_mul_i32_i24_e32 v20, v20, v118
	v_add3_u32 v16, v17, v16, v20
	v_bfe_u32 v17, v1, 16, 4
	v_bfe_u32 v1, v1, 24, 4
	v_cvt_f32_ubyte0_e32 v20, v165
	s_delay_alu instid0(VALU_DEP_3) | instskip(NEXT) | instid1(VALU_DEP_3)
	v_mul_i32_i24_e32 v17, v17, v106
	v_mul_i32_i24_e32 v1, v1, v107
	s_delay_alu instid0(VALU_DEP_3) | instskip(NEXT) | instid1(VALU_DEP_2)
	v_fma_mix_f32 v20, v9, v20, 0 op_sel:[1,0,0] op_sel_hi:[1,0,0]
	v_add3_u32 v0, v0, v17, v1
	v_bfe_u32 v1, v38, 24, 4
	v_bfe_u32 v17, v25, 8, 4
	s_delay_alu instid0(VALU_DEP_2) | instskip(NEXT) | instid1(VALU_DEP_2)
	v_mul_i32_i24_e32 v1, v1, v110
	v_mul_i32_i24_e32 v17, v17, v111
	s_delay_alu instid0(VALU_DEP_1) | instskip(SKIP_2) | instid1(VALU_DEP_2)
	v_add3_u32 v1, v3, v1, v17
	v_bfe_u32 v3, v13, 24, 4
	v_bfe_u32 v13, v14, 8, 4
	v_mul_i32_i24_e32 v3, v3, v108
	s_delay_alu instid0(VALU_DEP_2) | instskip(NEXT) | instid1(VALU_DEP_1)
	v_mul_i32_i24_e32 v13, v13, v109
	v_add3_u32 v3, v5, v3, v13
	v_bfe_u32 v5, v32, 8, 4
	v_bfe_u32 v13, v32, 16, 4
	s_delay_alu instid0(VALU_DEP_2) | instskip(NEXT) | instid1(VALU_DEP_2)
	v_mul_i32_i24_e32 v5, v5, v115
	v_mul_i32_i24_e32 v13, v13, v114
	s_delay_alu instid0(VALU_DEP_1) | instskip(SKIP_2) | instid1(VALU_DEP_2)
	v_add3_u32 v5, v6, v5, v13
	v_bfe_u32 v6, v134, 24, 4
	v_bfe_u32 v13, v135, 8, 4
	v_mul_i32_i24_e32 v6, v6, v108
	s_delay_alu instid0(VALU_DEP_2) | instskip(NEXT) | instid1(VALU_DEP_1)
	v_mul_i32_i24_e32 v13, v13, v109
	v_add3_u32 v6, v7, v6, v13
	v_bfe_u32 v7, v29, 8, 4
	v_bfe_u32 v13, v29, 16, 4
	s_delay_alu instid0(VALU_DEP_2) | instskip(NEXT) | instid1(VALU_DEP_2)
	v_mul_i32_i24_e32 v7, v7, v115
	v_mul_i32_i24_e32 v13, v13, v114
	s_delay_alu instid0(VALU_DEP_1) | instskip(SKIP_3) | instid1(VALU_DEP_3)
	v_add3_u32 v7, v8, v7, v13
	v_bfe_u32 v8, v11, 24, 4
	v_bfe_u32 v11, v12, 8, 4
	;; [unrolled: 1-line block ×3, first 2 shown]
	v_mul_i32_i24_e32 v8, v8, v108
	s_delay_alu instid0(VALU_DEP_3) | instskip(NEXT) | instid1(VALU_DEP_3)
	v_mul_i32_i24_e32 v11, v11, v109
	v_mul_i32_i24_e32 v13, v13, v114
	s_delay_alu instid0(VALU_DEP_2) | instskip(SKIP_2) | instid1(VALU_DEP_2)
	v_add3_u32 v8, v15, v8, v11
	v_bfe_u32 v11, v33, 8, 4
	v_bfe_u32 v15, v25, 24, 4
	v_mul_i32_i24_e32 v11, v11, v115
	s_delay_alu instid0(VALU_DEP_2) | instskip(NEXT) | instid1(VALU_DEP_2)
	v_mul_i32_i24_e32 v15, v15, v104
	v_add3_u32 v11, v16, v11, v13
	v_bfe_u32 v13, v25, 16, 4
	v_bfe_u32 v16, v22, 24, 4
	v_cvt_f32_ubyte0_e32 v25, v166
	s_delay_alu instid0(VALU_DEP_3) | instskip(NEXT) | instid1(VALU_DEP_3)
	v_mul_i32_i24_e32 v13, v13, v105
	v_mul_i32_i24_e32 v16, v16, v104
	s_delay_alu instid0(VALU_DEP_3) | instskip(NEXT) | instid1(VALU_DEP_3)
	v_fma_mix_f32 v25, v9, v25, 0 op_sel:[1,0,0] op_sel_hi:[1,0,0]
	v_add3_u32 v1, v1, v13, v15
	v_bfe_u32 v13, v14, 16, 4
	v_bfe_u32 v14, v14, 24, 4
	;; [unrolled: 1-line block ×3, first 2 shown]
	s_delay_alu instid0(VALU_DEP_3) | instskip(NEXT) | instid1(VALU_DEP_3)
	v_mul_i32_i24_e32 v13, v13, v106
	v_mul_i32_i24_e32 v14, v14, v107
	s_delay_alu instid0(VALU_DEP_3) | instskip(NEXT) | instid1(VALU_DEP_2)
	v_mul_i32_i24_e32 v15, v15, v105
	v_add3_u32 v3, v3, v13, v14
	v_bfe_u32 v13, v32, 24, 4
	v_bfe_u32 v14, v30, 8, 4
	s_delay_alu instid0(VALU_DEP_2) | instskip(NEXT) | instid1(VALU_DEP_2)
	v_mul_i32_i24_e32 v13, v13, v110
	v_mul_i32_i24_e32 v14, v14, v111
	s_delay_alu instid0(VALU_DEP_1) | instskip(SKIP_2) | instid1(VALU_DEP_2)
	v_add3_u32 v5, v5, v13, v14
	v_bfe_u32 v13, v135, 16, 4
	v_bfe_u32 v14, v135, 24, 4
	v_mul_i32_i24_e32 v13, v13, v106
	s_delay_alu instid0(VALU_DEP_2) | instskip(NEXT) | instid1(VALU_DEP_1)
	v_mul_i32_i24_e32 v14, v14, v107
	v_add3_u32 v6, v6, v13, v14
	v_bfe_u32 v13, v29, 24, 4
	v_bfe_u32 v14, v22, 8, 4
	v_cvt_f32_ubyte1_e32 v22, v165
	v_cvt_f32_ubyte1_e32 v29, v166
	s_delay_alu instid0(VALU_DEP_4) | instskip(NEXT) | instid1(VALU_DEP_4)
	v_mul_i32_i24_e32 v13, v13, v110
	v_mul_i32_i24_e32 v14, v14, v111
	s_delay_alu instid0(VALU_DEP_4) | instskip(NEXT) | instid1(VALU_DEP_4)
	v_fma_mix_f32 v20, v10, v22, v20 op_sel:[1,0,0] op_sel_hi:[1,0,0]
	v_fma_mix_f32 v25, v10, v29, v25 op_sel:[1,0,0] op_sel_hi:[1,0,0]
	s_delay_alu instid0(VALU_DEP_3)
	v_add3_u32 v7, v7, v13, v14
	v_bfe_u32 v13, v12, 16, 4
	v_bfe_u32 v12, v12, 24, 4
	;; [unrolled: 1-line block ×3, first 2 shown]
	v_mul_f32_e32 v20, v20, v100
	v_add3_u32 v7, v7, v15, v16
	v_mul_i32_i24_e32 v13, v13, v106
	v_mul_i32_i24_e32 v12, v12, v107
	;; [unrolled: 1-line block ×3, first 2 shown]
	v_bfe_u32 v15, v34, 16, 4
	v_bfe_u32 v16, v34, 24, 4
	v_mul_f32_e32 v25, v25, v101
	v_add3_u32 v8, v8, v13, v12
	v_bfe_u32 v12, v33, 24, 4
	v_bfe_u32 v13, v34, 8, 4
	v_mul_i32_i24_e32 v15, v15, v105
	v_mul_i32_i24_e32 v16, v16, v104
	s_delay_alu instid0(VALU_DEP_4) | instskip(NEXT) | instid1(VALU_DEP_4)
	v_mul_i32_i24_e32 v12, v12, v110
	v_mul_i32_i24_e32 v13, v13, v111
	s_delay_alu instid0(VALU_DEP_1) | instskip(SKIP_3) | instid1(VALU_DEP_4)
	v_add3_u32 v11, v11, v12, v13
	v_bfe_u32 v13, v30, 16, 4
	v_add3_u32 v12, v87, s21, v168
	v_cvt_f32_ubyte1_e32 v30, v169
	v_add3_u32 v11, v11, v15, v16
	s_delay_alu instid0(VALU_DEP_4) | instskip(NEXT) | instid1(VALU_DEP_1)
	v_mul_i32_i24_e32 v13, v13, v105
	v_add3_u32 v5, v5, v13, v14
	ds_load_u16 v13, v12 offset:8
	ds_load_u16 v14, v167 offset:17408
	ds_load_u16 v12, v12
	s_waitcnt lgkmcnt(2)
	v_cvt_f32_ubyte0_e32 v17, v13
	v_cvt_f32_ubyte1_e32 v13, v13
	s_waitcnt lgkmcnt(0)
	v_and_b32_e32 v22, 0xff, v12
	v_lshrrev_b16 v12, 8, v12
	v_and_b32_e32 v29, 0xff, v14
	v_fma_mix_f32 v17, v9, v17, 0 op_sel:[1,0,0] op_sel_hi:[1,0,0]
	v_lshrrev_b16 v14, 8, v14
	v_mul_lo_u32 v0, v0, v22
	v_lshrrev_b16 v22, 8, v18
	v_and_b32_e32 v18, 0xff, v18
	v_fma_mix_f32 v13, v10, v13, v17 op_sel:[1,0,0] op_sel_hi:[1,0,0]
	v_cvt_f32_ubyte0_e32 v17, v169
	v_and_b32_e32 v12, 0xffff, v12
	v_and_b32_e32 v14, 0xffff, v14
	;; [unrolled: 1-line block ×3, first 2 shown]
	v_mul_lo_u32 v3, v3, v29
	v_fma_mix_f32 v17, v9, v17, 0 op_sel:[1,0,0] op_sel_hi:[1,0,0]
	v_mul_lo_u32 v8, v8, v18
	v_mul_lo_u32 v1, v1, v12
	;; [unrolled: 1-line block ×3, first 2 shown]
	v_cvt_f32_i32_e32 v0, v0
	v_fma_mix_f32 v17, v10, v30, v17 op_sel:[1,0,0] op_sel_hi:[1,0,0]
	v_and_b32_e32 v30, 0xff, v2
	v_lshrrev_b16 v2, 8, v2
	v_cvt_f32_i32_e32 v3, v3
	v_cvt_f32_i32_e32 v8, v8
	v_fma_mix_f32 v0, v9, v0, 0 op_sel_hi:[1,0,0]
	v_mul_lo_u32 v6, v6, v30
	v_and_b32_e32 v2, 0xffff, v2
	v_cvt_f32_i32_e32 v1, v1
	v_fma_mix_f32 v3, v9, v3, 0 op_sel_hi:[1,0,0]
	v_cvt_f32_i32_e32 v5, v5
	v_fma_mix_f32 v8, v9, v8, 0 op_sel_hi:[1,0,0]
	v_mul_lo_u32 v2, v7, v2
	v_mul_lo_u32 v7, v11, v22
	v_cvt_f32_i32_e32 v6, v6
	v_mul_f32_e32 v13, v13, v99
	v_fma_mix_f32 v0, v10, v1, v0 op_sel_hi:[1,0,0]
	v_fma_mix_f32 v1, v10, v5, v3 op_sel_hi:[1,0,0]
	s_delay_alu instid0(VALU_DEP_4)
	v_fma_mix_f32 v6, v9, v6, 0 op_sel_hi:[1,0,0]
	v_cvt_f32_i32_e32 v2, v2
	v_cvt_f32_i32_e32 v7, v7
	v_mul_f32_e32 v9, v17, v102
	v_fma_f32 v0, v0, v95, -v13
	v_fma_f32 v1, v1, v96, -v20
	v_fma_mix_f32 v2, v10, v2, v6 op_sel_hi:[1,0,0]
	v_fma_mix_f32 v3, v10, v7, v8 op_sel_hi:[1,0,0]
	s_delay_alu instid0(VALU_DEP_4) | instskip(NEXT) | instid1(VALU_DEP_4)
	v_add_f32_e32 v19, v19, v0
	v_add_f32_e32 v65, v65, v1
	s_delay_alu instid0(VALU_DEP_4) | instskip(NEXT) | instid1(VALU_DEP_4)
	v_fma_f32 v2, v2, v97, -v25
	v_fma_f32 v3, v3, v98, -v9
	s_delay_alu instid0(VALU_DEP_2) | instskip(NEXT) | instid1(VALU_DEP_2)
	v_add_f32_e32 v58, v58, v2
	v_add_f32_e32 v4, v4, v3
	s_cbranch_scc1 .LBB191_21
; %bb.22:                               ;   in Loop: Header=BB191_6 Depth=1
	s_barrier
	buffer_gl0_inv
	s_clause 0x15
	scratch_load_b32 v17, off, off offset:20
	scratch_load_b32 v18, off, off offset:24
	scratch_load_b32 v20, off, off offset:28
	scratch_load_b32 v22, off, off offset:32
	scratch_load_b32 v25, off, off offset:36
	scratch_load_b32 v29, off, off offset:40
	scratch_load_b32 v30, off, off offset:44
	scratch_load_b32 v32, off, off offset:48
	scratch_load_b32 v33, off, off offset:52
	scratch_load_b32 v34, off, off offset:56
	scratch_load_b32 v35, off, off offset:60
	scratch_load_b32 v37, off, off offset:64
	scratch_load_b32 v38, off, off offset:68
	scratch_load_b32 v40, off, off offset:72
	scratch_load_b32 v41, off, off offset:76
	scratch_load_b32 v42, off, off offset:80
	scratch_load_b32 v44, off, off offset:84
	scratch_load_b32 v45, off, off offset:88
	scratch_load_b32 v46, off, off offset:92
	scratch_load_b32 v47, off, off offset:96
	scratch_load_b32 v5, off, off offset:112
	scratch_load_b32 v6, off, off offset:116
	s_branch .LBB191_5
.LBB191_23:
	scratch_load_b32 v13, off, off offset:164 ; 4-byte Folded Reload
.LBB191_24:
	s_mul_i32 s0, s7, s4
	s_waitcnt vmcnt(0)
	v_cmp_gt_i32_e32 vcc_lo, s0, v13
	s_and_saveexec_b32 s0, vcc_lo
	s_cbranch_execz .LBB191_33
; %bb.25:
	scratch_load_b32 v0, off, off offset:124 ; 4-byte Folded Reload
	s_mov_b32 s0, exec_lo
	s_waitcnt vmcnt(0)
	v_add_nc_u32_e32 v1, s16, v0
	v_mul_lo_u32 v0, v13, s6
	s_delay_alu instid0(VALU_DEP_2)
	v_cmpx_gt_u32_e64 s6, v1
	s_cbranch_execz .LBB191_27
; %bb.26:
	s_delay_alu instid0(VALU_DEP_2) | instskip(NEXT) | instid1(VALU_DEP_1)
	v_dual_mov_b32 v3, 0 :: v_dual_add_nc_u32 v2, v0, v1
	v_lshlrev_b64 v[2:3], 2, v[2:3]
	s_delay_alu instid0(VALU_DEP_1) | instskip(NEXT) | instid1(VALU_DEP_2)
	v_add_co_u32 v2, vcc_lo, s8, v2
	v_add_co_ci_u32_e32 v3, vcc_lo, s9, v3, vcc_lo
	global_store_b32 v[2:3], v19, off
.LBB191_27:
	s_or_b32 exec_lo, exec_lo, s0
	v_add_nc_u32_e32 v2, 32, v1
	s_mov_b32 s0, exec_lo
	s_delay_alu instid0(VALU_DEP_1)
	v_cmpx_gt_u32_e64 s6, v2
	s_cbranch_execz .LBB191_29
; %bb.28:
	v_dual_mov_b32 v3, 0 :: v_dual_add_nc_u32 v2, v0, v2
	s_delay_alu instid0(VALU_DEP_1) | instskip(NEXT) | instid1(VALU_DEP_1)
	v_lshlrev_b64 v[2:3], 2, v[2:3]
	v_add_co_u32 v2, vcc_lo, s8, v2
	s_delay_alu instid0(VALU_DEP_2)
	v_add_co_ci_u32_e32 v3, vcc_lo, s9, v3, vcc_lo
	global_store_b32 v[2:3], v65, off
.LBB191_29:
	s_or_b32 exec_lo, exec_lo, s0
	v_add_nc_u32_e32 v2, 64, v1
	s_mov_b32 s0, exec_lo
	s_delay_alu instid0(VALU_DEP_1)
	v_cmpx_gt_u32_e64 s6, v2
	s_cbranch_execz .LBB191_31
; %bb.30:
	v_dual_mov_b32 v3, 0 :: v_dual_add_nc_u32 v2, v0, v2
	s_delay_alu instid0(VALU_DEP_1) | instskip(NEXT) | instid1(VALU_DEP_1)
	v_lshlrev_b64 v[2:3], 2, v[2:3]
	v_add_co_u32 v2, vcc_lo, s8, v2
	s_delay_alu instid0(VALU_DEP_2)
	v_add_co_ci_u32_e32 v3, vcc_lo, s9, v3, vcc_lo
	global_store_b32 v[2:3], v58, off
.LBB191_31:
	s_or_b32 exec_lo, exec_lo, s0
	v_add_nc_u32_e32 v1, 0x60, v1
	s_delay_alu instid0(VALU_DEP_1)
	v_cmp_gt_u32_e32 vcc_lo, s6, v1
	s_and_b32 exec_lo, exec_lo, vcc_lo
	s_cbranch_execz .LBB191_33
; %bb.32:
	v_dual_mov_b32 v1, 0 :: v_dual_add_nc_u32 v0, v0, v1
	s_delay_alu instid0(VALU_DEP_1) | instskip(NEXT) | instid1(VALU_DEP_1)
	v_lshlrev_b64 v[0:1], 2, v[0:1]
	v_add_co_u32 v0, vcc_lo, s8, v0
	s_delay_alu instid0(VALU_DEP_2)
	v_add_co_ci_u32_e32 v1, vcc_lo, s9, v1, vcc_lo
	global_store_b32 v[0:1], v4, off
.LBB191_33:
	s_endpgm
	.section	.rodata,"a",@progbits
	.p2align	6, 0x0
	.amdhsa_kernel _ZL8moe_q4_KIfLb0EEvPKvS1_PT_PKiS5_S5_iiiiiii
		.amdhsa_group_segment_fixed_size 20688
		.amdhsa_private_segment_fixed_size 172
		.amdhsa_kernarg_size 76
		.amdhsa_user_sgpr_count 14
		.amdhsa_user_sgpr_dispatch_ptr 0
		.amdhsa_user_sgpr_queue_ptr 0
		.amdhsa_user_sgpr_kernarg_segment_ptr 1
		.amdhsa_user_sgpr_dispatch_id 0
		.amdhsa_user_sgpr_private_segment_size 0
		.amdhsa_wavefront_size32 1
		.amdhsa_uses_dynamic_stack 0
		.amdhsa_enable_private_segment 1
		.amdhsa_system_sgpr_workgroup_id_x 1
		.amdhsa_system_sgpr_workgroup_id_y 1
		.amdhsa_system_sgpr_workgroup_id_z 0
		.amdhsa_system_sgpr_workgroup_info 0
		.amdhsa_system_vgpr_workitem_id 1
		.amdhsa_next_free_vgpr 256
		.amdhsa_next_free_sgpr 23
		.amdhsa_reserve_vcc 1
		.amdhsa_float_round_mode_32 0
		.amdhsa_float_round_mode_16_64 0
		.amdhsa_float_denorm_mode_32 3
		.amdhsa_float_denorm_mode_16_64 3
		.amdhsa_dx10_clamp 1
		.amdhsa_ieee_mode 1
		.amdhsa_fp16_overflow 0
		.amdhsa_workgroup_processor_mode 1
		.amdhsa_memory_ordered 1
		.amdhsa_forward_progress 0
		.amdhsa_shared_vgpr_count 0
		.amdhsa_exception_fp_ieee_invalid_op 0
		.amdhsa_exception_fp_denorm_src 0
		.amdhsa_exception_fp_ieee_div_zero 0
		.amdhsa_exception_fp_ieee_overflow 0
		.amdhsa_exception_fp_ieee_underflow 0
		.amdhsa_exception_fp_ieee_inexact 0
		.amdhsa_exception_int_div_zero 0
	.end_amdhsa_kernel
	.section	.text._ZL8moe_q4_KIfLb0EEvPKvS1_PT_PKiS5_S5_iiiiiii,"axG",@progbits,_ZL8moe_q4_KIfLb0EEvPKvS1_PT_PKiS5_S5_iiiiiii,comdat
.Lfunc_end191:
	.size	_ZL8moe_q4_KIfLb0EEvPKvS1_PT_PKiS5_S5_iiiiiii, .Lfunc_end191-_ZL8moe_q4_KIfLb0EEvPKvS1_PT_PKiS5_S5_iiiiiii
                                        ; -- End function
	.section	.AMDGPU.csdata,"",@progbits
; Kernel info:
; codeLenInByte = 15468
; NumSgprs: 25
; NumVgprs: 256
; ScratchSize: 172
; MemoryBound: 0
; FloatMode: 240
; IeeeMode: 1
; LDSByteSize: 20688 bytes/workgroup (compile time only)
; SGPRBlocks: 3
; VGPRBlocks: 31
; NumSGPRsForWavesPerEU: 25
; NumVGPRsForWavesPerEU: 256
; Occupancy: 5
; WaveLimiterHint : 1
; COMPUTE_PGM_RSRC2:SCRATCH_EN: 1
; COMPUTE_PGM_RSRC2:USER_SGPR: 14
; COMPUTE_PGM_RSRC2:TRAP_HANDLER: 0
; COMPUTE_PGM_RSRC2:TGID_X_EN: 1
; COMPUTE_PGM_RSRC2:TGID_Y_EN: 1
; COMPUTE_PGM_RSRC2:TGID_Z_EN: 0
; COMPUTE_PGM_RSRC2:TIDIG_COMP_CNT: 1
	.section	.text._ZL8moe_q4_KIfLb1EEvPKvS1_PT_PKiS5_S5_iiiiiii,"axG",@progbits,_ZL8moe_q4_KIfLb1EEvPKvS1_PT_PKiS5_S5_iiiiiii,comdat
	.globl	_ZL8moe_q4_KIfLb1EEvPKvS1_PT_PKiS5_S5_iiiiiii ; -- Begin function _ZL8moe_q4_KIfLb1EEvPKvS1_PT_PKiS5_S5_iiiiiii
	.p2align	8
	.type	_ZL8moe_q4_KIfLb1EEvPKvS1_PT_PKiS5_S5_iiiiiii,@function
_ZL8moe_q4_KIfLb1EEvPKvS1_PT_PKiS5_S5_iiiiiii: ; @_ZL8moe_q4_KIfLb1EEvPKvS1_PT_PKiS5_S5_iiiiiii
; %bb.0:
	s_load_b128 s[4:7], s[0:1], 0x18
	s_mov_b32 s2, s15
	s_mov_b32 s3, 0
	s_delay_alu instid0(SALU_CYCLE_1)
	s_lshl_b64 s[8:9], s[2:3], 2
	s_waitcnt lgkmcnt(0)
	s_add_u32 s6, s6, s8
	s_addc_u32 s7, s7, s9
	s_load_b32 s15, s[6:7], 0x0
	s_waitcnt lgkmcnt(0)
	s_cmpk_gt_u32 s15, 0xff
	s_cbranch_scc1 .LBB192_34
; %bb.1:
	s_load_b64 s[6:7], s[0:1], 0x28
	s_lshl_b32 s2, s2, 3
	s_waitcnt lgkmcnt(0)
	s_load_b32 s3, s[6:7], 0x0
	s_waitcnt lgkmcnt(0)
	s_cmp_gt_u32 s2, s3
	s_cbranch_scc1 .LBB192_34
; %bb.2:
	v_bfe_u32 v1, v0, 10, 10
	v_mov_b32_e32 v20, 0
	s_mov_b32 s18, 0
	s_delay_alu instid0(VALU_DEP_2) | instskip(NEXT) | instid1(VALU_DEP_2)
	v_add_nc_u32_e32 v19, s2, v1
	v_dual_mov_b32 v59, v20 :: v_dual_and_b32 v0, 0x3ff, v0
	v_mov_b32_e32 v65, v20
	v_mov_b32_e32 v36, v20
	s_delay_alu instid0(VALU_DEP_4) | instskip(NEXT) | instid1(VALU_DEP_1)
	v_lshlrev_b64 v[2:3], 2, v[19:20]
	v_add_co_u32 v2, vcc_lo, s4, v2
	s_delay_alu instid0(VALU_DEP_2)
	v_add_co_ci_u32_e32 v3, vcc_lo, s5, v3, vcc_lo
	global_load_b32 v5, v[2:3], off
	s_clause 0x1
	s_load_b256 s[4:11], s[0:1], 0x30
	s_load_b64 s[12:13], s[0:1], 0x10
	s_waitcnt lgkmcnt(0)
	s_lshl_b32 s11, s14, 7
	scratch_store_b32 off, v0, off offset:160 ; 4-byte Folded Spill
	s_cmpk_lt_i32 s5, 0x100
	s_cbranch_scc1 .LBB192_25
; %bb.3:
	scratch_load_b32 v34, off, off offset:160 ; 4-byte Folded Reload
	s_load_b128 s[0:3], s[0:1], 0x0
	s_ashr_i32 s14, s5, 31
	s_mul_i32 s15, s15, s4
	s_lshr_b32 s4, s14, 24
	s_ashr_i32 s16, s8, 31
	s_add_i32 s4, s5, s4
	s_lshr_b32 s14, s16, 27
	s_ashr_i32 s4, s4, 8
	s_add_i32 s8, s8, s14
	s_mul_i32 s14, s4, s11
	s_ashr_i32 s16, s15, 31
	s_ashr_i32 s8, s8, 5
	s_mul_hi_i32 s17, s14, 0x90
	s_mulk_i32 s14, 0x90
	v_dual_mov_b32 v65, 0 :: v_dual_add_nc_u32 v0, 8, v1
	v_dual_mov_b32 v36, 0 :: v_dual_add_nc_u32 v3, 16, v1
	v_add_nc_u32_e32 v8, 24, v1
	v_lshlrev_b32_e32 v49, 5, v1
	s_waitcnt lgkmcnt(0)
	s_add_u32 s0, s0, s15
	s_addc_u32 s1, s1, s16
	s_add_u32 s19, s0, s14
	s_addc_u32 s20, s1, s17
	s_not_b32 s0, s11
	s_abs_i32 s1, s10
	s_add_i32 s0, s0, s6
	s_movk_i32 s6, 0x3180
	v_min_i32_e32 v2, s0, v1
	v_min_i32_e32 v0, s0, v0
	s_waitcnt vmcnt(1)
	scratch_store_b32 off, v5, off offset:200 ; 4-byte Folded Spill
	v_mul_lo_u32 v35, v2, s4
	s_waitcnt vmcnt(0)
	v_lshlrev_b32_e32 v4, 2, v34
	v_add_nc_u32_e32 v23, v49, v34
	v_lshrrev_b32_e32 v21, 2, v34
	v_lshrrev_b32_e32 v6, 5, v34
	v_add_nc_u32_e32 v32, 0x60, v34
	v_mad_u64_u32 v[9:10], null, 0x84, v2, v[4:5]
	v_min_i32_e32 v2, s0, v3
	v_add_nc_u32_e32 v3, 32, v1
	v_mad_u64_u32 v[11:12], null, 0x84, v0, v[4:5]
	v_mul_lo_u32 v10, v0, s4
	v_min_i32_e32 v0, s0, v8
	v_mul_lo_u32 v12, v2, s4
	v_mad_u64_u32 v[13:14], null, 0x84, v2, v[4:5]
	v_min_i32_e32 v2, s0, v3
	v_add_nc_u32_e32 v3, 40, v1
	v_mul_lo_u32 v14, v0, s4
	v_mad_u64_u32 v[15:16], null, 0x84, v0, v[4:5]
	v_add_nc_u32_e32 v0, 48, v1
	s_delay_alu instid0(VALU_DEP_4)
	v_min_i32_e32 v3, s0, v3
	v_mul_lo_u32 v16, v2, s4
	v_mad_u64_u32 v[17:18], null, 0x84, v2, v[4:5]
	v_add_nc_u32_e32 v2, 56, v1
	v_min_i32_e32 v0, s0, v0
	v_mul_lo_u32 v8, v3, s4
	v_mad_u64_u32 v[86:87], null, 0x84, v3, v[4:5]
	v_add_nc_u32_e32 v3, 64, v1
	;; [unrolled: 4-line block ×3, first 2 shown]
	v_min_i32_e32 v3, s0, v3
	v_mad_u64_u32 v[38:39], null, 0x84, v2, v[4:5]
	v_mul_lo_u32 v60, v2, s4
	s_delay_alu instid0(VALU_DEP_4)
	v_min_i32_e32 v0, s0, v0
	v_add_nc_u32_e32 v2, 0x50, v1
	v_mul_lo_u32 v41, v3, s4
	v_mad_u64_u32 v[39:40], null, 0x84, v3, v[4:5]
	v_add_nc_u32_e32 v3, 0x58, v1
	v_mul_lo_u32 v87, v0, s4
	v_min_i32_e32 v2, s0, v2
	v_mad_u64_u32 v[42:43], null, 0x84, v0, v[4:5]
	s_delay_alu instid0(VALU_DEP_4) | instskip(SKIP_1) | instid1(VALU_DEP_4)
	v_min_i32_e32 v0, s0, v3
	v_add_nc_u32_e32 v3, 0x60, v1
	v_mul_lo_u32 v19, v2, s4
	v_mad_u64_u32 v[43:44], null, 0x84, v2, v[4:5]
	v_and_b32_e32 v18, 0x7f, v23
	s_delay_alu instid0(VALU_DEP_4) | instskip(SKIP_4) | instid1(VALU_DEP_4)
	v_min_i32_e32 v2, s0, v3
	v_add_nc_u32_e32 v3, 0x68, v1
	v_mul_lo_u32 v40, v0, s4
	v_mad_u64_u32 v[44:45], null, 0x84, v0, v[4:5]
	v_min_i32_e32 v24, s0, v18
	v_min_i32_e32 v0, s0, v3
	v_add_nc_u32_e32 v3, 0x70, v1
	v_mul_lo_u32 v47, v2, s4
	v_mad_u64_u32 v[45:46], null, 0x84, v2, v[4:5]
	v_ashrrev_i32_e32 v20, 31, v24
	s_delay_alu instid0(VALU_DEP_4) | instskip(SKIP_4) | instid1(VALU_DEP_4)
	v_min_i32_e32 v2, s0, v3
	v_add_nc_u32_e32 v3, 0x78, v1
	v_mul_lo_u32 v18, v0, s4
	v_mad_u64_u32 v[50:51], null, 0x84, v0, v[4:5]
	v_lshl_add_u32 v21, v1, 3, v21
	v_min_i32_e32 v0, s0, v3
	v_lshrrev_b32_e32 v3, 27, v20
	v_cvt_f32_u32_e32 v20, s1
	v_mul_lo_u32 v46, v2, s4
	v_mad_u64_u32 v[51:52], null, 0x84, v2, v[4:5]
	v_mul_lo_u32 v48, v0, s4
	s_delay_alu instid0(VALU_DEP_4) | instskip(SKIP_4) | instid1(VALU_DEP_4)
	v_rcp_iflag_f32_e32 v20, v20
	v_add_nc_u32_e32 v2, v24, v3
	v_and_b32_e32 v3, 0x7f, v21
	v_mad_u64_u32 v[21:22], null, 0x84, v0, v[4:5]
	v_and_b32_e32 v0, 3, v34
	v_ashrrev_i32_e32 v2, 5, v2
	v_mul_lo_u32 v52, v24, s4
	v_lshlrev_b32_e32 v24, 2, v24
	v_min_i32_e32 v22, s0, v3
	v_add_nc_u32_e32 v25, 0xfe, v0
	v_cmp_gt_u32_e32 vcc_lo, 2, v0
	v_mul_f32_e32 v20, 0x4f7ffffe, v20
	v_lshlrev_b32_e32 v2, 2, v2
	v_xor_b32_e32 v3, 64, v3
	v_ashrrev_i32_e32 v26, 31, v22
	v_cndmask_b32_e32 v25, v25, v0, vcc_lo
	v_cvt_u32_f32_e32 v20, v20
	v_add3_u32 v53, v2, v24, 0x4e40
	v_cmp_ne_u32_e32 vcc_lo, 0, v0
	v_min_i32_e32 v3, s0, v3
	v_and_b32_e32 v24, 0xff, v25
	s_sub_i32 s0, 0, s1
	v_and_b32_e32 v25, 4, v4
	v_mul_lo_u32 v27, s0, v20
	v_lshrrev_b32_e32 v2, 29, v26
	v_add_co_ci_u32_e32 v28, vcc_lo, 0, v24, vcc_lo
	v_cmp_lt_u32_e32 vcc_lo, 1, v0
	v_ashrrev_i32_e32 v26, 31, v3
	v_and_b32_e32 v7, 0x7c, v4
	v_add_nc_u32_e32 v2, v22, v2
	v_mul_lo_u32 v56, v22, s4
	v_cndmask_b32_e32 v54, 0, v25, vcc_lo
	v_mul_hi_u32 v25, v20, v27
	v_sub_nc_u32_e32 v27, 0, v5
	v_lshrrev_b32_e32 v26, 29, v26
	v_ashrrev_i32_e32 v2, 3, v2
	v_lshlrev_b32_e32 v0, 2, v0
	v_lshlrev_b32_e32 v55, 1, v24
	v_max_i32_e32 v27, v5, v27
	v_add_nc_u32_e32 v26, v3, v26
	v_add_nc_u32_e32 v20, v20, v25
	v_lshlrev_b32_e32 v25, 4, v22
	v_and_b32_e32 v22, 28, v4
	v_lshlrev_b32_e32 v2, 2, v2
	v_ashrrev_i32_e32 v26, 3, v26
	v_mul_hi_u32 v20, v27, v20
	v_cndmask_b32_e64 v29, 0, 1, vcc_lo
	v_add_co_u32 v22, s0, s2, v22
	s_delay_alu instid0(VALU_DEP_4)
	v_lshlrev_b32_e32 v24, 2, v26
	v_add3_u32 v2, v2, v0, 0x4200
	v_mad_i32_i24 v26, 0xffffffe4, v1, v23
	v_add_co_ci_u32_e64 v23, null, s3, 0, s0
	v_mul_lo_u32 v30, v20, s1
	v_add3_u32 v0, v24, v0, 0x4200
	v_and_or_b32 v24, v34, 31, v49
	scratch_store_b64 off, v[22:23], off offset:164 ; 8-byte Folded Spill
	v_lshrrev_b32_e32 v33, 3, v32
	v_mul_lo_u32 v57, v3, s4
	v_lshlrev_b32_e32 v3, 4, v3
	v_lshl_add_u32 v22, v24, 2, 0x4a40
	v_sub_nc_u32_e32 v24, v27, v30
	v_lshlrev_b32_e32 v27, 2, v6
	v_add_nc_u32_e32 v30, 32, v34
	v_lshrrev_b32_e32 v66, 3, v34
	scratch_store_b32 off, v22, off offset:172 ; 4-byte Folded Spill
	v_lshl_add_u32 v22, v26, 2, 0x5050
	v_add_nc_u32_e32 v26, 1, v20
	v_subrev_nc_u32_e32 v31, s1, v24
	v_cmp_le_u32_e32 vcc_lo, s1, v24
	v_cmp_gt_u32_e64 s0, 4, v34
	scratch_store_b32 off, v22, off offset:192 ; 4-byte Folded Spill
	v_add3_u32 v22, v27, v4, 0x4e40
	v_mul_u32_u24_e32 v73, 0x84, v34
	v_cndmask_b32_e32 v20, v20, v26, vcc_lo
	v_dual_cndmask_b32 v24, v24, v31 :: v_dual_add_nc_u32 v31, 64, v34
	scratch_store_b32 off, v22, off         ; 4-byte Folded Spill
	v_lshrrev_b32_e32 v22, 3, v30
	v_add_nc_u32_e32 v27, 1, v20
	v_cmp_le_u32_e32 vcc_lo, s1, v24
	v_xor_b32_e32 v26, s10, v5
	v_lshrrev_b32_e32 v24, 3, v31
	v_lshlrev_b32_e32 v30, 2, v30
	v_lshlrev_b32_e32 v31, 2, v31
	v_dual_cndmask_b32 v20, v20, v27 :: v_dual_and_b32 v27, 60, v22
	v_ashrrev_i32_e32 v26, 31, v26
	v_and_b32_e32 v59, 60, v24
	s_movk_i32 s1, 0x1080
	v_mad_u32_u24 v76, 0x84, v34, s6
	v_add3_u32 v5, v4, v27, 0x4e40
	v_xor_b32_e32 v20, v20, v26
	v_and_b32_e32 v27, 60, v33
	v_mad_u32_u24 v74, 0x84, v34, s1
	s_movk_i32 s1, 0x2100
	s_clause 0x1
	scratch_store_b32 off, v5, off offset:4
	scratch_store_b32 off, v22, off offset:176
	v_add3_u32 v5, v4, v59, 0x4e40
	v_sub_nc_u32_e32 v20, v20, v26
	v_lshlrev_b32_e32 v26, 2, v32
	v_mad_u32_u24 v75, 0x84, v34, s1
	v_lshlrev_b32_e32 v81, 4, v34
	scratch_store_b32 off, v5, off offset:8 ; 4-byte Folded Spill
	v_add3_u32 v5, v4, v27, 0x4e40
	v_cmp_gt_i32_e64 s1, s7, v20
	v_lshlrev_b32_e32 v82, 2, v33
	v_lshlrev_b32_e32 v83, 2, v24
	v_lshlrev_b32_e32 v84, 2, v22
	scratch_store_b32 off, v5, off offset:12 ; 4-byte Folded Spill
	v_mul_lo_u32 v5, v20, s8
	v_lshl_or_b32 v85, v66, 2, 0x4200
	v_lshlrev_b32_e32 v22, 2, v29
	v_add_nc_u32_e32 v23, v2, v25
	v_lshlrev_b32_e32 v90, 2, v30
	v_lshlrev_b32_e32 v91, 2, v31
	v_dual_mov_b32 v59, 0 :: v_dual_lshlrev_b32 v92, 2, v26
	scratch_store_b32 off, v5, off offset:16 ; 4-byte Folded Spill
	v_ashrrev_i32_e32 v5, 31, v5
	v_mov_b32_e32 v20, 0
	s_add_u32 s14, s2, 0x90
	s_addc_u32 s15, s3, 0
	scratch_store_b32 off, v5, off offset:196 ; 4-byte Folded Spill
	v_mad_u32_u24 v5, 0x84, v34, 64
	v_add_nc_u32_e32 v34, v0, v3
	scratch_store_b32 off, v5, off offset:180 ; 4-byte Folded Spill
	v_lshl_add_u32 v5, v1, 4, 0x5050
	v_lshl_add_u32 v1, v1, 7, 0x4a40
	s_clause 0x1
	scratch_store_b32 off, v5, off offset:184
	scratch_store_b32 off, v1, off offset:188
	v_lshlrev_b32_e32 v5, 2, v28
	s_clause 0x18
	scratch_store_b64 off, v[37:38], off offset:20
	scratch_store_b64 off, v[38:39], off offset:28
	;; [unrolled: 1-line block ×5, first 2 shown]
	scratch_store_b32 off, v40, off offset:60
	scratch_store_b64 off, v[44:45], off offset:64
	scratch_store_b64 off, v[45:46], off offset:72
	scratch_store_b32 off, v19, off offset:80
	scratch_store_b32 off, v18, off offset:84
	scratch_store_b64 off, v[50:51], off offset:88
	scratch_store_b64 off, v[51:52], off offset:96
	scratch_store_b32 off, v46, off offset:104
	scratch_store_b32 off, v87, off offset:108
	scratch_store_b64 off, v[21:22], off offset:112
	scratch_store_b32 off, v52, off offset:120
	scratch_store_b32 off, v53, off offset:124
	;; [unrolled: 1-line block ×10, first 2 shown]
	s_branch .LBB192_7
.LBB192_4:                              ;   in Loop: Header=BB192_7 Depth=1
	s_clause 0x7
	scratch_load_b64 v[37:38], off, off offset:20
	scratch_load_b64 v[42:43], off, off offset:44
	;; [unrolled: 1-line block ×3, first 2 shown]
	scratch_load_b32 v53, off, off offset:124
	scratch_load_b32 v54, off, off offset:128
	;; [unrolled: 1-line block ×5, first 2 shown]
.LBB192_5:                              ;   in Loop: Header=BB192_7 Depth=1
	v_dual_mov_b32 v35, v8 :: v_dual_mov_b32 v8, v19
	v_dual_mov_b32 v41, v87 :: v_dual_mov_b32 v48, v21
	v_mov_b32_e32 v47, v18
	s_clause 0x10
	scratch_load_b32 v23, off, off offset:152
	scratch_load_b32 v34, off, off offset:156
	scratch_load_b64 v[38:39], off, off offset:28
	scratch_load_b64 v[39:40], off, off offset:36
	scratch_load_b32 v87, off, off offset:108
	scratch_load_b32 v19, off, off offset:80
	scratch_load_b64 v[43:44], off, off offset:52
	scratch_load_b32 v40, off, off offset:60
	scratch_load_b64 v[44:45], off, off offset:64
	scratch_load_b64 v[45:46], off, off offset:72
	scratch_load_b32 v18, off, off offset:84
	scratch_load_b64 v[51:52], off, off offset:96
	scratch_load_b32 v46, off, off offset:104
	;; [unrolled: 2-line block ×3, first 2 shown]
	scratch_load_b32 v5, off, off offset:144
	scratch_load_b32 v22, off, off offset:148
.LBB192_6:                              ;   in Loop: Header=BB192_7 Depth=1
	s_add_i32 s18, s18, 1
	s_delay_alu instid0(SALU_CYCLE_1)
	s_cmp_eq_u32 s18, s4
	s_cbranch_scc1 .LBB192_24
.LBB192_7:                              ; =>This Loop Header: Depth=1
                                        ;     Child Loop BB192_14 Depth 2
                                        ;     Child Loop BB192_22 Depth 2
	s_mul_i32 s6, s18, 0x90
	s_mul_hi_u32 s17, s18, 0x90
	s_add_u32 s16, s19, s6
	s_addc_u32 s17, s20, s17
	s_lshl_b32 s6, s18, 8
	v_mad_u64_u32 v[0:1], null, 0x90, v6, s[16:17]
	s_waitcnt vmcnt(18)
	v_mad_i64_i32 v[97:98], null, 0x90, v56, s[16:17]
	s_cmp_lt_i32 s6, s5
	s_delay_alu instid0(VALU_DEP_2) | instskip(NEXT) | instid1(VALU_DEP_3)
	v_add_co_u32 v0, vcc_lo, v0, v7
	v_add_co_ci_u32_e32 v1, vcc_lo, 0, v1, vcc_lo
	s_delay_alu instid0(VALU_DEP_2) | instskip(NEXT) | instid1(VALU_DEP_2)
	v_add_co_u32 v0, vcc_lo, v0, 16
	v_add_co_ci_u32_e32 v1, vcc_lo, 0, v1, vcc_lo
	s_delay_alu instid0(VALU_DEP_1)
	v_mad_i64_i32 v[2:3], null, 0x90, v35, v[0:1]
	v_mad_i64_i32 v[24:25], null, 0x90, v10, v[0:1]
	;; [unrolled: 1-line block ×8, first 2 shown]
	s_clause 0x7
	global_load_b32 v99, v[2:3], off
	global_load_b32 v100, v[24:25], off
	;; [unrolled: 1-line block ×8, first 2 shown]
	v_add_co_u32 v32, vcc_lo, v97, 4
	s_waitcnt vmcnt(25)
	v_mad_i64_i32 v[26:27], null, 0x90, v57, s[16:17]
	v_add_co_ci_u32_e32 v33, vcc_lo, 0, v98, vcc_lo
	s_waitcnt vmcnt(9)
	v_add_co_u32 v30, vcc_lo, v32, v5
	v_mad_i64_i32 v[2:3], null, 0x90, v41, v[0:1]
	s_delay_alu instid0(VALU_DEP_3)
	v_add_co_ci_u32_e32 v31, vcc_lo, 0, v33, vcc_lo
	v_add_co_u32 v93, vcc_lo, v26, 4
	v_add_co_ci_u32_e32 v94, vcc_lo, 0, v27, vcc_lo
	s_waitcnt vmcnt(8)
	v_add_co_u32 v26, vcc_lo, v32, v22
	v_add_co_ci_u32_e32 v27, vcc_lo, 0, v33, vcc_lo
	v_add_co_u32 v32, vcc_lo, v93, v5
	v_add_co_ci_u32_e32 v33, vcc_lo, 0, v94, vcc_lo
	;; [unrolled: 2-line block ×3, first 2 shown]
	s_clause 0x2
	global_load_b32 v97, v[30:31], off
	global_load_b32 v98, v[26:27], off
	;; [unrolled: 1-line block ×3, first 2 shown]
	v_mad_i64_i32 v[24:25], null, 0x90, v87, v[0:1]
	v_mad_i64_i32 v[28:29], null, 0x90, v19, v[0:1]
	global_load_b32 v108, v[93:94], off
	v_mad_i64_i32 v[26:27], null, 0x90, v40, v[0:1]
	v_mad_i64_i32 v[30:31], null, 0x90, v47, v[0:1]
	;; [unrolled: 1-line block ×6, first 2 shown]
	s_clause 0x8
	global_load_b32 v2, v[2:3], off
	global_load_b32 v3, v[24:25], off
	;; [unrolled: 1-line block ×9, first 2 shown]
	s_waitcnt vmcnt(20)
	ds_store_b32 v9, v99
	s_waitcnt vmcnt(19)
	ds_store_b32 v11, v100
	;; [unrolled: 2-line block ×14, first 2 shown]
	v_ashrrev_i32_e32 v1, v54, v97
	v_ashrrev_i32_e32 v30, v54, v107
	;; [unrolled: 1-line block ×4, first 2 shown]
	s_delay_alu instid0(VALU_DEP_4) | instskip(NEXT) | instid1(VALU_DEP_4)
	v_and_b32_e32 v1, 0xf0f0f0f, v1
	v_and_b32_e32 v30, 0xf0f0f0f, v30
	s_delay_alu instid0(VALU_DEP_2) | instskip(NEXT) | instid1(VALU_DEP_2)
	v_and_or_b32 v1, 0x30303030, v31, v1
	v_and_or_b32 v2, 0x30303030, v32, v30
	s_waitcnt vmcnt(2)
	ds_store_b32 v51, v28
	s_waitcnt vmcnt(1)
	ds_store_b32 v21, v29
	;; [unrolled: 2-line block ×3, first 2 shown]
	ds_store_b32 v23, v1
	ds_store_b32 v34, v2
	s_cbranch_scc0 .LBB192_6
; %bb.8:                                ;   in Loop: Header=BB192_7 Depth=1
	s_lshl_b32 s16, s18, 3
	s_delay_alu instid0(SALU_CYCLE_1) | instskip(NEXT) | instid1(VALU_DEP_1)
	v_add_nc_u32_e32 v0, s16, v66
	v_cmp_gt_i32_e32 vcc_lo, s8, v0
	s_and_b32 s21, s1, vcc_lo
	s_delay_alu instid0(SALU_CYCLE_1)
	s_and_saveexec_b32 s17, s21
	s_cbranch_execz .LBB192_10
; %bb.9:                                ;   in Loop: Header=BB192_7 Depth=1
	s_clause 0x1
	scratch_load_b32 v1, off, off offset:16
	scratch_load_b64 v[22:23], off, off offset:164
	s_waitcnt vmcnt(1)
	v_add_nc_u32_e32 v2, v1, v0
	s_waitcnt vmcnt(0)
	s_delay_alu instid0(VALU_DEP_1)
	v_mad_i64_i32 v[0:1], null, v2, 36, v[22:23]
	global_load_b32 v0, v[0:1], off offset:4
	scratch_load_b32 v1, off, off offset:172 ; 4-byte Folded Reload
	s_waitcnt vmcnt(0)
	ds_store_b32 v1, v0
.LBB192_10:                             ;   in Loop: Header=BB192_7 Depth=1
	s_or_b32 exec_lo, exec_lo, s17
	v_dual_mov_b32 v21, v48 :: v_dual_mov_b32 v18, v47
	v_mov_b32_e32 v87, v41
	v_dual_mov_b32 v19, v8 :: v_dual_mov_b32 v8, v35
	s_and_saveexec_b32 s17, s0
	s_cbranch_execz .LBB192_13
; %bb.11:                               ;   in Loop: Header=BB192_7 Depth=1
	scratch_load_b32 v0, off, off offset:160 ; 4-byte Folded Reload
	s_waitcnt vmcnt(0)
	v_or_b32_e32 v0, s16, v0
	s_delay_alu instid0(VALU_DEP_1) | instskip(SKIP_1) | instid1(SALU_CYCLE_1)
	v_cmp_gt_i32_e32 vcc_lo, s8, v0
	s_and_b32 s21, s1, vcc_lo
	s_and_b32 exec_lo, exec_lo, s21
	s_cbranch_execz .LBB192_13
; %bb.12:                               ;   in Loop: Header=BB192_7 Depth=1
	scratch_load_b32 v1, off, off offset:16 ; 4-byte Folded Reload
	s_waitcnt vmcnt(0)
	v_add_nc_u32_e32 v2, v1, v0
	s_delay_alu instid0(VALU_DEP_1)
	v_mad_i64_i32 v[0:1], null, v2, 36, s[2:3]
	global_load_b32 v0, v[0:1], off
	scratch_load_b32 v1, off, off offset:192 ; 4-byte Folded Reload
	s_waitcnt vmcnt(0)
	ds_store_b32 v1, v0
.LBB192_13:                             ;   in Loop: Header=BB192_7 Depth=1
	s_or_b32 exec_lo, exec_lo, s17
	s_waitcnt lgkmcnt(0)
	s_waitcnt_vscnt null, 0x0
	s_barrier
	buffer_gl0_inv
	s_clause 0x2
	scratch_load_b32 v0, off, off
	scratch_load_b32 v1, off, off offset:4
	scratch_load_b32 v2, off, off offset:8
	s_mov_b32 s22, 0
	s_mov_b32 s17, -1
	s_waitcnt vmcnt(2)
	ds_load_b32 v0, v0
	s_waitcnt vmcnt(1)
	ds_load_b32 v1, v1 offset:128
	s_waitcnt vmcnt(0)
	ds_load_b32 v25, v2 offset:256
	scratch_load_b32 v2, off, off offset:12 ; 4-byte Folded Reload
	s_waitcnt lgkmcnt(1)
	v_cvt_f32_f16_e32 v3, v1
	v_lshrrev_b32_e32 v1, 16, v1
	s_waitcnt lgkmcnt(0)
	v_lshrrev_b32_e32 v28, 16, v25
	v_cvt_f32_f16_e32 v24, v25
	s_delay_alu instid0(VALU_DEP_3) | instskip(NEXT) | instid1(VALU_DEP_3)
	v_cvt_f32_f16_e32 v27, v1
	v_cvt_f32_f16_e32 v28, v28
	s_waitcnt vmcnt(0)
	ds_load_b32 v26, v2 offset:384
	v_cvt_f32_f16_e32 v2, v0
	v_lshrrev_b32_e32 v0, 16, v0
	s_waitcnt lgkmcnt(0)
	v_lshrrev_b32_e32 v29, 16, v26
	v_cvt_f32_f16_e32 v25, v26
	s_delay_alu instid0(VALU_DEP_3) | instskip(NEXT) | instid1(VALU_DEP_3)
	v_cvt_f32_f16_e32 v26, v0
	v_cvt_f32_f16_e32 v29, v29
.LBB192_14:                             ;   Parent Loop BB192_7 Depth=1
                                        ; =>  This Inner Loop Header: Depth=2
	s_lshr_b32 s21, s22, 2
	v_lshl_or_b32 v0, s22, 1, v49
	s_lshl_b32 s22, s22, 2
	v_lshlrev_b32_e32 v1, 2, v66
	v_lshlrev_b32_e32 v30, 2, v4
	v_add_nc_u32_e32 v31, s22, v73
	s_addk_i32 s21, 0x4200
	v_add_nc_u32_e32 v32, s22, v74
	v_add_nc_u32_e32 v94, s22, v75
	;; [unrolled: 1-line block ×3, first 2 shown]
	v_add3_u32 v97, s21, v84, v90
	v_add3_u32 v105, s21, v83, v91
	;; [unrolled: 1-line block ×3, first 2 shown]
	v_lshlrev_b32_e32 v111, 2, v0
	v_add3_u32 v30, s21, v1, v30
	v_lshrrev_b32_e32 v147, 1, v0
	ds_load_2addr_b32 v[0:1], v31 offset1:1
	ds_load_2addr_b32 v[99:100], v31 offset0:2 offset1:3
	ds_load_2addr_b32 v[109:110], v31 offset0:4 offset1:5
	;; [unrolled: 1-line block ×3, first 2 shown]
	ds_load_2addr_b32 v[101:102], v94 offset1:1
	ds_load_2addr_b32 v[127:128], v94 offset0:2 offset1:3
	ds_load_2addr_b32 v[103:104], v32 offset1:1
	ds_load_2addr_b32 v[129:130], v33 offset0:4 offset1:5
	ds_load_2addr_b32 v[131:132], v32 offset0:2 offset1:3
	;; [unrolled: 1-line block ×7, first 2 shown]
	ds_load_u8 v31, v95 offset:9
	ds_load_2addr_b32 v[143:144], v33 offset1:1
	ds_load_u16 v93, v105
	ds_load_u8 v33, v95 offset:8
	ds_load_u16 v32, v95
	ds_load_2addr_b32 v[145:146], v94 offset0:6 offset1:7
	ds_load_u16 v95, v97
	ds_load_u8 v96, v97 offset:9
	ds_load_u8 v98, v97 offset:8
	;; [unrolled: 1-line block ×4, first 2 shown]
	ds_load_b128 v[105:108], v111 offset:19008
	ds_load_b128 v[113:116], v111 offset:19024
	;; [unrolled: 1-line block ×4, first 2 shown]
	s_waitcnt lgkmcnt(28)
	v_and_b32_e32 v148, 15, v0
	s_waitcnt lgkmcnt(24)
	v_and_b32_e32 v150, 15, v101
	v_ashrrev_i32_e32 v154, 4, v0
	v_bfe_u32 v160, v0, 8, 4
	v_bfe_u32 v171, v0, 16, 4
	;; [unrolled: 1-line block ×3, first 2 shown]
	v_and_b32_e32 v151, 15, v1
	v_and_b32_e32 v153, 15, v102
	v_ashrrev_i32_e32 v157, 4, v1
	v_bfe_u32 v164, v101, 8, 4
	s_waitcnt lgkmcnt(23)
	v_and_b32_e32 v165, 15, v127
	v_bfe_u32 v177, v1, 8, 4
	v_bfe_u32 v188, v1, 16, 4
	;; [unrolled: 1-line block ×3, first 2 shown]
	s_waitcnt lgkmcnt(22)
	v_and_b32_e32 v149, 15, v103
	v_ashrrev_i32_e32 v155, 4, v103
	s_waitcnt lgkmcnt(3)
	v_bfe_i32 v0, v105, 0, 8
	v_bfe_i32 v1, v105, 8, 8
	;; [unrolled: 1-line block ×4, first 2 shown]
	v_ashrrev_i32_e32 v156, 4, v101
	v_mul_i32_i24_e32 v150, v150, v0
	v_bfe_u32 v162, v103, 8, 4
	v_bfe_u32 v173, v103, 16, 4
	;; [unrolled: 1-line block ×5, first 2 shown]
	v_and_b32_e32 v178, 15, v100
	v_ashrrev_i32_e32 v184, 4, v100
	v_bfe_u32 v211, v100, 8, 4
	v_bfe_u32 v212, v100, 16, 4
	;; [unrolled: 1-line block ×3, first 2 shown]
	v_and_b32_e32 v249, 15, v136
	v_bfe_u32 v250, v136, 8, 4
	v_bfe_u32 v251, v136, 16, 4
	;; [unrolled: 1-line block ×3, first 2 shown]
	v_ashrrev_i32_e32 v100, 4, v136
	v_bfe_i32 v136, v105, 16, 8
	v_ashrrev_i32_e32 v253, 24, v105
	s_waitcnt lgkmcnt(0)
	v_bfe_i32 v111, v124, 0, 8
	v_bfe_i32 v105, v124, 8, 8
	;; [unrolled: 1-line block ×3, first 2 shown]
	v_ashrrev_i32_e32 v101, 24, v124
	v_and_b32_e32 v124, 15, v143
	v_mad_i32_i24 v150, v153, v254, v150
	v_mul_i32_i24_e32 v164, v164, v1
	v_mul_i32_i24_e32 v165, v165, v78
	v_and_b32_e32 v152, 15, v104
	v_and_b32_e32 v161, 15, v99
	;; [unrolled: 1-line block ×5, first 2 shown]
	v_mul_i32_i24_e32 v148, v148, v0
	v_mul_i32_i24_e32 v149, v149, v0
	;; [unrolled: 1-line block ×3, first 2 shown]
	v_ashrrev_i32_e32 v124, 4, v143
	v_add3_u32 v150, v150, v165, v164
	v_bfe_u32 v165, v143, 8, 4
	v_ashrrev_i32_e32 v167, 4, v99
	v_bfe_i32 v45, v117, 0, 8
	v_mad_i32_i24 v148, v151, v254, v148
	v_mad_i32_i24 v149, v152, v254, v149
	v_and_b32_e32 v152, 15, v154
	v_and_b32_e32 v153, 15, v155
	v_mad_i32_i24 v0, v89, v254, v0
	v_and_b32_e32 v89, 15, v156
	v_and_b32_e32 v254, 15, v124
	v_mul_i32_i24_e32 v160, v160, v1
	v_mul_i32_i24_e32 v161, v161, v78
	;; [unrolled: 1-line block ×6, first 2 shown]
	v_and_b32_e32 v214, 15, v110
	v_ashrrev_i32_e32 v222, 4, v110
	v_bfe_u32 v225, v110, 8, 4
	v_bfe_u32 v226, v110, 16, 4
	;; [unrolled: 1-line block ×3, first 2 shown]
	v_bfe_i32 v63, v108, 0, 8
	v_bfe_i32 v34, v108, 8, 8
	;; [unrolled: 1-line block ×3, first 2 shown]
	v_ashrrev_i32_e32 v67, 24, v108
	v_bfe_i32 v46, v117, 8, 8
	v_bfe_i32 v48, v118, 0, 8
	;; [unrolled: 1-line block ×4, first 2 shown]
	v_ashrrev_i32_e32 v108, 24, v118
	v_bfe_i32 v118, v119, 0, 8
	v_mul_i32_i24_e32 v152, v152, v45
	v_mul_i32_i24_e32 v153, v153, v45
	;; [unrolled: 1-line block ×4, first 2 shown]
	v_and_b32_e32 v254, 15, v157
	v_add3_u32 v78, v0, v78, v1
	v_bfe_u32 v0, v154, 8, 4
	v_and_b32_e32 v1, 15, v167
	v_ashrrev_i32_e32 v158, 4, v104
	v_ashrrev_i32_e32 v168, 4, v131
	v_mad_i32_i24 v152, v254, v48, v152
	v_mul_i32_i24_e32 v0, v0, v46
	v_mul_i32_i24_e32 v1, v1, v118
	v_and_b32_e32 v254, 15, v158
	v_ashrrev_i32_e32 v159, 4, v102
	v_ashrrev_i32_e32 v169, 4, v127
	;; [unrolled: 1-line block ×3, first 2 shown]
	v_add3_u32 v152, v152, v1, v0
	v_bfe_u32 v0, v155, 8, 4
	v_and_b32_e32 v1, 15, v168
	v_mad_i32_i24 v153, v254, v48, v153
	v_and_b32_e32 v254, 15, v159
	v_ashrrev_i32_e32 v151, 4, v144
	v_mul_i32_i24_e32 v0, v0, v46
	v_mul_i32_i24_e32 v1, v1, v118
	v_add3_u32 v148, v148, v161, v160
	v_mad_i32_i24 v89, v254, v48, v89
	v_and_b32_e32 v254, 15, v151
	v_bfe_i32 v47, v117, 16, 8
	v_add3_u32 v153, v153, v1, v0
	v_bfe_u32 v0, v156, 8, 4
	v_and_b32_e32 v1, 15, v169
	v_mad_i32_i24 v45, v254, v48, v45
	v_ashrrev_i32_e32 v117, 24, v117
	v_bfe_u32 v179, v104, 8, 4
	v_mul_i32_i24_e32 v0, v0, v46
	v_mul_i32_i24_e32 v1, v1, v118
	v_and_b32_e32 v180, 15, v132
	v_bfe_i32 v255, v106, 8, 8
	v_add3_u32 v149, v149, v163, v162
	v_ashrrev_i32_e32 v185, 4, v132
	v_add3_u32 v89, v89, v1, v0
	v_and_b32_e32 v0, 15, v170
	v_bfe_u32 v1, v124, 8, 4
	v_ashrrev_i32_e32 v186, 4, v128
	v_ashrrev_i32_e32 v187, 4, v142
	v_mul_i32_i24_e32 v177, v177, v255
	v_mul_i32_i24_e32 v0, v0, v118
	;; [unrolled: 1-line block ×6, first 2 shown]
	v_bfe_u32 v181, v102, 8, 4
	v_add3_u32 v45, v45, v0, v1
	ds_load_b64 v[0:1], v147 offset:20560
	v_mul_i32_i24_e32 v147, v171, v136
	v_mul_i32_i24_e32 v171, v172, v253
	v_mul_i32_i24_e32 v172, v174, v253
	v_mul_i32_i24_e32 v174, v175, v136
	v_mul_i32_i24_e32 v175, v176, v253
	v_bfe_u32 v176, v145, 16, 4
	v_add3_u32 v147, v148, v147, v171
	v_bfe_u32 v148, v143, 16, 4
	v_bfe_u32 v143, v143, 24, 4
	v_mul_i32_i24_e32 v171, v173, v136
	v_add3_u32 v150, v150, v174, v175
	v_and_b32_e32 v174, 15, v145
	v_mul_i32_i24_e32 v136, v148, v136
	v_mul_i32_i24_e32 v143, v143, v253
	v_ashrrev_i32_e32 v175, 4, v145
	v_bfe_u32 v148, v145, 8, 4
	v_add3_u32 v149, v149, v171, v172
	v_and_b32_e32 v182, 15, v128
	v_add3_u32 v78, v78, v136, v143
	v_bfe_u32 v136, v145, 24, 4
	v_bfe_u32 v143, v154, 16, 4
	;; [unrolled: 1-line block ×4, first 2 shown]
	v_bfe_i32 v53, v120, 0, 8
	v_add3_u32 v147, v147, v178, v177
	v_mul_i32_i24_e32 v143, v143, v47
	v_mul_i32_i24_e32 v145, v145, v117
	;; [unrolled: 1-line block ×3, first 2 shown]
	v_and_b32_e32 v178, 15, v186
	v_add3_u32 v149, v149, v180, v179
	v_and_b32_e32 v179, 15, v187
	v_add3_u32 v143, v152, v143, v145
	v_bfe_u32 v152, v155, 16, 4
	v_bfe_u32 v155, v156, 24, 4
	;; [unrolled: 1-line block ×5, first 2 shown]
	v_mul_i32_i24_e32 v152, v152, v47
	v_mul_i32_i24_e32 v155, v155, v117
	v_bfe_u32 v193, v102, 24, 4
	v_bfe_i32 v77, v106, 16, 8
	v_ashrrev_i32_e32 v64, 24, v106
	v_add3_u32 v152, v153, v152, v154
	v_bfe_u32 v154, v156, 16, 4
	v_bfe_u32 v156, v124, 16, 4
	;; [unrolled: 1-line block ×4, first 2 shown]
	v_mul_i32_i24_e32 v181, v181, v255
	v_mul_i32_i24_e32 v154, v154, v47
	;; [unrolled: 1-line block ×4, first 2 shown]
	v_and_b32_e32 v124, 15, v184
	v_bfe_u32 v156, v157, 8, 4
	v_mul_i32_i24_e32 v182, v182, v63
	v_mul_i32_i24_e32 v178, v178, v53
	v_add3_u32 v45, v45, v47, v117
	v_and_b32_e32 v117, 15, v185
	v_bfe_u32 v47, v158, 8, 4
	v_mul_i32_i24_e32 v124, v124, v53
	v_and_b32_e32 v183, 15, v142
	v_bfe_u32 v194, v99, 8, 4
	v_mul_i32_i24_e32 v117, v117, v53
	v_mul_i32_i24_e32 v53, v179, v53
	v_bfe_u32 v179, v151, 8, 4
	v_and_b32_e32 v195, 15, v109
	v_bfe_u32 v196, v131, 8, 4
	v_and_b32_e32 v197, 15, v133
	;; [unrolled: 2-line block ×4, first 2 shown]
	v_ashrrev_i32_e32 v202, 4, v109
	v_ashrrev_i32_e32 v203, 4, v133
	;; [unrolled: 1-line block ×4, first 2 shown]
	v_bfe_u32 v206, v99, 16, 4
	v_bfe_u32 v207, v99, 24, 4
	;; [unrolled: 1-line block ×9, first 2 shown]
	v_and_b32_e32 v216, 15, v134
	v_bfe_u32 v217, v128, 8, 4
	v_and_b32_e32 v218, 15, v138
	v_bfe_u32 v219, v142, 8, 4
	;; [unrolled: 2-line block ×3, first 2 shown]
	v_bfe_u32 v223, v109, 16, 4
	v_bfe_u32 v224, v109, 24, 4
	;; [unrolled: 1-line block ×6, first 2 shown]
	v_and_b32_e32 v234, 15, v126
	v_bfe_u32 v235, v142, 16, 4
	v_bfe_u32 v142, v142, 24, 4
	;; [unrolled: 1-line block ×5, first 2 shown]
	v_ashrrev_i32_e32 v99, 4, v126
	v_bfe_u32 v126, v133, 8, 4
	v_bfe_u32 v239, v133, 16, 4
	;; [unrolled: 1-line block ×6, first 2 shown]
	v_bfe_i32 v79, v107, 8, 8
	v_bfe_i32 v80, v107, 16, 8
	v_ashrrev_i32_e32 v68, 24, v107
	v_bfe_i32 v69, v113, 0, 8
	v_bfe_i32 v70, v113, 8, 8
	;; [unrolled: 1-line block ×3, first 2 shown]
	v_ashrrev_i32_e32 v22, 24, v113
	v_bfe_i32 v23, v114, 0, 8
	v_bfe_i32 v35, v114, 8, 8
	;; [unrolled: 1-line block ×6, first 2 shown]
	v_ashrrev_i32_e32 v106, 24, v123
	v_bfe_u32 v123, v137, 16, 4
	v_bfe_u32 v48, v137, 24, 4
	v_bfe_u32 v137, v138, 8, 4
	v_bfe_u32 v160, v129, 16, 4
	v_bfe_u32 v129, v129, 24, 4
	v_bfe_u32 v162, v130, 8, 4
	v_and_b32_e32 v166, 15, v140
	v_bfe_u32 v171, v144, 8, 4
	v_bfe_u32 v172, v144, 16, 4
	;; [unrolled: 1-line block ×3, first 2 shown]
	v_and_b32_e32 v145, 15, v146
	v_add3_u32 v89, v89, v154, v155
	v_add3_u32 v150, v150, v182, v181
	v_mul_i32_i24_e32 v156, v156, v50
	v_mul_i32_i24_e32 v47, v47, v50
	;; [unrolled: 1-line block ×10, first 2 shown]
	v_ashrrev_i32_e32 v112, 4, v134
	v_ashrrev_i32_e32 v104, 4, v138
	;; [unrolled: 1-line block ×3, first 2 shown]
	v_bfe_u32 v233, v125, 24, 4
	v_bfe_u32 v241, v134, 16, 4
	;; [unrolled: 1-line block ×3, first 2 shown]
	v_and_b32_e32 v247, 15, v139
	v_bfe_u32 v248, v135, 24, 4
	v_bfe_i32 v38, v114, 16, 8
	v_ashrrev_i32_e32 v114, 24, v114
	v_bfe_i32 v39, v115, 0, 8
	v_bfe_i32 v40, v115, 8, 8
	;; [unrolled: 1-line block ×3, first 2 shown]
	v_ashrrev_i32_e32 v115, 24, v115
	v_bfe_i32 v44, v116, 16, 8
	v_bfe_i32 v52, v119, 16, 8
	v_bfe_i32 v54, v120, 8, 8
	v_bfe_i32 v55, v120, 16, 8
	v_ashrrev_i32_e32 v120, 24, v120
	v_bfe_i32 v56, v121, 8, 8
	v_bfe_i32 v57, v121, 16, 8
	v_bfe_u32 v161, v138, 16, 4
	v_bfe_u32 v138, v138, 24, 4
	;; [unrolled: 1-line block ×4, first 2 shown]
	v_ashrrev_i32_e32 v254, 4, v139
	v_bfe_u32 v164, v139, 8, 4
	v_bfe_u32 v165, v139, 16, 4
	;; [unrolled: 1-line block ×5, first 2 shown]
	v_add3_u32 v47, v152, v117, v47
	v_bfe_u32 v117, v170, 8, 4
	v_add3_u32 v89, v89, v178, v177
	v_bfe_u32 v177, v167, 16, 4
	v_bfe_u32 v178, v168, 16, 4
	;; [unrolled: 1-line block ×3, first 2 shown]
	v_add3_u32 v45, v45, v53, v50
	v_bfe_u32 v50, v170, 16, 4
	v_bfe_u32 v53, v170, 24, 4
	;; [unrolled: 1-line block ×3, first 2 shown]
	v_add3_u32 v147, v147, v188, v189
	v_bfe_u32 v189, v185, 8, 4
	v_add3_u32 v149, v149, v190, v191
	v_bfe_u32 v191, v186, 8, 4
	;; [unrolled: 2-line block ×3, first 2 shown]
	v_mul_i32_i24_e32 v64, v144, v64
	v_bfe_u32 v144, v184, 16, 4
	v_bfe_u32 v184, v184, 24, 4
	v_mul_i32_i24_e32 v194, v194, v79
	v_mul_i32_i24_e32 v196, v196, v79
	v_mul_i32_i24_e32 v198, v198, v79
	v_mul_i32_i24_e32 v79, v200, v79
	v_bfe_u32 v200, v185, 16, 4
	v_bfe_u32 v185, v185, 24, 4
	v_mul_i32_i24_e32 v195, v195, v69
	v_mul_i32_i24_e32 v197, v197, v69
	v_mul_i32_i24_e32 v199, v199, v69
	v_mul_i32_i24_e32 v69, v201, v69
	v_bfe_u32 v201, v186, 16, 4
	v_bfe_u32 v186, v186, 24, 4
	v_mul_i32_i24_e32 v206, v206, v80
	v_mul_i32_i24_e32 v208, v208, v80
	v_mul_i32_i24_e32 v209, v209, v80
	v_mul_i32_i24_e32 v80, v210, v80
	v_bfe_u32 v210, v187, 16, 4
	v_bfe_u32 v187, v187, 24, 4
	v_mul_i32_i24_e32 v207, v207, v68
	v_mul_i32_i24_e32 v131, v131, v68
	v_mul_i32_i24_e32 v127, v127, v68
	v_mul_i32_i24_e32 v68, v141, v68
	v_bfe_u32 v141, v202, 8, 4
	v_mul_i32_i24_e32 v214, v214, v23
	v_mul_i32_i24_e32 v216, v216, v23
	v_mul_i32_i24_e32 v218, v218, v23
	v_mul_i32_i24_e32 v23, v220, v23
	v_bfe_u32 v220, v203, 8, 4
	v_mul_i32_i24_e32 v213, v213, v67
	v_mul_i32_i24_e32 v132, v132, v67
	v_mul_i32_i24_e32 v128, v128, v67
	;; [unrolled: 5-line block ×7, first 2 shown]
	v_mul_i32_i24_e32 v42, v166, v42
	v_bfe_u32 v166, v205, 16, 4
	v_bfe_i32 v61, v122, 0, 8
	v_bfe_i32 v62, v122, 8, 8
	;; [unrolled: 1-line block ×3, first 2 shown]
	v_ashrrev_i32_e32 v122, 24, v122
	v_mul_i32_i24_e32 v171, v171, v255
	v_mul_i32_i24_e32 v63, v183, v63
	v_and_b32_e32 v188, 15, v222
	v_and_b32_e32 v190, 15, v112
	;; [unrolled: 1-line block ×3, first 2 shown]
	v_mul_i32_i24_e32 v77, v172, v77
	v_and_b32_e32 v172, 15, v102
	v_mul_i32_i24_e32 v226, v226, v38
	v_mul_i32_i24_e32 v241, v241, v38
	;; [unrolled: 1-line block ×4, first 2 shown]
	v_bfe_u32 v163, v222, 8, 4
	v_mul_i32_i24_e32 v227, v227, v114
	v_mul_i32_i24_e32 v134, v134, v114
	;; [unrolled: 1-line block ×4, first 2 shown]
	v_bfe_u32 v130, v222, 16, 4
	v_bfe_u32 v222, v222, 24, 4
	v_mul_i32_i24_e32 v233, v233, v115
	v_mul_i32_i24_e32 v248, v248, v115
	v_mul_i32_i24_e32 v136, v136, v115
	v_mul_i32_i24_e32 v115, v139, v115
	v_bfe_u32 v139, v112, 8, 4
	v_mul_i32_i24_e32 v237, v237, v44
	v_mul_i32_i24_e32 v251, v251, v44
	v_mul_i32_i24_e32 v154, v154, v44
	v_mul_i32_i24_e32 v44, v118, v44
	;; [unrolled: 5-line block ×3, first 2 shown]
	v_bfe_u32 v52, v112, 16, 4
	v_bfe_u32 v112, v112, 24, 4
	v_mul_i32_i24_e32 v184, v184, v120
	v_mul_i32_i24_e32 v185, v185, v120
	;; [unrolled: 1-line block ×4, first 2 shown]
	v_bfe_u32 v187, v104, 16, 4
	v_bfe_u32 v104, v104, 24, 4
	v_mul_i32_i24_e32 v141, v141, v56
	v_mul_i32_i24_e32 v220, v220, v56
	;; [unrolled: 1-line block ×4, first 2 shown]
	v_bfe_u32 v246, v102, 8, 4
	v_mul_i32_i24_e32 v160, v160, v57
	v_mul_i32_i24_e32 v129, v129, v57
	;; [unrolled: 1-line block ×4, first 2 shown]
	v_bfe_u32 v166, v102, 16, 4
	v_bfe_u32 v102, v102, 24, 4
	;; [unrolled: 1-line block ×8, first 2 shown]
	v_add3_u32 v63, v78, v63, v171
	v_mul_i32_i24_e32 v222, v222, v122
	v_mul_i32_i24_e32 v112, v112, v122
	;; [unrolled: 1-line block ×4, first 2 shown]
	v_bfe_u32 v122, v151, 16, 4
	v_bfe_u32 v151, v151, 24, 4
	v_bfe_i32 v51, v119, 8, 8
	v_bfe_i32 v37, v121, 0, 8
	v_bfe_u32 v253, v167, 8, 4
	v_and_b32_e32 v183, 15, v202
	v_bfe_u32 v78, v168, 8, 4
	v_and_b32_e32 v171, 15, v203
	v_add3_u32 v124, v143, v124, v156
	v_bfe_u32 v143, v169, 8, 4
	v_and_b32_e32 v156, 15, v204
	v_and_b32_e32 v152, 15, v205
	v_mul_i32_i24_e32 v180, v180, v110
	v_mul_i32_i24_e32 v181, v181, v110
	v_mul_i32_i24_e32 v182, v182, v110
	v_mul_i32_i24_e32 v110, v122, v110
	v_mul_i32_i24_e32 v157, v157, v108
	v_mul_i32_i24_e32 v158, v158, v108
	v_mul_i32_i24_e32 v159, v159, v108
	v_mul_i32_i24_e32 v108, v151, v108
	v_add3_u32 v63, v63, v77, v64
	v_ashrrev_i32_e32 v119, 24, v119
	v_bfe_u32 v167, v167, 24, 4
	v_bfe_u32 v168, v168, 24, 4
	v_bfe_u32 v169, v169, 24, 4
	v_mul_i32_i24_e32 v253, v253, v51
	v_mul_i32_i24_e32 v78, v78, v51
	v_mul_i32_i24_e32 v143, v143, v51
	v_mul_i32_i24_e32 v51, v117, v51
	v_mul_i32_i24_e32 v183, v183, v37
	v_mul_i32_i24_e32 v171, v171, v37
	v_mul_i32_i24_e32 v156, v156, v37
	v_mul_i32_i24_e32 v37, v152, v37
	v_add3_u32 v64, v124, v180, v157
	v_add3_u32 v47, v47, v181, v158
	v_add3_u32 v77, v89, v182, v159
	v_add3_u32 v45, v45, v110, v108
	v_add3_u32 v89, v147, v195, v194
	v_add3_u32 v108, v149, v197, v196
	v_add3_u32 v110, v150, v199, v198
	v_add3_u32 v63, v63, v69, v79
	v_and_b32_e32 v228, 15, v125
	v_bfe_u32 v231, v125, 8, 4
	v_bfe_u32 v232, v125, 16, 4
	v_ashrrev_i32_e32 v125, 4, v125
	v_and_b32_e32 v242, 15, v135
	v_bfe_u32 v243, v135, 8, 4
	v_bfe_u32 v244, v135, 16, 4
	v_ashrrev_i32_e32 v135, 4, v135
	v_mul_i32_i24_e32 v211, v211, v34
	v_mul_i32_i24_e32 v215, v215, v34
	;; [unrolled: 1-line block ×8, first 2 shown]
	v_add3_u32 v64, v64, v183, v253
	v_add3_u32 v47, v47, v171, v78
	;; [unrolled: 1-line block ×8, first 2 shown]
	v_bfe_i32 v43, v116, 8, 8
	v_bfe_u32 v46, v140, 8, 4
	v_bfe_u32 v5, v140, 24, 4
	v_ashrrev_i32_e32 v140, 4, v140
	v_bfe_u32 v153, v146, 8, 4
	v_bfe_u32 v155, v146, 24, 4
	v_ashrrev_i32_e32 v146, 4, v146
	v_and_b32_e32 v219, 15, v125
	v_mul_i32_i24_e32 v212, v212, v72
	v_mul_i32_i24_e32 v229, v229, v72
	;; [unrolled: 1-line block ×4, first 2 shown]
	v_and_b32_e32 v235, 15, v135
	v_mul_i32_i24_e32 v228, v228, v39
	v_mul_i32_i24_e32 v242, v242, v39
	;; [unrolled: 1-line block ×4, first 2 shown]
	v_and_b32_e32 v247, 15, v254
	v_and_b32_e32 v151, 15, v175
	v_mul_i32_i24_e32 v170, v170, v54
	v_mul_i32_i24_e32 v189, v189, v54
	;; [unrolled: 1-line block ×8, first 2 shown]
	v_add3_u32 v64, v64, v177, v167
	v_add3_u32 v47, v47, v178, v168
	;; [unrolled: 1-line block ×8, first 2 shown]
	v_ashrrev_i32_e32 v121, 24, v121
	v_bfe_u32 v202, v202, 24, 4
	v_bfe_u32 v203, v203, 24, 4
	;; [unrolled: 1-line block ×4, first 2 shown]
	v_mul_i32_i24_e32 v232, v232, v41
	v_mul_i32_i24_e32 v244, v244, v41
	v_mul_i32_i24_e32 v176, v176, v41
	v_mul_i32_i24_e32 v41, v165, v41
	v_and_b32_e32 v165, 15, v99
	v_mul_i32_i24_e32 v236, v236, v43
	v_mul_i32_i24_e32 v250, v250, v43
	v_mul_i32_i24_e32 v153, v153, v43
	v_mul_i32_i24_e32 v43, v46, v43
	v_and_b32_e32 v46, 15, v100
	;; [unrolled: 5-line block ×4, first 2 shown]
	v_mul_i32_i24_e32 v144, v144, v55
	v_mul_i32_i24_e32 v200, v200, v55
	;; [unrolled: 1-line block ×4, first 2 shown]
	v_add3_u32 v34, v64, v188, v170
	v_add3_u32 v47, v47, v190, v189
	v_add3_u32 v53, v68, v192, v191
	v_add3_u32 v37, v37, v61, v54
	v_add3_u32 v45, v45, v212, v213
	v_add3_u32 v50, v50, v229, v132
	v_add3_u32 v51, v51, v230, v128
	v_add3_u32 v23, v23, v72, v67
	v_ashrrev_i32_e32 v116, 24, v116
	v_mul_i32_i24_e32 v231, v231, v40
	v_mul_i32_i24_e32 v243, v243, v40
	;; [unrolled: 1-line block ×4, first 2 shown]
	v_bfe_u32 v164, v125, 8, 4
	v_bfe_u32 v119, v135, 8, 4
	v_mul_i32_i24_e32 v202, v202, v121
	v_mul_i32_i24_e32 v203, v203, v121
	;; [unrolled: 1-line block ×4, first 2 shown]
	v_bfe_u32 v205, v254, 8, 4
	v_mul_i32_i24_e32 v165, v165, v111
	v_mul_i32_i24_e32 v46, v46, v111
	;; [unrolled: 1-line block ×4, first 2 shown]
	v_bfe_u32 v151, v175, 8, 4
	v_add3_u32 v34, v34, v144, v184
	v_add3_u32 v47, v47, v200, v185
	;; [unrolled: 1-line block ×8, first 2 shown]
	v_mul_i32_i24_e32 v238, v238, v116
	v_mul_i32_i24_e32 v252, v252, v116
	;; [unrolled: 1-line block ×4, first 2 shown]
	v_bfe_u32 v116, v125, 16, 4
	v_bfe_u32 v125, v125, 24, 4
	v_bfe_u32 v193, v135, 16, 4
	v_bfe_u32 v135, v135, 24, 4
	v_mul_i32_i24_e32 v163, v163, v62
	v_mul_i32_i24_e32 v139, v139, v62
	;; [unrolled: 1-line block ×4, first 2 shown]
	v_bfe_u32 v246, v254, 16, 4
	v_bfe_u32 v254, v254, 24, 4
	v_mul_i32_i24_e32 v164, v164, v109
	v_mul_i32_i24_e32 v119, v119, v109
	;; [unrolled: 1-line block ×4, first 2 shown]
	v_bfe_u32 v151, v175, 16, 4
	v_bfe_u32 v175, v175, 24, 4
	v_add3_u32 v34, v34, v219, v141
	v_add3_u32 v39, v47, v235, v220
	;; [unrolled: 1-line block ×8, first 2 shown]
	v_bfe_u32 v117, v99, 8, 4
	v_bfe_u32 v172, v100, 8, 4
	;; [unrolled: 1-line block ×3, first 2 shown]
	v_mul_i32_i24_e32 v125, v125, v106
	v_mul_i32_i24_e32 v135, v135, v106
	;; [unrolled: 1-line block ×4, first 2 shown]
	v_bfe_u32 v175, v146, 8, 4
	ds_load_u16 v173, v30
	v_add3_u32 v23, v34, v160, v202
	v_add3_u32 v34, v39, v129, v203
	;; [unrolled: 1-line block ×8, first 2 shown]
	v_bfe_u32 v152, v99, 16, 4
	v_bfe_u32 v210, v100, 16, 4
	v_mul_i32_i24_e32 v116, v116, v107
	v_mul_i32_i24_e32 v193, v193, v107
	;; [unrolled: 1-line block ×4, first 2 shown]
	v_bfe_u32 v151, v140, 16, 4
	v_mul_i32_i24_e32 v117, v117, v105
	v_mul_i32_i24_e32 v172, v172, v105
	;; [unrolled: 1-line block ×4, first 2 shown]
	v_bfe_u32 v175, v146, 16, 4
	v_add3_u32 v23, v23, v165, v163
	v_add3_u32 v34, v34, v46, v139
	;; [unrolled: 1-line block ×8, first 2 shown]
	v_mul_i32_i24_e32 v152, v152, v103
	v_mul_i32_i24_e32 v210, v210, v103
	v_mul_i32_i24_e32 v151, v151, v103
	v_mul_i32_i24_e32 v103, v175, v103
	ds_load_u8 v175, v30 offset:8
	ds_load_u8 v30, v30 offset:9
	v_cvt_f32_ubyte0_e32 v98, v98
	v_cvt_f32_ubyte0_e32 v97, v97
	;; [unrolled: 1-line block ×3, first 2 shown]
	v_add3_u32 v23, v23, v130, v222
	v_add3_u32 v34, v34, v52, v112
	;; [unrolled: 1-line block ×8, first 2 shown]
	v_bfe_u32 v99, v99, 24, 4
	v_bfe_u32 v100, v100, 24, 4
	;; [unrolled: 1-line block ×4, first 2 shown]
	v_cvt_f32_ubyte0_e32 v96, v96
	s_waitcnt lgkmcnt(3)
	v_fma_mix_f32 v98, v0, v98, 0 op_sel:[1,0,0] op_sel_hi:[1,0,0]
	v_cvt_f32_ubyte0_e32 v94, v94
	v_fma_mix_f32 v97, v0, v97, 0 op_sel:[1,0,0] op_sel_hi:[1,0,0]
	v_cvt_f32_ubyte0_e32 v31, v31
	v_fma_mix_f32 v33, v0, v33, 0 op_sel:[1,0,0] op_sel_hi:[1,0,0]
	v_add3_u32 v23, v23, v164, v116
	v_add3_u32 v34, v34, v119, v193
	v_add3_u32 v35, v35, v109, v107
	v_add3_u32 v37, v37, v205, v246
	v_add3_u32 v38, v38, v233, v236
	v_add3_u32 v39, v39, v248, v250
	v_add3_u32 v40, v42, v136, v153
	v_add3_u32 v22, v22, v115, v43
	v_mul_i32_i24_e32 v99, v99, v101
	v_mul_i32_i24_e32 v100, v100, v101
	;; [unrolled: 1-line block ×4, first 2 shown]
	v_lshrrev_b16 v146, 8, v95
	v_and_b32_e32 v95, 0xff, v95
	v_fma_mix_f32 v96, v1, v96, v98 op_sel:[1,0,0] op_sel_hi:[1,0,0]
	v_lshrrev_b16 v98, 8, v93
	v_and_b32_e32 v93, 0xff, v93
	v_fma_mix_f32 v94, v1, v94, v97 op_sel:[1,0,0] op_sel_hi:[1,0,0]
	;; [unrolled: 3-line block ×3, first 2 shown]
	s_waitcnt lgkmcnt(2)
	v_lshrrev_b16 v33, 8, v173
	v_and_b32_e32 v173, 0xff, v173
	v_add3_u32 v23, v23, v125, v117
	v_add3_u32 v34, v34, v135, v172
	;; [unrolled: 1-line block ×8, first 2 shown]
	v_and_b32_e32 v146, 0xffff, v146
	v_and_b32_e32 v98, 0xffff, v98
	;; [unrolled: 1-line block ×4, first 2 shown]
	v_add3_u32 v22, v23, v152, v99
	v_add3_u32 v23, v34, v210, v100
	;; [unrolled: 1-line block ×4, first 2 shown]
	v_mul_lo_u32 v37, v38, v173
	v_mul_lo_u32 v38, v39, v95
	;; [unrolled: 1-line block ×4, first 2 shown]
	s_waitcnt lgkmcnt(1)
	v_cvt_f32_ubyte0_e32 v175, v175
	v_mul_lo_u32 v22, v22, v33
	v_mul_lo_u32 v23, v23, v146
	;; [unrolled: 1-line block ×4, first 2 shown]
	s_waitcnt lgkmcnt(0)
	v_cvt_f32_ubyte0_e32 v30, v30
	v_fma_mix_f32 v175, v0, v175, 0 op_sel:[1,0,0] op_sel_hi:[1,0,0]
	v_cvt_f32_i32_e32 v34, v37
	v_cvt_f32_i32_e32 v35, v38
	;; [unrolled: 1-line block ×4, first 2 shown]
	v_fma_mix_f32 v30, v1, v30, v175 op_sel:[1,0,0] op_sel_hi:[1,0,0]
	v_cvt_f32_i32_e32 v22, v22
	v_cvt_f32_i32_e32 v23, v23
	;; [unrolled: 1-line block ×4, first 2 shown]
	v_fma_mix_f32 v34, v0, v34, 0 op_sel_hi:[1,0,0]
	v_fma_mix_f32 v35, v0, v35, 0 op_sel_hi:[1,0,0]
	;; [unrolled: 1-line block ×4, first 2 shown]
	v_mul_f32_e32 v96, v96, v27
	v_dual_mul_f32 v94, v94, v28 :: v_dual_mul_f32 v31, v31, v29
	v_mul_f32_e32 v5, v30, v26
	v_fma_mix_f32 v22, v1, v22, v34 op_sel_hi:[1,0,0]
	v_fma_mix_f32 v23, v1, v23, v35 op_sel_hi:[1,0,0]
	;; [unrolled: 1-line block ×4, first 2 shown]
	s_mov_b32 s22, 8
	v_fma_f32 v1, v22, v2, -v5
	v_fma_f32 v5, v23, v3, -v96
	;; [unrolled: 1-line block ×4, first 2 shown]
	s_and_b32 vcc_lo, exec_lo, s17
	v_add_f32_e32 v36, v36, v1
	v_add_f32_e32 v65, v65, v5
	s_delay_alu instid0(VALU_DEP_3)
	v_dual_add_f32 v59, v59, v22 :: v_dual_add_f32 v20, v20, v0
	s_mov_b32 s17, 0
	s_cbranch_vccnz .LBB192_14
; %bb.15:                               ;   in Loop: Header=BB192_7 Depth=1
	s_bitset1_b32 s6, 7
	s_delay_alu instid0(SALU_CYCLE_1)
	s_cmp_ge_i32 s6, s5
	s_barrier
	buffer_gl0_inv
	s_cbranch_scc1 .LBB192_4
; %bb.16:                               ;   in Loop: Header=BB192_7 Depth=1
	scratch_load_b32 v0, off, off offset:176 ; 4-byte Folded Reload
	s_waitcnt vmcnt(0)
	v_add_nc_u32_e32 v0, s16, v0
	s_delay_alu instid0(VALU_DEP_1)
	v_cmp_gt_i32_e32 vcc_lo, s8, v0
	s_and_b32 s17, s1, vcc_lo
	s_mov_b32 s6, exec_lo
	s_clause 0x2
	scratch_load_b32 v55, off, off offset:132
	scratch_load_b32 v56, off, off offset:136
	;; [unrolled: 1-line block ×3, first 2 shown]
	s_and_b32 s17, s6, s17
	s_delay_alu instid0(SALU_CYCLE_1)
	s_mov_b32 exec_lo, s17
	s_cbranch_execz .LBB192_18
; %bb.17:                               ;   in Loop: Header=BB192_7 Depth=1
	s_clause 0x1
	scratch_load_b32 v1, off, off offset:16
	scratch_load_b64 v[22:23], off, off offset:164
	s_waitcnt vmcnt(1)
	v_add_nc_u32_e32 v2, v1, v0
	s_waitcnt vmcnt(0)
	s_delay_alu instid0(VALU_DEP_1)
	v_mad_i64_i32 v[0:1], null, v2, 36, v[22:23]
	global_load_b32 v0, v[0:1], off offset:4
	scratch_load_b32 v1, off, off offset:172 ; 4-byte Folded Reload
	s_waitcnt vmcnt(0)
	ds_store_b32 v1, v0
.LBB192_18:                             ;   in Loop: Header=BB192_7 Depth=1
	s_or_b32 exec_lo, exec_lo, s6
	s_and_saveexec_b32 s6, s0
	s_cbranch_execz .LBB192_21
; %bb.19:                               ;   in Loop: Header=BB192_7 Depth=1
	scratch_load_b32 v0, off, off offset:160 ; 4-byte Folded Reload
	s_waitcnt vmcnt(0)
	v_or_b32_e32 v0, s16, v0
	s_delay_alu instid0(VALU_DEP_1) | instskip(NEXT) | instid1(VALU_DEP_1)
	v_or_b32_e32 v1, 4, v0
	v_cmp_gt_i32_e32 vcc_lo, s8, v1
	s_and_b32 s16, s1, vcc_lo
	s_delay_alu instid0(SALU_CYCLE_1)
	s_and_b32 exec_lo, exec_lo, s16
	s_cbranch_execz .LBB192_21
; %bb.20:                               ;   in Loop: Header=BB192_7 Depth=1
	scratch_load_b32 v2, off, off offset:16 ; 4-byte Folded Reload
	v_ashrrev_i32_e32 v1, 31, v0
	s_waitcnt vmcnt(0)
	v_add_co_u32 v2, vcc_lo, v2, v0
	scratch_load_b32 v0, off, off offset:196 ; 4-byte Folded Reload
	s_waitcnt vmcnt(0)
	v_add_co_ci_u32_e32 v3, vcc_lo, v0, v1, vcc_lo
	v_mad_u64_u32 v[0:1], null, v2, 36, s[14:15]
	s_delay_alu instid0(VALU_DEP_1)
	v_mad_i32_i24 v1, v3, 36, v1
	global_load_b32 v0, v[0:1], off
	scratch_load_b32 v1, off, off offset:192 ; 4-byte Folded Reload
	s_waitcnt vmcnt(0)
	ds_store_b32 v1, v0
.LBB192_21:                             ;   in Loop: Header=BB192_7 Depth=1
	s_or_b32 exec_lo, exec_lo, s6
	s_waitcnt vmcnt(0) lgkmcnt(0)
	s_barrier
	buffer_gl0_inv
	s_clause 0x3
	scratch_load_b32 v0, off, off
	scratch_load_b32 v1, off, off offset:4
	scratch_load_b32 v2, off, off offset:8
	;; [unrolled: 1-line block ×3, first 2 shown]
	s_mov_b32 s6, 16
	s_mov_b32 s16, 0
	;; [unrolled: 1-line block ×3, first 2 shown]
	s_waitcnt vmcnt(3)
	ds_load_b32 v0, v0
	s_waitcnt vmcnt(2)
	ds_load_b32 v1, v1 offset:128
	s_waitcnt vmcnt(1)
	ds_load_b32 v2, v2 offset:256
	;; [unrolled: 2-line block ×3, first 2 shown]
	s_clause 0x2
	scratch_load_b32 v93, off, off offset:188
	scratch_load_b32 v94, off, off offset:184
	;; [unrolled: 1-line block ×3, first 2 shown]
	s_waitcnt lgkmcnt(3)
	v_cvt_f32_f16_e32 v95, v0
	v_lshrrev_b32_e32 v0, 16, v0
	s_waitcnt lgkmcnt(2)
	v_cvt_f32_f16_e32 v96, v1
	v_lshrrev_b32_e32 v1, 16, v1
	;; [unrolled: 3-line block ×3, first 2 shown]
	s_waitcnt lgkmcnt(0)
	v_lshrrev_b32_e32 v5, 16, v3
	v_cvt_f32_f16_e32 v98, v3
	v_cvt_f32_f16_e32 v99, v0
	v_cvt_f32_f16_e32 v100, v1
	v_cvt_f32_f16_e32 v101, v2
	v_cvt_f32_f16_e32 v102, v5
.LBB192_22:                             ;   Parent Loop BB192_7 Depth=1
                                        ; =>  This Inner Loop Header: Depth=2
	s_waitcnt vmcnt(2)
	ds_load_b128 v[0:3], v93
	ds_load_b128 v[24:27], v93 offset:16
	v_add_nc_u32_e32 v168, s16, v81
	s_lshr_b32 s21, s6, 2
	s_waitcnt vmcnt(0)
	v_add_nc_u32_e32 v31, 0x2108, v103
	s_and_b32 s21, s21, 0x3ffffffc
	v_add_nc_u32_e32 v34, 0x3180, v103
	v_add3_u32 v167, v84, s21, v168
	v_add_nc_u32_e32 v32, 0x2110, v103
	v_add_nc_u32_e32 v42, 0x3198, v103
	s_add_i32 s22, s17, 8
	s_add_i32 s17, s17, 16
	;; [unrolled: 1-line block ×4, first 2 shown]
	s_cmp_lt_u32 s17, 24
	s_mov_b32 s17, s22
	s_waitcnt lgkmcnt(1)
	v_bfe_i32 v30, v0, 0, 8
	v_bfe_i32 v28, v0, 8, 8
	v_bfe_i32 v157, v0, 16, 8
	v_ashrrev_i32_e32 v156, 24, v0
	v_bfe_i32 v29, v1, 0, 8
	v_bfe_i32 v152, v1, 8, 8
	v_bfe_i32 v148, v1, 16, 8
	v_ashrrev_i32_e32 v149, 24, v1
	;; [unrolled: 4-line block ×4, first 2 shown]
	s_waitcnt lgkmcnt(0)
	v_bfe_i32 v146, v24, 0, 8
	v_bfe_i32 v128, v24, 8, 8
	v_bfe_i32 v125, v24, 16, 8
	v_ashrrev_i32_e32 v124, 24, v24
	v_bfe_i32 v138, v25, 0, 8
	v_bfe_i32 v120, v25, 8, 8
	v_bfe_i32 v116, v25, 16, 8
	v_ashrrev_i32_e32 v117, 24, v25
	;; [unrolled: 4-line block ×4, first 2 shown]
	ds_load_b128 v[0:3], v93 offset:32
	ds_load_b128 v[24:27], v93 offset:48
	v_add_nc_u32_e32 v93, 64, v93
	s_waitcnt lgkmcnt(1)
	v_bfe_i32 v164, v0, 0, 8
	v_bfe_i32 v160, v0, 8, 8
	v_bfe_i32 v159, v0, 16, 8
	v_ashrrev_i32_e32 v158, 24, v0
	v_bfe_i32 v163, v1, 0, 8
	v_bfe_i32 v153, v1, 8, 8
	v_bfe_i32 v151, v1, 16, 8
	v_ashrrev_i32_e32 v150, 24, v1
	v_bfe_i32 v161, v2, 0, 8
	v_bfe_i32 v145, v2, 8, 8
	v_bfe_i32 v143, v2, 16, 8
	v_ashrrev_i32_e32 v142, 24, v2
	v_bfe_i32 v155, v3, 0, 8
	v_bfe_i32 v137, v3, 8, 8
	v_bfe_i32 v133, v3, 16, 8
	v_ashrrev_i32_e32 v132, 24, v3
	s_waitcnt lgkmcnt(0)
	v_bfe_i32 v147, v24, 0, 8
	v_bfe_i32 v129, v24, 8, 8
	v_bfe_i32 v127, v24, 16, 8
	v_ashrrev_i32_e32 v126, 24, v24
	v_bfe_i32 v139, v25, 0, 8
	v_bfe_i32 v121, v25, 8, 8
	v_bfe_i32 v119, v25, 16, 8
	v_ashrrev_i32_e32 v118, 24, v25
	;; [unrolled: 4-line block ×4, first 2 shown]
	ds_load_2addr_b32 v[2:3], v103 offset1:1
	ds_load_2addr_b32 v[0:1], v103 offset0:2 offset1:3
	ds_load_2addr_b32 v[24:25], v103 offset0:4 offset1:5
	ds_load_b64 v[26:27], v94
	ds_load_u16 v165, v167 offset:17416
	v_add_nc_u32_e32 v94, 8, v94
	s_waitcnt lgkmcnt(4)
	v_and_b32_e32 v5, 15, v2
	v_and_b32_e32 v22, 15, v3
	s_waitcnt lgkmcnt(3)
	v_and_b32_e32 v23, 15, v0
	v_ashrrev_i32_e32 v38, 4, v2
	v_ashrrev_i32_e32 v39, 4, v3
	v_mul_i32_i24_e32 v5, v5, v30
	v_ashrrev_i32_e32 v40, 4, v0
	v_mul_i32_i24_e32 v23, v23, v162
	v_and_b32_e32 v52, 15, v1
	s_delay_alu instid0(VALU_DEP_4) | instskip(SKIP_1) | instid1(VALU_DEP_3)
	v_mad_i32_i24 v5, v22, v29, v5
	v_bfe_u32 v22, v2, 8, 4
	v_mul_i32_i24_e32 v52, v52, v154
	s_delay_alu instid0(VALU_DEP_2) | instskip(NEXT) | instid1(VALU_DEP_1)
	v_mul_i32_i24_e32 v22, v22, v28
	v_add3_u32 v5, v5, v23, v22
	v_add_nc_u32_e32 v22, 0x1080, v103
	v_add_nc_u32_e32 v23, 0x2100, v103
	ds_load_2addr_b32 v[170:171], v22 offset1:1
	ds_load_2addr_b32 v[172:173], v23 offset1:1
	v_add3_u32 v23, v83, s21, v168
	ds_load_2addr_b32 v[174:175], v31 offset1:1
	ds_load_2addr_b32 v[32:33], v32 offset1:1
	ds_load_u16 v166, v23 offset:17928
	ds_load_2addr_b32 v[176:177], v34 offset1:1
	v_add3_u32 v34, v82, s21, v168
	ds_load_u16 v169, v34 offset:18440
	s_waitcnt lgkmcnt(6)
	v_and_b32_e32 v22, 15, v170
	s_waitcnt lgkmcnt(5)
	v_and_b32_e32 v31, 15, v172
	v_ashrrev_i32_e32 v47, 4, v171
	v_ashrrev_i32_e32 v43, 4, v172
	v_mul_i32_i24_e32 v22, v22, v30
	s_waitcnt lgkmcnt(1)
	v_and_b32_e32 v35, 15, v176
	v_mul_i32_i24_e32 v31, v31, v30
	v_and_b32_e32 v48, 15, v47
	v_and_b32_e32 v44, 15, v43
	v_ashrrev_i32_e32 v45, 4, v176
	v_mul_i32_i24_e32 v30, v35, v30
	v_and_b32_e32 v35, 15, v171
	s_delay_alu instid0(VALU_DEP_4) | instskip(NEXT) | instid1(VALU_DEP_4)
	v_mul_i32_i24_e32 v44, v44, v164
	v_and_b32_e32 v46, 15, v45
	s_delay_alu instid0(VALU_DEP_3) | instskip(SKIP_1) | instid1(VALU_DEP_3)
	v_mad_i32_i24 v22, v35, v29, v22
	v_and_b32_e32 v35, 15, v173
	v_mul_i32_i24_e32 v46, v46, v164
	s_delay_alu instid0(VALU_DEP_2) | instskip(SKIP_1) | instid1(VALU_DEP_1)
	v_mad_i32_i24 v35, v35, v29, v31
	v_and_b32_e32 v31, 15, v177
	v_mad_i32_i24 v37, v31, v29, v30
	v_bfe_u32 v29, v2, 16, 4
	v_bfe_u32 v30, v2, 24, 4
	v_and_b32_e32 v2, 15, v38
	v_add_nc_u32_e32 v31, 0x1098, v103
	s_delay_alu instid0(VALU_DEP_4) | instskip(NEXT) | instid1(VALU_DEP_4)
	v_mul_i32_i24_e32 v29, v29, v157
	v_mul_i32_i24_e32 v30, v30, v156
	s_delay_alu instid0(VALU_DEP_4) | instskip(NEXT) | instid1(VALU_DEP_2)
	v_mul_i32_i24_e32 v2, v2, v164
	v_add3_u32 v5, v5, v29, v30
	v_and_b32_e32 v29, 15, v39
	v_and_b32_e32 v30, 15, v40
	s_delay_alu instid0(VALU_DEP_2) | instskip(SKIP_1) | instid1(VALU_DEP_3)
	v_mad_i32_i24 v2, v29, v163, v2
	v_bfe_u32 v29, v38, 8, 4
	v_mul_i32_i24_e32 v30, v30, v161
	s_delay_alu instid0(VALU_DEP_2) | instskip(NEXT) | instid1(VALU_DEP_1)
	v_mul_i32_i24_e32 v29, v29, v160
	v_add3_u32 v41, v2, v30, v29
	v_add_nc_u32_e32 v29, 0x1088, v103
	v_add_nc_u32_e32 v30, 0x1090, v103
	ds_load_u16 v2, v23 offset:17920
	ds_load_2addr_b32 v[178:179], v29 offset1:1
	ds_load_2addr_b32 v[180:181], v30 offset1:1
	;; [unrolled: 1-line block ×3, first 2 shown]
	v_bfe_u32 v23, v170, 8, 4
	s_delay_alu instid0(VALU_DEP_1) | instskip(SKIP_2) | instid1(VALU_DEP_1)
	v_mul_i32_i24_e32 v23, v23, v28
	s_waitcnt lgkmcnt(2)
	v_and_b32_e32 v29, 15, v178
	v_mul_i32_i24_e32 v29, v29, v162
	s_delay_alu instid0(VALU_DEP_1) | instskip(SKIP_2) | instid1(VALU_DEP_2)
	v_add3_u32 v22, v22, v29, v23
	v_bfe_u32 v23, v172, 8, 4
	v_and_b32_e32 v29, 15, v174
	v_mul_i32_i24_e32 v23, v23, v28
	s_delay_alu instid0(VALU_DEP_2) | instskip(NEXT) | instid1(VALU_DEP_1)
	v_mul_i32_i24_e32 v29, v29, v162
	v_add3_u32 v23, v35, v29, v23
	v_bfe_u32 v29, v176, 8, 4
	s_delay_alu instid0(VALU_DEP_1)
	v_mul_i32_i24_e32 v35, v29, v28
	v_add_nc_u32_e32 v28, 0x3188, v103
	v_add_nc_u32_e32 v29, 0x3190, v103
	ds_load_2addr_b32 v[182:183], v28 offset1:1
	ds_load_2addr_b32 v[184:185], v29 offset1:1
	;; [unrolled: 1-line block ×3, first 2 shown]
	ds_load_u16 v34, v34 offset:18432
	s_waitcnt lgkmcnt(3)
	v_and_b32_e32 v42, 15, v182
	s_delay_alu instid0(VALU_DEP_1) | instskip(NEXT) | instid1(VALU_DEP_1)
	v_mul_i32_i24_e32 v42, v42, v162
	v_add3_u32 v35, v37, v42, v35
	v_ashrrev_i32_e32 v37, 4, v170
	s_delay_alu instid0(VALU_DEP_1) | instskip(NEXT) | instid1(VALU_DEP_1)
	v_and_b32_e32 v42, 15, v37
	v_mul_i32_i24_e32 v42, v42, v164
	s_delay_alu instid0(VALU_DEP_1) | instskip(SKIP_1) | instid1(VALU_DEP_1)
	v_mad_i32_i24 v42, v48, v163, v42
	v_ashrrev_i32_e32 v48, 4, v173
	v_and_b32_e32 v50, 15, v48
	s_delay_alu instid0(VALU_DEP_1) | instskip(SKIP_1) | instid1(VALU_DEP_1)
	v_mad_i32_i24 v44, v50, v163, v44
	v_ashrrev_i32_e32 v50, 4, v177
	v_and_b32_e32 v51, 15, v50
	s_delay_alu instid0(VALU_DEP_1) | instskip(SKIP_1) | instid1(VALU_DEP_1)
	v_mad_i32_i24 v46, v51, v163, v46
	v_bfe_u32 v51, v3, 8, 4
	v_mul_i32_i24_e32 v51, v51, v152
	s_delay_alu instid0(VALU_DEP_1) | instskip(SKIP_2) | instid1(VALU_DEP_2)
	v_add3_u32 v5, v5, v52, v51
	v_bfe_u32 v51, v38, 16, 4
	v_bfe_u32 v38, v38, 24, 4
	v_mul_i32_i24_e32 v51, v51, v159
	s_delay_alu instid0(VALU_DEP_2) | instskip(NEXT) | instid1(VALU_DEP_1)
	v_mul_i32_i24_e32 v38, v38, v158
	v_add3_u32 v38, v41, v51, v38
	v_bfe_u32 v41, v170, 16, 4
	v_bfe_u32 v51, v170, 24, 4
	s_delay_alu instid0(VALU_DEP_2) | instskip(NEXT) | instid1(VALU_DEP_2)
	v_mul_i32_i24_e32 v41, v41, v157
	v_mul_i32_i24_e32 v51, v51, v156
	s_delay_alu instid0(VALU_DEP_1) | instskip(SKIP_2) | instid1(VALU_DEP_2)
	v_add3_u32 v22, v22, v41, v51
	v_ashrrev_i32_e32 v51, 4, v178
	v_bfe_u32 v41, v37, 8, 4
	v_and_b32_e32 v52, 15, v51
	s_delay_alu instid0(VALU_DEP_2) | instskip(NEXT) | instid1(VALU_DEP_2)
	v_mul_i32_i24_e32 v41, v41, v160
	v_mul_i32_i24_e32 v52, v52, v161
	s_delay_alu instid0(VALU_DEP_1) | instskip(SKIP_2) | instid1(VALU_DEP_2)
	v_add3_u32 v41, v42, v52, v41
	v_bfe_u32 v42, v172, 16, 4
	v_bfe_u32 v52, v172, 24, 4
	v_mul_i32_i24_e32 v42, v42, v157
	s_delay_alu instid0(VALU_DEP_2) | instskip(NEXT) | instid1(VALU_DEP_1)
	v_mul_i32_i24_e32 v52, v52, v156
	v_add3_u32 v23, v23, v42, v52
	v_ashrrev_i32_e32 v52, 4, v174
	v_bfe_u32 v42, v43, 8, 4
	s_delay_alu instid0(VALU_DEP_2) | instskip(NEXT) | instid1(VALU_DEP_2)
	v_and_b32_e32 v53, 15, v52
	v_mul_i32_i24_e32 v42, v42, v160
	s_delay_alu instid0(VALU_DEP_2) | instskip(NEXT) | instid1(VALU_DEP_1)
	v_mul_i32_i24_e32 v53, v53, v161
	v_add3_u32 v42, v44, v53, v42
	v_bfe_u32 v44, v176, 16, 4
	v_bfe_u32 v53, v176, 24, 4
	s_delay_alu instid0(VALU_DEP_2) | instskip(NEXT) | instid1(VALU_DEP_2)
	v_mul_i32_i24_e32 v44, v44, v157
	v_mul_i32_i24_e32 v53, v53, v156
	s_delay_alu instid0(VALU_DEP_1) | instskip(SKIP_2) | instid1(VALU_DEP_2)
	v_add3_u32 v35, v35, v44, v53
	v_ashrrev_i32_e32 v53, 4, v182
	v_bfe_u32 v44, v45, 8, 4
	v_and_b32_e32 v54, 15, v53
	s_delay_alu instid0(VALU_DEP_2) | instskip(NEXT) | instid1(VALU_DEP_2)
	v_mul_i32_i24_e32 v44, v44, v160
	v_mul_i32_i24_e32 v54, v54, v161
	s_delay_alu instid0(VALU_DEP_1) | instskip(SKIP_2) | instid1(VALU_DEP_2)
	v_add3_u32 v44, v46, v54, v44
	v_bfe_u32 v46, v3, 16, 4
	v_bfe_u32 v3, v3, 24, 4
	v_mul_i32_i24_e32 v46, v46, v148
	s_delay_alu instid0(VALU_DEP_2) | instskip(NEXT) | instid1(VALU_DEP_1)
	v_mul_i32_i24_e32 v3, v3, v149
	v_add3_u32 v3, v5, v46, v3
	v_ashrrev_i32_e32 v46, 4, v1
	v_bfe_u32 v5, v39, 8, 4
	s_delay_alu instid0(VALU_DEP_2) | instskip(NEXT) | instid1(VALU_DEP_2)
	v_and_b32_e32 v54, 15, v46
	v_mul_i32_i24_e32 v5, v5, v153
	s_delay_alu instid0(VALU_DEP_2) | instskip(NEXT) | instid1(VALU_DEP_1)
	v_mul_i32_i24_e32 v54, v54, v155
	v_add3_u32 v5, v38, v54, v5
	v_bfe_u32 v38, v171, 8, 4
	v_and_b32_e32 v54, 15, v179
	s_delay_alu instid0(VALU_DEP_2) | instskip(NEXT) | instid1(VALU_DEP_2)
	v_mul_i32_i24_e32 v38, v38, v152
	v_mul_i32_i24_e32 v54, v54, v154
	s_delay_alu instid0(VALU_DEP_1) | instskip(SKIP_2) | instid1(VALU_DEP_2)
	v_add3_u32 v22, v22, v54, v38
	v_bfe_u32 v38, v37, 16, 4
	v_bfe_u32 v37, v37, 24, 4
	v_mul_i32_i24_e32 v38, v38, v159
	s_delay_alu instid0(VALU_DEP_2) | instskip(NEXT) | instid1(VALU_DEP_1)
	v_mul_i32_i24_e32 v37, v37, v158
	v_add3_u32 v37, v41, v38, v37
	v_bfe_u32 v38, v173, 8, 4
	v_and_b32_e32 v41, 15, v175
	s_delay_alu instid0(VALU_DEP_2) | instskip(NEXT) | instid1(VALU_DEP_2)
	v_mul_i32_i24_e32 v38, v38, v152
	v_mul_i32_i24_e32 v41, v41, v154
	s_delay_alu instid0(VALU_DEP_1) | instskip(SKIP_3) | instid1(VALU_DEP_3)
	v_add3_u32 v23, v23, v41, v38
	v_bfe_u32 v38, v43, 16, 4
	v_bfe_u32 v41, v43, 24, 4
	v_and_b32_e32 v43, 15, v24
	v_mul_i32_i24_e32 v38, v38, v159
	s_delay_alu instid0(VALU_DEP_3) | instskip(NEXT) | instid1(VALU_DEP_3)
	v_mul_i32_i24_e32 v41, v41, v158
	v_mul_i32_i24_e32 v43, v43, v146
	s_delay_alu instid0(VALU_DEP_2) | instskip(SKIP_2) | instid1(VALU_DEP_2)
	v_add3_u32 v38, v42, v38, v41
	v_bfe_u32 v41, v177, 8, 4
	v_and_b32_e32 v42, 15, v183
	v_mul_i32_i24_e32 v41, v41, v152
	s_delay_alu instid0(VALU_DEP_2) | instskip(NEXT) | instid1(VALU_DEP_1)
	v_mul_i32_i24_e32 v42, v42, v154
	v_add3_u32 v35, v35, v42, v41
	v_bfe_u32 v41, v45, 16, 4
	v_bfe_u32 v42, v45, 24, 4
	s_delay_alu instid0(VALU_DEP_2) | instskip(NEXT) | instid1(VALU_DEP_2)
	v_mul_i32_i24_e32 v41, v41, v159
	v_mul_i32_i24_e32 v42, v42, v158
	s_delay_alu instid0(VALU_DEP_1) | instskip(SKIP_1) | instid1(VALU_DEP_1)
	v_add3_u32 v41, v44, v41, v42
	v_bfe_u32 v42, v0, 8, 4
	v_mul_i32_i24_e32 v42, v42, v144
	s_delay_alu instid0(VALU_DEP_1) | instskip(SKIP_2) | instid1(VALU_DEP_2)
	v_add3_u32 v3, v3, v43, v42
	v_bfe_u32 v42, v39, 16, 4
	v_bfe_u32 v39, v39, 24, 4
	v_mul_i32_i24_e32 v42, v42, v151
	s_delay_alu instid0(VALU_DEP_2) | instskip(NEXT) | instid1(VALU_DEP_1)
	v_mul_i32_i24_e32 v39, v39, v150
	v_add3_u32 v5, v5, v42, v39
	v_bfe_u32 v39, v171, 16, 4
	v_bfe_u32 v42, v171, 24, 4
	s_delay_alu instid0(VALU_DEP_2) | instskip(NEXT) | instid1(VALU_DEP_2)
	v_mul_i32_i24_e32 v39, v39, v148
	v_mul_i32_i24_e32 v42, v42, v149
	s_delay_alu instid0(VALU_DEP_1) | instskip(SKIP_2) | instid1(VALU_DEP_2)
	v_add3_u32 v22, v22, v39, v42
	v_ashrrev_i32_e32 v42, 4, v179
	v_bfe_u32 v39, v47, 8, 4
	v_and_b32_e32 v43, 15, v42
	s_delay_alu instid0(VALU_DEP_2) | instskip(NEXT) | instid1(VALU_DEP_2)
	v_mul_i32_i24_e32 v39, v39, v153
	v_mul_i32_i24_e32 v43, v43, v155
	s_delay_alu instid0(VALU_DEP_1) | instskip(SKIP_2) | instid1(VALU_DEP_2)
	v_add3_u32 v37, v37, v43, v39
	v_bfe_u32 v39, v173, 16, 4
	v_bfe_u32 v43, v173, 24, 4
	v_mul_i32_i24_e32 v39, v39, v148
	s_delay_alu instid0(VALU_DEP_2) | instskip(NEXT) | instid1(VALU_DEP_1)
	v_mul_i32_i24_e32 v43, v43, v149
	v_add3_u32 v23, v23, v39, v43
	v_ashrrev_i32_e32 v43, 4, v175
	v_bfe_u32 v39, v48, 8, 4
	s_delay_alu instid0(VALU_DEP_2) | instskip(NEXT) | instid1(VALU_DEP_2)
	v_and_b32_e32 v44, 15, v43
	v_mul_i32_i24_e32 v39, v39, v153
	s_delay_alu instid0(VALU_DEP_2) | instskip(NEXT) | instid1(VALU_DEP_1)
	v_mul_i32_i24_e32 v44, v44, v155
	v_add3_u32 v38, v38, v44, v39
	v_bfe_u32 v39, v177, 16, 4
	v_bfe_u32 v44, v177, 24, 4
	s_delay_alu instid0(VALU_DEP_2) | instskip(NEXT) | instid1(VALU_DEP_2)
	v_mul_i32_i24_e32 v39, v39, v148
	v_mul_i32_i24_e32 v44, v44, v149
	s_delay_alu instid0(VALU_DEP_1) | instskip(SKIP_2) | instid1(VALU_DEP_2)
	v_add3_u32 v35, v35, v39, v44
	v_ashrrev_i32_e32 v44, 4, v183
	v_bfe_u32 v39, v50, 8, 4
	v_and_b32_e32 v45, 15, v44
	s_delay_alu instid0(VALU_DEP_2) | instskip(NEXT) | instid1(VALU_DEP_2)
	v_mul_i32_i24_e32 v39, v39, v153
	v_mul_i32_i24_e32 v45, v45, v155
	s_delay_alu instid0(VALU_DEP_1) | instskip(SKIP_2) | instid1(VALU_DEP_2)
	v_add3_u32 v39, v41, v45, v39
	v_bfe_u32 v41, v0, 16, 4
	v_bfe_u32 v0, v0, 24, 4
	v_mul_i32_i24_e32 v41, v41, v141
	s_delay_alu instid0(VALU_DEP_2) | instskip(NEXT) | instid1(VALU_DEP_1)
	v_mul_i32_i24_e32 v0, v0, v140
	v_add3_u32 v0, v3, v41, v0
	v_ashrrev_i32_e32 v41, 4, v24
	v_bfe_u32 v3, v40, 8, 4
	s_delay_alu instid0(VALU_DEP_2) | instskip(NEXT) | instid1(VALU_DEP_2)
	v_and_b32_e32 v45, 15, v41
	v_mul_i32_i24_e32 v3, v3, v145
	s_delay_alu instid0(VALU_DEP_2) | instskip(NEXT) | instid1(VALU_DEP_1)
	v_mul_i32_i24_e32 v45, v45, v147
	v_add3_u32 v3, v5, v45, v3
	v_bfe_u32 v5, v178, 8, 4
	v_and_b32_e32 v45, 15, v180
	s_delay_alu instid0(VALU_DEP_2) | instskip(NEXT) | instid1(VALU_DEP_2)
	v_mul_i32_i24_e32 v5, v5, v144
	v_mul_i32_i24_e32 v45, v45, v146
	s_delay_alu instid0(VALU_DEP_1) | instskip(SKIP_2) | instid1(VALU_DEP_2)
	v_add3_u32 v5, v22, v45, v5
	v_bfe_u32 v22, v47, 16, 4
	v_bfe_u32 v45, v47, 24, 4
	v_mul_i32_i24_e32 v22, v22, v151
	s_delay_alu instid0(VALU_DEP_2) | instskip(NEXT) | instid1(VALU_DEP_1)
	v_mul_i32_i24_e32 v45, v45, v150
	v_add3_u32 v22, v37, v22, v45
	v_bfe_u32 v37, v174, 8, 4
	v_and_b32_e32 v45, 15, v32
	s_delay_alu instid0(VALU_DEP_2) | instskip(NEXT) | instid1(VALU_DEP_2)
	v_mul_i32_i24_e32 v37, v37, v144
	v_mul_i32_i24_e32 v45, v45, v146
	s_delay_alu instid0(VALU_DEP_1) | instskip(SKIP_2) | instid1(VALU_DEP_2)
	v_add3_u32 v23, v23, v45, v37
	v_bfe_u32 v37, v48, 16, 4
	v_bfe_u32 v45, v48, 24, 4
	v_mul_i32_i24_e32 v37, v37, v151
	s_delay_alu instid0(VALU_DEP_2) | instskip(NEXT) | instid1(VALU_DEP_1)
	v_mul_i32_i24_e32 v45, v45, v150
	v_add3_u32 v37, v38, v37, v45
	v_bfe_u32 v38, v182, 8, 4
	s_waitcnt lgkmcnt(2)
	v_and_b32_e32 v45, 15, v184
	s_delay_alu instid0(VALU_DEP_2) | instskip(NEXT) | instid1(VALU_DEP_2)
	v_mul_i32_i24_e32 v38, v38, v144
	v_mul_i32_i24_e32 v45, v45, v146
	s_delay_alu instid0(VALU_DEP_1) | instskip(SKIP_2) | instid1(VALU_DEP_2)
	v_add3_u32 v35, v35, v45, v38
	v_bfe_u32 v38, v50, 16, 4
	v_bfe_u32 v45, v50, 24, 4
	v_mul_i32_i24_e32 v38, v38, v151
	s_delay_alu instid0(VALU_DEP_2) | instskip(NEXT) | instid1(VALU_DEP_1)
	v_mul_i32_i24_e32 v45, v45, v150
	v_add3_u32 v38, v39, v38, v45
	v_bfe_u32 v39, v1, 8, 4
	v_and_b32_e32 v45, 15, v25
	s_delay_alu instid0(VALU_DEP_2) | instskip(NEXT) | instid1(VALU_DEP_2)
	v_mul_i32_i24_e32 v39, v39, v136
	v_mul_i32_i24_e32 v45, v45, v138
	s_delay_alu instid0(VALU_DEP_1) | instskip(SKIP_2) | instid1(VALU_DEP_2)
	v_add3_u32 v0, v0, v45, v39
	v_bfe_u32 v39, v40, 16, 4
	v_bfe_u32 v40, v40, 24, 4
	v_mul_i32_i24_e32 v39, v39, v143
	s_delay_alu instid0(VALU_DEP_2) | instskip(NEXT) | instid1(VALU_DEP_1)
	v_mul_i32_i24_e32 v40, v40, v142
	v_add3_u32 v3, v3, v39, v40
	v_bfe_u32 v39, v178, 16, 4
	v_bfe_u32 v40, v178, 24, 4
	s_delay_alu instid0(VALU_DEP_2) | instskip(NEXT) | instid1(VALU_DEP_2)
	v_mul_i32_i24_e32 v39, v39, v141
	v_mul_i32_i24_e32 v40, v40, v140
	s_delay_alu instid0(VALU_DEP_1) | instskip(SKIP_2) | instid1(VALU_DEP_2)
	v_add3_u32 v5, v5, v39, v40
	v_ashrrev_i32_e32 v40, 4, v180
	v_bfe_u32 v39, v51, 8, 4
	v_and_b32_e32 v45, 15, v40
	s_delay_alu instid0(VALU_DEP_2) | instskip(NEXT) | instid1(VALU_DEP_2)
	v_mul_i32_i24_e32 v39, v39, v145
	v_mul_i32_i24_e32 v45, v45, v147
	s_delay_alu instid0(VALU_DEP_1) | instskip(SKIP_2) | instid1(VALU_DEP_2)
	v_add3_u32 v22, v22, v45, v39
	v_bfe_u32 v39, v174, 16, 4
	v_bfe_u32 v45, v174, 24, 4
	v_mul_i32_i24_e32 v39, v39, v141
	s_delay_alu instid0(VALU_DEP_2) | instskip(NEXT) | instid1(VALU_DEP_1)
	v_mul_i32_i24_e32 v45, v45, v140
	v_add3_u32 v23, v23, v39, v45
	v_ashrrev_i32_e32 v45, 4, v32
	v_bfe_u32 v39, v52, 8, 4
	s_delay_alu instid0(VALU_DEP_2) | instskip(NEXT) | instid1(VALU_DEP_2)
	v_and_b32_e32 v47, 15, v45
	v_mul_i32_i24_e32 v39, v39, v145
	s_delay_alu instid0(VALU_DEP_2) | instskip(NEXT) | instid1(VALU_DEP_1)
	v_mul_i32_i24_e32 v47, v47, v147
	v_add3_u32 v37, v37, v47, v39
	v_bfe_u32 v39, v182, 16, 4
	v_bfe_u32 v47, v182, 24, 4
	s_delay_alu instid0(VALU_DEP_2) | instskip(NEXT) | instid1(VALU_DEP_2)
	v_mul_i32_i24_e32 v39, v39, v141
	v_mul_i32_i24_e32 v47, v47, v140
	s_delay_alu instid0(VALU_DEP_1) | instskip(SKIP_2) | instid1(VALU_DEP_2)
	v_add3_u32 v35, v35, v39, v47
	v_ashrrev_i32_e32 v47, 4, v184
	v_bfe_u32 v39, v53, 8, 4
	v_and_b32_e32 v48, 15, v47
	s_delay_alu instid0(VALU_DEP_2) | instskip(NEXT) | instid1(VALU_DEP_2)
	v_mul_i32_i24_e32 v39, v39, v145
	v_mul_i32_i24_e32 v48, v48, v147
	s_delay_alu instid0(VALU_DEP_1) | instskip(SKIP_3) | instid1(VALU_DEP_3)
	v_add3_u32 v38, v38, v48, v39
	v_bfe_u32 v39, v1, 16, 4
	v_bfe_u32 v1, v1, 24, 4
	v_ashrrev_i32_e32 v48, 4, v25
	v_mul_i32_i24_e32 v39, v39, v134
	s_delay_alu instid0(VALU_DEP_3) | instskip(NEXT) | instid1(VALU_DEP_1)
	v_mul_i32_i24_e32 v1, v1, v135
	v_add3_u32 v39, v0, v39, v1
	v_bfe_u32 v0, v46, 8, 4
	v_and_b32_e32 v1, 15, v48
	s_delay_alu instid0(VALU_DEP_2) | instskip(NEXT) | instid1(VALU_DEP_2)
	v_mul_i32_i24_e32 v0, v0, v137
	v_mul_i32_i24_e32 v1, v1, v139
	s_delay_alu instid0(VALU_DEP_1) | instskip(SKIP_2) | instid1(VALU_DEP_2)
	v_add3_u32 v3, v3, v1, v0
	v_bfe_u32 v0, v179, 8, 4
	v_and_b32_e32 v1, 15, v181
	v_mul_i32_i24_e32 v0, v0, v136
	s_delay_alu instid0(VALU_DEP_2) | instskip(NEXT) | instid1(VALU_DEP_1)
	v_mul_i32_i24_e32 v1, v1, v138
	v_add3_u32 v5, v5, v1, v0
	v_bfe_u32 v0, v51, 16, 4
	v_bfe_u32 v1, v51, 24, 4
	s_delay_alu instid0(VALU_DEP_2) | instskip(NEXT) | instid1(VALU_DEP_2)
	v_mul_i32_i24_e32 v0, v0, v143
	v_mul_i32_i24_e32 v1, v1, v142
	s_delay_alu instid0(VALU_DEP_1) | instskip(SKIP_2) | instid1(VALU_DEP_2)
	v_add3_u32 v22, v22, v0, v1
	v_bfe_u32 v0, v175, 8, 4
	v_and_b32_e32 v1, 15, v33
	v_mul_i32_i24_e32 v0, v0, v136
	s_delay_alu instid0(VALU_DEP_2) | instskip(NEXT) | instid1(VALU_DEP_1)
	v_mul_i32_i24_e32 v1, v1, v138
	v_add3_u32 v23, v23, v1, v0
	v_bfe_u32 v0, v52, 16, 4
	v_bfe_u32 v1, v52, 24, 4
	;; [unrolled: 13-line block ×3, first 2 shown]
	s_delay_alu instid0(VALU_DEP_2) | instskip(NEXT) | instid1(VALU_DEP_2)
	v_mul_i32_i24_e32 v0, v0, v143
	v_mul_i32_i24_e32 v1, v1, v142
	s_delay_alu instid0(VALU_DEP_1) | instskip(SKIP_1) | instid1(VALU_DEP_1)
	v_add3_u32 v38, v38, v0, v1
	v_bfe_u32 v0, v24, 8, 4
	v_mul_i32_i24_e32 v50, v0, v128
	ds_load_2addr_b32 v[0:1], v103 offset0:6 offset1:7
	s_waitcnt lgkmcnt(0)
	v_and_b32_e32 v51, 15, v0
	s_delay_alu instid0(VALU_DEP_1) | instskip(NEXT) | instid1(VALU_DEP_1)
	v_mul_i32_i24_e32 v51, v51, v130
	v_add3_u32 v39, v39, v51, v50
	v_bfe_u32 v50, v46, 16, 4
	v_bfe_u32 v46, v46, 24, 4
	s_delay_alu instid0(VALU_DEP_2) | instskip(NEXT) | instid1(VALU_DEP_2)
	v_mul_i32_i24_e32 v50, v50, v133
	v_mul_i32_i24_e32 v46, v46, v132
	s_delay_alu instid0(VALU_DEP_1) | instskip(SKIP_2) | instid1(VALU_DEP_2)
	v_add3_u32 v3, v3, v50, v46
	v_bfe_u32 v46, v179, 16, 4
	v_bfe_u32 v50, v179, 24, 4
	v_mul_i32_i24_e32 v46, v46, v134
	s_delay_alu instid0(VALU_DEP_2) | instskip(NEXT) | instid1(VALU_DEP_1)
	v_mul_i32_i24_e32 v50, v50, v135
	v_add3_u32 v5, v5, v46, v50
	v_ashrrev_i32_e32 v50, 4, v181
	v_bfe_u32 v46, v42, 8, 4
	s_delay_alu instid0(VALU_DEP_2) | instskip(NEXT) | instid1(VALU_DEP_2)
	v_and_b32_e32 v51, 15, v50
	v_mul_i32_i24_e32 v46, v46, v137
	s_delay_alu instid0(VALU_DEP_2) | instskip(NEXT) | instid1(VALU_DEP_1)
	v_mul_i32_i24_e32 v51, v51, v139
	v_add3_u32 v22, v22, v51, v46
	v_bfe_u32 v46, v175, 16, 4
	v_bfe_u32 v51, v175, 24, 4
	s_delay_alu instid0(VALU_DEP_2) | instskip(NEXT) | instid1(VALU_DEP_2)
	v_mul_i32_i24_e32 v46, v46, v134
	v_mul_i32_i24_e32 v51, v51, v135
	s_delay_alu instid0(VALU_DEP_1) | instskip(SKIP_2) | instid1(VALU_DEP_2)
	v_add3_u32 v23, v23, v46, v51
	v_ashrrev_i32_e32 v51, 4, v33
	v_bfe_u32 v46, v43, 8, 4
	v_and_b32_e32 v52, 15, v51
	s_delay_alu instid0(VALU_DEP_2) | instskip(NEXT) | instid1(VALU_DEP_2)
	v_mul_i32_i24_e32 v46, v46, v137
	v_mul_i32_i24_e32 v52, v52, v139
	s_delay_alu instid0(VALU_DEP_1) | instskip(SKIP_2) | instid1(VALU_DEP_2)
	v_add3_u32 v37, v37, v52, v46
	v_bfe_u32 v46, v183, 16, 4
	v_bfe_u32 v52, v183, 24, 4
	v_mul_i32_i24_e32 v46, v46, v134
	s_delay_alu instid0(VALU_DEP_2) | instskip(NEXT) | instid1(VALU_DEP_1)
	v_mul_i32_i24_e32 v52, v52, v135
	v_add3_u32 v35, v35, v46, v52
	v_ashrrev_i32_e32 v52, 4, v185
	v_bfe_u32 v46, v44, 8, 4
	s_delay_alu instid0(VALU_DEP_2) | instskip(NEXT) | instid1(VALU_DEP_2)
	v_and_b32_e32 v53, 15, v52
	v_mul_i32_i24_e32 v46, v46, v137
	s_delay_alu instid0(VALU_DEP_2) | instskip(NEXT) | instid1(VALU_DEP_1)
	v_mul_i32_i24_e32 v53, v53, v139
	v_add3_u32 v38, v38, v53, v46
	v_bfe_u32 v46, v24, 16, 4
	v_bfe_u32 v24, v24, 24, 4
	s_delay_alu instid0(VALU_DEP_2) | instskip(NEXT) | instid1(VALU_DEP_2)
	v_mul_i32_i24_e32 v46, v46, v125
	v_mul_i32_i24_e32 v24, v24, v124
	s_delay_alu instid0(VALU_DEP_1) | instskip(SKIP_2) | instid1(VALU_DEP_2)
	v_add3_u32 v24, v39, v46, v24
	v_ashrrev_i32_e32 v46, 4, v0
	v_bfe_u32 v39, v41, 8, 4
	v_and_b32_e32 v53, 15, v46
	s_delay_alu instid0(VALU_DEP_2) | instskip(NEXT) | instid1(VALU_DEP_2)
	v_mul_i32_i24_e32 v39, v39, v129
	v_mul_i32_i24_e32 v53, v53, v131
	s_delay_alu instid0(VALU_DEP_1) | instskip(SKIP_2) | instid1(VALU_DEP_2)
	v_add3_u32 v3, v3, v53, v39
	v_bfe_u32 v39, v180, 8, 4
	v_and_b32_e32 v53, 15, v30
	v_mul_i32_i24_e32 v39, v39, v128
	s_delay_alu instid0(VALU_DEP_2) | instskip(NEXT) | instid1(VALU_DEP_1)
	v_mul_i32_i24_e32 v53, v53, v130
	v_add3_u32 v5, v5, v53, v39
	v_bfe_u32 v39, v42, 16, 4
	v_bfe_u32 v42, v42, 24, 4
	s_delay_alu instid0(VALU_DEP_2) | instskip(NEXT) | instid1(VALU_DEP_2)
	v_mul_i32_i24_e32 v39, v39, v133
	v_mul_i32_i24_e32 v42, v42, v132
	s_delay_alu instid0(VALU_DEP_1)
	v_add3_u32 v22, v22, v39, v42
	v_add_nc_u32_e32 v42, 0x2118, v103
	v_bfe_u32 v39, v32, 8, 4
	v_add_nc_u32_e32 v103, 32, v103
	ds_load_2addr_b32 v[134:135], v42 offset1:1
	v_mul_i32_i24_e32 v39, v39, v128
	s_waitcnt lgkmcnt(0)
	v_and_b32_e32 v42, 15, v134
	s_delay_alu instid0(VALU_DEP_1) | instskip(NEXT) | instid1(VALU_DEP_1)
	v_mul_i32_i24_e32 v42, v42, v130
	v_add3_u32 v23, v23, v42, v39
	v_bfe_u32 v39, v43, 16, 4
	v_bfe_u32 v42, v43, 24, 4
	s_delay_alu instid0(VALU_DEP_2) | instskip(NEXT) | instid1(VALU_DEP_2)
	v_mul_i32_i24_e32 v39, v39, v133
	v_mul_i32_i24_e32 v42, v42, v132
	s_delay_alu instid0(VALU_DEP_1) | instskip(SKIP_2) | instid1(VALU_DEP_2)
	v_add3_u32 v37, v37, v39, v42
	v_bfe_u32 v39, v184, 8, 4
	v_and_b32_e32 v42, 15, v28
	v_mul_i32_i24_e32 v39, v39, v128
	s_delay_alu instid0(VALU_DEP_2) | instskip(NEXT) | instid1(VALU_DEP_1)
	v_mul_i32_i24_e32 v42, v42, v130
	v_add3_u32 v35, v35, v42, v39
	v_bfe_u32 v39, v44, 16, 4
	v_bfe_u32 v42, v44, 24, 4
	s_delay_alu instid0(VALU_DEP_2) | instskip(NEXT) | instid1(VALU_DEP_2)
	v_mul_i32_i24_e32 v39, v39, v133
	v_mul_i32_i24_e32 v42, v42, v132
	s_delay_alu instid0(VALU_DEP_1) | instskip(SKIP_2) | instid1(VALU_DEP_2)
	v_add3_u32 v38, v38, v39, v42
	v_bfe_u32 v39, v25, 8, 4
	v_and_b32_e32 v42, 15, v1
	v_mul_i32_i24_e32 v39, v39, v120
	s_delay_alu instid0(VALU_DEP_2) | instskip(NEXT) | instid1(VALU_DEP_1)
	v_mul_i32_i24_e32 v42, v42, v122
	v_add3_u32 v24, v24, v42, v39
	v_bfe_u32 v39, v41, 16, 4
	v_bfe_u32 v41, v41, 24, 4
	s_delay_alu instid0(VALU_DEP_2) | instskip(NEXT) | instid1(VALU_DEP_2)
	v_mul_i32_i24_e32 v39, v39, v127
	v_mul_i32_i24_e32 v41, v41, v126
	s_delay_alu instid0(VALU_DEP_1) | instskip(SKIP_2) | instid1(VALU_DEP_2)
	v_add3_u32 v3, v3, v39, v41
	v_bfe_u32 v39, v180, 16, 4
	v_bfe_u32 v41, v180, 24, 4
	v_mul_i32_i24_e32 v39, v39, v125
	s_delay_alu instid0(VALU_DEP_2) | instskip(NEXT) | instid1(VALU_DEP_1)
	v_mul_i32_i24_e32 v41, v41, v124
	v_add3_u32 v5, v5, v39, v41
	v_ashrrev_i32_e32 v41, 4, v30
	v_bfe_u32 v39, v40, 8, 4
	s_delay_alu instid0(VALU_DEP_2) | instskip(NEXT) | instid1(VALU_DEP_2)
	v_and_b32_e32 v42, 15, v41
	v_mul_i32_i24_e32 v39, v39, v129
	s_delay_alu instid0(VALU_DEP_2) | instskip(NEXT) | instid1(VALU_DEP_1)
	v_mul_i32_i24_e32 v42, v42, v131
	v_add3_u32 v22, v22, v42, v39
	v_bfe_u32 v39, v32, 16, 4
	v_bfe_u32 v32, v32, 24, 4
	s_delay_alu instid0(VALU_DEP_2) | instskip(NEXT) | instid1(VALU_DEP_2)
	v_mul_i32_i24_e32 v39, v39, v125
	v_mul_i32_i24_e32 v32, v32, v124
	s_delay_alu instid0(VALU_DEP_1) | instskip(SKIP_2) | instid1(VALU_DEP_2)
	v_add3_u32 v23, v23, v39, v32
	v_ashrrev_i32_e32 v39, 4, v134
	v_bfe_u32 v32, v45, 8, 4
	v_and_b32_e32 v42, 15, v39
	s_delay_alu instid0(VALU_DEP_2) | instskip(NEXT) | instid1(VALU_DEP_2)
	v_mul_i32_i24_e32 v32, v32, v129
	v_mul_i32_i24_e32 v42, v42, v131
	s_delay_alu instid0(VALU_DEP_1) | instskip(SKIP_2) | instid1(VALU_DEP_2)
	v_add3_u32 v32, v37, v42, v32
	v_bfe_u32 v37, v184, 16, 4
	v_bfe_u32 v42, v184, 24, 4
	v_mul_i32_i24_e32 v37, v37, v125
	s_delay_alu instid0(VALU_DEP_2) | instskip(NEXT) | instid1(VALU_DEP_1)
	v_mul_i32_i24_e32 v42, v42, v124
	v_add3_u32 v35, v35, v37, v42
	v_ashrrev_i32_e32 v42, 4, v28
	v_bfe_u32 v37, v47, 8, 4
	s_delay_alu instid0(VALU_DEP_2) | instskip(NEXT) | instid1(VALU_DEP_2)
	v_and_b32_e32 v43, 15, v42
	v_mul_i32_i24_e32 v37, v37, v129
	s_delay_alu instid0(VALU_DEP_2) | instskip(NEXT) | instid1(VALU_DEP_1)
	v_mul_i32_i24_e32 v43, v43, v131
	v_add3_u32 v37, v38, v43, v37
	v_bfe_u32 v38, v25, 16, 4
	v_bfe_u32 v25, v25, 24, 4
	s_delay_alu instid0(VALU_DEP_2) | instskip(NEXT) | instid1(VALU_DEP_2)
	v_mul_i32_i24_e32 v38, v38, v116
	v_mul_i32_i24_e32 v25, v25, v117
	s_delay_alu instid0(VALU_DEP_1) | instskip(SKIP_2) | instid1(VALU_DEP_2)
	v_add3_u32 v24, v24, v38, v25
	v_ashrrev_i32_e32 v38, 4, v1
	v_bfe_u32 v25, v48, 8, 4
	v_and_b32_e32 v43, 15, v38
	s_delay_alu instid0(VALU_DEP_2) | instskip(NEXT) | instid1(VALU_DEP_2)
	v_mul_i32_i24_e32 v25, v25, v121
	v_mul_i32_i24_e32 v43, v43, v123
	s_delay_alu instid0(VALU_DEP_1) | instskip(SKIP_2) | instid1(VALU_DEP_2)
	v_add3_u32 v3, v3, v43, v25
	v_bfe_u32 v25, v181, 8, 4
	v_and_b32_e32 v43, 15, v31
	v_mul_i32_i24_e32 v25, v25, v120
	s_delay_alu instid0(VALU_DEP_2) | instskip(NEXT) | instid1(VALU_DEP_1)
	v_mul_i32_i24_e32 v43, v43, v122
	v_add3_u32 v5, v5, v43, v25
	v_bfe_u32 v25, v40, 16, 4
	v_bfe_u32 v40, v40, 24, 4
	s_delay_alu instid0(VALU_DEP_2) | instskip(NEXT) | instid1(VALU_DEP_2)
	v_mul_i32_i24_e32 v25, v25, v127
	v_mul_i32_i24_e32 v40, v40, v126
	s_delay_alu instid0(VALU_DEP_1) | instskip(SKIP_2) | instid1(VALU_DEP_2)
	v_add3_u32 v22, v22, v25, v40
	v_bfe_u32 v25, v33, 8, 4
	v_and_b32_e32 v40, 15, v135
	v_mul_i32_i24_e32 v25, v25, v120
	s_delay_alu instid0(VALU_DEP_2) | instskip(NEXT) | instid1(VALU_DEP_1)
	v_mul_i32_i24_e32 v40, v40, v122
	v_add3_u32 v23, v23, v40, v25
	v_bfe_u32 v25, v45, 16, 4
	v_bfe_u32 v40, v45, 24, 4
	;; [unrolled: 13-line block ×3, first 2 shown]
	s_delay_alu instid0(VALU_DEP_2) | instskip(NEXT) | instid1(VALU_DEP_2)
	v_mul_i32_i24_e32 v35, v35, v127
	v_mul_i32_i24_e32 v40, v40, v126
	s_delay_alu instid0(VALU_DEP_1) | instskip(SKIP_3) | instid1(VALU_DEP_3)
	v_add3_u32 v35, v37, v35, v40
	v_bfe_u32 v37, v0, 8, 4
	v_bfe_u32 v40, v0, 16, 4
	;; [unrolled: 1-line block ×3, first 2 shown]
	v_mul_i32_i24_e32 v37, v37, v113
	s_delay_alu instid0(VALU_DEP_3) | instskip(NEXT) | instid1(VALU_DEP_3)
	v_mul_i32_i24_e32 v40, v40, v112
	v_mul_i32_i24_e32 v0, v0, v108
	s_delay_alu instid0(VALU_DEP_2) | instskip(SKIP_2) | instid1(VALU_DEP_2)
	v_add3_u32 v24, v24, v37, v40
	v_bfe_u32 v37, v48, 16, 4
	v_bfe_u32 v40, v48, 24, 4
	v_mul_i32_i24_e32 v37, v37, v119
	s_delay_alu instid0(VALU_DEP_2) | instskip(NEXT) | instid1(VALU_DEP_1)
	v_mul_i32_i24_e32 v40, v40, v118
	v_add3_u32 v3, v3, v37, v40
	v_bfe_u32 v37, v181, 16, 4
	v_bfe_u32 v40, v181, 24, 4
	s_delay_alu instid0(VALU_DEP_2) | instskip(NEXT) | instid1(VALU_DEP_2)
	v_mul_i32_i24_e32 v37, v37, v116
	v_mul_i32_i24_e32 v40, v40, v117
	s_delay_alu instid0(VALU_DEP_1) | instskip(SKIP_2) | instid1(VALU_DEP_2)
	v_add3_u32 v5, v5, v37, v40
	v_ashrrev_i32_e32 v40, 4, v31
	v_bfe_u32 v37, v50, 8, 4
	v_and_b32_e32 v43, 15, v40
	s_delay_alu instid0(VALU_DEP_2) | instskip(NEXT) | instid1(VALU_DEP_2)
	v_mul_i32_i24_e32 v37, v37, v121
	v_mul_i32_i24_e32 v43, v43, v123
	s_delay_alu instid0(VALU_DEP_1) | instskip(SKIP_2) | instid1(VALU_DEP_2)
	v_add3_u32 v22, v22, v43, v37
	v_bfe_u32 v37, v33, 16, 4
	v_bfe_u32 v33, v33, 24, 4
	v_mul_i32_i24_e32 v37, v37, v116
	s_delay_alu instid0(VALU_DEP_2) | instskip(NEXT) | instid1(VALU_DEP_1)
	v_mul_i32_i24_e32 v33, v33, v117
	v_add3_u32 v23, v23, v37, v33
	v_ashrrev_i32_e32 v37, 4, v135
	v_bfe_u32 v33, v51, 8, 4
	s_delay_alu instid0(VALU_DEP_2) | instskip(NEXT) | instid1(VALU_DEP_2)
	v_and_b32_e32 v43, 15, v37
	v_mul_i32_i24_e32 v33, v33, v121
	s_delay_alu instid0(VALU_DEP_2) | instskip(NEXT) | instid1(VALU_DEP_1)
	v_mul_i32_i24_e32 v43, v43, v123
	v_add3_u32 v25, v25, v43, v33
	v_bfe_u32 v33, v185, 16, 4
	v_bfe_u32 v43, v185, 24, 4
	s_delay_alu instid0(VALU_DEP_2) | instskip(NEXT) | instid1(VALU_DEP_2)
	v_mul_i32_i24_e32 v33, v33, v116
	v_mul_i32_i24_e32 v43, v43, v117
	s_delay_alu instid0(VALU_DEP_1) | instskip(SKIP_2) | instid1(VALU_DEP_2)
	v_add3_u32 v32, v32, v33, v43
	v_ashrrev_i32_e32 v43, 4, v29
	v_bfe_u32 v33, v52, 8, 4
	v_and_b32_e32 v44, 15, v43
	s_delay_alu instid0(VALU_DEP_2) | instskip(NEXT) | instid1(VALU_DEP_2)
	v_mul_i32_i24_e32 v33, v33, v121
	v_mul_i32_i24_e32 v44, v44, v123
	s_delay_alu instid0(VALU_DEP_1) | instskip(SKIP_1) | instid1(VALU_DEP_1)
	v_add3_u32 v33, v35, v44, v33
	v_bfe_u32 v35, v1, 8, 4
	v_mul_i32_i24_e32 v35, v35, v109
	s_delay_alu instid0(VALU_DEP_1) | instskip(SKIP_2) | instid1(VALU_DEP_2)
	v_add3_u32 v0, v24, v0, v35
	v_bfe_u32 v24, v46, 8, 4
	v_bfe_u32 v35, v46, 16, 4
	v_mul_i32_i24_e32 v24, v24, v115
	s_delay_alu instid0(VALU_DEP_2) | instskip(NEXT) | instid1(VALU_DEP_1)
	v_mul_i32_i24_e32 v35, v35, v114
	v_add3_u32 v3, v3, v24, v35
	v_bfe_u32 v24, v30, 8, 4
	v_bfe_u32 v35, v30, 16, 4
	s_delay_alu instid0(VALU_DEP_2) | instskip(NEXT) | instid1(VALU_DEP_2)
	v_mul_i32_i24_e32 v24, v24, v113
	v_mul_i32_i24_e32 v35, v35, v112
	s_delay_alu instid0(VALU_DEP_1) | instskip(SKIP_2) | instid1(VALU_DEP_2)
	v_add3_u32 v5, v5, v24, v35
	v_bfe_u32 v24, v50, 16, 4
	v_bfe_u32 v35, v50, 24, 4
	v_mul_i32_i24_e32 v24, v24, v119
	s_delay_alu instid0(VALU_DEP_2) | instskip(NEXT) | instid1(VALU_DEP_1)
	v_mul_i32_i24_e32 v35, v35, v118
	v_add3_u32 v22, v22, v24, v35
	v_bfe_u32 v24, v134, 8, 4
	v_bfe_u32 v35, v134, 16, 4
	s_delay_alu instid0(VALU_DEP_2) | instskip(NEXT) | instid1(VALU_DEP_2)
	v_mul_i32_i24_e32 v24, v24, v113
	;; [unrolled: 13-line block ×3, first 2 shown]
	v_mul_i32_i24_e32 v35, v35, v112
	s_delay_alu instid0(VALU_DEP_1) | instskip(SKIP_2) | instid1(VALU_DEP_2)
	v_add3_u32 v25, v32, v25, v35
	v_bfe_u32 v32, v52, 16, 4
	v_bfe_u32 v35, v52, 24, 4
	v_mul_i32_i24_e32 v32, v32, v119
	s_delay_alu instid0(VALU_DEP_2) | instskip(NEXT) | instid1(VALU_DEP_1)
	v_mul_i32_i24_e32 v35, v35, v118
	v_add3_u32 v32, v33, v32, v35
	v_bfe_u32 v33, v1, 16, 4
	v_bfe_u32 v1, v1, 24, 4
	v_cvt_f32_ubyte0_e32 v35, v165
	s_delay_alu instid0(VALU_DEP_3) | instskip(NEXT) | instid1(VALU_DEP_3)
	v_mul_i32_i24_e32 v33, v33, v106
	v_mul_i32_i24_e32 v1, v1, v107
	s_delay_alu instid0(VALU_DEP_3) | instskip(NEXT) | instid1(VALU_DEP_2)
	v_fma_mix_f32 v35, v26, v35, 0 op_sel:[1,0,0] op_sel_hi:[1,0,0]
	v_add3_u32 v0, v0, v33, v1
	v_bfe_u32 v1, v46, 24, 4
	v_bfe_u32 v33, v38, 8, 4
	s_delay_alu instid0(VALU_DEP_2) | instskip(NEXT) | instid1(VALU_DEP_2)
	v_mul_i32_i24_e32 v1, v1, v110
	v_mul_i32_i24_e32 v33, v33, v111
	s_delay_alu instid0(VALU_DEP_1) | instskip(SKIP_2) | instid1(VALU_DEP_2)
	v_add3_u32 v1, v3, v1, v33
	v_bfe_u32 v3, v30, 24, 4
	v_bfe_u32 v30, v31, 8, 4
	v_mul_i32_i24_e32 v3, v3, v108
	s_delay_alu instid0(VALU_DEP_2) | instskip(NEXT) | instid1(VALU_DEP_1)
	v_mul_i32_i24_e32 v30, v30, v109
	v_add3_u32 v3, v5, v3, v30
	v_bfe_u32 v5, v41, 8, 4
	v_bfe_u32 v30, v41, 16, 4
	s_delay_alu instid0(VALU_DEP_2) | instskip(NEXT) | instid1(VALU_DEP_2)
	v_mul_i32_i24_e32 v5, v5, v115
	v_mul_i32_i24_e32 v30, v30, v114
	s_delay_alu instid0(VALU_DEP_1) | instskip(SKIP_2) | instid1(VALU_DEP_2)
	v_add3_u32 v5, v22, v5, v30
	v_bfe_u32 v22, v134, 24, 4
	v_bfe_u32 v30, v135, 8, 4
	v_mul_i32_i24_e32 v22, v22, v108
	s_delay_alu instid0(VALU_DEP_2) | instskip(NEXT) | instid1(VALU_DEP_1)
	v_mul_i32_i24_e32 v30, v30, v109
	v_add3_u32 v22, v23, v22, v30
	v_bfe_u32 v23, v39, 8, 4
	v_bfe_u32 v30, v39, 16, 4
	s_delay_alu instid0(VALU_DEP_2) | instskip(NEXT) | instid1(VALU_DEP_2)
	v_mul_i32_i24_e32 v23, v23, v115
	v_mul_i32_i24_e32 v30, v30, v114
	s_delay_alu instid0(VALU_DEP_1) | instskip(SKIP_3) | instid1(VALU_DEP_3)
	v_add3_u32 v23, v24, v23, v30
	v_bfe_u32 v24, v28, 24, 4
	v_bfe_u32 v28, v29, 8, 4
	v_bfe_u32 v30, v38, 24, 4
	v_mul_i32_i24_e32 v24, v24, v108
	s_delay_alu instid0(VALU_DEP_3) | instskip(NEXT) | instid1(VALU_DEP_3)
	v_mul_i32_i24_e32 v28, v28, v109
	v_mul_i32_i24_e32 v30, v30, v104
	s_delay_alu instid0(VALU_DEP_2) | instskip(SKIP_2) | instid1(VALU_DEP_2)
	v_add3_u32 v24, v25, v24, v28
	v_bfe_u32 v25, v42, 8, 4
	v_bfe_u32 v28, v42, 16, 4
	v_mul_i32_i24_e32 v25, v25, v115
	s_delay_alu instid0(VALU_DEP_2) | instskip(NEXT) | instid1(VALU_DEP_1)
	v_mul_i32_i24_e32 v28, v28, v114
	v_add3_u32 v25, v32, v25, v28
	v_bfe_u32 v28, v38, 16, 4
	v_bfe_u32 v32, v37, 24, 4
	v_cvt_f32_ubyte0_e32 v38, v166
	s_delay_alu instid0(VALU_DEP_3) | instskip(NEXT) | instid1(VALU_DEP_3)
	v_mul_i32_i24_e32 v28, v28, v105
	v_mul_i32_i24_e32 v32, v32, v104
	s_delay_alu instid0(VALU_DEP_3) | instskip(NEXT) | instid1(VALU_DEP_3)
	v_fma_mix_f32 v38, v26, v38, 0 op_sel:[1,0,0] op_sel_hi:[1,0,0]
	v_add3_u32 v1, v1, v28, v30
	v_bfe_u32 v28, v31, 16, 4
	v_bfe_u32 v30, v31, 24, 4
	;; [unrolled: 1-line block ×3, first 2 shown]
	s_delay_alu instid0(VALU_DEP_3) | instskip(NEXT) | instid1(VALU_DEP_3)
	v_mul_i32_i24_e32 v28, v28, v106
	v_mul_i32_i24_e32 v30, v30, v107
	s_delay_alu instid0(VALU_DEP_3) | instskip(NEXT) | instid1(VALU_DEP_2)
	v_mul_i32_i24_e32 v31, v31, v105
	v_add3_u32 v3, v3, v28, v30
	v_bfe_u32 v28, v41, 24, 4
	v_bfe_u32 v30, v40, 8, 4
	s_delay_alu instid0(VALU_DEP_2) | instskip(NEXT) | instid1(VALU_DEP_2)
	v_mul_i32_i24_e32 v28, v28, v110
	v_mul_i32_i24_e32 v30, v30, v111
	s_delay_alu instid0(VALU_DEP_1) | instskip(SKIP_2) | instid1(VALU_DEP_2)
	v_add3_u32 v5, v5, v28, v30
	v_bfe_u32 v28, v135, 16, 4
	v_bfe_u32 v30, v135, 24, 4
	v_mul_i32_i24_e32 v28, v28, v106
	s_delay_alu instid0(VALU_DEP_2) | instskip(NEXT) | instid1(VALU_DEP_1)
	v_mul_i32_i24_e32 v30, v30, v107
	v_add3_u32 v22, v22, v28, v30
	v_bfe_u32 v28, v39, 24, 4
	v_bfe_u32 v30, v37, 8, 4
	v_cvt_f32_ubyte1_e32 v37, v165
	v_cvt_f32_ubyte1_e32 v39, v166
	s_delay_alu instid0(VALU_DEP_4) | instskip(NEXT) | instid1(VALU_DEP_4)
	v_mul_i32_i24_e32 v28, v28, v110
	v_mul_i32_i24_e32 v30, v30, v111
	s_delay_alu instid0(VALU_DEP_4) | instskip(NEXT) | instid1(VALU_DEP_4)
	v_fma_mix_f32 v35, v27, v37, v35 op_sel:[1,0,0] op_sel_hi:[1,0,0]
	v_fma_mix_f32 v38, v27, v39, v38 op_sel:[1,0,0] op_sel_hi:[1,0,0]
	s_delay_alu instid0(VALU_DEP_3)
	v_add3_u32 v23, v23, v28, v30
	v_bfe_u32 v28, v29, 16, 4
	v_bfe_u32 v29, v29, 24, 4
	;; [unrolled: 1-line block ×3, first 2 shown]
	v_mul_f32_e32 v35, v35, v100
	v_add3_u32 v23, v23, v31, v32
	v_mul_i32_i24_e32 v28, v28, v106
	v_mul_i32_i24_e32 v29, v29, v107
	;; [unrolled: 1-line block ×3, first 2 shown]
	v_bfe_u32 v31, v43, 16, 4
	v_bfe_u32 v32, v43, 24, 4
	v_mul_f32_e32 v38, v38, v101
	v_add3_u32 v24, v24, v28, v29
	v_bfe_u32 v28, v42, 24, 4
	v_bfe_u32 v29, v43, 8, 4
	v_mul_i32_i24_e32 v31, v31, v105
	v_mul_i32_i24_e32 v32, v32, v104
	s_delay_alu instid0(VALU_DEP_4) | instskip(NEXT) | instid1(VALU_DEP_4)
	v_mul_i32_i24_e32 v28, v28, v110
	v_mul_i32_i24_e32 v29, v29, v111
	s_delay_alu instid0(VALU_DEP_1) | instskip(SKIP_3) | instid1(VALU_DEP_4)
	v_add3_u32 v25, v25, v28, v29
	v_bfe_u32 v29, v40, 16, 4
	v_add3_u32 v28, v85, s21, v168
	v_cvt_f32_ubyte1_e32 v40, v169
	v_add3_u32 v25, v25, v31, v32
	s_delay_alu instid0(VALU_DEP_4) | instskip(NEXT) | instid1(VALU_DEP_1)
	v_mul_i32_i24_e32 v29, v29, v105
	v_add3_u32 v5, v5, v29, v30
	ds_load_u16 v29, v28 offset:8
	ds_load_u16 v30, v167 offset:17408
	ds_load_u16 v28, v28
	s_waitcnt lgkmcnt(2)
	v_cvt_f32_ubyte0_e32 v33, v29
	v_cvt_f32_ubyte1_e32 v29, v29
	s_waitcnt lgkmcnt(0)
	v_and_b32_e32 v37, 0xff, v28
	v_lshrrev_b16 v28, 8, v28
	v_and_b32_e32 v39, 0xff, v30
	v_fma_mix_f32 v33, v26, v33, 0 op_sel:[1,0,0] op_sel_hi:[1,0,0]
	v_lshrrev_b16 v30, 8, v30
	v_mul_lo_u32 v0, v0, v37
	v_lshrrev_b16 v37, 8, v34
	v_and_b32_e32 v34, 0xff, v34
	v_fma_mix_f32 v29, v27, v29, v33 op_sel:[1,0,0] op_sel_hi:[1,0,0]
	v_cvt_f32_ubyte0_e32 v33, v169
	v_and_b32_e32 v28, 0xffff, v28
	v_and_b32_e32 v30, 0xffff, v30
	;; [unrolled: 1-line block ×3, first 2 shown]
	v_mul_lo_u32 v3, v3, v39
	v_fma_mix_f32 v33, v26, v33, 0 op_sel:[1,0,0] op_sel_hi:[1,0,0]
	v_mul_lo_u32 v24, v24, v34
	v_mul_lo_u32 v1, v1, v28
	;; [unrolled: 1-line block ×3, first 2 shown]
	v_cvt_f32_i32_e32 v0, v0
	v_fma_mix_f32 v33, v27, v40, v33 op_sel:[1,0,0] op_sel_hi:[1,0,0]
	v_and_b32_e32 v40, 0xff, v2
	v_lshrrev_b16 v2, 8, v2
	v_cvt_f32_i32_e32 v3, v3
	v_cvt_f32_i32_e32 v24, v24
	v_fma_mix_f32 v0, v26, v0, 0 op_sel_hi:[1,0,0]
	v_mul_lo_u32 v22, v22, v40
	v_and_b32_e32 v2, 0xffff, v2
	v_cvt_f32_i32_e32 v1, v1
	v_fma_mix_f32 v3, v26, v3, 0 op_sel_hi:[1,0,0]
	v_cvt_f32_i32_e32 v5, v5
	v_fma_mix_f32 v24, v26, v24, 0 op_sel_hi:[1,0,0]
	v_mul_lo_u32 v2, v23, v2
	v_mul_lo_u32 v23, v25, v37
	v_cvt_f32_i32_e32 v22, v22
	v_mul_f32_e32 v29, v29, v99
	v_mul_f32_e32 v25, v33, v102
	v_fma_mix_f32 v0, v27, v1, v0 op_sel_hi:[1,0,0]
	v_fma_mix_f32 v1, v27, v5, v3 op_sel_hi:[1,0,0]
	;; [unrolled: 1-line block ×3, first 2 shown]
	v_cvt_f32_i32_e32 v2, v2
	v_cvt_f32_i32_e32 v23, v23
	v_fma_f32 v0, v0, v95, -v29
	v_fma_f32 v1, v1, v96, -v35
	s_delay_alu instid0(VALU_DEP_4) | instskip(NEXT) | instid1(VALU_DEP_4)
	v_fma_mix_f32 v2, v27, v2, v22 op_sel_hi:[1,0,0]
	v_fma_mix_f32 v3, v27, v23, v24 op_sel_hi:[1,0,0]
	s_delay_alu instid0(VALU_DEP_3) | instskip(NEXT) | instid1(VALU_DEP_3)
	v_dual_add_f32 v36, v36, v0 :: v_dual_add_f32 v65, v65, v1
	v_fma_f32 v2, v2, v97, -v38
	s_delay_alu instid0(VALU_DEP_3) | instskip(NEXT) | instid1(VALU_DEP_1)
	v_fma_f32 v3, v3, v98, -v25
	v_dual_add_f32 v59, v59, v2 :: v_dual_add_f32 v20, v20, v3
	s_cbranch_scc1 .LBB192_22
; %bb.23:                               ;   in Loop: Header=BB192_7 Depth=1
	s_barrier
	buffer_gl0_inv
	s_clause 0x4
	scratch_load_b64 v[37:38], off, off offset:20
	scratch_load_b64 v[42:43], off, off offset:44
	;; [unrolled: 1-line block ×3, first 2 shown]
	scratch_load_b32 v53, off, off offset:124
	scratch_load_b32 v54, off, off offset:128
	s_branch .LBB192_5
.LBB192_24:
	scratch_load_b32 v5, off, off offset:200 ; 4-byte Folded Reload
.LBB192_25:
	s_mul_i32 s0, s10, s7
	s_waitcnt vmcnt(0)
	v_cmp_gt_i32_e32 vcc_lo, s0, v5
	s_and_saveexec_b32 s0, vcc_lo
	s_cbranch_execz .LBB192_34
; %bb.26:
	scratch_load_b32 v0, off, off offset:160 ; 4-byte Folded Reload
	s_mov_b32 s0, exec_lo
	s_waitcnt vmcnt(0)
	v_add_nc_u32_e32 v1, s11, v0
	v_mul_lo_u32 v0, v5, s9
	s_delay_alu instid0(VALU_DEP_2)
	v_cmpx_gt_u32_e64 s9, v1
	s_cbranch_execz .LBB192_28
; %bb.27:
	s_delay_alu instid0(VALU_DEP_2) | instskip(NEXT) | instid1(VALU_DEP_1)
	v_dual_mov_b32 v3, 0 :: v_dual_add_nc_u32 v2, v0, v1
	v_lshlrev_b64 v[2:3], 2, v[2:3]
	s_delay_alu instid0(VALU_DEP_1) | instskip(NEXT) | instid1(VALU_DEP_2)
	v_add_co_u32 v2, vcc_lo, s12, v2
	v_add_co_ci_u32_e32 v3, vcc_lo, s13, v3, vcc_lo
	global_store_b32 v[2:3], v36, off
.LBB192_28:
	s_or_b32 exec_lo, exec_lo, s0
	v_add_nc_u32_e32 v2, 32, v1
	s_mov_b32 s0, exec_lo
	s_delay_alu instid0(VALU_DEP_1)
	v_cmpx_gt_u32_e64 s9, v2
	s_cbranch_execz .LBB192_30
; %bb.29:
	v_dual_mov_b32 v3, 0 :: v_dual_add_nc_u32 v2, v0, v2
	s_delay_alu instid0(VALU_DEP_1) | instskip(NEXT) | instid1(VALU_DEP_1)
	v_lshlrev_b64 v[2:3], 2, v[2:3]
	v_add_co_u32 v2, vcc_lo, s12, v2
	s_delay_alu instid0(VALU_DEP_2)
	v_add_co_ci_u32_e32 v3, vcc_lo, s13, v3, vcc_lo
	global_store_b32 v[2:3], v65, off
.LBB192_30:
	s_or_b32 exec_lo, exec_lo, s0
	v_add_nc_u32_e32 v2, 64, v1
	s_mov_b32 s0, exec_lo
	s_delay_alu instid0(VALU_DEP_1)
	v_cmpx_gt_u32_e64 s9, v2
	s_cbranch_execz .LBB192_32
; %bb.31:
	v_dual_mov_b32 v3, 0 :: v_dual_add_nc_u32 v2, v0, v2
	s_delay_alu instid0(VALU_DEP_1) | instskip(NEXT) | instid1(VALU_DEP_1)
	v_lshlrev_b64 v[2:3], 2, v[2:3]
	v_add_co_u32 v2, vcc_lo, s12, v2
	s_delay_alu instid0(VALU_DEP_2)
	v_add_co_ci_u32_e32 v3, vcc_lo, s13, v3, vcc_lo
	global_store_b32 v[2:3], v59, off
.LBB192_32:
	s_or_b32 exec_lo, exec_lo, s0
	v_add_nc_u32_e32 v1, 0x60, v1
	s_delay_alu instid0(VALU_DEP_1)
	v_cmp_gt_u32_e32 vcc_lo, s9, v1
	s_and_b32 exec_lo, exec_lo, vcc_lo
	s_cbranch_execz .LBB192_34
; %bb.33:
	v_dual_mov_b32 v1, 0 :: v_dual_add_nc_u32 v0, v0, v1
	s_delay_alu instid0(VALU_DEP_1) | instskip(NEXT) | instid1(VALU_DEP_1)
	v_lshlrev_b64 v[0:1], 2, v[0:1]
	v_add_co_u32 v0, vcc_lo, s12, v0
	s_delay_alu instid0(VALU_DEP_2)
	v_add_co_ci_u32_e32 v1, vcc_lo, s13, v1, vcc_lo
	global_store_b32 v[0:1], v20, off
.LBB192_34:
	s_endpgm
	.section	.rodata,"a",@progbits
	.p2align	6, 0x0
	.amdhsa_kernel _ZL8moe_q4_KIfLb1EEvPKvS1_PT_PKiS5_S5_iiiiiii
		.amdhsa_group_segment_fixed_size 20688
		.amdhsa_private_segment_fixed_size 208
		.amdhsa_kernarg_size 76
		.amdhsa_user_sgpr_count 14
		.amdhsa_user_sgpr_dispatch_ptr 0
		.amdhsa_user_sgpr_queue_ptr 0
		.amdhsa_user_sgpr_kernarg_segment_ptr 1
		.amdhsa_user_sgpr_dispatch_id 0
		.amdhsa_user_sgpr_private_segment_size 0
		.amdhsa_wavefront_size32 1
		.amdhsa_uses_dynamic_stack 0
		.amdhsa_enable_private_segment 1
		.amdhsa_system_sgpr_workgroup_id_x 1
		.amdhsa_system_sgpr_workgroup_id_y 1
		.amdhsa_system_sgpr_workgroup_id_z 0
		.amdhsa_system_sgpr_workgroup_info 0
		.amdhsa_system_vgpr_workitem_id 1
		.amdhsa_next_free_vgpr 256
		.amdhsa_next_free_sgpr 23
		.amdhsa_reserve_vcc 1
		.amdhsa_float_round_mode_32 0
		.amdhsa_float_round_mode_16_64 0
		.amdhsa_float_denorm_mode_32 3
		.amdhsa_float_denorm_mode_16_64 3
		.amdhsa_dx10_clamp 1
		.amdhsa_ieee_mode 1
		.amdhsa_fp16_overflow 0
		.amdhsa_workgroup_processor_mode 1
		.amdhsa_memory_ordered 1
		.amdhsa_forward_progress 0
		.amdhsa_shared_vgpr_count 0
		.amdhsa_exception_fp_ieee_invalid_op 0
		.amdhsa_exception_fp_denorm_src 0
		.amdhsa_exception_fp_ieee_div_zero 0
		.amdhsa_exception_fp_ieee_overflow 0
		.amdhsa_exception_fp_ieee_underflow 0
		.amdhsa_exception_fp_ieee_inexact 0
		.amdhsa_exception_int_div_zero 0
	.end_amdhsa_kernel
	.section	.text._ZL8moe_q4_KIfLb1EEvPKvS1_PT_PKiS5_S5_iiiiiii,"axG",@progbits,_ZL8moe_q4_KIfLb1EEvPKvS1_PT_PKiS5_S5_iiiiiii,comdat
.Lfunc_end192:
	.size	_ZL8moe_q4_KIfLb1EEvPKvS1_PT_PKiS5_S5_iiiiiii, .Lfunc_end192-_ZL8moe_q4_KIfLb1EEvPKvS1_PT_PKiS5_S5_iiiiiii
                                        ; -- End function
	.section	.AMDGPU.csdata,"",@progbits
; Kernel info:
; codeLenInByte = 15664
; NumSgprs: 25
; NumVgprs: 256
; ScratchSize: 208
; MemoryBound: 0
; FloatMode: 240
; IeeeMode: 1
; LDSByteSize: 20688 bytes/workgroup (compile time only)
; SGPRBlocks: 3
; VGPRBlocks: 31
; NumSGPRsForWavesPerEU: 25
; NumVGPRsForWavesPerEU: 256
; Occupancy: 5
; WaveLimiterHint : 1
; COMPUTE_PGM_RSRC2:SCRATCH_EN: 1
; COMPUTE_PGM_RSRC2:USER_SGPR: 14
; COMPUTE_PGM_RSRC2:TRAP_HANDLER: 0
; COMPUTE_PGM_RSRC2:TGID_X_EN: 1
; COMPUTE_PGM_RSRC2:TGID_Y_EN: 1
; COMPUTE_PGM_RSRC2:TGID_Z_EN: 0
; COMPUTE_PGM_RSRC2:TIDIG_COMP_CNT: 1
	.section	.text._ZL8moe_q5_KIfLb0EEvPKvS1_PT_PKiS5_S5_iiiiiii,"axG",@progbits,_ZL8moe_q5_KIfLb0EEvPKvS1_PT_PKiS5_S5_iiiiiii,comdat
	.globl	_ZL8moe_q5_KIfLb0EEvPKvS1_PT_PKiS5_S5_iiiiiii ; -- Begin function _ZL8moe_q5_KIfLb0EEvPKvS1_PT_PKiS5_S5_iiiiiii
	.p2align	8
	.type	_ZL8moe_q5_KIfLb0EEvPKvS1_PT_PKiS5_S5_iiiiiii,@function
_ZL8moe_q5_KIfLb0EEvPKvS1_PT_PKiS5_S5_iiiiiii: ; @_ZL8moe_q5_KIfLb0EEvPKvS1_PT_PKiS5_S5_iiiiiii
; %bb.0:
	s_load_b128 s[4:7], s[0:1], 0x18
	s_mov_b32 s2, s15
	s_mov_b32 s3, 0
	s_delay_alu instid0(SALU_CYCLE_1)
	s_lshl_b64 s[8:9], s[2:3], 2
	s_waitcnt lgkmcnt(0)
	s_add_u32 s6, s6, s8
	s_addc_u32 s7, s7, s9
	s_load_b32 s12, s[6:7], 0x0
	s_waitcnt lgkmcnt(0)
	s_cmpk_gt_u32 s12, 0xff
	s_cbranch_scc1 .LBB193_31
; %bb.1:
	s_load_b64 s[6:7], s[0:1], 0x28
	s_lshl_b32 s2, s2, 3
	s_waitcnt lgkmcnt(0)
	s_load_b32 s3, s[6:7], 0x0
	s_waitcnt lgkmcnt(0)
	s_cmp_gt_u32 s2, s3
	s_cbranch_scc1 .LBB193_31
; %bb.2:
	v_bfe_u32 v70, v0, 10, 10
	v_mov_b32_e32 v2, 0
	s_lshl_b32 s16, s14, 7
	s_mov_b32 s17, 0
	s_delay_alu instid0(VALU_DEP_2) | instskip(NEXT) | instid1(VALU_DEP_2)
	v_add_nc_u32_e32 v1, s2, v70
	v_mov_b32_e32 v55, v2
	v_mov_b32_e32 v5, v2
	;; [unrolled: 1-line block ×3, first 2 shown]
	s_delay_alu instid0(VALU_DEP_4) | instskip(NEXT) | instid1(VALU_DEP_1)
	v_lshlrev_b64 v[3:4], 2, v[1:2]
	v_add_co_u32 v3, vcc_lo, s4, v3
	s_delay_alu instid0(VALU_DEP_2)
	v_add_co_ci_u32_e32 v4, vcc_lo, s5, v4, vcc_lo
	global_load_b32 v3, v[3:4], off
	s_clause 0x2
	s_load_b64 s[10:11], s[0:1], 0x30
	s_load_b64 s[8:9], s[0:1], 0x10
	s_load_b128 s[4:7], s[0:1], 0x3c
	v_and_b32_e32 v4, 0x3ff, v0
	s_waitcnt lgkmcnt(0)
	s_cmpk_lt_i32 s11, 0x100
	s_cbranch_scc1 .LBB193_22
; %bb.3:
	s_load_b128 s[0:3], s[0:1], 0x0
	s_ashr_i32 s13, s11, 31
	s_mul_i32 s12, s12, s10
	s_lshr_b32 s10, s13, 24
	s_ashr_i32 s14, s5, 31
	s_add_i32 s10, s11, s10
	s_lshr_b32 s13, s14, 27
	s_ashr_i32 s10, s10, 8
	s_add_i32 s5, s5, s13
	s_mul_i32 s13, s10, s16
	s_ashr_i32 s14, s12, 31
	s_ashr_i32 s5, s5, 5
	s_mul_hi_i32 s15, s13, 0xb0
	s_mulk_i32 s13, 0xb0
	v_and_b32_e32 v47, 3, v4
	v_dual_mov_b32 v5, 0 :: v_dual_lshlrev_b32 v0, 1, v4
	v_and_b32_e32 v14, 7, v4
	v_lshlrev_b32_e32 v8, 5, v70
	s_delay_alu instid0(VALU_DEP_4)
	v_cmp_lt_u32_e32 vcc_lo, 1, v47
	s_waitcnt lgkmcnt(0)
	s_add_u32 s0, s0, s12
	s_addc_u32 s1, s1, s14
	s_add_u32 s18, s0, s13
	s_addc_u32 s19, s1, s15
	s_abs_i32 s12, s7
	v_cndmask_b32_e64 v55, 0, 1, vcc_lo
	v_cvt_f32_u32_e32 v26, s12
	v_mul_u32_u24_e32 v18, 0x41, v70
	v_add_nc_u32_e32 v53, v8, v4
	v_add_nc_u32_e32 v20, 0xfe, v47
	v_cmp_gt_u32_e64 s0, 2, v47
	v_rcp_iflag_f32_e32 v35, v26
	v_lshlrev_b32_e32 v2, 2, v4
	v_lshlrev_b32_e32 v77, 2, v55
	v_mov_b32_e32 v55, 0
	v_and_or_b32 v0, v0, 48, v14
	v_lshrrev_b32_e32 v41, 3, v53
	v_cndmask_b32_e64 v44, v20, v47, s0
	s_sub_i32 s0, 0, s12
	v_lshrrev_b32_e32 v1, 2, v4
	v_add_lshl_u32 v18, v0, v18, 2
	v_mul_f32_e32 v39, 0x4f7ffffe, v35
	v_and_b32_e32 v0, 0x7f, v53
	v_and_b32_e32 v21, 4, v2
	v_lshlrev_b32_e32 v15, 3, v70
	v_and_b32_e32 v45, 12, v41
	v_cvt_u32_f32_e32 v50, v39
	s_delay_alu instid0(VALU_DEP_4) | instskip(NEXT) | instid1(VALU_DEP_4)
	v_dual_cndmask_b32 v20, 0, v21 :: v_dual_lshlrev_b32 v51, 2, v0
	v_add_nc_u32_e32 v22, v1, v15
	v_mul_i32_i24_e32 v43, s10, v0
	s_delay_alu instid0(VALU_DEP_4)
	v_mul_lo_u32 v46, s0, v50
	v_and_b32_e32 v0, 0xff, v44
	v_add3_u32 v44, v51, v45, 0x8e40
	v_and_b32_e32 v49, 0x7f, v22
	s_waitcnt vmcnt(0)
	v_sub_nc_u32_e32 v48, 0, v3
	v_and_b32_e32 v12, 6, v1
	v_add_nc_u16 v1, v1, v15
	v_cmp_ne_u32_e32 vcc_lo, 0, v47
	v_mul_hi_u32 v51, v50, v46
	v_xor_b32_e32 v52, 64, v49
	v_max_i32_e32 v54, v3, v48
	v_lshlrev_b32_e32 v47, 2, v47
	v_lshrrev_b16 v1, 1, v1
	v_mad_i32_i24 v58, 0xffffffe4, v70, v53
	v_add_co_ci_u32_e32 v76, vcc_lo, 0, v0, vcc_lo
	v_add_nc_u32_e32 v48, v50, v51
	v_lshrrev_b32_e32 v50, 1, v52
	v_lshl_or_b32 v51, v49, 4, v47
	v_and_b32_e32 v1, 60, v1
	v_lshl_or_b32 v47, v52, 4, v47
	v_mul_hi_u32 v57, v54, v48
	v_and_b32_e32 v56, 60, v50
	v_lshrrev_b32_e32 v6, 5, v4
	v_add3_u32 v50, v51, v1, 0x8200
	v_mul_i32_i24_e32 v51, s10, v52
	v_add_nc_u32_e32 v59, 32, v4
	v_add3_u32 v52, v47, v56, 0x8200
	v_and_or_b32 v47, v4, 31, v8
	v_mul_lo_u32 v56, v57, s12
	v_add_nc_u32_e32 v63, 64, v4
	v_add_nc_u32_e32 v64, 0x60, v4
	s_lshl_b32 s1, s10, 3
	v_lshl_add_u32 v53, v47, 2, 0x8a40
	v_mad_i32_i24 v7, s10, v70, s1
	v_lshlrev_b32_e32 v61, 2, v6
	v_lshrrev_b32_e32 v73, 3, v63
	v_sub_nc_u32_e32 v47, v54, v56
	v_lshl_add_u32 v54, v58, 2, 0x9050
	v_add_nc_u32_e32 v58, 1, v57
	v_lshrrev_b32_e32 v72, 3, v64
	v_add_nc_u32_e32 v9, s1, v7
	v_subrev_nc_u32_e32 v60, s12, v47
	v_cmp_le_u32_e32 vcc_lo, s12, v47
	v_and_b32_e32 v11, 28, v2
	v_and_b32_e32 v65, 60, v72
	v_lshlrev_b32_e32 v78, 2, v59
	v_lshlrev_b32_e32 v82, 2, v2
	v_dual_cndmask_b32 v58, v57, v58 :: v_dual_cndmask_b32 v47, v47, v60
	v_lshrrev_b32_e32 v57, 3, v59
	v_xor_b32_e32 v62, s7, v3
	v_lshrrev_b32_e32 v56, 3, v4
	s_delay_alu instid0(VALU_DEP_4)
	v_add_nc_u32_e32 v60, 1, v58
	v_cmp_le_u32_e32 vcc_lo, s12, v47
	v_and_b32_e32 v10, 0x7c, v2
	v_ashrrev_i32_e32 v62, 31, v62
	v_lshlrev_b32_e32 v79, 2, v63
	v_lshlrev_b32_e32 v80, 2, v64
	v_cndmask_b32_e32 v47, v58, v60, vcc_lo
	v_add3_u32 v58, v61, v2, 0x8e40
	v_and_b32_e32 v60, 60, v57
	v_and_b32_e32 v61, 60, v73
	v_lshlrev_b32_e32 v48, 1, v0
	v_xor_b32_e32 v47, v47, v62
	v_add_co_u32 v0, s0, s2, v11
	v_add3_u32 v59, v2, v60, 0x8e40
	v_add3_u32 v60, v2, v61, 0x8e40
	;; [unrolled: 1-line block ×3, first 2 shown]
	v_dual_mov_b32 v2, 0 :: v_dual_add_nc_u32 v13, s1, v9
	v_sub_nc_u32_e32 v47, v47, v62
	s_movk_i32 s12, 0x80
	v_mul_i32_i24_e32 v15, s10, v70
	v_add_nc_u32_e32 v22, 0x820, v18
	v_add_nc_u32_e32 v14, s1, v13
	v_mul_lo_u32 v62, v47, s5
	v_add_nc_u32_e32 v24, 0x1040, v18
	v_add_nc_u32_e32 v25, 0x1860, v18
	;; [unrolled: 1-line block ×17, first 2 shown]
	v_mul_i32_i24_e32 v49, s10, v49
	v_add_nc_u32_e32 v23, s1, v21
	v_add_co_ci_u32_e64 v1, null, s3, 0, s0
	v_cmp_gt_u32_e64 s0, 4, v4
	v_mul_u32_u24_e32 v63, 0x104, v4
	s_delay_alu instid0(VALU_DEP_4)
	v_add_nc_u32_e32 v27, s1, v23
	v_ashrrev_i32_e32 v67, 31, v62
	v_mad_u32_u24 v68, 0x104, v4, s12
	v_lshl_add_u32 v69, v70, 4, 0x9050
	v_lshl_add_u32 v70, v70, 7, 0x8a40
	v_add_nc_u32_e32 v32, s1, v27
	v_lshlrev_b32_e32 v71, 4, v4
	v_lshlrev_b32_e32 v72, 2, v72
	;; [unrolled: 1-line block ×4, first 2 shown]
	v_add_nc_u32_e32 v36, s1, v32
	v_lshl_or_b32 v75, v56, 2, 0x8200
	v_lshlrev_b32_e32 v76, 2, v76
	v_lshlrev_b32_e32 v78, 2, v78
	v_lshlrev_b32_e32 v79, 2, v79
	v_add_nc_u32_e32 v40, s1, v36
	v_lshlrev_b32_e32 v80, 2, v80
	v_lshlrev_b32_e32 v81, 2, v56
	s_add_u32 s12, s2, 0x90
	s_addc_u32 s13, s3, 0
	v_add_nc_u32_e32 v41, s1, v40
	s_delay_alu instid0(VALU_DEP_1) | instskip(NEXT) | instid1(VALU_DEP_1)
	v_add_nc_u32_e32 v45, s1, v41
	v_add_nc_u32_e32 v46, s1, v45
	s_movk_i32 s1, 0x104
	s_delay_alu instid0(SALU_CYCLE_1)
	v_mad_u32_u24 v64, v4, s1, 0x2080
	v_mad_u32_u24 v65, v4, s1, 0x4100
	;; [unrolled: 1-line block ×3, first 2 shown]
	v_cmp_gt_i32_e64 s1, s4, v47
	v_mov_b32_e32 v47, 0
	v_or_b32_e32 v17, 1, v12
	s_branch .LBB193_5
.LBB193_4:                              ;   in Loop: Header=BB193_5 Depth=1
	s_add_i32 s17, s17, 1
	s_delay_alu instid0(SALU_CYCLE_1)
	s_cmp_eq_u32 s17, s10
	s_cbranch_scc1 .LBB193_22
.LBB193_5:                              ; =>This Loop Header: Depth=1
                                        ;     Child Loop BB193_12 Depth 2
                                        ;     Child Loop BB193_20 Depth 2
	s_mul_i32 s14, s17, 0xb0
	s_mul_hi_u32 s15, s17, 0xb0
	s_add_u32 s14, s18, s14
	s_addc_u32 s15, s19, s15
	s_delay_alu instid0(SALU_CYCLE_1) | instskip(NEXT) | instid1(VALU_DEP_1)
	v_mad_u64_u32 v[83:84], null, 0xb0, v6, s[14:15]
	v_mad_u64_u32 v[85:86], null, 0xb0, v15, v[83:84]
	v_mad_u64_u32 v[87:88], null, 0xb0, v7, v[83:84]
	v_mad_u64_u32 v[93:94], null, 0xb0, v9, v[83:84]
	v_mad_u64_u32 v[95:96], null, 0xb0, v13, v[83:84]
	s_delay_alu instid0(VALU_DEP_4)
	v_add_co_u32 v89, vcc_lo, v85, v10
	v_add_co_ci_u32_e32 v90, vcc_lo, 0, v86, vcc_lo
	v_add_co_u32 v85, vcc_lo, v85, v11
	v_add_co_ci_u32_e32 v86, vcc_lo, 0, v86, vcc_lo
	;; [unrolled: 2-line block ×6, first 2 shown]
	v_mad_u64_u32 v[101:102], null, 0xb0, v14, v[83:84]
	v_add_co_u32 v99, vcc_lo, v95, v10
	v_add_co_ci_u32_e32 v100, vcc_lo, 0, v96, vcc_lo
	v_add_co_u32 v95, vcc_lo, v95, v11
	v_add_co_ci_u32_e32 v96, vcc_lo, 0, v96, vcc_lo
	s_clause 0x7
	global_load_b32 v107, v[89:90], off offset:48
	global_load_b32 v108, v[85:86], off offset:16
	;; [unrolled: 1-line block ×8, first 2 shown]
	v_mad_u64_u32 v[85:86], null, 0xb0, v16, v[83:84]
	v_add_co_u32 v87, vcc_lo, v101, v10
	v_add_co_ci_u32_e32 v88, vcc_lo, 0, v102, vcc_lo
	v_add_co_u32 v89, vcc_lo, v101, v11
	v_mad_u64_u32 v[93:94], null, 0xb0, v19, v[83:84]
	v_add_co_ci_u32_e32 v90, vcc_lo, 0, v102, vcc_lo
	v_add_co_u32 v91, vcc_lo, v85, v10
	v_add_co_ci_u32_e32 v92, vcc_lo, 0, v86, vcc_lo
	v_add_co_u32 v85, vcc_lo, v85, v11
	v_mad_u64_u32 v[95:96], null, 0xb0, v21, v[83:84]
	v_add_co_ci_u32_e32 v86, vcc_lo, 0, v86, vcc_lo
	v_add_co_u32 v97, vcc_lo, v93, v10
	v_add_co_ci_u32_e32 v98, vcc_lo, 0, v94, vcc_lo
	v_add_co_u32 v93, vcc_lo, v93, v11
	v_add_co_ci_u32_e32 v94, vcc_lo, 0, v94, vcc_lo
	v_mad_u64_u32 v[101:102], null, 0xb0, v23, v[83:84]
	v_add_co_u32 v99, vcc_lo, v95, v10
	v_add_co_ci_u32_e32 v100, vcc_lo, 0, v96, vcc_lo
	v_add_co_u32 v95, vcc_lo, v95, v11
	v_add_co_ci_u32_e32 v96, vcc_lo, 0, v96, vcc_lo
	s_clause 0x7
	global_load_b32 v115, v[87:88], off offset:48
	global_load_b32 v116, v[89:90], off offset:16
	;; [unrolled: 1-line block ×8, first 2 shown]
	v_mad_u64_u32 v[87:88], null, 0xb0, v27, v[83:84]
	v_add_co_u32 v85, vcc_lo, v101, v10
	v_add_co_ci_u32_e32 v86, vcc_lo, 0, v102, vcc_lo
	v_add_co_u32 v89, vcc_lo, v101, v11
	v_mad_u64_u32 v[91:92], null, 0xb0, v32, v[83:84]
	v_add_co_ci_u32_e32 v90, vcc_lo, 0, v102, vcc_lo
	v_add_co_u32 v93, vcc_lo, v87, v10
	v_add_co_ci_u32_e32 v94, vcc_lo, 0, v88, vcc_lo
	v_add_co_u32 v87, vcc_lo, v87, v11
	v_mad_u64_u32 v[97:98], null, 0xb0, v36, v[83:84]
	v_add_co_ci_u32_e32 v88, vcc_lo, 0, v88, vcc_lo
	;; [unrolled: 5-line block ×4, first 2 shown]
	v_add_co_u32 v103, vcc_lo, v99, v10
	v_add_co_ci_u32_e32 v104, vcc_lo, 0, v100, vcc_lo
	s_clause 0x8
	global_load_b32 v123, v[85:86], off offset:48
	global_load_b32 v124, v[89:90], off offset:16
	;; [unrolled: 1-line block ×9, first 2 shown]
	v_add_co_u32 v85, vcc_lo, v99, v11
	v_add_co_ci_u32_e32 v86, vcc_lo, 0, v100, vcc_lo
	v_add_co_u32 v87, vcc_lo, v105, v10
	v_add_co_ci_u32_e32 v88, vcc_lo, 0, v106, vcc_lo
	;; [unrolled: 2-line block ×3, first 2 shown]
	s_clause 0x2
	global_load_b32 v99, v[85:86], off offset:16
	global_load_b32 v100, v[87:88], off offset:48
	global_load_b32 v102, v[89:90], off offset:16
	v_mad_u64_u32 v[85:86], null, 0xb0, v45, v[83:84]
	v_mad_u64_u32 v[89:90], null, 0xb0, v46, v[83:84]
	s_delay_alu instid0(VALU_DEP_2) | instskip(NEXT) | instid1(VALU_DEP_3)
	v_add_co_u32 v87, vcc_lo, v85, v10
	v_add_co_ci_u32_e32 v88, vcc_lo, 0, v86, vcc_lo
	v_add_co_u32 v83, vcc_lo, v85, v11
	v_add_co_ci_u32_e32 v84, vcc_lo, 0, v86, vcc_lo
	v_mad_u64_u32 v[85:86], null, 0xb0, v49, s[14:15]
	v_add_co_u32 v91, vcc_lo, v89, v10
	v_add_co_ci_u32_e32 v92, vcc_lo, 0, v90, vcc_lo
	v_add_co_u32 v89, vcc_lo, v89, v11
	v_add_co_ci_u32_e32 v90, vcc_lo, 0, v90, vcc_lo
	;; [unrolled: 2-line block ×3, first 2 shown]
	v_mad_u64_u32 v[85:86], null, 0xb0, v51, s[14:15]
	s_clause 0x3
	global_load_b32 v87, v[87:88], off offset:48
	global_load_b32 v88, v[83:84], off offset:16
	;; [unrolled: 1-line block ×4, first 2 shown]
	v_add_co_u32 v83, vcc_lo, v103, v76
	v_add_co_ci_u32_e32 v84, vcc_lo, 0, v104, vcc_lo
	v_add_co_u32 v90, vcc_lo, v85, 4
	v_add_co_ci_u32_e32 v92, vcc_lo, 0, v86, vcc_lo
	global_load_b32 v105, v[83:84], off
	v_add_co_u32 v83, vcc_lo, v90, v76
	v_add_co_ci_u32_e32 v84, vcc_lo, 0, v92, vcc_lo
	v_add_co_u32 v85, vcc_lo, v103, v77
	v_add_co_ci_u32_e32 v86, vcc_lo, 0, v104, vcc_lo
	global_load_b32 v103, v[83:84], off
	v_add_co_u32 v83, vcc_lo, v90, v77
	v_add_co_ci_u32_e32 v84, vcc_lo, 0, v92, vcc_lo
	s_clause 0x1
	global_load_b32 v85, v[85:86], off
	global_load_b32 v86, v[83:84], off
	v_mad_u64_u32 v[83:84], null, 0xb0, v43, s[14:15]
	s_lshl_b32 s15, s17, 8
	s_delay_alu instid0(SALU_CYCLE_1)
	s_cmp_lt_i32 s15, s11
	global_load_b32 v83, v[83:84], off
	s_waitcnt vmcnt(36)
	v_lshrrev_b32_e32 v90, 4, v107
	s_waitcnt vmcnt(35)
	v_ashrrev_i32_e32 v92, v12, v108
	v_ashrrev_i32_e32 v104, v17, v108
	v_and_b32_e32 v84, 0xf0f0f0f, v107
	s_waitcnt vmcnt(34)
	v_and_b32_e32 v106, 0xf0f0f0f, v109
	v_lshrrev_b32_e32 v107, 4, v109
	s_waitcnt vmcnt(33)
	v_ashrrev_i32_e32 v108, v12, v110
	v_ashrrev_i32_e32 v109, v17, v110
	s_waitcnt vmcnt(32)
	v_and_b32_e32 v110, 0xf0f0f0f, v111
	v_lshrrev_b32_e32 v111, 4, v111
	s_waitcnt vmcnt(31)
	v_ashrrev_i32_e32 v125, v12, v112
	v_ashrrev_i32_e32 v112, v17, v112
	;; [unrolled: 6-line block ×3, first 2 shown]
	v_and_b32_e32 v90, 0xf0f0f0f, v90
	v_lshlrev_b32_e32 v92, 4, v92
	v_lshlrev_b32_e32 v104, 4, v104
	v_and_b32_e32 v107, 0xf0f0f0f, v107
	v_lshlrev_b32_e32 v108, 4, v108
	v_lshlrev_b32_e32 v109, 4, v109
	;; [unrolled: 3-line block ×4, first 2 shown]
	v_and_or_b32 v84, 0x10101010, v92, v84
	v_and_or_b32 v90, 0x10101010, v104, v90
	;; [unrolled: 1-line block ×8, first 2 shown]
	s_waitcnt vmcnt(28)
	v_and_b32_e32 v128, 0xf0f0f0f, v115
	v_lshrrev_b32_e32 v115, 4, v115
	s_waitcnt vmcnt(27)
	v_ashrrev_i32_e32 v129, v12, v116
	v_ashrrev_i32_e32 v116, v17, v116
	s_waitcnt vmcnt(26)
	v_and_b32_e32 v130, 0xf0f0f0f, v117
	v_lshrrev_b32_e32 v117, 4, v117
	s_waitcnt vmcnt(25)
	v_ashrrev_i32_e32 v131, v12, v118
	v_ashrrev_i32_e32 v118, v17, v118
	;; [unrolled: 6-line block ×4, first 2 shown]
	v_and_b32_e32 v115, 0xf0f0f0f, v115
	v_lshlrev_b32_e32 v129, 4, v129
	v_lshlrev_b32_e32 v116, 4, v116
	v_and_b32_e32 v117, 0xf0f0f0f, v117
	v_lshlrev_b32_e32 v131, 4, v131
	v_lshlrev_b32_e32 v118, 4, v118
	;; [unrolled: 3-line block ×4, first 2 shown]
	v_and_or_b32 v110, 0x10101010, v129, v128
	v_and_or_b32 v111, 0x10101010, v116, v115
	;; [unrolled: 1-line block ×8, first 2 shown]
	s_waitcnt vmcnt(20)
	v_and_b32_e32 v136, 0xf0f0f0f, v123
	v_lshrrev_b32_e32 v123, 4, v123
	s_waitcnt vmcnt(19)
	v_ashrrev_i32_e32 v137, v12, v124
	v_ashrrev_i32_e32 v124, v17, v124
	s_waitcnt vmcnt(18)
	v_and_b32_e32 v138, 0xf0f0f0f, v93
	v_lshrrev_b32_e32 v93, 4, v93
	s_waitcnt vmcnt(17)
	v_ashrrev_i32_e32 v139, v12, v94
	v_ashrrev_i32_e32 v94, v17, v94
	;; [unrolled: 6-line block ×3, first 2 shown]
	s_waitcnt vmcnt(12)
	v_and_b32_e32 v144, 0xf0f0f0f, v98
	v_lshrrev_b32_e32 v98, 4, v98
	v_and_b32_e32 v123, 0xf0f0f0f, v123
	v_lshlrev_b32_e32 v137, 4, v137
	v_lshlrev_b32_e32 v124, 4, v124
	v_and_b32_e32 v93, 0xf0f0f0f, v93
	v_lshlrev_b32_e32 v139, 4, v139
	v_lshlrev_b32_e32 v94, 4, v94
	s_waitcnt vmcnt(11)
	v_ashrrev_i32_e32 v145, v12, v99
	v_ashrrev_i32_e32 v99, v17, v99
	v_and_b32_e32 v95, 0xf0f0f0f, v95
	v_lshlrev_b32_e32 v141, 4, v141
	v_lshlrev_b32_e32 v96, 4, v96
	v_and_b32_e32 v142, 0xf0f0f0f, v101
	v_lshrrev_b32_e32 v101, 4, v101
	v_ashrrev_i32_e32 v143, v12, v97
	v_ashrrev_i32_e32 v97, v17, v97
	s_waitcnt vmcnt(10)
	v_and_b32_e32 v146, 0xf0f0f0f, v100
	v_lshrrev_b32_e32 v100, 4, v100
	v_and_b32_e32 v98, 0xf0f0f0f, v98
	v_lshlrev_b32_e32 v99, 4, v99
	v_and_or_b32 v118, 0x10101010, v137, v136
	v_and_or_b32 v119, 0x10101010, v124, v123
	;; [unrolled: 1-line block ×6, first 2 shown]
	ds_store_2addr_b32 v18, v84, v90 offset1:8
	ds_store_2addr_b32 v22, v92, v104 offset1:8
	;; [unrolled: 1-line block ×11, first 2 shown]
	s_waitcnt vmcnt(9)
	v_ashrrev_i32_e32 v84, v17, v102
	v_ashrrev_i32_e32 v147, v12, v102
	v_and_b32_e32 v101, 0xf0f0f0f, v101
	v_lshlrev_b32_e32 v143, 4, v143
	v_lshlrev_b32_e32 v97, 4, v97
	v_and_or_b32 v93, 0x10101010, v99, v98
	v_and_b32_e32 v94, 0xf0f0f0f, v100
	v_lshlrev_b32_e32 v84, 4, v84
	v_lshlrev_b32_e32 v145, 4, v145
	v_lshlrev_b32_e32 v90, 4, v147
	v_and_or_b32 v96, 0x10101010, v143, v142
	v_and_or_b32 v97, 0x10101010, v97, v101
	s_waitcnt vmcnt(8)
	v_lshrrev_b32_e32 v95, 4, v87
	s_waitcnt vmcnt(7)
	v_ashrrev_i32_e32 v98, v12, v88
	v_ashrrev_i32_e32 v88, v17, v88
	v_and_or_b32 v84, 0x10101010, v84, v94
	v_and_b32_e32 v87, 0xf0f0f0f, v87
	v_and_b32_e32 v94, 0xf0f0f0f, v95
	v_lshlrev_b32_e32 v95, 4, v98
	v_lshlrev_b32_e32 v88, 4, v88
	v_and_or_b32 v92, 0x10101010, v145, v144
	v_and_or_b32 v90, 0x10101010, v90, v146
	ds_store_2addr_b32 v35, v96, v97 offset1:8
	ds_store_2addr_b32 v37, v92, v93 offset1:8
	;; [unrolled: 1-line block ×3, first 2 shown]
	v_and_or_b32 v84, 0x10101010, v95, v87
	v_and_or_b32 v87, 0x10101010, v88, v94
	s_waitcnt vmcnt(6)
	v_lshrrev_b32_e32 v88, 4, v91
	v_and_b32_e32 v90, 0xf0f0f0f, v91
	s_waitcnt vmcnt(5)
	v_ashrrev_i32_e32 v91, v12, v89
	v_ashrrev_i32_e32 v89, v17, v89
	s_waitcnt vmcnt(4)
	v_ashrrev_i32_e32 v92, v20, v105
	v_and_b32_e32 v88, 0xf0f0f0f, v88
	ds_store_2addr_b32 v39, v84, v87 offset1:8
	s_waitcnt vmcnt(3)
	v_ashrrev_i32_e32 v93, v20, v103
	v_lshlrev_b32_e32 v91, 4, v91
	v_lshlrev_b32_e32 v89, 4, v89
	v_and_b32_e32 v92, 0xf0f0f0f, v92
	s_delay_alu instid0(VALU_DEP_4)
	v_and_b32_e32 v93, 0xf0f0f0f, v93
	s_waitcnt vmcnt(2)
	v_ashrrev_i32_e32 v85, v48, v85
	s_waitcnt vmcnt(1)
	v_ashrrev_i32_e32 v86, v48, v86
	v_and_or_b32 v90, 0x10101010, v91, v90
	v_and_or_b32 v88, 0x10101010, v89, v88
	;; [unrolled: 1-line block ×3, first 2 shown]
	s_delay_alu instid0(VALU_DEP_4)
	v_and_or_b32 v85, 0x30303030, v86, v93
	ds_store_2addr_b32 v42, v90, v88 offset1:8
	s_waitcnt vmcnt(0)
	ds_store_b32 v44, v83
	ds_store_b32 v50, v84
	;; [unrolled: 1-line block ×3, first 2 shown]
	s_cbranch_scc0 .LBB193_4
; %bb.6:                                ;   in Loop: Header=BB193_5 Depth=1
	s_lshl_b32 s14, s17, 3
	s_delay_alu instid0(SALU_CYCLE_1) | instskip(NEXT) | instid1(VALU_DEP_1)
	v_add_nc_u32_e32 v83, s14, v56
	v_cmp_gt_i32_e32 vcc_lo, s5, v83
	s_and_b32 s21, s1, vcc_lo
	s_delay_alu instid0(SALU_CYCLE_1)
	s_and_saveexec_b32 s20, s21
	s_cbranch_execz .LBB193_8
; %bb.7:                                ;   in Loop: Header=BB193_5 Depth=1
	v_add_nc_u32_e32 v85, v62, v83
	s_delay_alu instid0(VALU_DEP_1)
	v_mad_i64_i32 v[83:84], null, v85, 36, v[0:1]
	global_load_b32 v83, v[83:84], off offset:4
	s_waitcnt vmcnt(0)
	ds_store_b32 v53, v83
.LBB193_8:                              ;   in Loop: Header=BB193_5 Depth=1
	s_or_b32 exec_lo, exec_lo, s20
	s_and_saveexec_b32 s20, s0
	s_cbranch_execz .LBB193_11
; %bb.9:                                ;   in Loop: Header=BB193_5 Depth=1
	v_or_b32_e32 v83, s14, v4
	s_delay_alu instid0(VALU_DEP_1) | instskip(SKIP_1) | instid1(SALU_CYCLE_1)
	v_cmp_gt_i32_e32 vcc_lo, s5, v83
	s_and_b32 s21, s1, vcc_lo
	s_and_b32 exec_lo, exec_lo, s21
	s_cbranch_execz .LBB193_11
; %bb.10:                               ;   in Loop: Header=BB193_5 Depth=1
	v_add_nc_u32_e32 v85, v62, v83
	s_delay_alu instid0(VALU_DEP_1)
	v_mad_i64_i32 v[83:84], null, v85, 36, s[2:3]
	global_load_b32 v83, v[83:84], off
	s_waitcnt vmcnt(0)
	ds_store_b32 v54, v83
.LBB193_11:                             ;   in Loop: Header=BB193_5 Depth=1
	s_or_b32 exec_lo, exec_lo, s20
	s_waitcnt lgkmcnt(0)
	s_barrier
	buffer_gl0_inv
	ds_load_b32 v84, v58
	ds_load_b32 v85, v59 offset:128
	ds_load_b32 v86, v60 offset:256
	;; [unrolled: 1-line block ×3, first 2 shown]
	s_mov_b32 s21, 0
	s_mov_b32 s20, -1
	s_waitcnt lgkmcnt(3)
	v_lshrrev_b32_e32 v88, 16, v84
	s_waitcnt lgkmcnt(2)
	v_lshrrev_b32_e32 v89, 16, v85
	;; [unrolled: 2-line block ×4, first 2 shown]
	v_cvt_f32_f16_e32 v83, v84
	v_cvt_f32_f16_e32 v84, v85
	;; [unrolled: 1-line block ×8, first 2 shown]
.LBB193_12:                             ;   Parent Loop BB193_5 Depth=1
                                        ; =>  This Inner Loop Header: Depth=2
	s_lshr_b32 s22, s21, 2
	v_lshl_or_b32 v91, s21, 1, v8
	s_lshl_b32 s21, s21, 3
	s_add_i32 s22, s22, 0x8200
	v_add_nc_u32_e32 v92, s21, v63
	v_add_nc_u32_e32 v93, s21, v64
	;; [unrolled: 1-line block ×4, first 2 shown]
	v_add3_u32 v99, s22, v81, v82
	v_add3_u32 v96, s22, v74, v78
	;; [unrolled: 1-line block ×4, first 2 shown]
	v_lshlrev_b32_e32 v103, 2, v91
	v_lshrrev_b32_e32 v100, 1, v91
	ds_load_2addr_b32 v[107:108], v92 offset1:1
	ds_load_2addr_b32 v[109:110], v92 offset0:2 offset1:3
	ds_load_2addr_b32 v[111:112], v92 offset0:4 offset1:5
	ds_load_2addr_b32 v[113:114], v92 offset0:6 offset1:7
	ds_load_2addr_b32 v[115:116], v92 offset0:8 offset1:9
	ds_load_2addr_b32 v[117:118], v92 offset0:10 offset1:11
	ds_load_2addr_b32 v[119:120], v92 offset0:12 offset1:13
	ds_load_2addr_b32 v[121:122], v92 offset0:14 offset1:15
	ds_load_2addr_b32 v[123:124], v93 offset1:1
	ds_load_2addr_b32 v[125:126], v93 offset0:2 offset1:3
	ds_load_2addr_b32 v[127:128], v93 offset0:4 offset1:5
	ds_load_2addr_b32 v[129:130], v93 offset0:6 offset1:7
	ds_load_2addr_b32 v[131:132], v93 offset0:8 offset1:9
	ds_load_2addr_b32 v[133:134], v93 offset0:10 offset1:11
	ds_load_2addr_b32 v[135:136], v93 offset0:12 offset1:13
	ds_load_2addr_b32 v[137:138], v93 offset0:14 offset1:15
	;; [unrolled: 8-line block ×4, first 2 shown]
	ds_load_u16 v173, v96
	ds_load_u8 v174, v96 offset:8
	ds_load_u8 v175, v96 offset:9
	ds_load_u16 v176, v97
	ds_load_u8 v177, v97 offset:8
	ds_load_u8 v178, v97 offset:9
	;; [unrolled: 3-line block ×3, first 2 shown]
	ds_load_b128 v[91:94], v103 offset:35392
	ds_load_u16 v182, v99
	ds_load_b64 v[171:172], v100 offset:36944
	ds_load_u8 v183, v99 offset:8
	ds_load_b128 v[95:98], v103 offset:35424
	ds_load_u8 v184, v99 offset:9
	ds_load_b128 v[99:102], v103 offset:35408
	ds_load_b128 v[103:106], v103 offset:35440
	s_mov_b32 s21, 8
	s_and_b32 vcc_lo, exec_lo, s20
	s_mov_b32 s20, 0
	s_waitcnt lgkmcnt(16)
	v_lshrrev_b16 v185, 8, v173
	s_waitcnt lgkmcnt(15)
	v_cvt_f32_ubyte0_e32 v174, v174
	s_waitcnt lgkmcnt(14)
	v_cvt_f32_ubyte0_e32 v175, v175
	s_waitcnt lgkmcnt(13)
	v_lshrrev_b16 v186, 8, v176
	s_waitcnt lgkmcnt(12)
	v_cvt_f32_ubyte0_e32 v177, v177
	s_waitcnt lgkmcnt(11)
	v_cvt_f32_ubyte0_e32 v178, v178
	s_waitcnt lgkmcnt(10)
	v_lshrrev_b16 v187, 8, v179
	v_and_b32_e32 v179, 0xff, v179
	s_waitcnt lgkmcnt(9)
	v_cvt_f32_ubyte0_e32 v180, v180
	s_waitcnt lgkmcnt(7)
	v_dot4_i32_iu8 v107, v107, v91, 0 neg_lo:[1,1,0]
	v_dot4_i32_iu8 v123, v123, v91, 0 neg_lo:[1,1,0]
	;; [unrolled: 1-line block ×4, first 2 shown]
	s_waitcnt lgkmcnt(3)
	v_dot4_i32_iu8 v115, v115, v95, 0 neg_lo:[1,1,0]
	v_dot4_i32_iu8 v131, v131, v95, 0 neg_lo:[1,1,0]
	;; [unrolled: 1-line block ×20, first 2 shown]
	s_waitcnt lgkmcnt(1)
	v_dot4_i32_iu8 v91, v159, v99, v91 neg_lo:[1,1,0]
	v_and_b32_e32 v163, 0xffff, v185
	v_and_b32_e32 v185, 0xffff, v187
	v_dot4_i32_iu8 v117, v133, v97, v124 neg_lo:[1,1,0]
	s_waitcnt lgkmcnt(0)
	v_dot4_i32_iu8 v92, v167, v103, v92 neg_lo:[1,1,0]
	v_dot4_i32_iu8 v91, v160, v100, v91 neg_lo:[1,1,0]
	;; [unrolled: 1-line block ×9, first 2 shown]
	v_cvt_f32_ubyte0_e32 v181, v181
	v_dot4_i32_iu8 v92, v169, v105, v92 neg_lo:[1,1,0]
	v_dot4_i32_iu8 v91, v162, v102, v91 neg_lo:[1,1,0]
	v_fma_mix_f32 v155, v171, v174, 0 op_sel:[1,0,0] op_sel_hi:[1,0,0]
	v_fma_mix_f32 v174, v171, v177, 0 op_sel:[1,0,0] op_sel_hi:[1,0,0]
	;; [unrolled: 1-line block ×3, first 2 shown]
	v_dot4_i32_iu8 v92, v170, v106, v92 neg_lo:[1,1,0]
	v_mul_lo_u32 v91, v91, v179
	v_dot4_i32_iu8 v110, v134, v98, v117 neg_lo:[1,1,0]
	v_dot4_i32_iu8 v117, v150, v98, v124 neg_lo:[1,1,0]
	v_dot4_i32_iu8 v94, v111, v99, v97 neg_lo:[1,1,0]
	v_mul_lo_u32 v92, v92, v185
	v_dot4_i32_iu8 v98, v127, v99, v109 neg_lo:[1,1,0]
	v_dot4_i32_iu8 v109, v143, v99, v115 neg_lo:[1,1,0]
	v_fma_mix_f32 v95, v172, v175, v155 op_sel:[1,0,0] op_sel_hi:[1,0,0]
	v_cvt_f32_i32_e32 v91, v91
	v_fma_mix_f32 v96, v172, v178, v174 op_sel:[1,0,0] op_sel_hi:[1,0,0]
	v_fma_mix_f32 v139, v172, v181, v180 op_sel:[1,0,0] op_sel_hi:[1,0,0]
	v_dot4_i32_iu8 v97, v119, v103, v107 neg_lo:[1,1,0]
	v_dot4_i32_iu8 v107, v135, v103, v110 neg_lo:[1,1,0]
	;; [unrolled: 1-line block ×6, first 2 shown]
	v_cvt_f32_i32_e32 v92, v92
	v_fma_mix_f32 v91, v171, v91, 0 op_sel_hi:[1,0,0]
	v_and_b32_e32 v176, 0xff, v176
	v_mul_f32_e32 v93, v95, v88
	v_dual_mul_f32 v95, v96, v89 :: v_dual_mul_f32 v96, v139, v90
	v_dot4_i32_iu8 v97, v120, v104, v97 neg_lo:[1,1,0]
	v_dot4_i32_iu8 v99, v136, v104, v107 neg_lo:[1,1,0]
	;; [unrolled: 1-line block ×6, first 2 shown]
	v_fma_mix_f32 v91, v172, v92, v91 op_sel_hi:[1,0,0]
	v_lshrrev_b16 v188, 8, v182
	v_and_b32_e32 v182, 0xff, v182
	v_dot4_i32_iu8 v97, v121, v105, v97 neg_lo:[1,1,0]
	v_dot4_i32_iu8 v99, v137, v105, v99 neg_lo:[1,1,0]
	;; [unrolled: 1-line block ×6, first 2 shown]
	v_fma_f32 v91, v91, v86, -v96
	v_and_b32_e32 v173, 0xff, v173
	v_and_b32_e32 v177, 0xffff, v186
	;; [unrolled: 1-line block ×3, first 2 shown]
	v_dot4_i32_iu8 v97, v122, v106, v97 neg_lo:[1,1,0]
	v_dot4_i32_iu8 v99, v138, v106, v99 neg_lo:[1,1,0]
	;; [unrolled: 1-line block ×3, first 2 shown]
	v_mul_lo_u32 v94, v94, v182
	v_mul_lo_u32 v100, v100, v176
	v_add_f32_e32 v2, v2, v91
	v_mul_lo_u32 v98, v98, v173
	v_cvt_f32_ubyte0_e32 v183, v183
	v_mul_lo_u32 v97, v97, v116
	v_mul_lo_u32 v99, v99, v163
	;; [unrolled: 1-line block ×3, first 2 shown]
	v_cvt_f32_ubyte0_e32 v184, v184
	v_fma_mix_f32 v108, v171, v183, 0 op_sel:[1,0,0] op_sel_hi:[1,0,0]
	v_cvt_f32_i32_e32 v94, v94
	v_cvt_f32_i32_e32 v98, v98
	;; [unrolled: 1-line block ×4, first 2 shown]
	v_fma_mix_f32 v108, v172, v184, v108 op_sel:[1,0,0] op_sel_hi:[1,0,0]
	v_cvt_f32_i32_e32 v99, v99
	v_cvt_f32_i32_e32 v101, v101
	v_fma_mix_f32 v94, v171, v94, 0 op_sel_hi:[1,0,0]
	v_fma_mix_f32 v98, v171, v98, 0 op_sel_hi:[1,0,0]
	;; [unrolled: 1-line block ×3, first 2 shown]
	v_mul_f32_e32 v102, v108, v87
	s_delay_alu instid0(VALU_DEP_4) | instskip(NEXT) | instid1(VALU_DEP_4)
	v_fma_mix_f32 v94, v172, v97, v94 op_sel_hi:[1,0,0]
	v_fma_mix_f32 v97, v172, v99, v98 op_sel_hi:[1,0,0]
	s_delay_alu instid0(VALU_DEP_4) | instskip(NEXT) | instid1(VALU_DEP_3)
	v_fma_mix_f32 v98, v172, v101, v100 op_sel_hi:[1,0,0]
	v_fma_f32 v92, v94, v83, -v102
	s_delay_alu instid0(VALU_DEP_3) | instskip(NEXT) | instid1(VALU_DEP_3)
	v_fma_f32 v93, v97, v84, -v93
	v_fma_f32 v94, v98, v85, -v95
	s_delay_alu instid0(VALU_DEP_3) | instskip(NEXT) | instid1(VALU_DEP_3)
	v_add_f32_e32 v5, v5, v92
	v_add_f32_e32 v55, v55, v93
	s_delay_alu instid0(VALU_DEP_3)
	v_add_f32_e32 v47, v47, v94
	s_cbranch_vccnz .LBB193_12
; %bb.13:                               ;   in Loop: Header=BB193_5 Depth=1
	s_bitset1_b32 s15, 7
	s_delay_alu instid0(SALU_CYCLE_1)
	s_cmp_ge_i32 s15, s11
	s_barrier
	buffer_gl0_inv
	s_cbranch_scc1 .LBB193_4
; %bb.14:                               ;   in Loop: Header=BB193_5 Depth=1
	v_add_nc_u32_e32 v83, s14, v57
	s_delay_alu instid0(VALU_DEP_1) | instskip(SKIP_1) | instid1(SALU_CYCLE_1)
	v_cmp_gt_i32_e32 vcc_lo, s5, v83
	s_and_b32 s20, s1, vcc_lo
	s_and_saveexec_b32 s15, s20
	s_cbranch_execz .LBB193_16
; %bb.15:                               ;   in Loop: Header=BB193_5 Depth=1
	v_add_nc_u32_e32 v85, v62, v83
	s_delay_alu instid0(VALU_DEP_1)
	v_mad_i64_i32 v[83:84], null, v85, 36, v[0:1]
	global_load_b32 v83, v[83:84], off offset:4
	s_waitcnt vmcnt(0)
	ds_store_b32 v53, v83
.LBB193_16:                             ;   in Loop: Header=BB193_5 Depth=1
	s_or_b32 exec_lo, exec_lo, s15
	s_and_saveexec_b32 s15, s0
	s_cbranch_execz .LBB193_19
; %bb.17:                               ;   in Loop: Header=BB193_5 Depth=1
	v_or_b32_e32 v83, s14, v4
	s_delay_alu instid0(VALU_DEP_1) | instskip(NEXT) | instid1(VALU_DEP_1)
	v_or_b32_e32 v84, 4, v83
	v_cmp_gt_i32_e32 vcc_lo, s5, v84
	s_and_b32 s14, s1, vcc_lo
	s_delay_alu instid0(SALU_CYCLE_1)
	s_and_b32 exec_lo, exec_lo, s14
	s_cbranch_execz .LBB193_19
; %bb.18:                               ;   in Loop: Header=BB193_5 Depth=1
	v_ashrrev_i32_e32 v84, 31, v83
	v_add_co_u32 v85, vcc_lo, v62, v83
	s_delay_alu instid0(VALU_DEP_2) | instskip(NEXT) | instid1(VALU_DEP_2)
	v_add_co_ci_u32_e32 v86, vcc_lo, v67, v84, vcc_lo
	v_mad_u64_u32 v[83:84], null, v85, 36, s[12:13]
	s_delay_alu instid0(VALU_DEP_1)
	v_mad_i32_i24 v84, v86, 36, v84
	global_load_b32 v83, v[83:84], off
	s_waitcnt vmcnt(0)
	ds_store_b32 v54, v83
.LBB193_19:                             ;   in Loop: Header=BB193_5 Depth=1
	s_or_b32 exec_lo, exec_lo, s15
	s_waitcnt lgkmcnt(0)
	s_barrier
	buffer_gl0_inv
	ds_load_b32 v86, v58
	ds_load_b32 v87, v59 offset:128
	ds_load_b32 v88, v60 offset:256
	;; [unrolled: 1-line block ×3, first 2 shown]
	v_dual_mov_b32 v83, v70 :: v_dual_mov_b32 v84, v69
	s_mov_b32 s14, 16
	s_mov_b32 s15, 0
	;; [unrolled: 1-line block ×3, first 2 shown]
	s_waitcnt lgkmcnt(3)
	v_lshrrev_b32_e32 v90, 16, v86
	s_waitcnt lgkmcnt(2)
	v_lshrrev_b32_e32 v91, 16, v87
	;; [unrolled: 2-line block ×4, first 2 shown]
	v_cvt_f32_f16_e32 v85, v86
	v_cvt_f32_f16_e32 v86, v87
	;; [unrolled: 1-line block ×8, first 2 shown]
	v_mov_b32_e32 v93, v68
.LBB193_20:                             ;   Parent Loop BB193_5 Depth=1
                                        ; =>  This Inner Loop Header: Depth=2
	ds_load_b128 v[94:97], v83
	ds_load_b128 v[98:101], v83 offset:16
	ds_load_b128 v[102:105], v83 offset:32
	;; [unrolled: 1-line block ×3, first 2 shown]
	ds_load_b64 v[110:111], v84
	ds_load_2addr_b32 v[112:113], v93 offset1:1
	ds_load_2addr_b32 v[114:115], v93 offset0:2 offset1:3
	ds_load_2addr_b32 v[116:117], v93 offset0:4 offset1:5
	;; [unrolled: 1-line block ×7, first 2 shown]
	v_add_nc_u32_e32 v128, 0x2080, v93
	v_add_nc_u32_e32 v130, 0x2088, v93
	;; [unrolled: 1-line block ×10, first 2 shown]
	ds_load_2addr_b32 v[128:129], v128 offset1:1
	ds_load_2addr_b32 v[130:131], v130 offset1:1
	;; [unrolled: 1-line block ×8, first 2 shown]
	v_add_nc_u32_e32 v160, s15, v71
	v_add_nc_u32_e32 v148, 0x4110, v93
	s_lshr_b32 s21, s14, 2
	v_add_nc_u32_e32 v150, 0x4118, v93
	v_add_nc_u32_e32 v161, 0x6180, v93
	;; [unrolled: 1-line block ×8, first 2 shown]
	s_and_b32 s21, s21, 0x3ffffffc
	ds_load_2addr_b32 v[144:145], v144 offset1:1
	ds_load_2addr_b32 v[146:147], v146 offset1:1
	;; [unrolled: 1-line block ×8, first 2 shown]
	v_add_nc_u32_e32 v166, 0x6198, v93
	v_add_nc_u32_e32 v168, 0x61a0, v93
	;; [unrolled: 1-line block ×5, first 2 shown]
	v_add3_u32 v176, v75, s21, v160
	v_add3_u32 v177, v74, s21, v160
	;; [unrolled: 1-line block ×4, first 2 shown]
	ds_load_2addr_b32 v[160:161], v161 offset1:1
	ds_load_2addr_b32 v[162:163], v162 offset1:1
	;; [unrolled: 1-line block ×8, first 2 shown]
	ds_load_u16 v180, v176
	ds_load_u16 v176, v176 offset:8
	ds_load_u16 v181, v177 offset:33792
	;; [unrolled: 1-line block ×7, first 2 shown]
	s_waitcnt lgkmcnt(39)
	v_dot4_i32_iu8 v112, v112, v94, 0 neg_lo:[1,1,0]
	s_waitcnt lgkmcnt(35)
	v_dot4_i32_iu8 v120, v120, v102, 0 neg_lo:[1,1,0]
	v_add_nc_u32_e32 v84, 8, v84
	v_add_nc_u32_e32 v83, 64, v83
	s_add_i32 s22, s20, 8
	v_dot4_i32_iu8 v112, v113, v95, v112 neg_lo:[1,1,0]
	v_dot4_i32_iu8 v113, v121, v103, v120 neg_lo:[1,1,0]
	s_waitcnt lgkmcnt(31)
	v_dot4_i32_iu8 v120, v128, v94, 0 neg_lo:[1,1,0]
	s_waitcnt lgkmcnt(27)
	v_dot4_i32_iu8 v121, v136, v102, 0 neg_lo:[1,1,0]
	s_waitcnt lgkmcnt(23)
	v_dot4_i32_iu8 v128, v144, v94, 0 neg_lo:[1,1,0]
	s_waitcnt lgkmcnt(15)
	v_dot4_i32_iu8 v94, v160, v94, 0 neg_lo:[1,1,0]
	v_dot4_i32_iu8 v136, v152, v102, 0 neg_lo:[1,1,0]
	s_waitcnt lgkmcnt(11)
	v_dot4_i32_iu8 v102, v168, v102, 0 neg_lo:[1,1,0]
	v_dot4_i32_iu8 v112, v114, v96, v112 neg_lo:[1,1,0]
	s_waitcnt lgkmcnt(6)
	v_cvt_f32_ubyte0_e32 v152, v176
	v_dot4_i32_iu8 v113, v122, v104, v113 neg_lo:[1,1,0]
	v_dot4_i32_iu8 v120, v129, v95, v120 neg_lo:[1,1,0]
	;; [unrolled: 1-line block ×5, first 2 shown]
	v_cvt_f32_ubyte1_e32 v122, v176
	s_waitcnt lgkmcnt(4)
	v_cvt_f32_ubyte0_e32 v168, v177
	v_cvt_f32_ubyte1_e32 v137, v177
	s_waitcnt lgkmcnt(2)
	v_cvt_f32_ubyte0_e32 v177, v178
	v_dot4_i32_iu8 v136, v153, v103, v136 neg_lo:[1,1,0]
	v_cvt_f32_ubyte1_e32 v153, v178
	s_waitcnt lgkmcnt(0)
	v_cvt_f32_ubyte0_e32 v178, v179
	v_dot4_i32_iu8 v102, v169, v103, v102 neg_lo:[1,1,0]
	v_dot4_i32_iu8 v112, v115, v97, v112 neg_lo:[1,1,0]
	v_fma_mix_f32 v115, v110, v152, 0 op_sel:[1,0,0] op_sel_hi:[1,0,0]
	v_dot4_i32_iu8 v113, v123, v105, v113 neg_lo:[1,1,0]
	v_dot4_i32_iu8 v120, v130, v96, v120 neg_lo:[1,1,0]
	;; [unrolled: 1-line block ×5, first 2 shown]
	v_cvt_f32_ubyte1_e32 v103, v179
	v_dot4_i32_iu8 v136, v154, v104, v136 neg_lo:[1,1,0]
	v_fma_mix_f32 v96, v110, v178, 0 op_sel:[1,0,0] op_sel_hi:[1,0,0]
	v_dot4_i32_iu8 v102, v170, v104, v102 neg_lo:[1,1,0]
	v_dot4_i32_iu8 v104, v116, v98, v112 neg_lo:[1,1,0]
	v_dot4_i32_iu8 v112, v124, v106, v113 neg_lo:[1,1,0]
	v_fma_mix_f32 v113, v111, v122, v115 op_sel:[1,0,0] op_sel_hi:[1,0,0]
	v_dot4_i32_iu8 v115, v131, v97, v120 neg_lo:[1,1,0]
	v_dot4_i32_iu8 v116, v139, v105, v121 neg_lo:[1,1,0]
	;; [unrolled: 1-line block ×6, first 2 shown]
	v_fma_mix_f32 v96, v111, v103, v96 op_sel:[1,0,0] op_sel_hi:[1,0,0]
	v_dot4_i32_iu8 v102, v117, v99, v104 neg_lo:[1,1,0]
	v_dot4_i32_iu8 v103, v125, v107, v112 neg_lo:[1,1,0]
	;; [unrolled: 1-line block ×4, first 2 shown]
	v_mul_f32_e32 v96, v96, v92
	v_dot4_i32_iu8 v115, v148, v98, v121 neg_lo:[1,1,0]
	v_dot4_i32_iu8 v94, v164, v98, v94 neg_lo:[1,1,0]
	;; [unrolled: 1-line block ×10, first 2 shown]
	v_lshrrev_b16 v114, 8, v180
	v_lshrrev_b16 v129, 8, v181
	v_dot4_i32_iu8 v112, v157, v107, v116 neg_lo:[1,1,0]
	v_dot4_i32_iu8 v97, v173, v107, v97 neg_lo:[1,1,0]
	;; [unrolled: 1-line block ×7, first 2 shown]
	v_and_b32_e32 v144, 0xff, v180
	v_and_b32_e32 v160, 0xff, v181
	v_lshrrev_b16 v145, 8, v182
	v_and_b32_e32 v176, 0xff, v182
	v_lshrrev_b16 v95, 8, v183
	v_dual_mul_f32 v104, v113, v89 :: v_dual_and_b32 v161, 0xff, v183
	v_and_b32_e32 v114, 0xffff, v114
	v_and_b32_e32 v129, 0xffff, v129
	v_dot4_i32_iu8 v98, v119, v101, v98 neg_lo:[1,1,0]
	v_dot4_i32_iu8 v106, v158, v108, v112 neg_lo:[1,1,0]
	;; [unrolled: 1-line block ×7, first 2 shown]
	v_and_b32_e32 v138, 0xffff, v145
	v_and_b32_e32 v95, 0xffff, v95
	v_mul_lo_u32 v98, v98, v144
	v_mul_lo_u32 v99, v99, v114
	v_dot4_i32_iu8 v105, v159, v109, v106 neg_lo:[1,1,0]
	v_dot4_i32_iu8 v97, v175, v109, v97 neg_lo:[1,1,0]
	v_mul_lo_u32 v100, v100, v160
	v_mul_lo_u32 v101, v102, v129
	;; [unrolled: 1-line block ×6, first 2 shown]
	v_fma_mix_f32 v123, v110, v168, 0 op_sel:[1,0,0] op_sel_hi:[1,0,0]
	v_fma_mix_f32 v130, v110, v177, 0 op_sel:[1,0,0] op_sel_hi:[1,0,0]
	v_cvt_f32_i32_e32 v97, v98
	v_cvt_f32_i32_e32 v98, v99
	;; [unrolled: 1-line block ×6, first 2 shown]
	v_fma_mix_f32 v120, v111, v137, v123 op_sel:[1,0,0] op_sel_hi:[1,0,0]
	v_fma_mix_f32 v123, v111, v153, v130 op_sel:[1,0,0] op_sel_hi:[1,0,0]
	v_fma_mix_f32 v97, v110, v97, 0 op_sel_hi:[1,0,0]
	v_cvt_f32_i32_e32 v102, v103
	v_cvt_f32_i32_e32 v95, v95
	v_fma_mix_f32 v99, v110, v99, 0 op_sel_hi:[1,0,0]
	v_fma_mix_f32 v101, v110, v101, 0 op_sel_hi:[1,0,0]
	;; [unrolled: 1-line block ×3, first 2 shown]
	v_mul_f32_e32 v113, v120, v90
	v_mul_f32_e32 v117, v123, v91
	v_fma_mix_f32 v97, v111, v98, v97 op_sel_hi:[1,0,0]
	v_fma_mix_f32 v98, v111, v100, v99 op_sel_hi:[1,0,0]
	;; [unrolled: 1-line block ×4, first 2 shown]
	s_add_i32 s20, s20, 16
	v_fma_f32 v95, v97, v85, -v104
	v_fma_f32 v97, v98, v86, -v113
	v_fma_f32 v98, v99, v87, -v117
	v_fma_f32 v94, v94, v88, -v96
	v_add_nc_u32_e32 v93, 64, v93
	v_add_f32_e32 v5, v5, v95
	v_add_f32_e32 v55, v55, v97
	;; [unrolled: 1-line block ×4, first 2 shown]
	s_add_i32 s14, s14, 8
	s_add_i32 s15, s15, 2
	s_cmp_lt_u32 s20, 24
	s_mov_b32 s20, s22
	s_cbranch_scc1 .LBB193_20
; %bb.21:                               ;   in Loop: Header=BB193_5 Depth=1
	s_barrier
	buffer_gl0_inv
	s_branch .LBB193_4
.LBB193_22:
	s_mul_i32 s0, s7, s4
	s_waitcnt vmcnt(0)
	v_cmp_gt_i32_e32 vcc_lo, s0, v3
	s_and_saveexec_b32 s0, vcc_lo
	s_cbranch_execz .LBB193_31
; %bb.23:
	v_mul_lo_u32 v0, v3, s6
	v_add_nc_u32_e32 v1, s16, v4
	s_mov_b32 s0, exec_lo
	s_delay_alu instid0(VALU_DEP_1)
	v_cmpx_gt_u32_e64 s6, v1
	s_cbranch_execz .LBB193_25
; %bb.24:
	s_delay_alu instid0(VALU_DEP_3) | instskip(NEXT) | instid1(VALU_DEP_1)
	v_dual_mov_b32 v4, 0 :: v_dual_add_nc_u32 v3, v0, v1
	v_lshlrev_b64 v[3:4], 2, v[3:4]
	s_delay_alu instid0(VALU_DEP_1) | instskip(NEXT) | instid1(VALU_DEP_2)
	v_add_co_u32 v3, vcc_lo, s8, v3
	v_add_co_ci_u32_e32 v4, vcc_lo, s9, v4, vcc_lo
	global_store_b32 v[3:4], v5, off
.LBB193_25:
	s_or_b32 exec_lo, exec_lo, s0
	v_add_nc_u32_e32 v3, 32, v1
	s_mov_b32 s0, exec_lo
	s_delay_alu instid0(VALU_DEP_1)
	v_cmpx_gt_u32_e64 s6, v3
	s_cbranch_execz .LBB193_27
; %bb.26:
	v_dual_mov_b32 v4, 0 :: v_dual_add_nc_u32 v3, v0, v3
	s_delay_alu instid0(VALU_DEP_1) | instskip(NEXT) | instid1(VALU_DEP_1)
	v_lshlrev_b64 v[3:4], 2, v[3:4]
	v_add_co_u32 v3, vcc_lo, s8, v3
	s_delay_alu instid0(VALU_DEP_2)
	v_add_co_ci_u32_e32 v4, vcc_lo, s9, v4, vcc_lo
	global_store_b32 v[3:4], v55, off
.LBB193_27:
	s_or_b32 exec_lo, exec_lo, s0
	v_add_nc_u32_e32 v3, 64, v1
	s_mov_b32 s0, exec_lo
	s_delay_alu instid0(VALU_DEP_1)
	v_cmpx_gt_u32_e64 s6, v3
	s_cbranch_execz .LBB193_29
; %bb.28:
	v_dual_mov_b32 v4, 0 :: v_dual_add_nc_u32 v3, v0, v3
	s_delay_alu instid0(VALU_DEP_1) | instskip(NEXT) | instid1(VALU_DEP_1)
	v_lshlrev_b64 v[3:4], 2, v[3:4]
	v_add_co_u32 v3, vcc_lo, s8, v3
	s_delay_alu instid0(VALU_DEP_2)
	v_add_co_ci_u32_e32 v4, vcc_lo, s9, v4, vcc_lo
	global_store_b32 v[3:4], v47, off
.LBB193_29:
	s_or_b32 exec_lo, exec_lo, s0
	v_add_nc_u32_e32 v1, 0x60, v1
	s_delay_alu instid0(VALU_DEP_1)
	v_cmp_gt_u32_e32 vcc_lo, s6, v1
	s_and_b32 exec_lo, exec_lo, vcc_lo
	s_cbranch_execz .LBB193_31
; %bb.30:
	v_dual_mov_b32 v1, 0 :: v_dual_add_nc_u32 v0, v0, v1
	s_delay_alu instid0(VALU_DEP_1) | instskip(NEXT) | instid1(VALU_DEP_1)
	v_lshlrev_b64 v[0:1], 2, v[0:1]
	v_add_co_u32 v0, vcc_lo, s8, v0
	s_delay_alu instid0(VALU_DEP_2)
	v_add_co_ci_u32_e32 v1, vcc_lo, s9, v1, vcc_lo
	global_store_b32 v[0:1], v2, off
.LBB193_31:
	s_nop 0
	s_sendmsg sendmsg(MSG_DEALLOC_VGPRS)
	s_endpgm
	.section	.rodata,"a",@progbits
	.p2align	6, 0x0
	.amdhsa_kernel _ZL8moe_q5_KIfLb0EEvPKvS1_PT_PKiS5_S5_iiiiiii
		.amdhsa_group_segment_fixed_size 37072
		.amdhsa_private_segment_fixed_size 0
		.amdhsa_kernarg_size 76
		.amdhsa_user_sgpr_count 14
		.amdhsa_user_sgpr_dispatch_ptr 0
		.amdhsa_user_sgpr_queue_ptr 0
		.amdhsa_user_sgpr_kernarg_segment_ptr 1
		.amdhsa_user_sgpr_dispatch_id 0
		.amdhsa_user_sgpr_private_segment_size 0
		.amdhsa_wavefront_size32 1
		.amdhsa_uses_dynamic_stack 0
		.amdhsa_enable_private_segment 0
		.amdhsa_system_sgpr_workgroup_id_x 1
		.amdhsa_system_sgpr_workgroup_id_y 1
		.amdhsa_system_sgpr_workgroup_id_z 0
		.amdhsa_system_sgpr_workgroup_info 0
		.amdhsa_system_vgpr_workitem_id 1
		.amdhsa_next_free_vgpr 189
		.amdhsa_next_free_sgpr 23
		.amdhsa_reserve_vcc 1
		.amdhsa_float_round_mode_32 0
		.amdhsa_float_round_mode_16_64 0
		.amdhsa_float_denorm_mode_32 3
		.amdhsa_float_denorm_mode_16_64 3
		.amdhsa_dx10_clamp 1
		.amdhsa_ieee_mode 1
		.amdhsa_fp16_overflow 0
		.amdhsa_workgroup_processor_mode 1
		.amdhsa_memory_ordered 1
		.amdhsa_forward_progress 0
		.amdhsa_shared_vgpr_count 0
		.amdhsa_exception_fp_ieee_invalid_op 0
		.amdhsa_exception_fp_denorm_src 0
		.amdhsa_exception_fp_ieee_div_zero 0
		.amdhsa_exception_fp_ieee_overflow 0
		.amdhsa_exception_fp_ieee_underflow 0
		.amdhsa_exception_fp_ieee_inexact 0
		.amdhsa_exception_int_div_zero 0
	.end_amdhsa_kernel
	.section	.text._ZL8moe_q5_KIfLb0EEvPKvS1_PT_PKiS5_S5_iiiiiii,"axG",@progbits,_ZL8moe_q5_KIfLb0EEvPKvS1_PT_PKiS5_S5_iiiiiii,comdat
.Lfunc_end193:
	.size	_ZL8moe_q5_KIfLb0EEvPKvS1_PT_PKiS5_S5_iiiiiii, .Lfunc_end193-_ZL8moe_q5_KIfLb0EEvPKvS1_PT_PKiS5_S5_iiiiiii
                                        ; -- End function
	.section	.AMDGPU.csdata,"",@progbits
; Kernel info:
; codeLenInByte = 7728
; NumSgprs: 25
; NumVgprs: 189
; ScratchSize: 0
; MemoryBound: 0
; FloatMode: 240
; IeeeMode: 1
; LDSByteSize: 37072 bytes/workgroup (compile time only)
; SGPRBlocks: 3
; VGPRBlocks: 23
; NumSGPRsForWavesPerEU: 25
; NumVGPRsForWavesPerEU: 189
; Occupancy: 6
; WaveLimiterHint : 1
; COMPUTE_PGM_RSRC2:SCRATCH_EN: 0
; COMPUTE_PGM_RSRC2:USER_SGPR: 14
; COMPUTE_PGM_RSRC2:TRAP_HANDLER: 0
; COMPUTE_PGM_RSRC2:TGID_X_EN: 1
; COMPUTE_PGM_RSRC2:TGID_Y_EN: 1
; COMPUTE_PGM_RSRC2:TGID_Z_EN: 0
; COMPUTE_PGM_RSRC2:TIDIG_COMP_CNT: 1
	.section	.text._ZL8moe_q5_KIfLb1EEvPKvS1_PT_PKiS5_S5_iiiiiii,"axG",@progbits,_ZL8moe_q5_KIfLb1EEvPKvS1_PT_PKiS5_S5_iiiiiii,comdat
	.globl	_ZL8moe_q5_KIfLb1EEvPKvS1_PT_PKiS5_S5_iiiiiii ; -- Begin function _ZL8moe_q5_KIfLb1EEvPKvS1_PT_PKiS5_S5_iiiiiii
	.p2align	8
	.type	_ZL8moe_q5_KIfLb1EEvPKvS1_PT_PKiS5_S5_iiiiiii,@function
_ZL8moe_q5_KIfLb1EEvPKvS1_PT_PKiS5_S5_iiiiiii: ; @_ZL8moe_q5_KIfLb1EEvPKvS1_PT_PKiS5_S5_iiiiiii
; %bb.0:
	s_load_b128 s[4:7], s[0:1], 0x18
	s_mov_b32 s2, s15
	s_mov_b32 s3, 0
	s_delay_alu instid0(SALU_CYCLE_1)
	s_lshl_b64 s[8:9], s[2:3], 2
	s_waitcnt lgkmcnt(0)
	s_add_u32 s6, s6, s8
	s_addc_u32 s7, s7, s9
	s_load_b32 s15, s[6:7], 0x0
	s_waitcnt lgkmcnt(0)
	s_cmpk_gt_u32 s15, 0xff
	s_cbranch_scc1 .LBB194_31
; %bb.1:
	s_load_b64 s[6:7], s[0:1], 0x28
	s_lshl_b32 s2, s2, 3
	s_waitcnt lgkmcnt(0)
	s_load_b32 s3, s[6:7], 0x0
	s_waitcnt lgkmcnt(0)
	s_cmp_gt_u32 s2, s3
	s_cbranch_scc1 .LBB194_31
; %bb.2:
	v_bfe_u32 v69, v0, 10, 10
	v_mov_b32_e32 v15, 0
	s_mov_b32 s18, 0
	s_delay_alu instid0(VALU_DEP_2) | instskip(NEXT) | instid1(VALU_DEP_2)
	v_add_nc_u32_e32 v14, s2, v69
	v_dual_mov_b32 v55, v15 :: v_dual_and_b32 v20, 0x3ff, v0
	v_mov_b32_e32 v48, v15
	v_mov_b32_e32 v21, v15
	s_delay_alu instid0(VALU_DEP_4) | instskip(NEXT) | instid1(VALU_DEP_1)
	v_lshlrev_b64 v[1:2], 2, v[14:15]
	v_add_co_u32 v1, vcc_lo, s4, v1
	s_delay_alu instid0(VALU_DEP_2)
	v_add_co_ci_u32_e32 v2, vcc_lo, s5, v2, vcc_lo
	global_load_b32 v19, v[1:2], off
	s_clause 0x1
	s_load_b256 s[4:11], s[0:1], 0x30
	s_load_b64 s[12:13], s[0:1], 0x10
	s_waitcnt lgkmcnt(0)
	s_lshl_b32 s11, s14, 7
	s_cmpk_lt_i32 s5, 0x100
	s_cbranch_scc1 .LBB194_22
; %bb.3:
	s_load_b128 s[0:3], s[0:1], 0x0
	s_ashr_i32 s14, s5, 31
	s_mul_i32 s15, s15, s4
	s_lshr_b32 s4, s14, 24
	s_ashr_i32 s16, s8, 31
	s_add_i32 s4, s5, s4
	s_lshr_b32 s14, s16, 27
	s_ashr_i32 s4, s4, 8
	v_dual_mov_b32 v21, 0 :: v_dual_lshlrev_b32 v0, 1, v20
	s_add_i32 s8, s8, s14
	v_and_b32_e32 v1, 7, v20
	s_mul_i32 s14, s4, s11
	s_ashr_i32 s16, s15, 31
	s_ashr_i32 s8, s8, 5
	s_mul_hi_i32 s17, s14, 0xb0
	s_mulk_i32 s14, 0xb0
	v_and_or_b32 v0, v0, 48, v1
	v_add_nc_u32_e32 v1, 8, v69
	v_add_nc_u32_e32 v3, 16, v69
	s_waitcnt lgkmcnt(0)
	s_add_u32 s0, s0, s15
	s_addc_u32 s1, s1, s16
	s_add_u32 s19, s0, s14
	s_addc_u32 s20, s1, s17
	s_not_b32 s0, s11
	v_lshlrev_b32_e32 v18, 2, v0
	s_add_i32 s0, s0, s6
	v_lshlrev_b32_e32 v23, 2, v20
	v_min_i32_e32 v2, s0, v69
	v_min_i32_e32 v4, s0, v1
	;; [unrolled: 1-line block ×3, first 2 shown]
	v_add_nc_u32_e32 v3, 24, v69
	v_lshlrev_b32_e32 v37, 5, v69
	s_waitcnt vmcnt(0)
	v_mad_u64_u32 v[0:1], null, 0x104, v2, v[18:19]
	v_mul_lo_u32 v28, v2, s4
	v_mul_lo_u32 v29, v4, s4
	v_mad_u64_u32 v[1:2], null, 0x104, v4, v[18:19]
	v_add_nc_u32_e32 v4, 32, v69
	v_min_i32_e32 v6, s0, v3
	v_mul_lo_u32 v30, v5, s4
	v_mad_u64_u32 v[2:3], null, 0x104, v5, v[18:19]
	v_add_nc_u32_e32 v5, 40, v69
	v_min_i32_e32 v7, s0, v4
	;; [unrolled: 4-line block ×5, first 2 shown]
	v_and_b32_e32 v53, 4, v23
	v_add_nc_u32_e32 v48, v37, v20
	v_mul_lo_u32 v34, v9, s4
	v_mad_u64_u32 v[6:7], null, 0x104, v9, v[18:19]
	v_add_nc_u32_e32 v9, 0x48, v69
	v_min_i32_e32 v11, s0, v8
	v_mul_lo_u32 v35, v10, s4
	v_mad_u64_u32 v[7:8], null, 0x104, v10, v[18:19]
	v_add_nc_u32_e32 v10, 0x50, v69
	v_and_b32_e32 v16, 0x7f, v48
	v_min_i32_e32 v12, s0, v9
	v_mul_lo_u32 v36, v11, s4
	v_mad_u64_u32 v[8:9], null, 0x104, v11, v[18:19]
	v_min_i32_e32 v13, s0, v10
	v_add_nc_u32_e32 v11, 0x58, v69
	v_min_i32_e32 v46, s0, v16
	v_mul_lo_u32 v38, v12, s4
	v_mad_u64_u32 v[9:10], null, 0x104, v12, v[18:19]
	v_add_nc_u32_e32 v12, 0x60, v69
	v_mul_lo_u32 v39, v13, s4
	v_min_i32_e32 v14, s0, v11
	v_mad_u64_u32 v[10:11], null, 0x104, v13, v[18:19]
	v_add_nc_u32_e32 v13, 0x68, v69
	v_ashrrev_i32_e32 v43, 31, v46
	v_min_i32_e32 v17, s0, v12
	s_abs_i32 s1, s10
	v_lshrrev_b32_e32 v15, 2, v20
	v_mul_lo_u32 v40, v14, s4
	v_mad_u64_u32 v[11:12], null, 0x104, v14, v[18:19]
	v_min_i32_e32 v16, s0, v13
	v_add_nc_u32_e32 v14, 0x70, v69
	v_lshrrev_b32_e32 v45, 27, v43
	v_cvt_f32_u32_e32 v49, s1
	v_mad_u64_u32 v[12:13], null, 0x104, v17, v[18:19]
	v_add_nc_u32_e32 v44, 0x78, v69
	v_mul_lo_u32 v41, v17, s4
	v_mul_lo_u32 v42, v16, s4
	v_min_i32_e32 v17, s0, v14
	v_mad_u64_u32 v[13:14], null, 0x104, v16, v[18:19]
	v_add_nc_u32_e32 v16, v46, v45
	v_lshl_add_u32 v45, v69, 3, v15
	v_rcp_iflag_f32_e32 v49, v49
	v_min_i32_e32 v47, s0, v44
	v_and_b32_e32 v24, 6, v15
	v_mad_u64_u32 v[14:15], null, 0x104, v17, v[18:19]
	v_and_b32_e32 v50, 0x7f, v45
	v_mul_lo_u32 v43, v17, s4
	v_ashrrev_i32_e32 v15, 5, v16
	v_mad_u64_u32 v[16:17], null, 0x104, v47, v[18:19]
	s_delay_alu instid0(TRANS32_DEP_1)
	v_mul_f32_e32 v49, 0x4f7ffffe, v49
	v_and_b32_e32 v17, 3, v20
	v_min_i32_e32 v18, s0, v50
	v_mul_lo_u32 v45, v46, s4
	v_lshlrev_b32_e32 v15, 2, v15
	v_lshlrev_b32_e32 v46, 2, v46
	v_xor_b32_e32 v50, 64, v50
	v_mul_lo_u32 v44, v47, s4
	v_add_nc_u32_e32 v47, 0xfe, v17
	v_ashrrev_i32_e32 v51, 31, v18
	v_cmp_gt_u32_e32 vcc_lo, 2, v17
	v_cvt_u32_f32_e32 v49, v49
	v_add3_u32 v46, v15, v46, 0x8e40
	v_min_i32_e32 v15, s0, v50
	s_sub_i32 s0, 0, s1
	v_cndmask_b32_e32 v47, v47, v17, vcc_lo
	v_lshrrev_b32_e32 v51, 29, v51
	v_mul_lo_u32 v52, s0, v49
	v_cmp_ne_u32_e32 vcc_lo, 0, v17
	v_sub_nc_u32_e32 v56, 0, v19
	v_and_b32_e32 v50, 0xff, v47
	v_add_nc_u32_e32 v47, v18, v51
	v_ashrrev_i32_e32 v51, 31, v15
	v_lshrrev_b32_e32 v22, 5, v20
	v_xor_b32_e32 v62, s10, v19
	v_mul_hi_u32 v52, v49, v52
	v_add_co_ci_u32_e32 v55, vcc_lo, 0, v50, vcc_lo
	v_lshrrev_b32_e32 v51, 29, v51
	v_ashrrev_i32_e32 v54, 3, v47
	v_cmp_lt_u32_e32 vcc_lo, 1, v17
	v_lshlrev_b32_e32 v17, 2, v17
	v_lshlrev_b32_e32 v58, 2, v22
	v_add_nc_u32_e32 v51, v15, v51
	v_dual_cndmask_b32 v47, 0, v53 :: v_dual_add_nc_u32 v52, v49, v52
	v_lshlrev_b32_e32 v53, 2, v54
	v_max_i32_e32 v54, v19, v56
	s_delay_alu instid0(VALU_DEP_4)
	v_ashrrev_i32_e32 v51, 3, v51
	v_mad_i32_i24 v48, 0xffffffe4, v69, v48
	v_cndmask_b32_e64 v76, 0, 1, vcc_lo
	v_add3_u32 v77, v53, v17, 0x8200
	v_mul_hi_u32 v57, v54, v52
	v_lshlrev_b32_e32 v56, 2, v51
	v_lshl_add_u32 v53, v48, 2, 0x9050
	v_ashrrev_i32_e32 v62, 31, v62
	v_add_nc_u32_e32 v61, 64, v20
	v_add_nc_u32_e32 v63, 0x60, v20
	v_add3_u32 v79, v56, v17, 0x8200
	v_lshlrev_b32_e32 v78, 4, v18
	v_mul_lo_u32 v56, v57, s1
	v_add_nc_u32_e32 v59, 1, v57
	v_lshrrev_b32_e32 v72, 3, v61
	v_lshrrev_b32_e32 v71, 3, v63
	v_lshlrev_b32_e32 v82, 2, v63
	v_mul_lo_u32 v51, v15, s4
	v_lshlrev_b32_e32 v15, 4, v15
	v_and_or_b32 v52, v20, 31, v37
	v_sub_nc_u32_e32 v48, v54, v56
	v_add3_u32 v56, v58, v23, 0x8e40
	v_add_nc_u32_e32 v58, 32, v20
	v_and_b32_e32 v64, 60, v71
	v_lshrrev_b32_e32 v54, 3, v20
	v_subrev_nc_u32_e32 v60, s1, v48
	v_cmp_le_u32_e32 vcc_lo, s1, v48
	v_lshlrev_b32_e32 v80, 2, v58
	v_lshlrev_b32_e32 v81, 2, v61
	s_movk_i32 s6, 0x6180
	v_lshlrev_b32_e32 v49, 1, v50
	v_dual_cndmask_b32 v59, v57, v59 :: v_dual_cndmask_b32 v48, v48, v60
	v_lshrrev_b32_e32 v57, 3, v58
	v_mul_lo_u32 v50, v18, s4
	v_mad_u32_u24 v65, 0x104, v20, s6
	s_delay_alu instid0(VALU_DEP_4)
	v_add_nc_u32_e32 v60, 1, v59
	v_cmp_le_u32_e32 vcc_lo, s1, v48
	s_movk_i32 s1, 0x2080
	s_movk_i32 s6, 0x80
	v_mad_u32_u24 v63, 0x104, v20, s1
	s_movk_i32 s1, 0x4100
	v_dual_cndmask_b32 v48, v59, v60 :: v_dual_and_b32 v59, 60, v57
	v_and_b32_e32 v60, 60, v72
	v_lshlrev_b32_e32 v75, 2, v55
	v_mov_b32_e32 v55, 0
	s_delay_alu instid0(VALU_DEP_4)
	v_xor_b32_e32 v48, v48, v62
	v_add3_u32 v58, v23, v59, 0x8e40
	v_add3_u32 v59, v23, v60, 0x8e40
	;; [unrolled: 1-line block ×3, first 2 shown]
	v_mad_u32_u24 v64, 0x104, v20, s1
	v_sub_nc_u32_e32 v48, v48, v62
	v_or_b32_e32 v27, 1, v24
	v_lshl_add_u32 v52, v52, 2, 0x8a40
	v_mul_u32_u24_e32 v61, 0x104, v20
	v_mad_u32_u24 v67, 0x104, v20, s6
	v_mul_lo_u32 v62, v48, s8
	v_cmp_gt_i32_e64 s1, s7, v48
	v_mov_b32_e32 v48, 0
	v_and_b32_e32 v26, 28, v23
	v_and_b32_e32 v25, 0x7c, v23
	v_lshl_add_u32 v68, v69, 4, 0x9050
	v_lshl_add_u32 v69, v69, 7, 0x8a40
	v_lshlrev_b32_e32 v70, 4, v20
	v_add_co_u32 v17, s0, s2, v26
	s_delay_alu instid0(VALU_DEP_1)
	v_add_co_ci_u32_e64 v18, null, s3, 0, s0
	v_cmp_gt_u32_e64 s0, 4, v20
	v_ashrrev_i32_e32 v66, 31, v62
	v_lshlrev_b32_e32 v71, 2, v71
	v_lshlrev_b32_e32 v72, 2, v72
	;; [unrolled: 1-line block ×3, first 2 shown]
	v_lshl_or_b32 v74, v54, 2, 0x8200
	v_lshlrev_b32_e32 v76, 2, v76
	v_add_nc_u32_e32 v77, v77, v78
	v_add_nc_u32_e32 v78, v79, v15
	v_lshlrev_b32_e32 v79, 2, v80
	v_lshlrev_b32_e32 v80, 2, v81
	;; [unrolled: 1-line block ×3, first 2 shown]
	v_mov_b32_e32 v15, 0
	s_add_u32 s14, s2, 0x90
	s_addc_u32 s15, s3, 0
	s_branch .LBB194_5
.LBB194_4:                              ;   in Loop: Header=BB194_5 Depth=1
	s_add_i32 s18, s18, 1
	s_delay_alu instid0(SALU_CYCLE_1)
	s_cmp_eq_u32 s18, s4
	s_cbranch_scc1 .LBB194_22
.LBB194_5:                              ; =>This Loop Header: Depth=1
                                        ;     Child Loop BB194_12 Depth 2
                                        ;     Child Loop BB194_20 Depth 2
	s_mul_i32 s6, s18, 0xb0
	s_mul_hi_u32 s17, s18, 0xb0
	s_add_u32 s16, s19, s6
	s_addc_u32 s17, s20, s17
	s_delay_alu instid0(SALU_CYCLE_1) | instskip(NEXT) | instid1(VALU_DEP_1)
	v_mad_u64_u32 v[82:83], null, 0xb0, v22, s[16:17]
	v_mad_i64_i32 v[84:85], null, 0xb0, v28, v[82:83]
	v_mad_i64_i32 v[86:87], null, 0xb0, v29, v[82:83]
	;; [unrolled: 1-line block ×4, first 2 shown]
	s_delay_alu instid0(VALU_DEP_4)
	v_add_co_u32 v88, vcc_lo, v84, v25
	v_add_co_ci_u32_e32 v89, vcc_lo, 0, v85, vcc_lo
	v_add_co_u32 v84, vcc_lo, v84, v26
	v_add_co_ci_u32_e32 v85, vcc_lo, 0, v85, vcc_lo
	;; [unrolled: 2-line block ×6, first 2 shown]
	v_mad_i64_i32 v[100:101], null, 0xb0, v32, v[82:83]
	v_add_co_u32 v98, vcc_lo, v94, v25
	v_add_co_ci_u32_e32 v99, vcc_lo, 0, v95, vcc_lo
	v_add_co_u32 v94, vcc_lo, v94, v26
	v_add_co_ci_u32_e32 v95, vcc_lo, 0, v95, vcc_lo
	s_clause 0x7
	global_load_b32 v102, v[88:89], off offset:48
	global_load_b32 v103, v[84:85], off offset:16
	;; [unrolled: 1-line block ×8, first 2 shown]
	v_mad_i64_i32 v[84:85], null, 0xb0, v33, v[82:83]
	v_add_co_u32 v86, vcc_lo, v100, v25
	v_add_co_ci_u32_e32 v87, vcc_lo, 0, v101, vcc_lo
	v_add_co_u32 v88, vcc_lo, v100, v26
	v_mad_i64_i32 v[92:93], null, 0xb0, v34, v[82:83]
	v_add_co_ci_u32_e32 v89, vcc_lo, 0, v101, vcc_lo
	v_add_co_u32 v90, vcc_lo, v84, v25
	v_add_co_ci_u32_e32 v91, vcc_lo, 0, v85, vcc_lo
	v_add_co_u32 v84, vcc_lo, v84, v26
	v_mad_i64_i32 v[94:95], null, 0xb0, v35, v[82:83]
	v_add_co_ci_u32_e32 v85, vcc_lo, 0, v85, vcc_lo
	v_add_co_u32 v96, vcc_lo, v92, v25
	v_add_co_ci_u32_e32 v97, vcc_lo, 0, v93, vcc_lo
	v_add_co_u32 v92, vcc_lo, v92, v26
	v_add_co_ci_u32_e32 v93, vcc_lo, 0, v93, vcc_lo
	v_mad_i64_i32 v[100:101], null, 0xb0, v36, v[82:83]
	v_add_co_u32 v98, vcc_lo, v94, v25
	v_add_co_ci_u32_e32 v99, vcc_lo, 0, v95, vcc_lo
	v_add_co_u32 v94, vcc_lo, v94, v26
	v_add_co_ci_u32_e32 v95, vcc_lo, 0, v95, vcc_lo
	s_clause 0x7
	global_load_b32 v110, v[86:87], off offset:48
	global_load_b32 v111, v[88:89], off offset:16
	;; [unrolled: 1-line block ×8, first 2 shown]
	v_mad_i64_i32 v[84:85], null, 0xb0, v38, v[82:83]
	v_add_co_u32 v86, vcc_lo, v100, v25
	v_add_co_ci_u32_e32 v87, vcc_lo, 0, v101, vcc_lo
	v_add_co_u32 v88, vcc_lo, v100, v26
	v_mad_i64_i32 v[92:93], null, 0xb0, v39, v[82:83]
	v_add_co_ci_u32_e32 v89, vcc_lo, 0, v101, vcc_lo
	v_add_co_u32 v90, vcc_lo, v84, v25
	v_add_co_ci_u32_e32 v91, vcc_lo, 0, v85, vcc_lo
	v_add_co_u32 v84, vcc_lo, v84, v26
	v_mad_i64_i32 v[94:95], null, 0xb0, v40, v[82:83]
	v_add_co_ci_u32_e32 v85, vcc_lo, 0, v85, vcc_lo
	v_add_co_u32 v96, vcc_lo, v92, v25
	v_add_co_ci_u32_e32 v97, vcc_lo, 0, v93, vcc_lo
	v_add_co_u32 v92, vcc_lo, v92, v26
	v_add_co_ci_u32_e32 v93, vcc_lo, 0, v93, vcc_lo
	v_mad_i64_i32 v[100:101], null, 0xb0, v41, v[82:83]
	v_add_co_u32 v98, vcc_lo, v94, v25
	v_add_co_ci_u32_e32 v99, vcc_lo, 0, v95, vcc_lo
	v_add_co_u32 v94, vcc_lo, v94, v26
	v_add_co_ci_u32_e32 v95, vcc_lo, 0, v95, vcc_lo
	s_clause 0x7
	global_load_b32 v118, v[86:87], off offset:48
	global_load_b32 v119, v[88:89], off offset:16
	;; [unrolled: 1-line block ×8, first 2 shown]
	v_mad_i64_i32 v[84:85], null, 0xb0, v42, v[82:83]
	v_add_co_u32 v86, vcc_lo, v100, v25
	v_add_co_ci_u32_e32 v87, vcc_lo, 0, v101, vcc_lo
	v_add_co_u32 v88, vcc_lo, v100, v26
	v_add_co_ci_u32_e32 v89, vcc_lo, 0, v101, vcc_lo
	;; [unrolled: 2-line block ×3, first 2 shown]
	s_clause 0x2
	global_load_b32 v95, v[86:87], off offset:48
	global_load_b32 v97, v[88:89], off offset:16
	;; [unrolled: 1-line block ×3, first 2 shown]
	v_mad_i64_i32 v[86:87], null, 0xb0, v43, v[82:83]
	v_add_co_u32 v84, vcc_lo, v84, v25
	v_add_co_ci_u32_e32 v85, vcc_lo, 0, v85, vcc_lo
	v_mad_i64_i32 v[88:89], null, 0xb0, v44, v[82:83]
	global_load_b32 v99, v[84:85], off offset:48
	v_add_co_u32 v84, vcc_lo, v86, v25
	v_add_co_ci_u32_e32 v85, vcc_lo, 0, v87, vcc_lo
	v_add_co_u32 v82, vcc_lo, v86, v26
	v_add_co_ci_u32_e32 v83, vcc_lo, 0, v87, vcc_lo
	v_mad_i64_i32 v[86:87], null, 0xb0, v50, s[16:17]
	v_add_co_u32 v90, vcc_lo, v88, v25
	v_add_co_ci_u32_e32 v91, vcc_lo, 0, v89, vcc_lo
	v_add_co_u32 v88, vcc_lo, v88, v26
	v_add_co_ci_u32_e32 v89, vcc_lo, 0, v89, vcc_lo
	;; [unrolled: 2-line block ×3, first 2 shown]
	v_mad_i64_i32 v[86:87], null, 0xb0, v51, s[16:17]
	s_clause 0x3
	global_load_b32 v122, v[84:85], off offset:48
	global_load_b32 v123, v[82:83], off offset:16
	;; [unrolled: 1-line block ×4, first 2 shown]
	v_add_co_u32 v82, vcc_lo, v100, v75
	v_add_co_ci_u32_e32 v83, vcc_lo, 0, v101, vcc_lo
	v_add_co_u32 v86, vcc_lo, v86, 4
	v_add_co_ci_u32_e32 v87, vcc_lo, 0, v87, vcc_lo
	global_load_b32 v89, v[82:83], off
	v_add_co_u32 v82, vcc_lo, v86, v75
	v_add_co_ci_u32_e32 v83, vcc_lo, 0, v87, vcc_lo
	v_add_co_u32 v84, vcc_lo, v100, v76
	v_add_co_ci_u32_e32 v85, vcc_lo, 0, v101, vcc_lo
	global_load_b32 v91, v[82:83], off
	v_add_co_u32 v82, vcc_lo, v86, v76
	global_load_b32 v86, v[84:85], off
	v_mad_i64_i32 v[84:85], null, 0xb0, v45, s[16:17]
	v_add_co_ci_u32_e32 v83, vcc_lo, 0, v87, vcc_lo
	s_clause 0x1
	global_load_b32 v82, v[82:83], off
	global_load_b32 v83, v[84:85], off
	s_lshl_b32 s16, s18, 8
	s_delay_alu instid0(SALU_CYCLE_1)
	s_cmp_lt_i32 s16, s5
	s_waitcnt vmcnt(36)
	v_lshrrev_b32_e32 v85, 4, v102
	s_waitcnt vmcnt(35)
	v_ashrrev_i32_e32 v87, v24, v103
	v_ashrrev_i32_e32 v100, v27, v103
	v_and_b32_e32 v84, 0xf0f0f0f, v102
	s_waitcnt vmcnt(34)
	v_and_b32_e32 v101, 0xf0f0f0f, v104
	v_lshrrev_b32_e32 v102, 4, v104
	s_waitcnt vmcnt(33)
	v_ashrrev_i32_e32 v103, v24, v105
	v_ashrrev_i32_e32 v104, v27, v105
	s_waitcnt vmcnt(32)
	v_and_b32_e32 v105, 0xf0f0f0f, v106
	v_lshrrev_b32_e32 v106, 4, v106
	s_waitcnt vmcnt(31)
	v_ashrrev_i32_e32 v124, v24, v107
	v_ashrrev_i32_e32 v107, v27, v107
	s_waitcnt vmcnt(30)
	v_and_b32_e32 v125, 0xf0f0f0f, v108
	v_lshrrev_b32_e32 v108, 4, v108
	s_waitcnt vmcnt(29)
	v_ashrrev_i32_e32 v126, v24, v109
	v_ashrrev_i32_e32 v109, v27, v109
	v_and_b32_e32 v85, 0xf0f0f0f, v85
	v_lshlrev_b32_e32 v87, 4, v87
	v_lshlrev_b32_e32 v100, 4, v100
	v_and_b32_e32 v102, 0xf0f0f0f, v102
	v_lshlrev_b32_e32 v103, 4, v103
	v_lshlrev_b32_e32 v104, 4, v104
	v_and_b32_e32 v106, 0xf0f0f0f, v106
	v_lshlrev_b32_e32 v124, 4, v124
	v_lshlrev_b32_e32 v107, 4, v107
	v_and_b32_e32 v108, 0xf0f0f0f, v108
	v_lshlrev_b32_e32 v126, 4, v126
	v_lshlrev_b32_e32 v109, 4, v109
	v_and_or_b32 v84, 0x10101010, v87, v84
	v_and_or_b32 v85, 0x10101010, v100, v85
	;; [unrolled: 1-line block ×8, first 2 shown]
	s_waitcnt vmcnt(28)
	v_and_b32_e32 v127, 0xf0f0f0f, v110
	v_lshrrev_b32_e32 v110, 4, v110
	s_waitcnt vmcnt(27)
	v_ashrrev_i32_e32 v128, v24, v111
	v_ashrrev_i32_e32 v111, v27, v111
	s_waitcnt vmcnt(26)
	v_and_b32_e32 v129, 0xf0f0f0f, v112
	v_lshrrev_b32_e32 v112, 4, v112
	s_waitcnt vmcnt(25)
	v_ashrrev_i32_e32 v130, v24, v113
	v_ashrrev_i32_e32 v113, v27, v113
	;; [unrolled: 6-line block ×4, first 2 shown]
	v_and_b32_e32 v110, 0xf0f0f0f, v110
	v_lshlrev_b32_e32 v128, 4, v128
	v_lshlrev_b32_e32 v111, 4, v111
	v_and_b32_e32 v112, 0xf0f0f0f, v112
	v_lshlrev_b32_e32 v130, 4, v130
	v_lshlrev_b32_e32 v113, 4, v113
	;; [unrolled: 3-line block ×4, first 2 shown]
	v_and_or_b32 v105, 0x10101010, v128, v127
	v_and_or_b32 v106, 0x10101010, v111, v110
	v_and_or_b32 v107, 0x10101010, v130, v129
	v_and_or_b32 v108, 0x10101010, v113, v112
	v_and_or_b32 v109, 0x10101010, v132, v131
	v_and_or_b32 v110, 0x10101010, v115, v114
	v_and_or_b32 v111, 0x10101010, v134, v133
	v_and_or_b32 v112, 0x10101010, v117, v116
	s_waitcnt vmcnt(20)
	v_and_b32_e32 v135, 0xf0f0f0f, v118
	v_lshrrev_b32_e32 v118, 4, v118
	s_waitcnt vmcnt(19)
	v_ashrrev_i32_e32 v136, v24, v119
	v_ashrrev_i32_e32 v119, v27, v119
	s_waitcnt vmcnt(18)
	v_and_b32_e32 v137, 0xf0f0f0f, v120
	v_lshrrev_b32_e32 v120, 4, v120
	s_waitcnt vmcnt(17)
	v_ashrrev_i32_e32 v138, v24, v121
	v_ashrrev_i32_e32 v121, v27, v121
	;; [unrolled: 6-line block ×4, first 2 shown]
	v_and_b32_e32 v118, 0xf0f0f0f, v118
	v_lshlrev_b32_e32 v136, 4, v136
	v_lshlrev_b32_e32 v119, 4, v119
	v_and_b32_e32 v120, 0xf0f0f0f, v120
	v_lshlrev_b32_e32 v138, 4, v138
	s_waitcnt vmcnt(12)
	v_and_b32_e32 v143, 0xf0f0f0f, v95
	v_lshrrev_b32_e32 v95, 4, v95
	s_waitcnt vmcnt(11)
	v_ashrrev_i32_e32 v144, v24, v97
	v_ashrrev_i32_e32 v97, v27, v97
	v_lshlrev_b32_e32 v121, 4, v121
	v_and_b32_e32 v96, 0xf0f0f0f, v96
	v_lshlrev_b32_e32 v140, 4, v140
	v_lshlrev_b32_e32 v92, 4, v92
	v_and_b32_e32 v93, 0xf0f0f0f, v93
	v_lshlrev_b32_e32 v142, 4, v142
	;; [unrolled: 3-line block ×3, first 2 shown]
	v_lshlrev_b32_e32 v97, 4, v97
	s_waitcnt vmcnt(10)
	v_ashrrev_i32_e32 v145, v24, v98
	v_and_or_b32 v113, 0x10101010, v136, v135
	v_and_or_b32 v114, 0x10101010, v119, v118
	;; [unrolled: 1-line block ×8, first 2 shown]
	ds_store_2addr_b32 v0, v84, v85 offset1:8
	ds_store_2addr_b32 v1, v87, v100 offset1:8
	;; [unrolled: 1-line block ×11, first 2 shown]
	s_waitcnt vmcnt(9)
	v_lshrrev_b32_e32 v85, 4, v99
	v_ashrrev_i32_e32 v87, v27, v98
	v_and_or_b32 v94, 0x10101010, v144, v143
	v_and_or_b32 v95, 0x10101010, v97, v95
	v_and_b32_e32 v84, 0xf0f0f0f, v99
	v_lshlrev_b32_e32 v92, 4, v145
	ds_store_2addr_b32 v11, v96, v93 offset1:8
	ds_store_2addr_b32 v12, v94, v95 offset1:8
	v_and_b32_e32 v85, 0xf0f0f0f, v85
	v_lshlrev_b32_e32 v87, 4, v87
	v_and_or_b32 v84, 0x10101010, v92, v84
	s_waitcnt vmcnt(7)
	v_ashrrev_i32_e32 v93, v24, v123
	v_lshrrev_b32_e32 v92, 4, v122
	v_ashrrev_i32_e32 v94, v27, v123
	v_and_or_b32 v85, 0x10101010, v87, v85
	v_and_b32_e32 v87, 0xf0f0f0f, v122
	v_lshlrev_b32_e32 v93, 4, v93
	s_waitcnt vmcnt(6)
	v_lshrrev_b32_e32 v95, 4, v90
	s_waitcnt vmcnt(5)
	v_ashrrev_i32_e32 v96, v24, v88
	v_ashrrev_i32_e32 v88, v27, v88
	v_and_b32_e32 v92, 0xf0f0f0f, v92
	v_lshlrev_b32_e32 v94, 4, v94
	v_and_or_b32 v87, 0x10101010, v93, v87
	s_waitcnt vmcnt(4)
	v_ashrrev_i32_e32 v89, v47, v89
	v_and_b32_e32 v90, 0xf0f0f0f, v90
	v_and_b32_e32 v93, 0xf0f0f0f, v95
	v_lshlrev_b32_e32 v95, 4, v96
	v_lshlrev_b32_e32 v88, 4, v88
	v_and_b32_e32 v89, 0xf0f0f0f, v89
	v_and_or_b32 v92, 0x10101010, v94, v92
	s_delay_alu instid0(VALU_DEP_4)
	v_and_or_b32 v90, 0x10101010, v95, v90
	s_waitcnt vmcnt(3)
	v_ashrrev_i32_e32 v91, v47, v91
	v_and_or_b32 v88, 0x10101010, v88, v93
	ds_store_2addr_b32 v13, v84, v85 offset1:8
	ds_store_2addr_b32 v14, v87, v92 offset1:8
	;; [unrolled: 1-line block ×3, first 2 shown]
	s_waitcnt vmcnt(2)
	v_ashrrev_i32_e32 v86, v49, v86
	v_and_b32_e32 v91, 0xf0f0f0f, v91
	s_waitcnt vmcnt(1)
	v_ashrrev_i32_e32 v82, v49, v82
	s_delay_alu instid0(VALU_DEP_3)
	v_and_or_b32 v84, 0x30303030, v86, v89
	s_waitcnt vmcnt(0)
	ds_store_b32 v46, v83
	v_and_or_b32 v82, 0x30303030, v82, v91
	ds_store_b32 v77, v84
	ds_store_b32 v78, v82
	s_cbranch_scc0 .LBB194_4
; %bb.6:                                ;   in Loop: Header=BB194_5 Depth=1
	s_lshl_b32 s6, s18, 3
	s_delay_alu instid0(SALU_CYCLE_1) | instskip(NEXT) | instid1(VALU_DEP_1)
	v_add_nc_u32_e32 v82, s6, v54
	v_cmp_gt_i32_e32 vcc_lo, s8, v82
	s_and_b32 s21, s1, vcc_lo
	s_delay_alu instid0(SALU_CYCLE_1)
	s_and_saveexec_b32 s17, s21
	s_cbranch_execz .LBB194_8
; %bb.7:                                ;   in Loop: Header=BB194_5 Depth=1
	v_add_nc_u32_e32 v84, v62, v82
	s_delay_alu instid0(VALU_DEP_1)
	v_mad_i64_i32 v[82:83], null, v84, 36, v[17:18]
	global_load_b32 v82, v[82:83], off offset:4
	s_waitcnt vmcnt(0)
	ds_store_b32 v52, v82
.LBB194_8:                              ;   in Loop: Header=BB194_5 Depth=1
	s_or_b32 exec_lo, exec_lo, s17
	s_and_saveexec_b32 s17, s0
	s_cbranch_execz .LBB194_11
; %bb.9:                                ;   in Loop: Header=BB194_5 Depth=1
	v_or_b32_e32 v82, s6, v20
	s_delay_alu instid0(VALU_DEP_1) | instskip(SKIP_1) | instid1(SALU_CYCLE_1)
	v_cmp_gt_i32_e32 vcc_lo, s8, v82
	s_and_b32 s21, s1, vcc_lo
	s_and_b32 exec_lo, exec_lo, s21
	s_cbranch_execz .LBB194_11
; %bb.10:                               ;   in Loop: Header=BB194_5 Depth=1
	v_add_nc_u32_e32 v84, v62, v82
	s_delay_alu instid0(VALU_DEP_1)
	v_mad_i64_i32 v[82:83], null, v84, 36, s[2:3]
	global_load_b32 v82, v[82:83], off
	s_waitcnt vmcnt(0)
	ds_store_b32 v53, v82
.LBB194_11:                             ;   in Loop: Header=BB194_5 Depth=1
	s_or_b32 exec_lo, exec_lo, s17
	s_waitcnt lgkmcnt(0)
	s_barrier
	buffer_gl0_inv
	ds_load_b32 v83, v56
	ds_load_b32 v84, v58 offset:128
	ds_load_b32 v85, v59 offset:256
	;; [unrolled: 1-line block ×3, first 2 shown]
	s_mov_b32 s21, 0
	s_mov_b32 s17, -1
	s_waitcnt lgkmcnt(3)
	v_lshrrev_b32_e32 v87, 16, v83
	s_waitcnt lgkmcnt(2)
	v_lshrrev_b32_e32 v88, 16, v84
	;; [unrolled: 2-line block ×4, first 2 shown]
	v_cvt_f32_f16_e32 v82, v83
	v_cvt_f32_f16_e32 v83, v84
	;; [unrolled: 1-line block ×8, first 2 shown]
.LBB194_12:                             ;   Parent Loop BB194_5 Depth=1
                                        ; =>  This Inner Loop Header: Depth=2
	s_lshr_b32 s22, s21, 2
	v_lshl_or_b32 v90, s21, 1, v37
	s_lshl_b32 s21, s21, 3
	v_lshlrev_b32_e32 v91, 2, v54
	v_lshlrev_b32_e32 v92, 2, v23
	v_add_nc_u32_e32 v93, s21, v61
	s_add_i32 s22, s22, 0x8200
	v_add_nc_u32_e32 v94, s21, v63
	v_add_nc_u32_e32 v95, s21, v64
	;; [unrolled: 1-line block ×3, first 2 shown]
	v_add3_u32 v97, s22, v73, v79
	v_add3_u32 v98, s22, v72, v80
	;; [unrolled: 1-line block ×3, first 2 shown]
	v_lshlrev_b32_e32 v102, 2, v90
	v_lshrrev_b32_e32 v100, 1, v90
	v_add3_u32 v101, s22, v91, v92
	ds_load_2addr_b32 v[106:107], v93 offset1:1
	ds_load_2addr_b32 v[108:109], v93 offset0:2 offset1:3
	ds_load_2addr_b32 v[110:111], v93 offset0:4 offset1:5
	ds_load_2addr_b32 v[112:113], v93 offset0:6 offset1:7
	ds_load_2addr_b32 v[114:115], v93 offset0:8 offset1:9
	ds_load_2addr_b32 v[116:117], v93 offset0:10 offset1:11
	ds_load_2addr_b32 v[118:119], v93 offset0:12 offset1:13
	ds_load_2addr_b32 v[120:121], v93 offset0:14 offset1:15
	ds_load_2addr_b32 v[122:123], v94 offset1:1
	ds_load_2addr_b32 v[124:125], v94 offset0:2 offset1:3
	ds_load_2addr_b32 v[126:127], v94 offset0:4 offset1:5
	ds_load_2addr_b32 v[128:129], v94 offset0:6 offset1:7
	ds_load_2addr_b32 v[130:131], v94 offset0:8 offset1:9
	ds_load_2addr_b32 v[132:133], v94 offset0:10 offset1:11
	ds_load_2addr_b32 v[134:135], v94 offset0:12 offset1:13
	ds_load_2addr_b32 v[136:137], v94 offset0:14 offset1:15
	;; [unrolled: 8-line block ×4, first 2 shown]
	ds_load_u16 v172, v97
	ds_load_u8 v173, v97 offset:8
	ds_load_u8 v174, v97 offset:9
	ds_load_u16 v175, v98
	ds_load_u8 v176, v98 offset:8
	ds_load_u8 v177, v98 offset:9
	;; [unrolled: 3-line block ×3, first 2 shown]
	ds_load_b128 v[90:93], v102 offset:35392
	ds_load_u16 v181, v101
	ds_load_b64 v[170:171], v100 offset:36944
	ds_load_u8 v182, v101 offset:8
	ds_load_b128 v[94:97], v102 offset:35424
	ds_load_u8 v183, v101 offset:9
	ds_load_b128 v[98:101], v102 offset:35408
	ds_load_b128 v[102:105], v102 offset:35440
	s_mov_b32 s21, 8
	s_and_b32 vcc_lo, exec_lo, s17
	s_mov_b32 s17, 0
	s_waitcnt lgkmcnt(16)
	v_lshrrev_b16 v184, 8, v172
	s_waitcnt lgkmcnt(15)
	v_cvt_f32_ubyte0_e32 v173, v173
	s_waitcnt lgkmcnt(14)
	v_cvt_f32_ubyte0_e32 v174, v174
	s_waitcnt lgkmcnt(13)
	v_lshrrev_b16 v185, 8, v175
	s_waitcnt lgkmcnt(12)
	v_cvt_f32_ubyte0_e32 v176, v176
	s_waitcnt lgkmcnt(11)
	v_cvt_f32_ubyte0_e32 v177, v177
	s_waitcnt lgkmcnt(10)
	v_lshrrev_b16 v186, 8, v178
	v_and_b32_e32 v178, 0xff, v178
	s_waitcnt lgkmcnt(9)
	v_cvt_f32_ubyte0_e32 v179, v179
	s_waitcnt lgkmcnt(7)
	v_dot4_i32_iu8 v106, v106, v90, 0 neg_lo:[1,1,0]
	v_dot4_i32_iu8 v122, v122, v90, 0 neg_lo:[1,1,0]
	;; [unrolled: 1-line block ×4, first 2 shown]
	s_waitcnt lgkmcnt(3)
	v_dot4_i32_iu8 v114, v114, v94, 0 neg_lo:[1,1,0]
	v_dot4_i32_iu8 v130, v130, v94, 0 neg_lo:[1,1,0]
	;; [unrolled: 1-line block ×20, first 2 shown]
	s_waitcnt lgkmcnt(1)
	v_dot4_i32_iu8 v90, v158, v98, v90 neg_lo:[1,1,0]
	v_and_b32_e32 v162, 0xffff, v184
	v_and_b32_e32 v184, 0xffff, v186
	v_dot4_i32_iu8 v116, v132, v96, v123 neg_lo:[1,1,0]
	s_waitcnt lgkmcnt(0)
	v_dot4_i32_iu8 v91, v166, v102, v91 neg_lo:[1,1,0]
	v_dot4_i32_iu8 v90, v159, v99, v90 neg_lo:[1,1,0]
	;; [unrolled: 1-line block ×9, first 2 shown]
	v_cvt_f32_ubyte0_e32 v180, v180
	v_dot4_i32_iu8 v91, v168, v104, v91 neg_lo:[1,1,0]
	v_dot4_i32_iu8 v90, v161, v101, v90 neg_lo:[1,1,0]
	v_fma_mix_f32 v154, v170, v173, 0 op_sel:[1,0,0] op_sel_hi:[1,0,0]
	v_fma_mix_f32 v173, v170, v176, 0 op_sel:[1,0,0] op_sel_hi:[1,0,0]
	;; [unrolled: 1-line block ×3, first 2 shown]
	v_dot4_i32_iu8 v91, v169, v105, v91 neg_lo:[1,1,0]
	v_mul_lo_u32 v90, v90, v178
	v_dot4_i32_iu8 v109, v133, v97, v116 neg_lo:[1,1,0]
	v_dot4_i32_iu8 v116, v149, v97, v123 neg_lo:[1,1,0]
	;; [unrolled: 1-line block ×3, first 2 shown]
	v_mul_lo_u32 v91, v91, v184
	v_dot4_i32_iu8 v97, v126, v98, v108 neg_lo:[1,1,0]
	v_dot4_i32_iu8 v108, v142, v98, v114 neg_lo:[1,1,0]
	v_fma_mix_f32 v94, v171, v174, v154 op_sel:[1,0,0] op_sel_hi:[1,0,0]
	v_cvt_f32_i32_e32 v90, v90
	v_fma_mix_f32 v95, v171, v177, v173 op_sel:[1,0,0] op_sel_hi:[1,0,0]
	v_fma_mix_f32 v138, v171, v180, v179 op_sel:[1,0,0] op_sel_hi:[1,0,0]
	v_dot4_i32_iu8 v96, v118, v102, v106 neg_lo:[1,1,0]
	v_dot4_i32_iu8 v106, v134, v102, v109 neg_lo:[1,1,0]
	;; [unrolled: 1-line block ×6, first 2 shown]
	v_cvt_f32_i32_e32 v91, v91
	v_fma_mix_f32 v90, v170, v90, 0 op_sel_hi:[1,0,0]
	v_mul_f32_e32 v92, v94, v87
	v_dual_mul_f32 v94, v95, v88 :: v_dual_mul_f32 v95, v138, v89
	v_dot4_i32_iu8 v96, v119, v103, v96 neg_lo:[1,1,0]
	v_dot4_i32_iu8 v98, v135, v103, v106 neg_lo:[1,1,0]
	v_dot4_i32_iu8 v106, v151, v103, v109 neg_lo:[1,1,0]
	v_dot4_i32_iu8 v93, v112, v100, v93 neg_lo:[1,1,0]
	v_dot4_i32_iu8 v97, v128, v100, v97 neg_lo:[1,1,0]
	v_dot4_i32_iu8 v99, v144, v100, v102 neg_lo:[1,1,0]
	v_fma_mix_f32 v90, v171, v91, v90 op_sel_hi:[1,0,0]
	v_and_b32_e32 v175, 0xff, v175
	v_lshrrev_b16 v187, 8, v181
	v_and_b32_e32 v181, 0xff, v181
	v_dot4_i32_iu8 v96, v120, v104, v96 neg_lo:[1,1,0]
	v_dot4_i32_iu8 v98, v136, v104, v98 neg_lo:[1,1,0]
	;; [unrolled: 1-line block ×6, first 2 shown]
	v_fma_f32 v90, v90, v85, -v95
	v_and_b32_e32 v172, 0xff, v172
	v_and_b32_e32 v176, 0xffff, v185
	;; [unrolled: 1-line block ×3, first 2 shown]
	v_dot4_i32_iu8 v96, v121, v105, v96 neg_lo:[1,1,0]
	v_add_f32_e32 v15, v15, v90
	v_dot4_i32_iu8 v98, v137, v105, v98 neg_lo:[1,1,0]
	v_dot4_i32_iu8 v100, v153, v105, v102 neg_lo:[1,1,0]
	v_mul_lo_u32 v93, v93, v181
	v_mul_lo_u32 v97, v97, v172
	;; [unrolled: 1-line block ×3, first 2 shown]
	v_cvt_f32_ubyte0_e32 v182, v182
	v_mul_lo_u32 v96, v96, v115
	v_mul_lo_u32 v98, v98, v162
	;; [unrolled: 1-line block ×3, first 2 shown]
	v_cvt_f32_ubyte0_e32 v183, v183
	v_fma_mix_f32 v107, v170, v182, 0 op_sel:[1,0,0] op_sel_hi:[1,0,0]
	v_cvt_f32_i32_e32 v93, v93
	v_cvt_f32_i32_e32 v97, v97
	;; [unrolled: 1-line block ×4, first 2 shown]
	v_fma_mix_f32 v107, v171, v183, v107 op_sel:[1,0,0] op_sel_hi:[1,0,0]
	v_cvt_f32_i32_e32 v98, v98
	v_cvt_f32_i32_e32 v100, v100
	v_fma_mix_f32 v93, v170, v93, 0 op_sel_hi:[1,0,0]
	v_fma_mix_f32 v97, v170, v97, 0 op_sel_hi:[1,0,0]
	;; [unrolled: 1-line block ×3, first 2 shown]
	v_mul_f32_e32 v101, v107, v86
	s_delay_alu instid0(VALU_DEP_4) | instskip(NEXT) | instid1(VALU_DEP_4)
	v_fma_mix_f32 v93, v171, v96, v93 op_sel_hi:[1,0,0]
	v_fma_mix_f32 v96, v171, v98, v97 op_sel_hi:[1,0,0]
	s_delay_alu instid0(VALU_DEP_4) | instskip(NEXT) | instid1(VALU_DEP_3)
	v_fma_mix_f32 v97, v171, v100, v99 op_sel_hi:[1,0,0]
	v_fma_f32 v91, v93, v82, -v101
	s_delay_alu instid0(VALU_DEP_3) | instskip(NEXT) | instid1(VALU_DEP_3)
	v_fma_f32 v92, v96, v83, -v92
	v_fma_f32 v93, v97, v84, -v94
	s_delay_alu instid0(VALU_DEP_3) | instskip(NEXT) | instid1(VALU_DEP_2)
	v_add_f32_e32 v21, v21, v91
	v_dual_add_f32 v55, v55, v92 :: v_dual_add_f32 v48, v48, v93
	s_cbranch_vccnz .LBB194_12
; %bb.13:                               ;   in Loop: Header=BB194_5 Depth=1
	s_bitset1_b32 s16, 7
	s_delay_alu instid0(SALU_CYCLE_1)
	s_cmp_ge_i32 s16, s5
	s_barrier
	buffer_gl0_inv
	s_cbranch_scc1 .LBB194_4
; %bb.14:                               ;   in Loop: Header=BB194_5 Depth=1
	v_add_nc_u32_e32 v82, s6, v57
	s_delay_alu instid0(VALU_DEP_1) | instskip(SKIP_1) | instid1(SALU_CYCLE_1)
	v_cmp_gt_i32_e32 vcc_lo, s8, v82
	s_and_b32 s17, s1, vcc_lo
	s_and_saveexec_b32 s16, s17
	s_cbranch_execz .LBB194_16
; %bb.15:                               ;   in Loop: Header=BB194_5 Depth=1
	v_add_nc_u32_e32 v84, v62, v82
	s_delay_alu instid0(VALU_DEP_1)
	v_mad_i64_i32 v[82:83], null, v84, 36, v[17:18]
	global_load_b32 v82, v[82:83], off offset:4
	s_waitcnt vmcnt(0)
	ds_store_b32 v52, v82
.LBB194_16:                             ;   in Loop: Header=BB194_5 Depth=1
	s_or_b32 exec_lo, exec_lo, s16
	s_and_saveexec_b32 s16, s0
	s_cbranch_execz .LBB194_19
; %bb.17:                               ;   in Loop: Header=BB194_5 Depth=1
	v_or_b32_e32 v82, s6, v20
	s_delay_alu instid0(VALU_DEP_1) | instskip(NEXT) | instid1(VALU_DEP_1)
	v_or_b32_e32 v83, 4, v82
	v_cmp_gt_i32_e32 vcc_lo, s8, v83
	s_and_b32 s6, s1, vcc_lo
	s_delay_alu instid0(SALU_CYCLE_1)
	s_and_b32 exec_lo, exec_lo, s6
	s_cbranch_execz .LBB194_19
; %bb.18:                               ;   in Loop: Header=BB194_5 Depth=1
	v_ashrrev_i32_e32 v83, 31, v82
	v_add_co_u32 v84, vcc_lo, v62, v82
	s_delay_alu instid0(VALU_DEP_2) | instskip(NEXT) | instid1(VALU_DEP_2)
	v_add_co_ci_u32_e32 v85, vcc_lo, v66, v83, vcc_lo
	v_mad_u64_u32 v[82:83], null, v84, 36, s[14:15]
	s_delay_alu instid0(VALU_DEP_1)
	v_mad_i32_i24 v83, v85, 36, v83
	global_load_b32 v82, v[82:83], off
	s_waitcnt vmcnt(0)
	ds_store_b32 v53, v82
.LBB194_19:                             ;   in Loop: Header=BB194_5 Depth=1
	s_or_b32 exec_lo, exec_lo, s16
	s_waitcnt lgkmcnt(0)
	s_barrier
	buffer_gl0_inv
	ds_load_b32 v85, v56
	ds_load_b32 v86, v58 offset:128
	ds_load_b32 v87, v59 offset:256
	;; [unrolled: 1-line block ×3, first 2 shown]
	v_dual_mov_b32 v82, v69 :: v_dual_mov_b32 v83, v68
	s_mov_b32 s6, 16
	s_mov_b32 s16, 0
	;; [unrolled: 1-line block ×3, first 2 shown]
	s_waitcnt lgkmcnt(3)
	v_lshrrev_b32_e32 v89, 16, v85
	s_waitcnt lgkmcnt(2)
	v_lshrrev_b32_e32 v90, 16, v86
	;; [unrolled: 2-line block ×4, first 2 shown]
	v_cvt_f32_f16_e32 v84, v85
	v_cvt_f32_f16_e32 v85, v86
	;; [unrolled: 1-line block ×8, first 2 shown]
	v_mov_b32_e32 v92, v67
.LBB194_20:                             ;   Parent Loop BB194_5 Depth=1
                                        ; =>  This Inner Loop Header: Depth=2
	ds_load_b128 v[93:96], v82
	ds_load_b128 v[97:100], v82 offset:16
	ds_load_b128 v[101:104], v82 offset:32
	ds_load_b128 v[105:108], v82 offset:48
	ds_load_b64 v[109:110], v83
	ds_load_2addr_b32 v[111:112], v92 offset1:1
	ds_load_2addr_b32 v[113:114], v92 offset0:2 offset1:3
	ds_load_2addr_b32 v[115:116], v92 offset0:4 offset1:5
	;; [unrolled: 1-line block ×7, first 2 shown]
	v_add_nc_u32_e32 v127, 0x2080, v92
	v_add_nc_u32_e32 v143, 0x4100, v92
	;; [unrolled: 1-line block ×16, first 2 shown]
	ds_load_2addr_b32 v[127:128], v127 offset1:1
	ds_load_2addr_b32 v[129:130], v129 offset1:1
	;; [unrolled: 1-line block ×16, first 2 shown]
	v_add_nc_u32_e32 v159, s16, v70
	s_lshr_b32 s21, s6, 2
	v_add_nc_u32_e32 v160, 0x6180, v92
	v_add_nc_u32_e32 v161, 0x6188, v92
	;; [unrolled: 1-line block ×3, first 2 shown]
	s_and_b32 s21, s21, 0x3ffffffc
	v_add_nc_u32_e32 v165, 0x6198, v92
	v_add_nc_u32_e32 v167, 0x61a0, v92
	;; [unrolled: 1-line block ×5, first 2 shown]
	v_add3_u32 v175, v74, s21, v159
	v_add3_u32 v176, v73, s21, v159
	;; [unrolled: 1-line block ×4, first 2 shown]
	ds_load_2addr_b32 v[159:160], v160 offset1:1
	ds_load_2addr_b32 v[161:162], v161 offset1:1
	;; [unrolled: 1-line block ×8, first 2 shown]
	ds_load_u16 v179, v175
	ds_load_u16 v175, v175 offset:8
	ds_load_u16 v180, v176 offset:33792
	;; [unrolled: 1-line block ×7, first 2 shown]
	s_waitcnt lgkmcnt(39)
	v_dot4_i32_iu8 v111, v111, v93, 0 neg_lo:[1,1,0]
	s_waitcnt lgkmcnt(35)
	v_dot4_i32_iu8 v119, v119, v101, 0 neg_lo:[1,1,0]
	v_add_nc_u32_e32 v83, 8, v83
	v_add_nc_u32_e32 v82, 64, v82
	s_add_i32 s22, s17, 8
	v_dot4_i32_iu8 v111, v112, v94, v111 neg_lo:[1,1,0]
	v_dot4_i32_iu8 v112, v120, v102, v119 neg_lo:[1,1,0]
	s_waitcnt lgkmcnt(31)
	v_dot4_i32_iu8 v119, v127, v93, 0 neg_lo:[1,1,0]
	s_waitcnt lgkmcnt(23)
	;; [unrolled: 2-line block ×3, first 2 shown]
	v_dot4_i32_iu8 v93, v159, v93, 0 neg_lo:[1,1,0]
	v_dot4_i32_iu8 v120, v135, v101, 0 neg_lo:[1,1,0]
	;; [unrolled: 1-line block ×3, first 2 shown]
	s_waitcnt lgkmcnt(11)
	v_dot4_i32_iu8 v101, v167, v101, 0 neg_lo:[1,1,0]
	v_dot4_i32_iu8 v111, v113, v95, v111 neg_lo:[1,1,0]
	;; [unrolled: 1-line block ×3, first 2 shown]
	s_waitcnt lgkmcnt(6)
	v_cvt_f32_ubyte0_e32 v151, v175
	v_dot4_i32_iu8 v112, v121, v103, v112 neg_lo:[1,1,0]
	v_dot4_i32_iu8 v119, v128, v94, v119 neg_lo:[1,1,0]
	;; [unrolled: 1-line block ×6, first 2 shown]
	v_cvt_f32_ubyte1_e32 v121, v175
	v_dot4_i32_iu8 v135, v152, v102, v135 neg_lo:[1,1,0]
	v_dot4_i32_iu8 v111, v114, v96, v111 neg_lo:[1,1,0]
	v_fma_mix_f32 v114, v109, v151, 0 op_sel:[1,0,0] op_sel_hi:[1,0,0]
	v_dot4_i32_iu8 v112, v122, v104, v112 neg_lo:[1,1,0]
	v_dot4_i32_iu8 v119, v129, v95, v119 neg_lo:[1,1,0]
	;; [unrolled: 1-line block ×9, first 2 shown]
	v_fma_mix_f32 v112, v110, v121, v114 op_sel:[1,0,0] op_sel_hi:[1,0,0]
	v_dot4_i32_iu8 v114, v130, v96, v119 neg_lo:[1,1,0]
	v_dot4_i32_iu8 v115, v138, v104, v120 neg_lo:[1,1,0]
	;; [unrolled: 1-line block ×5, first 2 shown]
	s_waitcnt lgkmcnt(1)
	v_lshrrev_b16 v94, 8, v182
	v_and_b32_e32 v160, 0xff, v182
	v_cvt_f32_ubyte0_e32 v167, v176
	v_dot4_i32_iu8 v96, v171, v105, v96 neg_lo:[1,1,0]
	v_dot4_i32_iu8 v93, v164, v98, v93 neg_lo:[1,1,0]
	v_cvt_f32_ubyte1_e32 v136, v176
	v_cvt_f32_ubyte0_e32 v176, v177
	v_cvt_f32_ubyte1_e32 v152, v177
	v_dot4_i32_iu8 v96, v172, v106, v96 neg_lo:[1,1,0]
	v_dot4_i32_iu8 v93, v165, v99, v93 neg_lo:[1,1,0]
	s_waitcnt lgkmcnt(0)
	v_cvt_f32_ubyte0_e32 v177, v178
	v_and_b32_e32 v94, 0xffff, v94
	v_dot4_i32_iu8 v101, v116, v98, v103 neg_lo:[1,1,0]
	v_dot4_i32_iu8 v96, v173, v107, v96 neg_lo:[1,1,0]
	;; [unrolled: 1-line block ×3, first 2 shown]
	v_mul_f32_e32 v103, v112, v88
	v_cvt_f32_ubyte1_e32 v102, v178
	v_fma_mix_f32 v95, v109, v177, 0 op_sel:[1,0,0] op_sel_hi:[1,0,0]
	v_dot4_i32_iu8 v96, v174, v108, v96 neg_lo:[1,1,0]
	v_mul_lo_u32 v93, v93, v160
	v_dot4_i32_iu8 v121, v154, v104, v135 neg_lo:[1,1,0]
	v_dot4_i32_iu8 v104, v131, v97, v114 neg_lo:[1,1,0]
	v_fma_mix_f32 v95, v110, v102, v95 op_sel:[1,0,0] op_sel_hi:[1,0,0]
	v_mul_lo_u32 v94, v96, v94
	v_dot4_i32_iu8 v102, v124, v106, v111 neg_lo:[1,1,0]
	v_dot4_i32_iu8 v111, v139, v105, v115 neg_lo:[1,1,0]
	;; [unrolled: 1-line block ×3, first 2 shown]
	v_cvt_f32_i32_e32 v93, v93
	v_dot4_i32_iu8 v115, v155, v105, v121 neg_lo:[1,1,0]
	v_dot4_i32_iu8 v97, v117, v99, v101 neg_lo:[1,1,0]
	;; [unrolled: 1-line block ×6, first 2 shown]
	v_cvt_f32_i32_e32 v94, v94
	v_fma_mix_f32 v93, v109, v93, 0 op_sel_hi:[1,0,0]
	v_lshrrev_b16 v113, 8, v179
	v_lshrrev_b16 v128, 8, v180
	v_dot4_i32_iu8 v111, v156, v106, v115 neg_lo:[1,1,0]
	v_dot4_i32_iu8 v98, v126, v108, v101 neg_lo:[1,1,0]
	;; [unrolled: 1-line block ×5, first 2 shown]
	v_mul_f32_e32 v95, v95, v91
	v_fma_mix_f32 v93, v110, v94, v93 op_sel_hi:[1,0,0]
	v_and_b32_e32 v143, 0xff, v179
	v_and_b32_e32 v159, 0xff, v180
	v_lshrrev_b16 v144, 8, v181
	v_and_b32_e32 v175, 0xff, v181
	v_and_b32_e32 v113, 0xffff, v113
	v_dot4_i32_iu8 v97, v118, v100, v97 neg_lo:[1,1,0]
	v_dot4_i32_iu8 v105, v157, v107, v111 neg_lo:[1,1,0]
	;; [unrolled: 1-line block ×5, first 2 shown]
	v_fma_f32 v93, v93, v87, -v95
	v_and_b32_e32 v128, 0xffff, v128
	v_and_b32_e32 v137, 0xffff, v144
	v_mul_lo_u32 v97, v97, v143
	v_mul_lo_u32 v98, v98, v113
	v_add_f32_e32 v15, v15, v93
	v_dot4_i32_iu8 v104, v158, v108, v105 neg_lo:[1,1,0]
	v_mul_lo_u32 v99, v99, v159
	v_mul_lo_u32 v100, v101, v128
	;; [unrolled: 1-line block ×3, first 2 shown]
	v_fma_mix_f32 v122, v109, v167, 0 op_sel:[1,0,0] op_sel_hi:[1,0,0]
	v_mul_lo_u32 v102, v104, v137
	v_fma_mix_f32 v129, v109, v176, 0 op_sel:[1,0,0] op_sel_hi:[1,0,0]
	v_cvt_f32_i32_e32 v96, v97
	v_cvt_f32_i32_e32 v97, v98
	;; [unrolled: 1-line block ×5, first 2 shown]
	v_fma_mix_f32 v119, v110, v136, v122 op_sel:[1,0,0] op_sel_hi:[1,0,0]
	v_fma_mix_f32 v122, v110, v152, v129 op_sel:[1,0,0] op_sel_hi:[1,0,0]
	v_fma_mix_f32 v96, v109, v96, 0 op_sel_hi:[1,0,0]
	v_cvt_f32_i32_e32 v101, v102
	v_fma_mix_f32 v98, v109, v98, 0 op_sel_hi:[1,0,0]
	v_fma_mix_f32 v100, v109, v100, 0 op_sel_hi:[1,0,0]
	v_mul_f32_e32 v112, v119, v89
	v_mul_f32_e32 v116, v122, v90
	v_fma_mix_f32 v96, v110, v97, v96 op_sel_hi:[1,0,0]
	v_fma_mix_f32 v97, v110, v99, v98 op_sel_hi:[1,0,0]
	v_fma_mix_f32 v98, v110, v101, v100 op_sel_hi:[1,0,0]
	s_add_i32 s17, s17, 16
	s_add_i32 s6, s6, 8
	v_fma_f32 v94, v96, v84, -v103
	v_fma_f32 v96, v97, v85, -v112
	;; [unrolled: 1-line block ×3, first 2 shown]
	v_add_nc_u32_e32 v92, 64, v92
	s_add_i32 s16, s16, 2
	v_add_f32_e32 v21, v21, v94
	s_delay_alu instid0(VALU_DEP_3)
	v_dual_add_f32 v55, v55, v96 :: v_dual_add_f32 v48, v48, v97
	s_cmp_lt_u32 s17, 24
	s_mov_b32 s17, s22
	s_cbranch_scc1 .LBB194_20
; %bb.21:                               ;   in Loop: Header=BB194_5 Depth=1
	s_barrier
	buffer_gl0_inv
	s_branch .LBB194_4
.LBB194_22:
	s_mul_i32 s0, s10, s7
	s_waitcnt vmcnt(0)
	v_cmp_gt_i32_e32 vcc_lo, s0, v19
	s_and_saveexec_b32 s0, vcc_lo
	s_cbranch_execz .LBB194_31
; %bb.23:
	v_mul_lo_u32 v0, v19, s9
	v_add_nc_u32_e32 v1, s11, v20
	s_mov_b32 s0, exec_lo
	s_delay_alu instid0(VALU_DEP_1)
	v_cmpx_gt_u32_e64 s9, v1
	s_cbranch_execz .LBB194_25
; %bb.24:
	s_delay_alu instid0(VALU_DEP_3) | instskip(NEXT) | instid1(VALU_DEP_1)
	v_dual_mov_b32 v3, 0 :: v_dual_add_nc_u32 v2, v0, v1
	v_lshlrev_b64 v[2:3], 2, v[2:3]
	s_delay_alu instid0(VALU_DEP_1) | instskip(NEXT) | instid1(VALU_DEP_2)
	v_add_co_u32 v2, vcc_lo, s12, v2
	v_add_co_ci_u32_e32 v3, vcc_lo, s13, v3, vcc_lo
	global_store_b32 v[2:3], v21, off
.LBB194_25:
	s_or_b32 exec_lo, exec_lo, s0
	v_add_nc_u32_e32 v2, 32, v1
	s_mov_b32 s0, exec_lo
	s_delay_alu instid0(VALU_DEP_1)
	v_cmpx_gt_u32_e64 s9, v2
	s_cbranch_execz .LBB194_27
; %bb.26:
	v_dual_mov_b32 v3, 0 :: v_dual_add_nc_u32 v2, v0, v2
	s_delay_alu instid0(VALU_DEP_1) | instskip(NEXT) | instid1(VALU_DEP_1)
	v_lshlrev_b64 v[2:3], 2, v[2:3]
	v_add_co_u32 v2, vcc_lo, s12, v2
	s_delay_alu instid0(VALU_DEP_2)
	v_add_co_ci_u32_e32 v3, vcc_lo, s13, v3, vcc_lo
	global_store_b32 v[2:3], v55, off
.LBB194_27:
	s_or_b32 exec_lo, exec_lo, s0
	v_add_nc_u32_e32 v2, 64, v1
	s_mov_b32 s0, exec_lo
	s_delay_alu instid0(VALU_DEP_1)
	v_cmpx_gt_u32_e64 s9, v2
	s_cbranch_execz .LBB194_29
; %bb.28:
	v_dual_mov_b32 v3, 0 :: v_dual_add_nc_u32 v2, v0, v2
	s_delay_alu instid0(VALU_DEP_1) | instskip(NEXT) | instid1(VALU_DEP_1)
	v_lshlrev_b64 v[2:3], 2, v[2:3]
	v_add_co_u32 v2, vcc_lo, s12, v2
	s_delay_alu instid0(VALU_DEP_2)
	v_add_co_ci_u32_e32 v3, vcc_lo, s13, v3, vcc_lo
	global_store_b32 v[2:3], v48, off
.LBB194_29:
	s_or_b32 exec_lo, exec_lo, s0
	v_add_nc_u32_e32 v1, 0x60, v1
	s_delay_alu instid0(VALU_DEP_1)
	v_cmp_gt_u32_e32 vcc_lo, s9, v1
	s_and_b32 exec_lo, exec_lo, vcc_lo
	s_cbranch_execz .LBB194_31
; %bb.30:
	v_dual_mov_b32 v1, 0 :: v_dual_add_nc_u32 v0, v0, v1
	s_delay_alu instid0(VALU_DEP_1) | instskip(NEXT) | instid1(VALU_DEP_1)
	v_lshlrev_b64 v[0:1], 2, v[0:1]
	v_add_co_u32 v0, vcc_lo, s12, v0
	s_delay_alu instid0(VALU_DEP_2)
	v_add_co_ci_u32_e32 v1, vcc_lo, s13, v1, vcc_lo
	global_store_b32 v[0:1], v15, off
.LBB194_31:
	s_nop 0
	s_sendmsg sendmsg(MSG_DEALLOC_VGPRS)
	s_endpgm
	.section	.rodata,"a",@progbits
	.p2align	6, 0x0
	.amdhsa_kernel _ZL8moe_q5_KIfLb1EEvPKvS1_PT_PKiS5_S5_iiiiiii
		.amdhsa_group_segment_fixed_size 37072
		.amdhsa_private_segment_fixed_size 0
		.amdhsa_kernarg_size 76
		.amdhsa_user_sgpr_count 14
		.amdhsa_user_sgpr_dispatch_ptr 0
		.amdhsa_user_sgpr_queue_ptr 0
		.amdhsa_user_sgpr_kernarg_segment_ptr 1
		.amdhsa_user_sgpr_dispatch_id 0
		.amdhsa_user_sgpr_private_segment_size 0
		.amdhsa_wavefront_size32 1
		.amdhsa_uses_dynamic_stack 0
		.amdhsa_enable_private_segment 0
		.amdhsa_system_sgpr_workgroup_id_x 1
		.amdhsa_system_sgpr_workgroup_id_y 1
		.amdhsa_system_sgpr_workgroup_id_z 0
		.amdhsa_system_sgpr_workgroup_info 0
		.amdhsa_system_vgpr_workitem_id 1
		.amdhsa_next_free_vgpr 188
		.amdhsa_next_free_sgpr 23
		.amdhsa_reserve_vcc 1
		.amdhsa_float_round_mode_32 0
		.amdhsa_float_round_mode_16_64 0
		.amdhsa_float_denorm_mode_32 3
		.amdhsa_float_denorm_mode_16_64 3
		.amdhsa_dx10_clamp 1
		.amdhsa_ieee_mode 1
		.amdhsa_fp16_overflow 0
		.amdhsa_workgroup_processor_mode 1
		.amdhsa_memory_ordered 1
		.amdhsa_forward_progress 0
		.amdhsa_shared_vgpr_count 0
		.amdhsa_exception_fp_ieee_invalid_op 0
		.amdhsa_exception_fp_denorm_src 0
		.amdhsa_exception_fp_ieee_div_zero 0
		.amdhsa_exception_fp_ieee_overflow 0
		.amdhsa_exception_fp_ieee_underflow 0
		.amdhsa_exception_fp_ieee_inexact 0
		.amdhsa_exception_int_div_zero 0
	.end_amdhsa_kernel
	.section	.text._ZL8moe_q5_KIfLb1EEvPKvS1_PT_PKiS5_S5_iiiiiii,"axG",@progbits,_ZL8moe_q5_KIfLb1EEvPKvS1_PT_PKiS5_S5_iiiiiii,comdat
.Lfunc_end194:
	.size	_ZL8moe_q5_KIfLb1EEvPKvS1_PT_PKiS5_S5_iiiiiii, .Lfunc_end194-_ZL8moe_q5_KIfLb1EEvPKvS1_PT_PKiS5_S5_iiiiiii
                                        ; -- End function
	.section	.AMDGPU.csdata,"",@progbits
; Kernel info:
; codeLenInByte = 8028
; NumSgprs: 25
; NumVgprs: 188
; ScratchSize: 0
; MemoryBound: 0
; FloatMode: 240
; IeeeMode: 1
; LDSByteSize: 37072 bytes/workgroup (compile time only)
; SGPRBlocks: 3
; VGPRBlocks: 23
; NumSGPRsForWavesPerEU: 25
; NumVGPRsForWavesPerEU: 188
; Occupancy: 6
; WaveLimiterHint : 1
; COMPUTE_PGM_RSRC2:SCRATCH_EN: 0
; COMPUTE_PGM_RSRC2:USER_SGPR: 14
; COMPUTE_PGM_RSRC2:TRAP_HANDLER: 0
; COMPUTE_PGM_RSRC2:TGID_X_EN: 1
; COMPUTE_PGM_RSRC2:TGID_Y_EN: 1
; COMPUTE_PGM_RSRC2:TGID_Z_EN: 0
; COMPUTE_PGM_RSRC2:TIDIG_COMP_CNT: 1
	.section	.text._ZL8moe_q6_KIfLb0EEvPKvS1_PT_PKiS5_S5_iiiiiii,"axG",@progbits,_ZL8moe_q6_KIfLb0EEvPKvS1_PT_PKiS5_S5_iiiiiii,comdat
	.globl	_ZL8moe_q6_KIfLb0EEvPKvS1_PT_PKiS5_S5_iiiiiii ; -- Begin function _ZL8moe_q6_KIfLb0EEvPKvS1_PT_PKiS5_S5_iiiiiii
	.p2align	8
	.type	_ZL8moe_q6_KIfLb0EEvPKvS1_PT_PKiS5_S5_iiiiiii,@function
_ZL8moe_q6_KIfLb0EEvPKvS1_PT_PKiS5_S5_iiiiiii: ; @_ZL8moe_q6_KIfLb0EEvPKvS1_PT_PKiS5_S5_iiiiiii
; %bb.0:
	s_load_b128 s[4:7], s[0:1], 0x18
	s_mov_b32 s2, s15
	s_mov_b32 s3, 0
	s_delay_alu instid0(SALU_CYCLE_1)
	s_lshl_b64 s[8:9], s[2:3], 2
	s_waitcnt lgkmcnt(0)
	s_add_u32 s6, s6, s8
	s_addc_u32 s7, s7, s9
	s_load_b32 s12, s[6:7], 0x0
	s_waitcnt lgkmcnt(0)
	s_cmpk_gt_u32 s12, 0xff
	s_cbranch_scc1 .LBB195_31
; %bb.1:
	s_load_b64 s[6:7], s[0:1], 0x28
	s_lshl_b32 s2, s2, 3
	s_waitcnt lgkmcnt(0)
	s_load_b32 s3, s[6:7], 0x0
	s_waitcnt lgkmcnt(0)
	s_cmp_gt_u32 s2, s3
	s_cbranch_scc1 .LBB195_31
; %bb.2:
	v_bfe_u32 v3, v0, 10, 10
	v_mov_b32_e32 v2, 0
	s_lshl_b32 s16, s14, 7
	s_mov_b32 s17, 0
	s_delay_alu instid0(VALU_DEP_2) | instskip(NEXT) | instid1(VALU_DEP_2)
	v_add_nc_u32_e32 v1, s2, v3
	v_dual_mov_b32 v49, v2 :: v_dual_and_b32 v6, 0x3ff, v0
	v_mov_b32_e32 v55, v2
	v_mov_b32_e32 v7, v2
	s_delay_alu instid0(VALU_DEP_4) | instskip(NEXT) | instid1(VALU_DEP_1)
	v_lshlrev_b64 v[4:5], 2, v[1:2]
	v_add_co_u32 v4, vcc_lo, s4, v4
	s_delay_alu instid0(VALU_DEP_2)
	v_add_co_ci_u32_e32 v5, vcc_lo, s5, v5, vcc_lo
	global_load_b32 v5, v[4:5], off
	s_clause 0x2
	s_load_b64 s[10:11], s[0:1], 0x30
	s_load_b64 s[8:9], s[0:1], 0x10
	s_load_b128 s[4:7], s[0:1], 0x3c
	s_waitcnt lgkmcnt(0)
	s_cmpk_lt_i32 s11, 0x100
	s_cbranch_scc1 .LBB195_22
; %bb.3:
	s_load_b128 s[0:3], s[0:1], 0x0
	s_ashr_i32 s13, s11, 31
	s_mul_i32 s12, s12, s10
	s_lshr_b32 s10, s13, 24
	s_ashr_i32 s14, s5, 31
	s_add_i32 s10, s11, s10
	s_lshr_b32 s13, s14, 27
	s_ashr_i32 s10, s10, 8
	s_add_i32 s5, s5, s13
	s_mul_i32 s13, s10, s16
	v_dual_mov_b32 v7, 0 :: v_dual_and_b32 v0, 31, v6
	s_ashr_i32 s14, s12, 31
	s_ashr_i32 s5, s5, 5
	s_mul_hi_i32 s15, s13, 0xd2
	s_mulk_i32 s13, 0xd2
	v_cmp_lt_u32_e32 vcc_lo, 15, v0
	v_add_nc_u16 v18, v0, -16
	v_lshlrev_b32_e32 v9, 5, v3
	v_lshrrev_b32_e32 v15, 2, v6
	s_waitcnt lgkmcnt(0)
	s_add_u32 s0, s0, s12
	s_addc_u32 s1, s1, s14
	s_add_u32 s18, s0, s13
	s_addc_u32 s19, s1, s15
	s_lshl_b32 s0, s10, 3
	v_cndmask_b32_e64 v17, 0, 1, vcc_lo
	v_mad_i32_i24 v10, s10, v3, s0
	v_cmp_gt_u32_e32 vcc_lo, 16, v0
	v_lshlrev_b32_e32 v4, 3, v3
	v_and_b32_e32 v1, 7, v6
	v_and_b32_e32 v14, 3, v6
	v_dual_cndmask_b32 v21, v18, v0 :: v_dual_add_nc_u32 v12, s0, v10
	v_add_nc_u32_e32 v49, v9, v6
	v_add_nc_u32_e32 v19, v15, v4
	v_lshlrev_b32_e32 v20, 5, v17
	s_delay_alu instid0(VALU_DEP_4)
	v_add_nc_u32_e32 v13, s0, v12
	v_cmp_lt_u16_e32 vcc_lo, 7, v21
	v_lshlrev_b32_e32 v14, 2, v14
	v_and_b32_e32 v22, 0x7f, v49
	v_and_b32_e32 v24, 0x7f, v19
	v_add_nc_u32_e32 v16, s0, v13
	v_lshl_or_b32 v18, v1, 2, v20
	v_cndmask_b32_e64 v1, 0, 1, vcc_lo
	s_abs_i32 s1, s7
	v_and_or_b32 v26, v6, 15, v20
	v_add_nc_u32_e32 v17, s0, v16
	v_mul_i32_i24_e32 v20, s10, v22
	v_lshlrev_b32_e32 v28, 2, v22
	v_mul_i32_i24_e32 v22, s10, v24
	v_lshl_or_b32 v50, v24, 4, v14
	v_xor_b32_e32 v51, 64, v24
	v_lshlrev_b32_e32 v24, 1, v1
	v_cvt_f32_u32_e32 v1, s1
	v_add_nc_u32_e32 v19, s0, v17
	v_lshrrev_b32_e32 v23, 3, v49
	v_add_nc_u16 v4, v15, v4
	s_sub_i32 s12, 0, s1
	v_rcp_iflag_f32_e32 v1, v1
	v_add_nc_u32_e32 v21, s0, v19
	v_and_b32_e32 v27, 12, v23
	v_mul_u32_u24_e32 v2, 0x41, v3
	v_lshrrev_b16 v4, 1, v4
	v_lshl_or_b32 v53, v51, 4, v14
	v_add_nc_u32_e32 v23, s0, v21
	v_add3_u32 v27, v28, v27, 0x8e40
	v_add_lshl_u32 v26, v26, v2, 2
	s_delay_alu instid0(TRANS32_DEP_1) | instskip(NEXT) | instid1(VALU_DEP_4)
	v_dual_mul_f32 v1, 0x4f7ffffe, v1 :: v_dual_and_b32 v4, 60, v4
	v_add_nc_u32_e32 v25, s0, v23
	v_lshrrev_b32_e32 v2, 1, v51
	v_lshlrev_b32_e32 v55, 2, v6
	s_delay_alu instid0(VALU_DEP_4)
	v_add3_u32 v50, v50, v4, 0x8200
	v_cvt_u32_f32_e32 v1, v1
	v_add_nc_u32_e32 v28, s0, v25
	v_and_b32_e32 v2, 60, v2
	s_waitcnt vmcnt(0)
	v_sub_nc_u32_e32 v4, 0, v5
	v_lshlrev_b32_e32 v11, 2, v0
	v_mul_lo_u32 v52, s12, v1
	v_add_nc_u32_e32 v32, s0, v28
	v_add_nc_u32_e32 v63, 32, v6
	v_max_i32_e32 v4, v5, v4
	v_mad_i32_i24 v49, 0xffffffe4, v3, v49
	v_add_nc_u32_e32 v65, 64, v6
	v_add_nc_u32_e32 v37, s0, v32
	;; [unrolled: 1-line block ×3, first 2 shown]
	v_mul_hi_u32 v54, v1, v52
	v_add3_u32 v52, v53, v2, 0x8200
	v_and_b32_e32 v2, 28, v55
	v_add_nc_u32_e32 v41, s0, v37
	v_or_b32_e32 v53, v9, v0
	v_lshl_add_u32 v56, v49, 2, 0x9050
	v_lshrrev_b32_e32 v8, 5, v6
	v_lshrrev_b32_e32 v60, 3, v65
	v_add_nc_u32_e32 v44, s0, v41
	v_add_nc_u32_e32 v54, v1, v54
	v_lshrrev_b32_e32 v61, 3, v66
	v_lshlrev_b32_e32 v58, 2, v8
	v_and_b32_e32 v60, 60, v60
	v_add_nc_u32_e32 v48, s0, v44
	v_add_co_u32 v0, s0, s2, v2
	v_mul_hi_u32 v2, v4, v54
	v_lshrrev_b32_e32 v54, 3, v63
	v_and_b32_e32 v61, 60, v61
	v_xor_b32_e32 v64, s7, v5
	v_add3_u32 v58, v58, v55, 0x8e40
	v_add3_u32 v60, v55, v60, 0x8e40
	v_and_b32_e32 v49, 60, v54
	v_add3_u32 v61, v55, v61, 0x8e40
	v_mul_lo_u32 v59, v2, s1
	v_lshrrev_b32_e32 v67, 1, v65
	v_lshrrev_b32_e32 v57, 3, v6
	;; [unrolled: 1-line block ×3, first 2 shown]
	v_lshlrev_b32_e32 v69, 4, v66
	s_movk_i32 s12, 0x80
	v_mul_i32_i24_e32 v15, s10, v3
	v_add_nc_u32_e32 v29, 0x820, v26
	v_sub_nc_u32_e32 v4, v4, v59
	v_add3_u32 v59, v55, v49, 0x8e40
	v_add_nc_u32_e32 v49, 1, v2
	v_ashrrev_i32_e32 v55, 31, v64
	v_lshlrev_b32_e32 v64, 4, v63
	v_subrev_nc_u32_e32 v62, s1, v4
	v_cmp_le_u32_e32 vcc_lo, s1, v4
	v_and_b32_e32 v75, 0xfc, v68
	v_add_nc_u32_e32 v30, 0x1040, v26
	v_add_nc_u32_e32 v31, 0x1860, v26
	v_dual_cndmask_b32 v2, v2, v49 :: v_dual_add_nc_u32 v33, 0x2080, v26
	v_cndmask_b32_e32 v4, v4, v62, vcc_lo
	v_lshlrev_b32_e32 v49, 4, v6
	v_add_nc_u32_e32 v34, 0x28a0, v26
	v_add_nc_u32_e32 v35, 0x30c0, v26
	;; [unrolled: 1-line block ×3, first 2 shown]
	v_cmp_le_u32_e32 vcc_lo, s1, v4
	v_lshl_add_u32 v78, v57, 2, v49
	v_lshlrev_b32_e32 v4, 2, v54
	s_movk_i32 s1, 0x104
	v_add_nc_u32_e32 v36, 0x38e0, v26
	v_cndmask_b32_e32 v2, v2, v62, vcc_lo
	v_add_nc_u32_e32 v38, 0x4100, v26
	v_add_nc_u32_e32 v39, 0x4920, v26
	;; [unrolled: 1-line block ×4, first 2 shown]
	v_xor_b32_e32 v2, v2, v55
	v_add_nc_u32_e32 v43, 0x6180, v26
	v_add_nc_u32_e32 v45, 0x69a0, v26
	;; [unrolled: 1-line block ×4, first 2 shown]
	v_sub_nc_u32_e32 v2, v2, v55
	v_and_b32_e32 v55, 0xfc, v67
	v_lshlrev_b32_e32 v67, 4, v65
	v_mul_i32_i24_e32 v51, s10, v51
	v_add_co_ci_u32_e64 v1, null, s3, 0, s0
	v_mul_lo_u32 v65, v2, s5
	v_lshl_add_u32 v53, v53, 2, 0x8a40
	v_cmp_gt_u32_e64 s0, 4, v6
	v_add_nc_u32_e32 v62, 0x8200, v78
	v_mul_u32_u24_e32 v63, 0x104, v6
	v_add3_u32 v64, v4, v64, 0x8200
	v_mad_u32_u24 v66, v6, s1, 0x2080
	v_add3_u32 v67, v67, v55, 0x8200
	v_mad_u32_u24 v68, v6, s1, 0x4100
	;; [unrolled: 2-line block ×3, first 2 shown]
	v_cmp_gt_i32_e64 s1, s4, v2
	v_ashrrev_i32_e32 v71, 31, v65
	v_mad_u32_u24 v72, 0x104, v6, s12
	v_lshl_add_u32 v73, v3, 4, 0x9050
	v_lshl_add_u32 v74, v3, 7, 0x8a40
	v_add3_u32 v75, v49, v75, 0x8808
	v_add3_u32 v76, v49, v55, 0x8608
	;; [unrolled: 1-line block ×3, first 2 shown]
	v_dual_mov_b32 v55, 0 :: v_dual_add_nc_u32 v78, 0x8208, v78
	v_dual_mov_b32 v49, 0 :: v_dual_mov_b32 v2, 0
	s_add_u32 s12, s2, 0x90
	s_addc_u32 s13, s3, 0
	s_branch .LBB195_5
.LBB195_4:                              ;   in Loop: Header=BB195_5 Depth=1
	s_add_i32 s17, s17, 1
	s_delay_alu instid0(SALU_CYCLE_1)
	s_cmp_eq_u32 s17, s10
	s_cbranch_scc1 .LBB195_22
.LBB195_5:                              ; =>This Loop Header: Depth=1
                                        ;     Child Loop BB195_12 Depth 2
                                        ;     Child Loop BB195_20 Depth 2
	s_mul_i32 s14, s17, 0xd2
	s_mul_hi_u32 s15, s17, 0xd2
	s_add_u32 s14, s18, s14
	s_addc_u32 s15, s19, s15
	s_delay_alu instid0(SALU_CYCLE_1) | instskip(NEXT) | instid1(VALU_DEP_1)
	v_mad_u64_u32 v[3:4], null, 0xd2, v8, s[14:15]
	v_mad_u64_u32 v[79:80], null, 0xd2, v15, v[3:4]
	;; [unrolled: 1-line block ×5, first 2 shown]
	s_delay_alu instid0(VALU_DEP_4)
	v_add_co_u32 v83, vcc_lo, v79, v11
	v_add_co_ci_u32_e32 v84, vcc_lo, 0, v80, vcc_lo
	v_add_co_u32 v79, vcc_lo, v79, v18
	v_add_co_ci_u32_e32 v80, vcc_lo, 0, v80, vcc_lo
	;; [unrolled: 2-line block ×3, first 2 shown]
	global_load_b32 v83, v[83:84], off
	global_load_b32 v84, v[79:80], off offset:128
	v_add_co_u32 v79, vcc_lo, v81, v18
	v_add_co_ci_u32_e32 v80, vcc_lo, 0, v82, vcc_lo
	v_add_co_u32 v81, vcc_lo, v85, v11
	v_add_co_ci_u32_e32 v82, vcc_lo, 0, v86, vcc_lo
	;; [unrolled: 2-line block ×3, first 2 shown]
	global_load_b32 v90, v[87:88], off
	global_load_b32 v91, v[79:80], off offset:128
	global_load_b32 v88, v[81:82], off
	global_load_b32 v89, v[85:86], off offset:128
	v_mad_u64_u32 v[79:80], null, 0xd2, v16, v[3:4]
	v_add_co_u32 v81, vcc_lo, v92, v11
	v_add_co_ci_u32_e32 v82, vcc_lo, 0, v93, vcc_lo
	v_add_co_u32 v85, vcc_lo, v92, v18
	v_add_co_ci_u32_e32 v86, vcc_lo, 0, v93, vcc_lo
	v_add_co_u32 v92, vcc_lo, v79, v11
	v_mad_u64_u32 v[94:95], null, 0xd2, v17, v[3:4]
	v_add_co_ci_u32_e32 v93, vcc_lo, 0, v80, vcc_lo
	v_add_co_u32 v79, vcc_lo, v79, v18
	v_add_co_ci_u32_e32 v80, vcc_lo, 0, v80, vcc_lo
	global_load_b32 v114, v[81:82], off
	global_load_b32 v115, v[85:86], off offset:128
	global_load_b32 v116, v[92:93], off
	global_load_b32 v117, v[79:80], off offset:128
	v_mad_u64_u32 v[79:80], null, 0xd2, v19, v[3:4]
	v_add_co_u32 v81, vcc_lo, v94, v11
	v_add_co_ci_u32_e32 v82, vcc_lo, 0, v95, vcc_lo
	v_add_co_u32 v85, vcc_lo, v94, v18
	v_add_co_ci_u32_e32 v86, vcc_lo, 0, v95, vcc_lo
	;; [unrolled: 2-line block ×4, first 2 shown]
	global_load_b32 v118, v[81:82], off
	global_load_b32 v119, v[85:86], off offset:128
	global_load_b32 v82, v[92:93], off
	global_load_b32 v120, v[79:80], off offset:128
	v_mad_u64_u32 v[79:80], null, 0xd2, v21, v[3:4]
	v_mad_u64_u32 v[85:86], null, 0xd2, v23, v[3:4]
	;; [unrolled: 1-line block ×4, first 2 shown]
	s_delay_alu instid0(VALU_DEP_4)
	v_add_co_u32 v102, vcc_lo, v79, v11
	v_add_co_ci_u32_e32 v103, vcc_lo, 0, v80, vcc_lo
	v_add_co_u32 v79, vcc_lo, v79, v18
	v_add_co_ci_u32_e32 v80, vcc_lo, 0, v80, vcc_lo
	global_load_b32 v121, v[102:103], off
	global_load_b32 v122, v[79:80], off offset:128
	v_add_co_u32 v104, vcc_lo, v85, v11
	v_add_co_ci_u32_e32 v105, vcc_lo, 0, v86, vcc_lo
	v_add_co_u32 v85, vcc_lo, v85, v18
	v_add_co_ci_u32_e32 v86, vcc_lo, 0, v86, vcc_lo
	;; [unrolled: 2-line block ×3, first 2 shown]
	v_add_co_u32 v92, vcc_lo, v92, v18
	v_mad_u64_u32 v[96:97], null, 0xd2, v32, v[3:4]
	v_add_co_ci_u32_e32 v93, vcc_lo, 0, v93, vcc_lo
	v_add_co_u32 v108, vcc_lo, v94, v11
	v_add_co_ci_u32_e32 v109, vcc_lo, 0, v95, vcc_lo
	v_add_co_u32 v79, vcc_lo, v94, v18
	v_mad_u64_u32 v[98:99], null, 0xd2, v37, v[3:4]
	v_add_co_ci_u32_e32 v80, vcc_lo, 0, v95, vcc_lo
	v_add_co_u32 v102, vcc_lo, v96, v11
	v_add_co_ci_u32_e32 v103, vcc_lo, 0, v97, vcc_lo
	;; [unrolled: 5-line block ×3, first 2 shown]
	v_add_co_u32 v98, vcc_lo, v98, v18
	v_add_co_ci_u32_e32 v99, vcc_lo, 0, v99, vcc_lo
	v_add_co_u32 v112, vcc_lo, v100, v11
	v_add_co_ci_u32_e32 v113, vcc_lo, 0, v101, vcc_lo
	v_add_co_u32 v100, vcc_lo, v100, v18
	v_add_co_ci_u32_e32 v101, vcc_lo, 0, v101, vcc_lo
	global_load_b32 v104, v[104:105], off
	global_load_b32 v105, v[85:86], off offset:128
	global_load_b32 v94, v[106:107], off
	global_load_b32 v95, v[92:93], off offset:128
	;; [unrolled: 2-line block ×6, first 2 shown]
	s_waitcnt vmcnt(27)
	v_and_b32_e32 v96, 0xf0f0f0f, v83
	s_waitcnt vmcnt(26)
	v_ashrrev_i32_e32 v84, v24, v84
	v_lshrrev_b32_e32 v83, 4, v83
	s_delay_alu instid0(VALU_DEP_2)
	v_lshlrev_b32_e32 v112, 4, v84
	v_and_b32_e32 v84, 0x30303030, v84
	s_waitcnt vmcnt(25)
	v_and_b32_e32 v97, 0xf0f0f0f, v90
	s_waitcnt vmcnt(24)
	v_ashrrev_i32_e32 v91, v24, v91
	v_lshrrev_b32_e32 v90, 4, v90
	s_waitcnt vmcnt(22)
	v_ashrrev_i32_e32 v89, v24, v89
	v_and_b32_e32 v98, 0xf0f0f0f, v88
	v_lshrrev_b32_e32 v88, 4, v88
	v_lshlrev_b32_e32 v113, 4, v91
	v_and_b32_e32 v91, 0x30303030, v91
	v_and_or_b32 v96, 0x30303030, v112, v96
	v_and_or_b32 v83, 0xf0f0f0f, v83, v84
	s_delay_alu instid0(VALU_DEP_4) | instskip(NEXT) | instid1(VALU_DEP_4)
	v_and_or_b32 v84, 0x30303030, v113, v97
	v_and_or_b32 v90, 0xf0f0f0f, v90, v91
	s_delay_alu instid0(VALU_DEP_1)
	v_lshrrev_b32_e32 v112, 16, v90
	v_and_b32_e32 v113, 0x3f00, v90
	v_lshlrev_b16 v90, 8, v90
	s_waitcnt vmcnt(21)
	v_and_b32_e32 v99, 0xf0f0f0f, v114
	s_waitcnt vmcnt(20)
	v_ashrrev_i32_e32 v101, v24, v115
	v_lshrrev_b32_e32 v100, 4, v114
	s_waitcnt vmcnt(18)
	v_ashrrev_i32_e32 v106, v24, v117
	v_lshlrev_b32_e32 v114, 4, v89
	v_and_b32_e32 v89, 0x30303030, v89
	v_lshlrev_b32_e32 v115, 4, v101
	v_and_b32_e32 v101, 0x30303030, v101
	v_and_b32_e32 v102, 0xf0f0f0f, v116
	v_lshrrev_b32_e32 v103, 4, v116
	v_lshlrev_b32_e32 v116, 4, v106
	v_and_b32_e32 v106, 0x30303030, v106
	v_and_or_b32 v91, 0x30303030, v114, v98
	v_and_or_b32 v88, 0xf0f0f0f, v88, v89
	;; [unrolled: 1-line block ×6, first 2 shown]
	v_lshrrev_b32_e32 v102, 16, v96
	s_waitcnt vmcnt(17)
	v_and_b32_e32 v107, 0xf0f0f0f, v118
	s_waitcnt vmcnt(16)
	v_ashrrev_i32_e32 v109, v24, v119
	v_lshrrev_b32_e32 v108, 4, v118
	v_and_b32_e32 v103, 0x3f00, v96
	v_lshlrev_b16 v96, 8, v96
	v_lshrrev_b32_e32 v106, 16, v83
	v_lshlrev_b32_e32 v117, 4, v109
	v_and_b32_e32 v109, 0x30303030, v109
	v_lshrrev_b32_e32 v114, 16, v91
	v_lshrrev_b32_e32 v116, 16, v88
	;; [unrolled: 1-line block ×3, first 2 shown]
	v_and_or_b32 v100, 0x30303030, v117, v107
	v_and_or_b32 v101, 0xf0f0f0f, v108, v109
	v_and_b32_e32 v107, 0x3f00, v83
	v_lshlrev_b16 v83, 8, v83
	v_lshrrev_b32_e32 v108, 16, v84
	v_and_b32_e32 v109, 0x3f00, v84
	v_lshlrev_b16 v84, 8, v84
	v_lshrrev_b32_e32 v123, 16, v97
	;; [unrolled: 3-line block ×3, first 2 shown]
	v_lshrrev_b32_e32 v127, 16, v99
	v_add_nc_u16 v96, v96, 0xe000
	v_and_b32_e32 v133, 0x3f00, v102
	v_lshlrev_b16 v102, 8, v102
	v_and_b32_e32 v134, 0x3f00, v106
	v_lshlrev_b16 v106, 8, v106
	v_add_nc_u16 v83, v83, 0xe000
	v_and_b32_e32 v135, 0x3f00, v108
	v_lshlrev_b16 v108, 8, v108
	v_and_b32_e32 v136, 0x3f00, v112
	v_lshlrev_b16 v112, 8, v112
	;; [unrolled: 2-line block ×3, first 2 shown]
	v_add_nc_u16 v84, v84, 0xe000
	v_and_b32_e32 v137, 0x3f00, v114
	v_lshlrev_b16 v114, 8, v114
	v_and_b32_e32 v138, 0x3f00, v116
	v_lshlrev_b16 v116, 8, v116
	s_waitcnt vmcnt(14)
	v_ashrrev_i32_e32 v111, v24, v120
	v_and_b32_e32 v120, 0x3f00, v89
	v_lshlrev_b16 v89, 8, v89
	v_and_b32_e32 v124, 0x3f00, v97
	v_lshlrev_b16 v97, 8, v97
	v_add_nc_u16 v90, v90, 0xe000
	v_and_b32_e32 v139, 0x3f00, v119
	v_lshlrev_b16 v119, 8, v119
	v_and_b32_e32 v140, 0x3f00, v123
	v_lshlrev_b16 v123, 8, v123
	;; [unrolled: 2-line block ×4, first 2 shown]
	v_add_nc_u16 v91, v91, 0xe000
	v_and_b32_e32 v141, 0x3f00, v125
	v_lshlrev_b16 v125, 8, v125
	v_and_b32_e32 v142, 0x3f00, v127
	v_lshlrev_b16 v127, 8, v127
	v_lshrrev_b16 v96, 8, v96
	v_add_nc_u16 v102, v102, 0xe000
	v_add_nc_u16 v106, v106, 0xe000
	v_lshrrev_b16 v83, 8, v83
	v_add_nc_u16 v108, v108, 0xe000
	v_add_nc_u16 v112, v112, 0xe000
	v_add_nc_u16 v88, v88, 0xe000
	v_lshrrev_b16 v84, 8, v84
	v_add_nc_u16 v114, v114, 0xe000
	v_add_nc_u16 v116, v116, 0xe000
	v_add_nc_u16 v89, v89, 0xe000
	v_add_nc_u16 v97, v97, 0xe000
	v_lshrrev_b16 v90, 8, v90
	v_add_nc_u16 v119, v119, 0xe000
	v_add_nc_u16 v123, v123, 0xe000
	v_add_nc_u16 v98, v98, 0xe000
	v_add_nc_u16 v99, v99, 0xe000
	v_lshrrev_b16 v91, 8, v91
	v_add_nc_u16 v125, v125, 0xe000
	v_add_nc_u16 v127, v127, 0xe000
	v_or_b32_e32 v96, v103, v96
	v_lshrrev_b16 v102, 8, v102
	v_lshrrev_b16 v103, 8, v106
	v_or_b32_e32 v83, v107, v83
	v_lshrrev_b16 v106, 8, v108
	v_lshrrev_b16 v107, 8, v112
	v_lshrrev_b16 v88, 8, v88
	v_or_b32_e32 v84, v109, v84
	v_lshrrev_b16 v108, 8, v114
	v_lshrrev_b16 v109, 8, v116
	v_lshrrev_b16 v89, 8, v89
	v_lshrrev_b16 v97, 8, v97
	v_or_b32_e32 v90, v113, v90
	v_lshrrev_b16 v112, 8, v119
	;; [unrolled: 5-line block ×3, first 2 shown]
	v_lshrrev_b16 v115, 8, v127
	v_or_b32_e32 v102, v133, v102
	v_or_b32_e32 v103, v134, v103
	;; [unrolled: 1-line block ×15, first 2 shown]
	v_add_nc_u16 v96, v96, 0xe000
	v_add_nc_u16 v83, v83, 0xe000
	;; [unrolled: 1-line block ×20, first 2 shown]
	v_and_b32_e32 v96, 0xffff, v96
	v_and_b32_e32 v83, 0xffff, v83
	v_lshlrev_b32_e32 v102, 16, v102
	v_lshlrev_b32_e32 v103, 16, v103
	v_and_b32_e32 v84, 0xffff, v84
	v_and_b32_e32 v90, 0xffff, v90
	v_lshlrev_b32_e32 v106, 16, v106
	v_lshlrev_b32_e32 v107, 16, v107
	;; [unrolled: 4-line block ×5, first 2 shown]
	v_lshrrev_b32_e32 v129, 16, v100
	v_and_b32_e32 v130, 0x3f00, v100
	v_lshlrev_b16 v100, 8, v100
	v_lshrrev_b32_e32 v131, 16, v101
	v_or_b32_e32 v96, v96, v102
	v_or_b32_e32 v83, v83, v103
	;; [unrolled: 1-line block ×10, first 2 shown]
	v_and_b32_e32 v110, 0xf0f0f0f, v82
	v_lshlrev_b32_e32 v118, 4, v111
	v_and_b32_e32 v132, 0x3f00, v101
	v_lshlrev_b16 v101, 8, v101
	v_add_nc_u16 v100, v100, 0xe000
	ds_store_2addr_b32 v26, v96, v83 offset1:16
	ds_store_2addr_b32 v29, v84, v90 offset1:16
	;; [unrolled: 1-line block ×5, first 2 shown]
	v_lshlrev_b16 v83, 8, v131
	v_and_or_b32 v88, 0x30303030, v118, v110
	v_add_nc_u16 v101, v101, 0xe000
	v_lshrrev_b16 v100, 8, v100
	v_lshrrev_b32_e32 v99, 4, v82
	v_add_nc_u16 v83, v83, 0xe000
	v_lshlrev_b16 v89, 8, v88
	v_lshrrev_b16 v101, 8, v101
	v_or_b32_e32 v100, v130, v100
	v_and_b32_e32 v97, 0x3f00, v131
	v_lshrrev_b16 v98, 8, v83
	v_mad_u64_u32 v[82:83], null, 0xd2, v44, v[3:4]
	s_delay_alu instid0(VALU_DEP_4)
	v_add_nc_u16 v100, v100, 0xe000
	v_or_b32_e32 v84, v132, v101
	v_lshrrev_b32_e32 v96, 16, v88
	v_add_nc_u16 v89, v89, 0xe000
	v_and_b32_e32 v101, 0x30303030, v111
	v_and_b32_e32 v143, 0x3f00, v129
	v_lshlrev_b16 v129, 8, v129
	v_or_b32_e32 v97, v97, v98
	v_and_b32_e32 v98, 0x3f00, v88
	v_add_co_u32 v88, vcc_lo, v82, v18
	v_and_b32_e32 v90, 0xffff, v100
	v_lshlrev_b16 v100, 8, v96
	v_lshrrev_b16 v102, 8, v89
	v_and_or_b32 v99, 0xf0f0f0f, v99, v101
	v_add_co_ci_u32_e32 v89, vcc_lo, 0, v83, vcc_lo
	v_add_nc_u16 v129, v129, 0xe000
	v_add_co_u32 v82, vcc_lo, v82, v11
	v_add_nc_u16 v100, v100, 0xe000
	v_add_co_ci_u32_e32 v83, vcc_lo, 0, v83, vcc_lo
	global_load_b32 v101, v[88:89], off offset:128
	v_lshlrev_b16 v88, 8, v99
	v_lshrrev_b16 v116, 8, v129
	v_add_nc_u16 v84, v84, 0xe000
	v_and_b32_e32 v89, 0x3f00, v96
	v_lshrrev_b16 v96, 8, v100
	global_load_b32 v100, v[82:83], off
	v_add_nc_u16 v83, v88, 0xe000
	v_or_b32_e32 v116, v143, v116
	v_and_b32_e32 v82, 0xffff, v84
	v_add_nc_u16 v84, v97, 0xe000
	v_or_b32_e32 v89, v89, v96
	v_and_b32_e32 v96, 0x3f00, v99
	v_lshrrev_b16 v83, 8, v83
	v_add_nc_u16 v116, v116, 0xe000
	v_lshlrev_b32_e32 v84, 16, v84
	s_waitcnt vmcnt(14)
	v_ashrrev_i32_e32 v97, v24, v122
	v_or_b32_e32 v88, v98, v102
	v_or_b32_e32 v83, v96, v83
	v_lshlrev_b32_e32 v91, 16, v116
	v_or_b32_e32 v84, v82, v84
	v_add_nc_u16 v89, v89, 0xe000
	v_add_nc_u16 v88, v88, 0xe000
	;; [unrolled: 1-line block ×3, first 2 shown]
	v_mad_u64_u32 v[82:83], null, 0xd2, v48, v[3:4]
	v_or_b32_e32 v90, v90, v91
	v_lshrrev_b32_e32 v91, 16, v99
	v_and_b32_e32 v99, 0xf0f0f0f, v121
	v_lshlrev_b32_e32 v3, 4, v97
	v_and_b32_e32 v88, 0xffff, v88
	ds_store_2addr_b32 v34, v90, v84 offset1:16
	v_lshlrev_b32_e32 v89, 16, v89
	v_lshlrev_b16 v98, 8, v91
	v_and_or_b32 v90, 0x30303030, v3, v99
	v_add_co_u32 v3, vcc_lo, v82, v18
	v_add_co_ci_u32_e32 v4, vcc_lo, 0, v83, vcc_lo
	v_add_co_u32 v82, vcc_lo, v82, v11
	v_or_b32_e32 v84, v88, v89
	v_and_b32_e32 v88, 0xffff, v96
	v_add_co_ci_u32_e32 v83, vcc_lo, 0, v83, vcc_lo
	global_load_b32 v96, v[3:4], off offset:128
	v_add_nc_u16 v89, v98, 0xe000
	v_lshrrev_b32_e32 v3, 16, v90
	global_load_b32 v98, v[82:83], off
	v_and_b32_e32 v4, 0x3f00, v91
	v_lshlrev_b16 v91, 8, v90
	v_lshrrev_b16 v82, 8, v89
	v_lshlrev_b16 v83, 8, v3
	v_lshrrev_b32_e32 v89, 4, v121
	v_and_b32_e32 v97, 0x30303030, v97
	v_add_nc_u16 v91, v91, 0xe000
	v_or_b32_e32 v4, v4, v82
	v_add_nc_u16 v82, v83, 0xe000
	v_and_b32_e32 v83, 0x3f00, v90
	v_and_or_b32 v89, 0xf0f0f0f, v89, v97
	v_lshrrev_b16 v90, 8, v91
	v_and_b32_e32 v3, 0x3f00, v3
	v_lshrrev_b16 v82, 8, v82
	v_add_nc_u16 v4, v4, 0xe000
	v_lshlrev_b16 v91, 8, v89
	v_or_b32_e32 v83, v83, v90
	v_lshrrev_b32_e32 v90, 16, v89
	v_or_b32_e32 v3, v3, v82
	v_and_b32_e32 v89, 0x3f00, v89
	v_add_nc_u16 v82, v91, 0xe000
	v_add_nc_u16 v83, v83, 0xe000
	v_lshlrev_b16 v91, 8, v90
	v_add_nc_u16 v3, v3, 0xe000
	v_lshlrev_b32_e32 v4, 16, v4
	v_lshrrev_b16 v82, 8, v82
	v_and_b32_e32 v83, 0xffff, v83
	v_add_nc_u16 v91, v91, 0xe000
	v_lshlrev_b32_e32 v3, 16, v3
	s_waitcnt vmcnt(14)
	v_ashrrev_i32_e32 v97, v24, v105
	v_or_b32_e32 v82, v89, v82
	v_and_b32_e32 v89, 0x3f00, v90
	v_lshrrev_b16 v90, 8, v91
	v_or_b32_e32 v102, v88, v4
	v_or_b32_e32 v103, v83, v3
	v_add_nc_u16 v88, v82, 0xe000
	v_mad_u64_u32 v[3:4], null, 0xd2, v20, s[14:15]
	v_add_co_u32 v82, s14, s14, v14
	v_or_b32_e32 v89, v89, v90
	v_add_co_ci_u32_e64 v83, null, s15, 0, s14
	v_and_b32_e32 v91, 0xf0f0f0f, v104
	v_lshlrev_b32_e32 v99, 4, v97
	v_and_b32_e32 v105, 0xffff, v88
	v_add_nc_u16 v106, v89, 0xe000
	v_mad_u64_u32 v[88:89], null, 0xd2, v22, v[82:83]
	s_delay_alu instid0(VALU_DEP_4)
	v_and_or_b32 v99, 0x30303030, v99, v91
	v_mad_u64_u32 v[90:91], null, 0xd2, v51, v[82:83]
	s_clause 0x2
	global_load_u16 v3, v[3:4], off offset:208
	global_load_b32 v88, v[88:89], off offset:192
	global_load_b32 v89, v[90:91], off offset:192
	v_lshlrev_b16 v107, 8, v99
	v_lshlrev_b32_e32 v4, 16, v106
	v_lshrrev_b32_e32 v82, 4, v104
	v_and_b32_e32 v83, 0x30303030, v97
	v_lshrrev_b32_e32 v97, 16, v99
	v_add_nc_u16 v104, v107, 0xe000
	v_or_b32_e32 v4, v105, v4
	v_and_b32_e32 v91, 0x3f00, v99
	v_and_or_b32 v82, 0xf0f0f0f, v82, v83
	v_lshlrev_b16 v90, 8, v97
	v_lshrrev_b16 v83, 8, v104
	ds_store_2addr_b32 v35, v84, v102 offset1:16
	ds_store_2addr_b32 v36, v103, v4 offset1:16
	v_lshrrev_b32_e32 v4, 16, v82
	v_add_nc_u16 v84, v90, 0xe000
	v_or_b32_e32 v83, v91, v83
	v_and_b32_e32 v90, 0x3f00, v97
	v_lshlrev_b16 v91, 8, v82
	v_lshlrev_b16 v97, 8, v4
	v_lshrrev_b16 v84, 8, v84
	s_waitcnt vmcnt(15)
	v_ashrrev_i32_e32 v95, v24, v95
	v_and_b32_e32 v4, 0x3f00, v4
	v_and_b32_e32 v82, 0x3f00, v82
	v_add_nc_u16 v83, v83, 0xe000
	v_or_b32_e32 v84, v90, v84
	v_add_nc_u16 v90, v91, 0xe000
	v_add_nc_u16 v91, v97, 0xe000
	v_and_b32_e32 v97, 0xf0f0f0f, v94
	v_lshlrev_b32_e32 v99, 4, v95
	v_add_nc_u16 v84, v84, 0xe000
	v_lshrrev_b16 v90, 8, v90
	v_lshrrev_b16 v91, 8, v91
	v_lshrrev_b32_e32 v94, 4, v94
	v_and_or_b32 v97, 0x30303030, v99, v97
	v_and_b32_e32 v95, 0x30303030, v95
	v_or_b32_e32 v82, v82, v90
	v_or_b32_e32 v4, v4, v91
	v_and_b32_e32 v83, 0xffff, v83
	v_lshrrev_b32_e32 v91, 16, v97
	v_lshlrev_b16 v90, 8, v97
	v_lshlrev_b32_e32 v84, 16, v84
	v_add_nc_u16 v82, v82, 0xe000
	v_add_nc_u16 v4, v4, 0xe000
	v_lshlrev_b16 v99, 8, v91
	v_add_nc_u16 v90, v90, 0xe000
	v_and_or_b32 v94, 0xf0f0f0f, v94, v95
	v_and_b32_e32 v97, 0x3f00, v97
	v_and_b32_e32 v82, 0xffff, v82
	v_add_nc_u16 v99, v99, 0xe000
	v_lshrrev_b16 v90, 8, v90
	v_lshlrev_b32_e32 v4, 16, v4
	v_and_b32_e32 v91, 0x3f00, v91
	v_or_b32_e32 v83, v83, v84
	v_lshrrev_b16 v95, 8, v99
	v_lshrrev_b32_e32 v84, 16, v94
	v_or_b32_e32 v90, v97, v90
	v_or_b32_e32 v4, v82, v4
	s_waitcnt vmcnt(13)
	v_ashrrev_i32_e32 v93, v24, v93
	v_or_b32_e32 v82, v91, v95
	v_lshlrev_b16 v95, 8, v84
	v_add_nc_u16 v90, v90, 0xe000
	v_lshlrev_b16 v91, 8, v94
	v_and_b32_e32 v97, 0xf0f0f0f, v92
	v_add_nc_u16 v82, v82, 0xe000
	v_add_nc_u16 v95, v95, 0xe000
	v_lshlrev_b32_e32 v99, 4, v93
	v_and_b32_e32 v90, 0xffff, v90
	v_add_nc_u16 v91, v91, 0xe000
	v_and_b32_e32 v84, 0x3f00, v84
	v_lshrrev_b16 v95, 8, v95
	v_and_or_b32 v97, 0x30303030, v99, v97
	v_lshlrev_b32_e32 v82, 16, v82
	v_and_b32_e32 v94, 0x3f00, v94
	v_lshrrev_b16 v91, 8, v91
	ds_store_2addr_b32 v38, v83, v4 offset1:16
	v_or_b32_e32 v83, v84, v95
	v_lshlrev_b16 v84, 8, v97
	v_or_b32_e32 v82, v90, v82
	v_lshrrev_b32_e32 v90, 16, v97
	v_or_b32_e32 v4, v94, v91
	v_lshrrev_b32_e32 v91, 4, v92
	v_add_nc_u16 v84, v84, 0xe000
	v_and_b32_e32 v93, 0x30303030, v93
	v_lshlrev_b16 v92, 8, v90
	v_add_nc_u16 v4, v4, 0xe000
	v_add_nc_u16 v83, v83, 0xe000
	v_and_b32_e32 v94, 0x3f00, v97
	v_lshrrev_b16 v84, 8, v84
	v_add_nc_u16 v92, v92, 0xe000
	v_and_or_b32 v91, 0xf0f0f0f, v91, v93
	v_and_b32_e32 v4, 0xffff, v4
	v_lshlrev_b32_e32 v83, 16, v83
	v_or_b32_e32 v84, v94, v84
	v_and_b32_e32 v90, 0x3f00, v90
	v_lshrrev_b16 v92, 8, v92
	v_lshrrev_b32_e32 v93, 16, v91
	v_or_b32_e32 v4, v4, v83
	v_lshlrev_b16 v83, 8, v91
	v_add_nc_u16 v84, v84, 0xe000
	v_or_b32_e32 v90, v90, v92
	v_lshlrev_b16 v92, 8, v93
	ds_store_2addr_b32 v39, v82, v4 offset1:16
	v_add_nc_u16 v4, v83, 0xe000
	v_and_b32_e32 v82, 0xffff, v84
	s_waitcnt vmcnt(11)
	v_ashrrev_i32_e32 v87, v24, v87
	v_add_nc_u16 v84, v92, 0xe000
	v_add_nc_u16 v83, v90, 0xe000
	v_and_b32_e32 v90, 0x3f00, v91
	v_lshrrev_b16 v4, 8, v4
	v_and_b32_e32 v91, 0x3f00, v93
	v_lshrrev_b16 v84, 8, v84
	v_and_b32_e32 v92, 0xf0f0f0f, v86
	v_lshlrev_b32_e32 v93, 4, v87
	v_lshlrev_b32_e32 v83, 16, v83
	v_or_b32_e32 v4, v90, v4
	v_or_b32_e32 v84, v91, v84
	v_lshrrev_b32_e32 v86, 4, v86
	v_and_b32_e32 v87, 0x30303030, v87
	v_and_or_b32 v90, 0x30303030, v93, v92
	v_or_b32_e32 v82, v82, v83
	v_add_nc_u16 v83, v84, 0xe000
	s_waitcnt vmcnt(9)
	v_ashrrev_i32_e32 v85, v24, v85
	v_and_or_b32 v84, 0xf0f0f0f, v86, v87
	v_lshrrev_b32_e32 v86, 16, v90
	v_lshlrev_b16 v87, 8, v90
	v_and_b32_e32 v90, 0x3f00, v90
	v_add_nc_u16 v4, v4, 0xe000
	v_lshrrev_b32_e32 v91, 16, v84
	v_lshlrev_b16 v92, 8, v86
	v_add_nc_u16 v87, v87, 0xe000
	v_lshlrev_b16 v93, 8, v84
	v_and_b32_e32 v86, 0x3f00, v86
	v_lshlrev_b16 v94, 8, v91
	v_add_nc_u16 v92, v92, 0xe000
	v_lshrrev_b16 v87, 8, v87
	v_add_nc_u16 v93, v93, 0xe000
	v_and_b32_e32 v84, 0x3f00, v84
	v_add_nc_u16 v94, v94, 0xe000
	v_lshrrev_b16 v92, 8, v92
	v_and_b32_e32 v91, 0x3f00, v91
	v_lshrrev_b16 v93, 8, v93
	v_or_b32_e32 v87, v90, v87
	v_lshrrev_b16 v94, 8, v94
	v_or_b32_e32 v86, v86, v92
	v_lshlrev_b32_e32 v92, 4, v85
	v_or_b32_e32 v84, v84, v93
	v_add_nc_u16 v87, v87, 0xe000
	v_or_b32_e32 v90, v91, v94
	v_and_b32_e32 v91, 0xf0f0f0f, v81
	v_add_nc_u16 v86, v86, 0xe000
	v_and_b32_e32 v4, 0xffff, v4
	v_lshlrev_b32_e32 v83, 16, v83
	v_add_nc_u16 v84, v84, 0xe000
	v_add_nc_u16 v90, v90, 0xe000
	v_and_or_b32 v91, 0x30303030, v92, v91
	v_and_b32_e32 v87, 0xffff, v87
	v_lshlrev_b32_e32 v86, 16, v86
	v_and_b32_e32 v84, 0xffff, v84
	v_lshlrev_b32_e32 v90, 16, v90
	v_or_b32_e32 v4, v4, v83
	v_lshrrev_b32_e32 v81, 4, v81
	v_or_b32_e32 v83, v87, v86
	v_lshrrev_b32_e32 v86, 16, v91
	v_and_b32_e32 v85, 0x30303030, v85
	v_lshlrev_b16 v92, 8, v91
	v_or_b32_e32 v84, v84, v90
	ds_store_2addr_b32 v40, v82, v4 offset1:16
	v_lshlrev_b16 v90, 8, v86
	v_and_or_b32 v4, 0xf0f0f0f, v81, v85
	v_add_nc_u16 v87, v92, 0xe000
	ds_store_2addr_b32 v42, v83, v84 offset1:16
	v_and_b32_e32 v91, 0x3f00, v91
	v_add_nc_u16 v81, v90, 0xe000
	v_lshrrev_b32_e32 v84, 16, v4
	v_lshrrev_b16 v87, 8, v87
	v_and_b32_e32 v83, 0x3f00, v86
	v_lshlrev_b16 v85, 8, v4
	v_lshrrev_b16 v81, 8, v81
	s_waitcnt vmcnt(7)
	v_ashrrev_i32_e32 v80, v24, v80
	v_lshlrev_b16 v86, 8, v84
	v_or_b32_e32 v82, v91, v87
	v_and_b32_e32 v4, 0x3f00, v4
	v_or_b32_e32 v81, v83, v81
	v_add_nc_u16 v83, v85, 0xe000
	v_and_b32_e32 v85, 0xf0f0f0f, v79
	v_lshlrev_b32_e32 v87, 4, v80
	v_add_nc_u16 v86, v86, 0xe000
	v_and_b32_e32 v84, 0x3f00, v84
	v_lshrrev_b16 v83, 8, v83
	v_lshrrev_b32_e32 v79, 4, v79
	v_and_or_b32 v85, 0x30303030, v87, v85
	v_lshrrev_b16 v86, 8, v86
	v_and_b32_e32 v80, 0x30303030, v80
	v_or_b32_e32 v4, v4, v83
	v_add_nc_u16 v82, v82, 0xe000
	v_lshrrev_b32_e32 v83, 16, v85
	v_or_b32_e32 v84, v84, v86
	v_lshlrev_b16 v86, 8, v85
	v_add_nc_u16 v4, v4, 0xe000
	v_and_b32_e32 v85, 0x3f00, v85
	v_lshlrev_b16 v87, 8, v83
	v_add_nc_u16 v84, v84, 0xe000
	v_add_nc_u16 v86, v86, 0xe000
	v_and_or_b32 v79, 0xf0f0f0f, v79, v80
	v_add_nc_u16 v81, v81, 0xe000
	v_add_nc_u16 v87, v87, 0xe000
	v_and_b32_e32 v83, 0x3f00, v83
	v_lshrrev_b16 v86, 8, v86
	v_and_b32_e32 v4, 0xffff, v4
	v_lshlrev_b32_e32 v84, 16, v84
	v_lshrrev_b16 v80, 8, v87
	v_and_b32_e32 v82, 0xffff, v82
	v_or_b32_e32 v85, v85, v86
	v_lshlrev_b16 v86, 8, v79
	v_lshlrev_b32_e32 v81, 16, v81
	v_or_b32_e32 v80, v83, v80
	v_or_b32_e32 v4, v4, v84
	s_waitcnt vmcnt(6)
	v_ashrrev_i32_e32 v84, v24, v101
	v_add_nc_u16 v83, v86, 0xe000
	v_or_b32_e32 v81, v82, v81
	v_add_nc_u16 v82, v85, 0xe000
	v_add_nc_u16 v80, v80, 0xe000
	v_lshrrev_b32_e32 v85, 16, v79
	v_and_b32_e32 v79, 0x3f00, v79
	v_lshrrev_b16 v83, 8, v83
	s_waitcnt vmcnt(5)
	v_and_b32_e32 v86, 0xf0f0f0f, v100
	v_lshlrev_b32_e32 v87, 4, v84
	v_and_b32_e32 v82, 0xffff, v82
	v_lshlrev_b32_e32 v80, 16, v80
	v_or_b32_e32 v79, v79, v83
	v_lshlrev_b16 v83, 8, v85
	v_and_or_b32 v86, 0x30303030, v87, v86
	ds_store_2addr_b32 v43, v81, v4 offset1:16
	v_or_b32_e32 v4, v82, v80
	v_lshrrev_b32_e32 v82, 4, v100
	v_add_nc_u16 v80, v83, 0xe000
	v_lshlrev_b16 v81, 8, v86
	v_and_b32_e32 v83, 0x30303030, v84
	v_and_b32_e32 v84, 0x3f00, v85
	v_lshrrev_b32_e32 v85, 16, v86
	v_lshrrev_b16 v80, 8, v80
	v_add_nc_u16 v81, v81, 0xe000
	v_and_or_b32 v82, 0xf0f0f0f, v82, v83
	v_and_b32_e32 v83, 0x3f00, v86
	v_lshlrev_b16 v86, 8, v85
	v_or_b32_e32 v80, v84, v80
	v_lshrrev_b16 v81, 8, v81
	v_lshlrev_b16 v84, 8, v82
	v_add_nc_u16 v79, v79, 0xe000
	v_add_nc_u16 v86, v86, 0xe000
	;; [unrolled: 1-line block ×3, first 2 shown]
	v_or_b32_e32 v81, v83, v81
	v_add_nc_u16 v83, v84, 0xe000
	v_and_b32_e32 v84, 0x3f00, v85
	v_lshrrev_b16 v85, 8, v86
	v_and_b32_e32 v86, 0x3f00, v82
	v_lshrrev_b32_e32 v82, 16, v82
	v_lshrrev_b16 v83, 8, v83
	v_add_nc_u16 v81, v81, 0xe000
	v_or_b32_e32 v84, v84, v85
	s_waitcnt vmcnt(4)
	v_ashrrev_i32_e32 v85, v24, v96
	s_waitcnt vmcnt(3)
	v_lshrrev_b32_e32 v91, 4, v98
	v_or_b32_e32 v83, v86, v83
	v_and_b32_e32 v86, 0xf0f0f0f, v98
	v_lshlrev_b16 v90, 8, v82
	v_lshlrev_b32_e32 v87, 4, v85
	v_and_b32_e32 v85, 0x30303030, v85
	v_and_b32_e32 v82, 0x3f00, v82
	v_add_nc_u16 v84, v84, 0xe000
	v_add_nc_u16 v83, v83, 0xe000
	v_and_or_b32 v86, 0x30303030, v87, v86
	v_and_or_b32 v85, 0xf0f0f0f, v91, v85
	v_add_nc_u16 v87, v90, 0xe000
	v_and_b32_e32 v79, 0xffff, v79
	v_lshlrev_b32_e32 v80, 16, v80
	v_lshrrev_b32_e32 v90, 16, v86
	v_lshrrev_b32_e32 v92, 16, v85
	v_lshlrev_b16 v91, 8, v86
	v_lshlrev_b16 v94, 8, v85
	v_lshrrev_b16 v87, 8, v87
	v_lshlrev_b16 v93, 8, v90
	v_lshlrev_b16 v95, 8, v92
	v_add_nc_u16 v91, v91, 0xe000
	v_add_nc_u16 v94, v94, 0xe000
	v_and_b32_e32 v86, 0x3f00, v86
	v_add_nc_u16 v93, v93, 0xe000
	v_add_nc_u16 v95, v95, 0xe000
	v_lshrrev_b16 v91, 8, v91
	v_and_b32_e32 v90, 0x3f00, v90
	v_and_b32_e32 v85, 0x3f00, v85
	v_lshrrev_b16 v93, 8, v93
	v_lshrrev_b16 v94, 8, v94
	v_and_b32_e32 v92, 0x3f00, v92
	v_lshrrev_b16 v95, 8, v95
	v_or_b32_e32 v82, v82, v87
	v_or_b32_e32 v86, v86, v91
	;; [unrolled: 1-line block ×5, first 2 shown]
	v_add_nc_u16 v82, v82, 0xe000
	v_add_nc_u16 v86, v86, 0xe000
	;; [unrolled: 1-line block ×5, first 2 shown]
	v_and_b32_e32 v81, 0xffff, v81
	v_lshlrev_b32_e32 v84, 16, v84
	v_and_b32_e32 v83, 0xffff, v83
	v_lshlrev_b32_e32 v82, 16, v82
	v_and_b32_e32 v86, 0xffff, v86
	v_lshlrev_b32_e32 v87, 16, v87
	v_and_b32_e32 v85, 0xffff, v85
	v_lshlrev_b32_e32 v90, 16, v90
	v_or_b32_e32 v79, v79, v80
	v_or_b32_e32 v80, v81, v84
	;; [unrolled: 1-line block ×5, first 2 shown]
	s_waitcnt vmcnt(2)
	v_cvt_f32_f16_e32 v3, v3
	s_lshl_b32 s15, s17, 8
	ds_store_2addr_b32 v45, v4, v79 offset1:16
	s_cmp_lt_i32 s15, s11
	ds_store_2addr_b32 v46, v80, v81 offset1:16
	ds_store_2addr_b32 v47, v82, v83 offset1:16
	ds_store_b32 v27, v3
	s_waitcnt vmcnt(1)
	ds_store_b32 v50, v88
	s_waitcnt vmcnt(0)
	ds_store_b32 v52, v89
	s_cbranch_scc0 .LBB195_4
; %bb.6:                                ;   in Loop: Header=BB195_5 Depth=1
	s_lshl_b32 s14, s17, 3
	s_delay_alu instid0(SALU_CYCLE_1) | instskip(NEXT) | instid1(VALU_DEP_1)
	v_add_nc_u32_e32 v3, s14, v57
	v_cmp_gt_i32_e32 vcc_lo, s5, v3
	s_and_b32 s21, s1, vcc_lo
	s_delay_alu instid0(SALU_CYCLE_1)
	s_and_saveexec_b32 s20, s21
	s_cbranch_execz .LBB195_8
; %bb.7:                                ;   in Loop: Header=BB195_5 Depth=1
	v_add_nc_u32_e32 v79, v65, v3
	s_delay_alu instid0(VALU_DEP_1)
	v_mad_i64_i32 v[3:4], null, v79, 36, v[0:1]
	global_load_b32 v3, v[3:4], off offset:4
	s_waitcnt vmcnt(0)
	ds_store_b32 v53, v3
.LBB195_8:                              ;   in Loop: Header=BB195_5 Depth=1
	s_or_b32 exec_lo, exec_lo, s20
	s_and_saveexec_b32 s20, s0
	s_cbranch_execz .LBB195_11
; %bb.9:                                ;   in Loop: Header=BB195_5 Depth=1
	v_or_b32_e32 v3, s14, v6
	s_delay_alu instid0(VALU_DEP_1) | instskip(SKIP_1) | instid1(SALU_CYCLE_1)
	v_cmp_gt_i32_e32 vcc_lo, s5, v3
	s_and_b32 s21, s1, vcc_lo
	s_and_b32 exec_lo, exec_lo, s21
	s_cbranch_execz .LBB195_11
; %bb.10:                               ;   in Loop: Header=BB195_5 Depth=1
	v_add_nc_u32_e32 v79, v65, v3
	s_delay_alu instid0(VALU_DEP_1)
	v_mad_i64_i32 v[3:4], null, v79, 36, s[2:3]
	global_load_b32 v3, v[3:4], off
	s_waitcnt vmcnt(0)
	v_cvt_f32_f16_e32 v3, v3
	ds_store_b32 v56, v3
.LBB195_11:                             ;   in Loop: Header=BB195_5 Depth=1
	s_or_b32 exec_lo, exec_lo, s20
	s_waitcnt lgkmcnt(0)
	s_barrier
	buffer_gl0_inv
	ds_load_b32 v3, v58
	ds_load_b32 v4, v59 offset:128
	ds_load_b32 v79, v60 offset:256
	;; [unrolled: 1-line block ×3, first 2 shown]
	s_mov_b32 s21, 0
	s_mov_b32 s20, -1
.LBB195_12:                             ;   Parent Loop BB195_5 Depth=1
                                        ; =>  This Inner Loop Header: Depth=2
	v_lshl_or_b32 v81, s21, 1, v9
	s_lshr_b32 s22, s21, 1
	s_lshl_b32 s21, s21, 3
	v_add_nc_u32_e32 v93, s22, v62
	v_add_nc_u32_e32 v82, s21, v63
	;; [unrolled: 1-line block ×8, first 2 shown]
	v_lshlrev_b32_e32 v94, 2, v81
	v_lshrrev_b32_e32 v161, 1, v81
	ds_load_2addr_b32 v[97:98], v82 offset0:10 offset1:11
	ds_load_2addr_b32 v[99:100], v82 offset0:8 offset1:9
	;; [unrolled: 1-line block ×5, first 2 shown]
	ds_load_2addr_b32 v[107:108], v82 offset1:1
	ds_load_2addr_b32 v[109:110], v84 offset1:1
	ds_load_b32 v163, v83
	ds_load_2addr_b32 v[111:112], v82 offset0:14 offset1:15
	ds_load_2addr_b32 v[113:114], v82 offset0:12 offset1:13
	;; [unrolled: 1-line block ×6, first 2 shown]
	ds_load_b32 v164, v85
	ds_load_2addr_b32 v[123:124], v84 offset0:14 offset1:15
	ds_load_2addr_b32 v[125:126], v84 offset0:12 offset1:13
	;; [unrolled: 1-line block ×6, first 2 shown]
	ds_load_2addr_b32 v[135:136], v86 offset1:1
	ds_load_2addr_b32 v[137:138], v86 offset0:14 offset1:15
	ds_load_2addr_b32 v[139:140], v86 offset0:12 offset1:13
	;; [unrolled: 1-line block ×7, first 2 shown]
	ds_load_2addr_b32 v[151:152], v88 offset1:1
	ds_load_b32 v165, v87
	ds_load_2addr_b32 v[153:154], v88 offset0:14 offset1:15
	ds_load_2addr_b32 v[155:156], v88 offset0:12 offset1:13
	ds_load_2addr_b32 v[157:158], v88 offset0:10 offset1:11
	ds_load_2addr_b32 v[159:160], v88 offset0:8 offset1:9
	ds_load_b128 v[81:84], v94 offset:35440
	ds_load_b128 v[85:88], v94 offset:35424
	;; [unrolled: 1-line block ×3, first 2 shown]
	ds_load_b32 v166, v93
	ds_load_b128 v[93:96], v94 offset:35392
	ds_load_b64 v[161:162], v161 offset:36944
	s_waitcnt lgkmcnt(33)
	v_bfe_i32 v167, v163, 8, 8
	v_bfe_i32 v168, v163, 0, 8
	;; [unrolled: 1-line block ×3, first 2 shown]
	v_ashrrev_i32_e32 v163, 24, v163
	s_waitcnt lgkmcnt(26)
	v_bfe_i32 v170, v164, 8, 8
	v_bfe_i32 v171, v164, 0, 8
	;; [unrolled: 1-line block ×3, first 2 shown]
	v_ashrrev_i32_e32 v164, 24, v164
	s_mov_b32 s21, 8
	s_waitcnt lgkmcnt(10)
	v_bfe_i32 v173, v165, 8, 8
	v_bfe_i32 v174, v165, 0, 8
	;; [unrolled: 1-line block ×3, first 2 shown]
	v_ashrrev_i32_e32 v165, 24, v165
	s_and_b32 vcc_lo, exec_lo, s20
	s_waitcnt lgkmcnt(5)
	v_dot4_i32_iu8 v111, v111, v83, 0 neg_lo:[1,1,0]
	s_waitcnt lgkmcnt(4)
	v_dot4_i32_iu8 v97, v97, v87, 0 neg_lo:[1,1,0]
	s_waitcnt lgkmcnt(3)
	v_dot4_i32_iu8 v101, v101, v91, 0 neg_lo:[1,1,0]
	v_dot4_i32_iu8 v123, v123, v83, 0 neg_lo:[1,1,0]
	s_waitcnt lgkmcnt(1)
	v_dot4_i32_iu8 v105, v105, v95, 0 neg_lo:[1,1,0]
	v_dot4_i32_iu8 v117, v117, v91, 0 neg_lo:[1,1,0]
	;; [unrolled: 1-line block ×40, first 2 shown]
	v_bfe_i32 v176, v166, 8, 8
	v_bfe_i32 v177, v166, 0, 8
	;; [unrolled: 1-line block ×3, first 2 shown]
	v_ashrrev_i32_e32 v166, 24, v166
	v_dot4_i32_iu8 v95, v108, v94, v101 neg_lo:[1,1,0]
	v_dot4_i32_iu8 v101, v110, v94, v109 neg_lo:[1,1,0]
	;; [unrolled: 1-line block ×18, first 2 shown]
	v_mul_lo_u32 v81, v87, v176
	v_mul_lo_u32 v82, v86, v166
	;; [unrolled: 1-line block ×4, first 2 shown]
	v_dot4_i32_iu8 v92, v150, v96, v85 neg_lo:[1,1,0]
	v_mul_lo_u32 v85, v99, v170
	v_mul_lo_u32 v86, v97, v164
	;; [unrolled: 1-line block ×4, first 2 shown]
	v_dot4_i32_iu8 v100, v134, v96, v107 neg_lo:[1,1,0]
	v_mad_u64_u32 v[89:90], null, v91, v177, v[81:82]
	v_mad_u64_u32 v[90:91], null, v94, v178, v[82:83]
	;; [unrolled: 1-line block ×8, first 2 shown]
	v_cvt_f32_i32_e32 v87, v89
	v_cvt_f32_i32_e32 v81, v81
	v_cvt_f32_i32_e32 v83, v83
	v_cvt_f32_i32_e32 v88, v90
	v_cvt_f32_i32_e32 v85, v85
	v_cvt_f32_i32_e32 v82, v82
	v_cvt_f32_i32_e32 v84, v84
	v_cvt_f32_i32_e32 v86, v86
	s_waitcnt lgkmcnt(0)
	v_fma_f32 v87, v161, v87, 0
	v_fma_f32 v81, v161, v81, 0
	;; [unrolled: 1-line block ×4, first 2 shown]
	s_mov_b32 s20, 0
	v_fmac_f32_e32 v87, v162, v88
	v_fmac_f32_e32 v81, v162, v82
	;; [unrolled: 1-line block ×4, first 2 shown]
	s_delay_alu instid0(VALU_DEP_4) | instskip(NEXT) | instid1(VALU_DEP_4)
	v_fmac_f32_e32 v7, v3, v87
	v_fmac_f32_e32 v55, v4, v81
	s_delay_alu instid0(VALU_DEP_3)
	v_dual_fmac_f32 v49, v79, v83 :: v_dual_fmac_f32 v2, v80, v85
	s_cbranch_vccnz .LBB195_12
; %bb.13:                               ;   in Loop: Header=BB195_5 Depth=1
	s_bitset1_b32 s15, 7
	s_delay_alu instid0(SALU_CYCLE_1)
	s_cmp_ge_i32 s15, s11
	s_barrier
	buffer_gl0_inv
	s_cbranch_scc1 .LBB195_4
; %bb.14:                               ;   in Loop: Header=BB195_5 Depth=1
	v_add_nc_u32_e32 v3, s14, v54
	s_delay_alu instid0(VALU_DEP_1) | instskip(SKIP_1) | instid1(SALU_CYCLE_1)
	v_cmp_gt_i32_e32 vcc_lo, s5, v3
	s_and_b32 s20, s1, vcc_lo
	s_and_saveexec_b32 s15, s20
	s_cbranch_execz .LBB195_16
; %bb.15:                               ;   in Loop: Header=BB195_5 Depth=1
	v_add_nc_u32_e32 v79, v65, v3
	s_delay_alu instid0(VALU_DEP_1)
	v_mad_i64_i32 v[3:4], null, v79, 36, v[0:1]
	global_load_b32 v3, v[3:4], off offset:4
	s_waitcnt vmcnt(0)
	ds_store_b32 v53, v3
.LBB195_16:                             ;   in Loop: Header=BB195_5 Depth=1
	s_or_b32 exec_lo, exec_lo, s15
	s_and_saveexec_b32 s15, s0
	s_cbranch_execz .LBB195_19
; %bb.17:                               ;   in Loop: Header=BB195_5 Depth=1
	v_or_b32_e32 v3, s14, v6
	s_delay_alu instid0(VALU_DEP_1) | instskip(NEXT) | instid1(VALU_DEP_1)
	v_or_b32_e32 v4, 4, v3
	v_cmp_gt_i32_e32 vcc_lo, s5, v4
	s_and_b32 s14, s1, vcc_lo
	s_delay_alu instid0(SALU_CYCLE_1)
	s_and_b32 exec_lo, exec_lo, s14
	s_cbranch_execz .LBB195_19
; %bb.18:                               ;   in Loop: Header=BB195_5 Depth=1
	v_ashrrev_i32_e32 v4, 31, v3
	v_add_co_u32 v79, vcc_lo, v65, v3
	s_delay_alu instid0(VALU_DEP_2) | instskip(NEXT) | instid1(VALU_DEP_2)
	v_add_co_ci_u32_e32 v80, vcc_lo, v71, v4, vcc_lo
	v_mad_u64_u32 v[3:4], null, v79, 36, s[12:13]
	s_delay_alu instid0(VALU_DEP_1)
	v_mad_i32_i24 v4, v80, 36, v4
	global_load_b32 v3, v[3:4], off
	s_waitcnt vmcnt(0)
	v_cvt_f32_f16_e32 v3, v3
	ds_store_b32 v56, v3
.LBB195_19:                             ;   in Loop: Header=BB195_5 Depth=1
	s_or_b32 exec_lo, exec_lo, s15
	s_waitcnt lgkmcnt(0)
	s_barrier
	buffer_gl0_inv
	ds_load_b32 v3, v58
	ds_load_b32 v4, v59 offset:128
	ds_load_b32 v79, v60 offset:256
	;; [unrolled: 1-line block ×3, first 2 shown]
	v_dual_mov_b32 v81, v78 :: v_dual_mov_b32 v82, v77
	v_dual_mov_b32 v83, v76 :: v_dual_mov_b32 v84, v75
	;; [unrolled: 1-line block ×3, first 2 shown]
	v_mov_b32_e32 v87, v72
	s_mov_b32 s14, 8
.LBB195_20:                             ;   Parent Loop BB195_5 Depth=1
                                        ; =>  This Inner Loop Header: Depth=2
	ds_load_b128 v[88:91], v85
	ds_load_b128 v[92:95], v85 offset:16
	ds_load_b128 v[96:99], v85 offset:32
	;; [unrolled: 1-line block ×3, first 2 shown]
	ds_load_b64 v[104:105], v86
	ds_load_2addr_b32 v[106:107], v87 offset0:6 offset1:7
	ds_load_2addr_b32 v[108:109], v87 offset0:4 offset1:5
	;; [unrolled: 1-line block ×3, first 2 shown]
	ds_load_2addr_b32 v[112:113], v87 offset1:1
	ds_load_2addr_b32 v[114:115], v87 offset0:14 offset1:15
	ds_load_2addr_b32 v[116:117], v87 offset0:12 offset1:13
	;; [unrolled: 1-line block ×4, first 2 shown]
	v_add_nc_u32_e32 v122, 0x2090, v87
	v_add_nc_u32_e32 v124, 0x2088, v87
	v_add_nc_u32_e32 v126, 0x2098, v87
	v_add_nc_u32_e32 v128, 0x2080, v87
	v_add_nc_u32_e32 v130, 0x20b8, v87
	v_add_nc_u32_e32 v132, 0x20b0, v87
	v_add_nc_u32_e32 v134, 0x20a8, v87
	v_add_nc_u32_e32 v136, 0x20a0, v87
	v_add_nc_u32_e32 v144, 0x4100, v87
	v_add_nc_u32_e32 v142, 0x4118, v87
	v_add_nc_u32_e32 v138, 0x4110, v87
	v_add_nc_u32_e32 v140, 0x4108, v87
	v_add_nc_u32_e32 v146, 0x4138, v87
	v_add_nc_u32_e32 v148, 0x4130, v87
	v_add_nc_u32_e32 v150, 0x4128, v87
	v_add_nc_u32_e32 v152, 0x4120, v87
	v_add_nc_u32_e32 v160, 0x6180, v87
	v_add_nc_u32_e32 v158, 0x6198, v87
	v_add_nc_u32_e32 v154, 0x6190, v87
	v_add_nc_u32_e32 v156, 0x6188, v87
	v_add_nc_u32_e32 v162, 0x61b8, v87
	v_add_nc_u32_e32 v164, 0x61b0, v87
	v_add_nc_u32_e32 v166, 0x61a8, v87
	v_add_nc_u32_e32 v168, 0x61a0, v87
	ds_load_b32 v170, v81
	ds_load_b32 v171, v82
	ds_load_b32 v172, v83
	ds_load_b32 v173, v84
	ds_load_2addr_b32 v[122:123], v122 offset1:1
	ds_load_2addr_b32 v[124:125], v124 offset1:1
	;; [unrolled: 1-line block ×24, first 2 shown]
	s_waitcnt lgkmcnt(31)
	v_dot4_i32_iu8 v114, v114, v102, 0 neg_lo:[1,1,0]
	s_waitcnt lgkmcnt(29)
	v_dot4_i32_iu8 v118, v118, v98, 0 neg_lo:[1,1,0]
	v_dot4_i32_iu8 v106, v106, v94, 0 neg_lo:[1,1,0]
	;; [unrolled: 1-line block ×3, first 2 shown]
	v_add_nc_u32_e32 v86, 8, v86
	v_dot4_i32_iu8 v114, v116, v100, v114 neg_lo:[1,1,0]
	s_waitcnt lgkmcnt(28)
	v_dot4_i32_iu8 v116, v120, v96, v118 neg_lo:[1,1,0]
	v_dot4_i32_iu8 v106, v108, v92, v106 neg_lo:[1,1,0]
	;; [unrolled: 1-line block ×3, first 2 shown]
	s_waitcnt lgkmcnt(19)
	v_dot4_i32_iu8 v110, v130, v102, 0 neg_lo:[1,1,0]
	s_waitcnt lgkmcnt(17)
	v_dot4_i32_iu8 v112, v134, v98, 0 neg_lo:[1,1,0]
	v_dot4_i32_iu8 v118, v126, v94, 0 neg_lo:[1,1,0]
	;; [unrolled: 1-line block ×3, first 2 shown]
	s_waitcnt lgkmcnt(13)
	v_dot4_i32_iu8 v130, v142, v94, 0 neg_lo:[1,1,0]
	s_waitcnt lgkmcnt(11)
	v_dot4_i32_iu8 v124, v146, v102, 0 neg_lo:[1,1,0]
	s_waitcnt lgkmcnt(5)
	v_dot4_i32_iu8 v94, v158, v94, 0 neg_lo:[1,1,0]
	s_waitcnt lgkmcnt(3)
	v_dot4_i32_iu8 v102, v162, v102, 0 neg_lo:[1,1,0]
	v_dot4_i32_iu8 v126, v150, v98, 0 neg_lo:[1,1,0]
	v_dot4_i32_iu8 v134, v140, v90, 0 neg_lo:[1,1,0]
	s_waitcnt lgkmcnt(1)
	v_dot4_i32_iu8 v98, v166, v98, 0 neg_lo:[1,1,0]
	v_dot4_i32_iu8 v90, v156, v90, 0 neg_lo:[1,1,0]
	;; [unrolled: 1-line block ×13, first 2 shown]
	v_bfe_i32 v174, v170, 8, 8
	v_bfe_i32 v175, v170, 0, 8
	;; [unrolled: 1-line block ×3, first 2 shown]
	v_ashrrev_i32_e32 v170, 24, v170
	v_dot4_i32_iu8 v116, v121, v97, v116 neg_lo:[1,1,0]
	v_dot4_i32_iu8 v118, v152, v96, v126 neg_lo:[1,1,0]
	;; [unrolled: 1-line block ×3, first 2 shown]
	s_waitcnt lgkmcnt(0)
	v_dot4_i32_iu8 v96, v168, v96, v98 neg_lo:[1,1,0]
	v_dot4_i32_iu8 v88, v160, v88, v90 neg_lo:[1,1,0]
	;; [unrolled: 1-line block ×12, first 2 shown]
	v_bfe_i32 v177, v171, 8, 8
	v_bfe_i32 v178, v171, 0, 8
	;; [unrolled: 1-line block ×3, first 2 shown]
	v_ashrrev_i32_e32 v171, 24, v171
	v_dot4_i32_iu8 v109, v129, v89, v113 neg_lo:[1,1,0]
	v_dot4_i32_iu8 v113, v145, v89, v121 neg_lo:[1,1,0]
	;; [unrolled: 1-line block ×3, first 2 shown]
	v_mul_lo_u32 v88, v94, v174
	v_mul_lo_u32 v89, v90, v170
	v_dot4_i32_iu8 v94, v131, v103, v106 neg_lo:[1,1,0]
	v_dot4_i32_iu8 v90, v127, v95, v108 neg_lo:[1,1,0]
	v_bfe_i32 v180, v172, 8, 8
	v_dot4_i32_iu8 v108, v143, v95, v112 neg_lo:[1,1,0]
	v_bfe_i32 v181, v172, 0, 8
	v_bfe_i32 v182, v172, 16, 8
	v_ashrrev_i32_e32 v172, 24, v172
	v_dot4_i32_iu8 v111, v153, v97, v118 neg_lo:[1,1,0]
	v_dot4_i32_iu8 v96, v169, v97, v96 neg_lo:[1,1,0]
	v_dot4_i32_iu8 v97, v147, v103, v110 neg_lo:[1,1,0]
	v_bfe_i32 v183, v173, 8, 8
	v_dot4_i32_iu8 v95, v159, v95, v92 neg_lo:[1,1,0]
	v_bfe_i32 v184, v173, 0, 8
	v_bfe_i32 v185, v173, 16, 8
	v_ashrrev_i32_e32 v173, 24, v173
	v_dot4_i32_iu8 v100, v163, v103, v100 neg_lo:[1,1,0]
	v_dot4_i32_iu8 v106, v125, v91, v109 neg_lo:[1,1,0]
	;; [unrolled: 1-line block ×4, first 2 shown]
	v_mul_lo_u32 v90, v90, v177
	v_mul_lo_u32 v91, v94, v171
	;; [unrolled: 1-line block ×4, first 2 shown]
	v_dot4_i32_iu8 v102, v119, v99, v116 neg_lo:[1,1,0]
	v_mul_lo_u32 v94, v95, v183
	v_dot4_i32_iu8 v101, v135, v99, v107 neg_lo:[1,1,0]
	v_mul_lo_u32 v95, v100, v173
	v_dot4_i32_iu8 v107, v151, v99, v111 neg_lo:[1,1,0]
	v_dot4_i32_iu8 v99, v167, v99, v96 neg_lo:[1,1,0]
	v_mad_u64_u32 v[96:97], null, v98, v175, v[88:89]
	v_mad_u64_u32 v[97:98], null, v102, v176, v[89:90]
	;; [unrolled: 1-line block ×8, first 2 shown]
	v_cvt_f32_i32_e32 v94, v96
	v_cvt_f32_i32_e32 v88, v88
	;; [unrolled: 1-line block ×5, first 2 shown]
	v_fma_f32 v94, v104, v94, 0
	v_cvt_f32_i32_e32 v89, v89
	v_cvt_f32_i32_e32 v91, v91
	;; [unrolled: 1-line block ×3, first 2 shown]
	v_fma_f32 v88, v104, v88, 0
	v_fma_f32 v90, v104, v90, 0
	;; [unrolled: 1-line block ×3, first 2 shown]
	v_add_nc_u32_e32 v87, 64, v87
	v_dual_fmac_f32 v94, v105, v95 :: v_dual_add_nc_u32 v85, 64, v85
	s_delay_alu instid0(VALU_DEP_3)
	v_dual_fmac_f32 v92, v105, v93 :: v_dual_add_nc_u32 v83, 4, v83
	v_fmac_f32_e32 v88, v105, v89
	v_dual_fmac_f32 v90, v105, v91 :: v_dual_add_nc_u32 v81, 4, v81
	v_add_nc_u32_e32 v84, 4, v84
	v_add_nc_u32_e32 v82, 4, v82
	v_fmac_f32_e32 v7, v3, v94
	v_fmac_f32_e32 v55, v4, v88
	v_dual_fmac_f32 v49, v79, v90 :: v_dual_fmac_f32 v2, v80, v92
	s_add_i32 s14, s14, 8
	s_delay_alu instid0(SALU_CYCLE_1)
	s_cmp_lt_u32 s14, 24
	s_cbranch_scc1 .LBB195_20
; %bb.21:                               ;   in Loop: Header=BB195_5 Depth=1
	s_barrier
	buffer_gl0_inv
	s_branch .LBB195_4
.LBB195_22:
	s_mul_i32 s0, s7, s4
	s_waitcnt vmcnt(0)
	v_cmp_gt_i32_e32 vcc_lo, s0, v5
	s_and_saveexec_b32 s0, vcc_lo
	s_cbranch_execz .LBB195_31
; %bb.23:
	v_mul_lo_u32 v0, v5, s6
	v_add_nc_u32_e32 v1, s16, v6
	s_mov_b32 s0, exec_lo
	s_delay_alu instid0(VALU_DEP_1)
	v_cmpx_gt_u32_e64 s6, v1
	s_cbranch_execz .LBB195_25
; %bb.24:
	s_delay_alu instid0(VALU_DEP_3) | instskip(NEXT) | instid1(VALU_DEP_1)
	v_dual_mov_b32 v4, 0 :: v_dual_add_nc_u32 v3, v0, v1
	v_lshlrev_b64 v[3:4], 2, v[3:4]
	s_delay_alu instid0(VALU_DEP_1) | instskip(NEXT) | instid1(VALU_DEP_2)
	v_add_co_u32 v3, vcc_lo, s8, v3
	v_add_co_ci_u32_e32 v4, vcc_lo, s9, v4, vcc_lo
	global_store_b32 v[3:4], v7, off
.LBB195_25:
	s_or_b32 exec_lo, exec_lo, s0
	v_add_nc_u32_e32 v3, 32, v1
	s_mov_b32 s0, exec_lo
	s_delay_alu instid0(VALU_DEP_1)
	v_cmpx_gt_u32_e64 s6, v3
	s_cbranch_execz .LBB195_27
; %bb.26:
	v_dual_mov_b32 v4, 0 :: v_dual_add_nc_u32 v3, v0, v3
	s_delay_alu instid0(VALU_DEP_1) | instskip(NEXT) | instid1(VALU_DEP_1)
	v_lshlrev_b64 v[3:4], 2, v[3:4]
	v_add_co_u32 v3, vcc_lo, s8, v3
	s_delay_alu instid0(VALU_DEP_2)
	v_add_co_ci_u32_e32 v4, vcc_lo, s9, v4, vcc_lo
	global_store_b32 v[3:4], v55, off
.LBB195_27:
	s_or_b32 exec_lo, exec_lo, s0
	v_add_nc_u32_e32 v3, 64, v1
	s_mov_b32 s0, exec_lo
	s_delay_alu instid0(VALU_DEP_1)
	v_cmpx_gt_u32_e64 s6, v3
	s_cbranch_execz .LBB195_29
; %bb.28:
	v_dual_mov_b32 v4, 0 :: v_dual_add_nc_u32 v3, v0, v3
	s_delay_alu instid0(VALU_DEP_1) | instskip(NEXT) | instid1(VALU_DEP_1)
	v_lshlrev_b64 v[3:4], 2, v[3:4]
	v_add_co_u32 v3, vcc_lo, s8, v3
	s_delay_alu instid0(VALU_DEP_2)
	v_add_co_ci_u32_e32 v4, vcc_lo, s9, v4, vcc_lo
	global_store_b32 v[3:4], v49, off
.LBB195_29:
	s_or_b32 exec_lo, exec_lo, s0
	v_add_nc_u32_e32 v1, 0x60, v1
	s_delay_alu instid0(VALU_DEP_1)
	v_cmp_gt_u32_e32 vcc_lo, s6, v1
	s_and_b32 exec_lo, exec_lo, vcc_lo
	s_cbranch_execz .LBB195_31
; %bb.30:
	v_dual_mov_b32 v1, 0 :: v_dual_add_nc_u32 v0, v0, v1
	s_delay_alu instid0(VALU_DEP_1) | instskip(NEXT) | instid1(VALU_DEP_1)
	v_lshlrev_b64 v[0:1], 2, v[0:1]
	v_add_co_u32 v0, vcc_lo, s8, v0
	s_delay_alu instid0(VALU_DEP_2)
	v_add_co_ci_u32_e32 v1, vcc_lo, s9, v1, vcc_lo
	global_store_b32 v[0:1], v2, off
.LBB195_31:
	s_nop 0
	s_sendmsg sendmsg(MSG_DEALLOC_VGPRS)
	s_endpgm
	.section	.rodata,"a",@progbits
	.p2align	6, 0x0
	.amdhsa_kernel _ZL8moe_q6_KIfLb0EEvPKvS1_PT_PKiS5_S5_iiiiiii
		.amdhsa_group_segment_fixed_size 37072
		.amdhsa_private_segment_fixed_size 0
		.amdhsa_kernarg_size 76
		.amdhsa_user_sgpr_count 14
		.amdhsa_user_sgpr_dispatch_ptr 0
		.amdhsa_user_sgpr_queue_ptr 0
		.amdhsa_user_sgpr_kernarg_segment_ptr 1
		.amdhsa_user_sgpr_dispatch_id 0
		.amdhsa_user_sgpr_private_segment_size 0
		.amdhsa_wavefront_size32 1
		.amdhsa_uses_dynamic_stack 0
		.amdhsa_enable_private_segment 0
		.amdhsa_system_sgpr_workgroup_id_x 1
		.amdhsa_system_sgpr_workgroup_id_y 1
		.amdhsa_system_sgpr_workgroup_id_z 0
		.amdhsa_system_sgpr_workgroup_info 0
		.amdhsa_system_vgpr_workitem_id 1
		.amdhsa_next_free_vgpr 186
		.amdhsa_next_free_sgpr 23
		.amdhsa_reserve_vcc 1
		.amdhsa_float_round_mode_32 0
		.amdhsa_float_round_mode_16_64 0
		.amdhsa_float_denorm_mode_32 3
		.amdhsa_float_denorm_mode_16_64 3
		.amdhsa_dx10_clamp 1
		.amdhsa_ieee_mode 1
		.amdhsa_fp16_overflow 0
		.amdhsa_workgroup_processor_mode 1
		.amdhsa_memory_ordered 1
		.amdhsa_forward_progress 0
		.amdhsa_shared_vgpr_count 0
		.amdhsa_exception_fp_ieee_invalid_op 0
		.amdhsa_exception_fp_denorm_src 0
		.amdhsa_exception_fp_ieee_div_zero 0
		.amdhsa_exception_fp_ieee_overflow 0
		.amdhsa_exception_fp_ieee_underflow 0
		.amdhsa_exception_fp_ieee_inexact 0
		.amdhsa_exception_int_div_zero 0
	.end_amdhsa_kernel
	.section	.text._ZL8moe_q6_KIfLb0EEvPKvS1_PT_PKiS5_S5_iiiiiii,"axG",@progbits,_ZL8moe_q6_KIfLb0EEvPKvS1_PT_PKiS5_S5_iiiiiii,comdat
.Lfunc_end195:
	.size	_ZL8moe_q6_KIfLb0EEvPKvS1_PT_PKiS5_S5_iiiiiii, .Lfunc_end195-_ZL8moe_q6_KIfLb0EEvPKvS1_PT_PKiS5_S5_iiiiiii
                                        ; -- End function
	.section	.AMDGPU.csdata,"",@progbits
; Kernel info:
; codeLenInByte = 10964
; NumSgprs: 25
; NumVgprs: 186
; ScratchSize: 0
; MemoryBound: 0
; FloatMode: 240
; IeeeMode: 1
; LDSByteSize: 37072 bytes/workgroup (compile time only)
; SGPRBlocks: 3
; VGPRBlocks: 23
; NumSGPRsForWavesPerEU: 25
; NumVGPRsForWavesPerEU: 186
; Occupancy: 6
; WaveLimiterHint : 1
; COMPUTE_PGM_RSRC2:SCRATCH_EN: 0
; COMPUTE_PGM_RSRC2:USER_SGPR: 14
; COMPUTE_PGM_RSRC2:TRAP_HANDLER: 0
; COMPUTE_PGM_RSRC2:TGID_X_EN: 1
; COMPUTE_PGM_RSRC2:TGID_Y_EN: 1
; COMPUTE_PGM_RSRC2:TGID_Z_EN: 0
; COMPUTE_PGM_RSRC2:TIDIG_COMP_CNT: 1
	.section	.text._ZL8moe_q6_KIfLb1EEvPKvS1_PT_PKiS5_S5_iiiiiii,"axG",@progbits,_ZL8moe_q6_KIfLb1EEvPKvS1_PT_PKiS5_S5_iiiiiii,comdat
	.globl	_ZL8moe_q6_KIfLb1EEvPKvS1_PT_PKiS5_S5_iiiiiii ; -- Begin function _ZL8moe_q6_KIfLb1EEvPKvS1_PT_PKiS5_S5_iiiiiii
	.p2align	8
	.type	_ZL8moe_q6_KIfLb1EEvPKvS1_PT_PKiS5_S5_iiiiiii,@function
_ZL8moe_q6_KIfLb1EEvPKvS1_PT_PKiS5_S5_iiiiiii: ; @_ZL8moe_q6_KIfLb1EEvPKvS1_PT_PKiS5_S5_iiiiiii
; %bb.0:
	s_load_b128 s[4:7], s[0:1], 0x18
	s_mov_b32 s2, s15
	s_mov_b32 s3, 0
	s_delay_alu instid0(SALU_CYCLE_1)
	s_lshl_b64 s[8:9], s[2:3], 2
	s_waitcnt lgkmcnt(0)
	s_add_u32 s6, s6, s8
	s_addc_u32 s7, s7, s9
	s_load_b32 s15, s[6:7], 0x0
	s_waitcnt lgkmcnt(0)
	s_cmpk_gt_u32 s15, 0xff
	s_cbranch_scc1 .LBB196_31
; %bb.1:
	s_load_b64 s[6:7], s[0:1], 0x28
	s_lshl_b32 s2, s2, 3
	s_waitcnt lgkmcnt(0)
	s_load_b32 s3, s[6:7], 0x0
	s_waitcnt lgkmcnt(0)
	s_cmp_gt_u32 s2, s3
	s_cbranch_scc1 .LBB196_31
; %bb.2:
	v_bfe_u32 v19, v0, 10, 10
	v_mov_b32_e32 v15, 0
	s_mov_b32 s18, 0
	s_delay_alu instid0(VALU_DEP_2) | instskip(NEXT) | instid1(VALU_DEP_2)
	v_add_nc_u32_e32 v14, s2, v19
	v_dual_mov_b32 v55, v15 :: v_dual_and_b32 v22, 0x3ff, v0
	v_mov_b32_e32 v50, v15
	v_mov_b32_e32 v23, v15
	s_delay_alu instid0(VALU_DEP_4) | instskip(NEXT) | instid1(VALU_DEP_1)
	v_lshlrev_b64 v[1:2], 2, v[14:15]
	v_add_co_u32 v1, vcc_lo, s4, v1
	s_delay_alu instid0(VALU_DEP_2)
	v_add_co_ci_u32_e32 v2, vcc_lo, s5, v2, vcc_lo
	global_load_b32 v21, v[1:2], off
	s_clause 0x1
	s_load_b256 s[4:11], s[0:1], 0x30
	s_load_b64 s[12:13], s[0:1], 0x10
	s_waitcnt lgkmcnt(0)
	s_lshl_b32 s11, s14, 7
	s_cmpk_lt_i32 s5, 0x100
	s_cbranch_scc1 .LBB196_22
; %bb.3:
	s_load_b128 s[0:3], s[0:1], 0x0
	v_dual_mov_b32 v23, 0 :: v_dual_and_b32 v20, 31, v22
	s_ashr_i32 s14, s5, 31
	s_mul_i32 s15, s15, s4
	s_lshr_b32 s4, s14, 24
	s_delay_alu instid0(VALU_DEP_1)
	v_add_nc_u16 v1, v20, -16
	v_cmp_gt_u32_e32 vcc_lo, 16, v20
	s_ashr_i32 s16, s8, 31
	s_add_i32 s4, s5, s4
	s_lshr_b32 s14, s16, 27
	s_ashr_i32 s4, s4, 8
	v_dual_cndmask_b32 v1, v1, v20 :: v_dual_and_b32 v0, 7, v22
	s_add_i32 s8, s8, s14
	v_and_b32_e32 v2, 15, v22
	v_cmp_lt_u32_e32 vcc_lo, 15, v20
	s_mul_i32 s14, s4, s11
	s_ashr_i32 s16, s15, 31
	s_ashr_i32 s8, s8, 5
	s_mul_hi_i32 s17, s14, 0xd2
	s_mulk_i32 s14, 0xd2
	s_waitcnt lgkmcnt(0)
	s_add_u32 s0, s0, s15
	s_addc_u32 s1, s1, s16
	s_add_u32 s19, s0, s14
	v_cndmask_b32_e64 v3, 0, 1, vcc_lo
	v_cmp_lt_u16_e32 vcc_lo, 7, v1
	v_lshlrev_b32_e32 v2, 2, v2
	s_addc_u32 s20, s1, s17
	s_not_b32 s0, s11
	v_lshlrev_b32_e32 v0, 2, v0
	s_add_i32 s0, s0, s6
	v_cndmask_b32_e64 v1, 0, 1, vcc_lo
	v_min_i32_e32 v5, s0, v19
	v_lshl_or_b32 v18, v3, 7, v2
	v_lshlrev_b32_e32 v39, 5, v19
	v_add_nc_u32_e32 v4, 8, v19
	v_add_nc_u32_e32 v2, 16, v19
	v_lshl_or_b32 v26, v3, 5, v0
	v_lshlrev_b32_e32 v27, 1, v1
	v_mul_lo_u32 v28, v5, s4
	v_mad_u64_u32 v[0:1], null, 0x104, v5, v[18:19]
	v_add_nc_u32_e32 v5, 24, v19
	v_add_nc_u32_e32 v6, 32, v19
	;; [unrolled: 1-line block ×4, first 2 shown]
	v_min_i32_e32 v3, s0, v4
	v_add_nc_u32_e32 v8, 48, v19
	v_min_i32_e32 v4, s0, v2
	v_add_nc_u32_e32 v9, 56, v19
	;; [unrolled: 2-line block ×4, first 2 shown]
	v_and_b32_e32 v17, 0x7f, v50
	v_lshrrev_b32_e32 v43, 2, v22
	v_min_i32_e32 v7, s0, v7
	v_add_nc_u32_e32 v12, 0x50, v19
	v_mad_u64_u32 v[1:2], null, 0x104, v3, v[18:19]
	v_min_i32_e32 v8, s0, v8
	v_add_nc_u32_e32 v13, 0x58, v19
	v_mul_lo_u32 v29, v3, s4
	v_mad_u64_u32 v[2:3], null, 0x104, v4, v[18:19]
	v_min_i32_e32 v9, s0, v9
	v_add_nc_u32_e32 v14, 0x60, v19
	v_mul_lo_u32 v30, v4, s4
	;; [unrolled: 4-line block ×3, first 2 shown]
	v_mad_u64_u32 v[4:5], null, 0x104, v6, v[18:19]
	v_min_i32_e32 v11, s0, v11
	v_add_nc_u32_e32 v16, 0x70, v19
	v_min_i32_e32 v46, s0, v17
	v_lshl_add_u32 v17, v19, 3, v43
	v_mul_lo_u32 v32, v6, s4
	v_mad_u64_u32 v[5:6], null, 0x104, v7, v[18:19]
	v_min_i32_e32 v12, s0, v12
	v_mul_lo_u32 v33, v7, s4
	v_mad_u64_u32 v[6:7], null, 0x104, v8, v[18:19]
	v_min_i32_e32 v13, s0, v13
	;; [unrolled: 3-line block ×5, first 2 shown]
	v_and_b32_e32 v17, 0x7f, v17
	v_mul_lo_u32 v37, v11, s4
	v_mad_u64_u32 v[10:11], null, 0x104, v12, v[18:19]
	v_mul_lo_u32 v38, v12, s4
	v_mad_u64_u32 v[11:12], null, 0x104, v13, v[18:19]
	;; [unrolled: 2-line block ×3, first 2 shown]
	s_abs_i32 s1, s10
	v_mul_lo_u32 v41, v14, s4
	v_mad_u64_u32 v[13:14], null, 0x104, v15, v[18:19]
	v_mul_lo_u32 v42, v15, s4
	v_mul_lo_u32 v43, v16, s4
	v_mad_u64_u32 v[14:15], null, 0x104, v16, v[18:19]
	v_min_i32_e32 v49, s0, v17
	v_cvt_f32_u32_e32 v16, s1
	v_add_nc_u32_e32 v45, 0x78, v19
	v_ashrrev_i32_e32 v44, 31, v46
	v_xor_b32_e32 v17, 64, v17
	v_ashrrev_i32_e32 v47, 31, v49
	v_rcp_iflag_f32_e32 v48, v16
	v_min_i32_e32 v45, s0, v45
	v_lshrrev_b32_e32 v15, 27, v44
	v_min_i32_e32 v51, s0, v17
	v_lshrrev_b32_e32 v47, 29, v47
	s_sub_i32 s0, 0, s1
	v_mad_u64_u32 v[16:17], null, 0x104, v45, v[18:19]
	v_add_nc_u32_e32 v15, v46, v15
	s_delay_alu instid0(TRANS32_DEP_1) | instid1(VALU_DEP_3)
	v_dual_mul_f32 v47, 0x4f7ffffe, v48 :: v_dual_add_nc_u32 v18, v49, v47
	v_and_b32_e32 v48, 3, v22
	v_mul_lo_u32 v44, v45, s4
	s_delay_alu instid0(VALU_DEP_4) | instskip(NEXT) | instid1(VALU_DEP_4)
	v_ashrrev_i32_e32 v15, 5, v15
	v_ashrrev_i32_e32 v18, 3, v18
	v_cvt_u32_f32_e32 v53, v47
	v_mul_lo_u32 v45, v46, s4
	v_lshlrev_b32_e32 v52, 2, v46
	v_lshlrev_b32_e32 v15, 2, v15
	;; [unrolled: 1-line block ×3, first 2 shown]
	v_mul_lo_u32 v54, s0, v53
	v_lshlrev_b32_e32 v18, 2, v18
	v_ashrrev_i32_e32 v17, 31, v51
	v_add3_u32 v47, v15, v52, 0x8e40
	s_waitcnt vmcnt(0)
	v_sub_nc_u32_e32 v52, 0, v21
	v_mul_lo_u32 v48, v49, s4
	v_add3_u32 v15, v18, v46, 0x8200
	v_lshrrev_b32_e32 v17, 29, v17
	v_mul_hi_u32 v18, v53, v54
	v_lshlrev_b32_e32 v55, 4, v49
	v_mul_lo_u32 v49, v51, s4
	v_lshlrev_b32_e32 v79, 4, v51
	v_add_nc_u32_e32 v17, v51, v17
	v_max_i32_e32 v58, v21, v52
	v_lshrrev_b32_e32 v24, 5, v22
	v_mad_i32_i24 v50, 0xffffffe4, v19, v50
	v_add_nc_u32_e32 v51, v53, v18
	v_lshlrev_b32_e32 v59, 2, v22
	v_add_nc_u32_e32 v61, 32, v22
	v_add_nc_u32_e32 v64, 0x60, v22
	v_lshl_add_u32 v53, v50, 2, 0x9050
	v_mul_hi_u32 v60, v58, v51
	v_lshlrev_b32_e32 v50, 2, v24
	v_ashrrev_i32_e32 v17, 3, v17
	v_lshrrev_b32_e32 v52, 3, v61
	v_lshrrev_b32_e32 v67, 1, v64
	;; [unrolled: 1-line block ×3, first 2 shown]
	v_lshlrev_b32_e32 v75, 4, v22
	v_lshlrev_b32_e32 v17, 2, v17
	v_mul_lo_u32 v62, v60, s1
	v_and_b32_e32 v57, 60, v52
	v_lshlrev_b32_e32 v77, 2, v52
	v_and_b32_e32 v73, 0xfc, v67
	v_add3_u32 v78, v17, v46, 0x8200
	v_and_b32_e32 v17, 28, v59
	v_add3_u32 v57, v59, v57, 0x8e40
	v_lshlrev_b32_e32 v67, 4, v64
	v_sub_nc_u32_e32 v62, v58, v62
	v_lshl_add_u32 v76, v54, 2, v75
	v_add_co_u32 v17, s0, s2, v17
	s_movk_i32 s6, 0x80
	s_delay_alu instid0(VALU_DEP_3)
	v_subrev_nc_u32_e32 v65, s1, v62
	v_cmp_le_u32_e32 vcc_lo, s1, v62
	v_lshlrev_b32_e32 v25, 2, v20
	v_or_b32_e32 v20, v39, v20
	v_add_co_ci_u32_e64 v18, null, s3, 0, s0
	v_cndmask_b32_e32 v62, v62, v65, vcc_lo
	v_cmp_gt_u32_e64 s0, 4, v22
	s_delay_alu instid0(VALU_DEP_4)
	v_lshl_add_u32 v51, v20, 2, 0x8a40
	v_add_nc_u32_e32 v20, 64, v22
	v_add3_u32 v67, v67, v73, 0x8200
	v_mad_u32_u24 v70, 0x104, v22, s6
	v_lshl_add_u32 v71, v19, 4, 0x9050
	v_lshl_add_u32 v72, v19, 7, 0x8a40
	v_lshrrev_b32_e32 v56, 3, v20
	v_add3_u32 v73, v75, v73, 0x8808
	v_add_nc_u32_e32 v78, v78, v79
	s_add_u32 s14, s2, 0x90
	s_addc_u32 s15, s3, 0
	v_and_b32_e32 v63, 60, v56
	v_add3_u32 v56, v50, v59, 0x8e40
	v_lshrrev_b32_e32 v50, 3, v64
	s_delay_alu instid0(VALU_DEP_3) | instskip(SKIP_1) | instid1(VALU_DEP_1)
	v_add3_u32 v58, v59, v63, 0x8e40
	v_add_nc_u32_e32 v63, 1, v60
	v_dual_cndmask_b32 v63, v60, v63 :: v_dual_and_b32 v50, 60, v50
	s_delay_alu instid0(VALU_DEP_1)
	v_add3_u32 v59, v59, v50, 0x8e40
	v_xor_b32_e32 v50, s10, v21
	v_cmp_le_u32_e32 vcc_lo, s1, v62
	s_movk_i32 s1, 0x2080
	v_add_nc_u32_e32 v65, 1, v63
	v_add_nc_u32_e32 v60, 0x8200, v76
	v_ashrrev_i32_e32 v50, 31, v50
	v_add_nc_u32_e32 v76, 0x8208, v76
	s_delay_alu instid0(VALU_DEP_4)
	v_cndmask_b32_e32 v62, v63, v65, vcc_lo
	v_lshrrev_b32_e32 v65, 1, v20
	v_lshlrev_b32_e32 v63, 4, v61
	v_lshlrev_b32_e32 v20, 4, v20
	v_mul_u32_u24_e32 v61, 0x104, v22
	v_xor_b32_e32 v66, v62, v50
	v_and_b32_e32 v74, 0xfc, v65
	v_add3_u32 v62, v77, v63, 0x8200
	v_mad_u32_u24 v63, 0x104, v22, s1
	s_movk_i32 s1, 0x4100
	v_sub_nc_u32_e32 v50, v66, v50
	v_mad_u32_u24 v66, 0x104, v22, s1
	s_movk_i32 s1, 0x6180
	v_add3_u32 v65, v20, v74, 0x8200
	v_mad_u32_u24 v68, 0x104, v22, s1
	v_mul_lo_u32 v64, v50, s8
	v_cmp_gt_i32_e64 s1, s7, v50
	v_add3_u32 v74, v75, v74, 0x8608
	v_add3_u32 v75, v75, v77, 0x8408
	v_add_nc_u32_e32 v77, v15, v55
	v_dual_mov_b32 v55, 0 :: v_dual_mov_b32 v50, 0
	v_mov_b32_e32 v15, 0
	v_ashrrev_i32_e32 v69, 31, v64
	s_branch .LBB196_5
.LBB196_4:                              ;   in Loop: Header=BB196_5 Depth=1
	s_add_i32 s18, s18, 1
	s_delay_alu instid0(SALU_CYCLE_1)
	s_cmp_eq_u32 s18, s4
	s_cbranch_scc1 .LBB196_22
.LBB196_5:                              ; =>This Loop Header: Depth=1
                                        ;     Child Loop BB196_12 Depth 2
                                        ;     Child Loop BB196_20 Depth 2
	s_mul_i32 s6, s18, 0xd2
	s_mul_hi_u32 s17, s18, 0xd2
	s_add_u32 s16, s19, s6
	s_addc_u32 s17, s20, s17
	s_delay_alu instid0(SALU_CYCLE_1) | instskip(NEXT) | instid1(VALU_DEP_1)
	v_mad_u64_u32 v[19:20], null, 0xd2, v24, s[16:17]
	v_mad_i64_i32 v[79:80], null, 0xd2, v28, v[19:20]
	v_mad_i64_i32 v[81:82], null, 0xd2, v29, v[19:20]
	;; [unrolled: 1-line block ×4, first 2 shown]
	s_delay_alu instid0(VALU_DEP_4)
	v_add_co_u32 v83, vcc_lo, v79, v25
	v_add_co_ci_u32_e32 v84, vcc_lo, 0, v80, vcc_lo
	v_add_co_u32 v79, vcc_lo, v79, v26
	v_add_co_ci_u32_e32 v80, vcc_lo, 0, v80, vcc_lo
	;; [unrolled: 2-line block ×3, first 2 shown]
	global_load_b32 v83, v[83:84], off
	global_load_b32 v84, v[79:80], off offset:128
	v_add_co_u32 v79, vcc_lo, v81, v26
	v_add_co_ci_u32_e32 v80, vcc_lo, 0, v82, vcc_lo
	v_add_co_u32 v81, vcc_lo, v85, v25
	v_add_co_ci_u32_e32 v82, vcc_lo, 0, v86, vcc_lo
	;; [unrolled: 2-line block ×3, first 2 shown]
	global_load_b32 v90, v[87:88], off
	global_load_b32 v91, v[79:80], off offset:128
	global_load_b32 v88, v[81:82], off
	global_load_b32 v89, v[85:86], off offset:128
	v_mad_i64_i32 v[79:80], null, 0xd2, v32, v[19:20]
	v_add_co_u32 v81, vcc_lo, v92, v25
	v_add_co_ci_u32_e32 v82, vcc_lo, 0, v93, vcc_lo
	v_add_co_u32 v85, vcc_lo, v92, v26
	v_add_co_ci_u32_e32 v86, vcc_lo, 0, v93, vcc_lo
	v_add_co_u32 v92, vcc_lo, v79, v25
	v_mad_i64_i32 v[94:95], null, 0xd2, v33, v[19:20]
	v_add_co_ci_u32_e32 v93, vcc_lo, 0, v80, vcc_lo
	v_add_co_u32 v79, vcc_lo, v79, v26
	v_add_co_ci_u32_e32 v80, vcc_lo, 0, v80, vcc_lo
	global_load_b32 v114, v[81:82], off
	global_load_b32 v115, v[85:86], off offset:128
	global_load_b32 v116, v[92:93], off
	global_load_b32 v117, v[79:80], off offset:128
	v_mad_i64_i32 v[79:80], null, 0xd2, v34, v[19:20]
	v_add_co_u32 v81, vcc_lo, v94, v25
	v_add_co_ci_u32_e32 v82, vcc_lo, 0, v95, vcc_lo
	v_add_co_u32 v85, vcc_lo, v94, v26
	v_add_co_ci_u32_e32 v86, vcc_lo, 0, v95, vcc_lo
	;; [unrolled: 2-line block ×4, first 2 shown]
	global_load_b32 v118, v[81:82], off
	global_load_b32 v119, v[85:86], off offset:128
	global_load_b32 v82, v[92:93], off
	global_load_b32 v120, v[79:80], off offset:128
	v_mad_i64_i32 v[79:80], null, 0xd2, v35, v[19:20]
	v_mad_i64_i32 v[85:86], null, 0xd2, v36, v[19:20]
	;; [unrolled: 1-line block ×4, first 2 shown]
	s_delay_alu instid0(VALU_DEP_4)
	v_add_co_u32 v102, vcc_lo, v79, v25
	v_add_co_ci_u32_e32 v103, vcc_lo, 0, v80, vcc_lo
	v_add_co_u32 v79, vcc_lo, v79, v26
	v_add_co_ci_u32_e32 v80, vcc_lo, 0, v80, vcc_lo
	global_load_b32 v121, v[102:103], off
	global_load_b32 v122, v[79:80], off offset:128
	v_add_co_u32 v104, vcc_lo, v85, v25
	v_add_co_ci_u32_e32 v105, vcc_lo, 0, v86, vcc_lo
	v_add_co_u32 v85, vcc_lo, v85, v26
	v_add_co_ci_u32_e32 v86, vcc_lo, 0, v86, vcc_lo
	;; [unrolled: 2-line block ×3, first 2 shown]
	v_add_co_u32 v92, vcc_lo, v92, v26
	v_mad_i64_i32 v[96:97], null, 0xd2, v40, v[19:20]
	v_add_co_ci_u32_e32 v93, vcc_lo, 0, v93, vcc_lo
	v_add_co_u32 v108, vcc_lo, v94, v25
	v_add_co_ci_u32_e32 v109, vcc_lo, 0, v95, vcc_lo
	v_add_co_u32 v79, vcc_lo, v94, v26
	v_mad_i64_i32 v[98:99], null, 0xd2, v41, v[19:20]
	v_add_co_ci_u32_e32 v80, vcc_lo, 0, v95, vcc_lo
	v_add_co_u32 v102, vcc_lo, v96, v25
	v_add_co_ci_u32_e32 v103, vcc_lo, 0, v97, vcc_lo
	;; [unrolled: 5-line block ×3, first 2 shown]
	v_add_co_u32 v98, vcc_lo, v98, v26
	v_add_co_ci_u32_e32 v99, vcc_lo, 0, v99, vcc_lo
	v_add_co_u32 v112, vcc_lo, v100, v25
	v_add_co_ci_u32_e32 v113, vcc_lo, 0, v101, vcc_lo
	;; [unrolled: 2-line block ×3, first 2 shown]
	global_load_b32 v104, v[104:105], off
	global_load_b32 v105, v[85:86], off offset:128
	global_load_b32 v94, v[106:107], off
	global_load_b32 v95, v[92:93], off offset:128
	;; [unrolled: 2-line block ×6, first 2 shown]
	s_waitcnt vmcnt(27)
	v_and_b32_e32 v96, 0xf0f0f0f, v83
	s_waitcnt vmcnt(26)
	v_ashrrev_i32_e32 v84, v27, v84
	v_lshrrev_b32_e32 v83, 4, v83
	s_delay_alu instid0(VALU_DEP_2)
	v_lshlrev_b32_e32 v112, 4, v84
	v_and_b32_e32 v84, 0x30303030, v84
	s_waitcnt vmcnt(25)
	v_and_b32_e32 v97, 0xf0f0f0f, v90
	s_waitcnt vmcnt(24)
	v_ashrrev_i32_e32 v91, v27, v91
	v_lshrrev_b32_e32 v90, 4, v90
	s_waitcnt vmcnt(22)
	v_ashrrev_i32_e32 v89, v27, v89
	v_and_b32_e32 v98, 0xf0f0f0f, v88
	v_lshrrev_b32_e32 v88, 4, v88
	v_lshlrev_b32_e32 v113, 4, v91
	v_and_b32_e32 v91, 0x30303030, v91
	v_and_or_b32 v96, 0x30303030, v112, v96
	v_and_or_b32 v83, 0xf0f0f0f, v83, v84
	s_delay_alu instid0(VALU_DEP_4) | instskip(NEXT) | instid1(VALU_DEP_4)
	v_and_or_b32 v84, 0x30303030, v113, v97
	v_and_or_b32 v90, 0xf0f0f0f, v90, v91
	s_delay_alu instid0(VALU_DEP_1)
	v_lshrrev_b32_e32 v112, 16, v90
	v_and_b32_e32 v113, 0x3f00, v90
	v_lshlrev_b16 v90, 8, v90
	s_waitcnt vmcnt(21)
	v_and_b32_e32 v99, 0xf0f0f0f, v114
	s_waitcnt vmcnt(20)
	v_ashrrev_i32_e32 v101, v27, v115
	v_lshrrev_b32_e32 v100, 4, v114
	s_waitcnt vmcnt(18)
	v_ashrrev_i32_e32 v106, v27, v117
	v_lshlrev_b32_e32 v114, 4, v89
	v_and_b32_e32 v89, 0x30303030, v89
	v_lshlrev_b32_e32 v115, 4, v101
	v_and_b32_e32 v101, 0x30303030, v101
	v_and_b32_e32 v102, 0xf0f0f0f, v116
	v_lshrrev_b32_e32 v103, 4, v116
	v_lshlrev_b32_e32 v116, 4, v106
	v_and_b32_e32 v106, 0x30303030, v106
	v_and_or_b32 v91, 0x30303030, v114, v98
	v_and_or_b32 v88, 0xf0f0f0f, v88, v89
	;; [unrolled: 1-line block ×6, first 2 shown]
	v_lshrrev_b32_e32 v102, 16, v96
	s_waitcnt vmcnt(17)
	v_and_b32_e32 v107, 0xf0f0f0f, v118
	s_waitcnt vmcnt(16)
	v_ashrrev_i32_e32 v109, v27, v119
	v_lshrrev_b32_e32 v108, 4, v118
	v_and_b32_e32 v103, 0x3f00, v96
	v_lshlrev_b16 v96, 8, v96
	v_lshrrev_b32_e32 v106, 16, v83
	v_lshlrev_b32_e32 v117, 4, v109
	v_and_b32_e32 v109, 0x30303030, v109
	v_lshrrev_b32_e32 v114, 16, v91
	v_lshrrev_b32_e32 v116, 16, v88
	;; [unrolled: 1-line block ×3, first 2 shown]
	v_and_or_b32 v100, 0x30303030, v117, v107
	v_and_or_b32 v101, 0xf0f0f0f, v108, v109
	v_and_b32_e32 v107, 0x3f00, v83
	v_lshlrev_b16 v83, 8, v83
	v_lshrrev_b32_e32 v108, 16, v84
	v_and_b32_e32 v109, 0x3f00, v84
	v_lshlrev_b16 v84, 8, v84
	v_lshrrev_b32_e32 v123, 16, v97
	;; [unrolled: 3-line block ×3, first 2 shown]
	v_lshrrev_b32_e32 v127, 16, v99
	v_add_nc_u16 v96, v96, 0xe000
	v_and_b32_e32 v133, 0x3f00, v102
	v_lshlrev_b16 v102, 8, v102
	v_and_b32_e32 v134, 0x3f00, v106
	v_lshlrev_b16 v106, 8, v106
	v_add_nc_u16 v83, v83, 0xe000
	v_and_b32_e32 v135, 0x3f00, v108
	v_lshlrev_b16 v108, 8, v108
	v_and_b32_e32 v136, 0x3f00, v112
	v_lshlrev_b16 v112, 8, v112
	;; [unrolled: 2-line block ×3, first 2 shown]
	v_add_nc_u16 v84, v84, 0xe000
	v_and_b32_e32 v137, 0x3f00, v114
	v_lshlrev_b16 v114, 8, v114
	v_and_b32_e32 v138, 0x3f00, v116
	v_lshlrev_b16 v116, 8, v116
	s_waitcnt vmcnt(14)
	v_ashrrev_i32_e32 v111, v27, v120
	v_and_b32_e32 v120, 0x3f00, v89
	v_lshlrev_b16 v89, 8, v89
	v_and_b32_e32 v124, 0x3f00, v97
	v_lshlrev_b16 v97, 8, v97
	v_add_nc_u16 v90, v90, 0xe000
	v_and_b32_e32 v139, 0x3f00, v119
	v_lshlrev_b16 v119, 8, v119
	v_and_b32_e32 v140, 0x3f00, v123
	v_lshlrev_b16 v123, 8, v123
	;; [unrolled: 2-line block ×4, first 2 shown]
	v_add_nc_u16 v91, v91, 0xe000
	v_and_b32_e32 v141, 0x3f00, v125
	v_lshlrev_b16 v125, 8, v125
	v_and_b32_e32 v142, 0x3f00, v127
	v_lshlrev_b16 v127, 8, v127
	v_lshrrev_b16 v96, 8, v96
	v_add_nc_u16 v102, v102, 0xe000
	v_add_nc_u16 v106, v106, 0xe000
	v_lshrrev_b16 v83, 8, v83
	v_add_nc_u16 v108, v108, 0xe000
	v_add_nc_u16 v112, v112, 0xe000
	v_add_nc_u16 v88, v88, 0xe000
	v_lshrrev_b16 v84, 8, v84
	v_add_nc_u16 v114, v114, 0xe000
	v_add_nc_u16 v116, v116, 0xe000
	v_add_nc_u16 v89, v89, 0xe000
	v_add_nc_u16 v97, v97, 0xe000
	v_lshrrev_b16 v90, 8, v90
	v_add_nc_u16 v119, v119, 0xe000
	;; [unrolled: 5-line block ×3, first 2 shown]
	v_add_nc_u16 v127, v127, 0xe000
	v_or_b32_e32 v96, v103, v96
	v_lshrrev_b16 v102, 8, v102
	v_lshrrev_b16 v103, 8, v106
	v_or_b32_e32 v83, v107, v83
	v_lshrrev_b16 v106, 8, v108
	v_lshrrev_b16 v107, 8, v112
	v_lshrrev_b16 v88, 8, v88
	v_or_b32_e32 v84, v109, v84
	v_lshrrev_b16 v108, 8, v114
	v_lshrrev_b16 v109, 8, v116
	v_lshrrev_b16 v89, 8, v89
	v_lshrrev_b16 v97, 8, v97
	v_or_b32_e32 v90, v113, v90
	v_lshrrev_b16 v112, 8, v119
	;; [unrolled: 5-line block ×3, first 2 shown]
	v_lshrrev_b16 v115, 8, v127
	v_or_b32_e32 v102, v133, v102
	v_or_b32_e32 v103, v134, v103
	;; [unrolled: 1-line block ×15, first 2 shown]
	v_add_nc_u16 v96, v96, 0xe000
	v_add_nc_u16 v83, v83, 0xe000
	;; [unrolled: 1-line block ×20, first 2 shown]
	v_and_b32_e32 v96, 0xffff, v96
	v_and_b32_e32 v83, 0xffff, v83
	v_lshlrev_b32_e32 v102, 16, v102
	v_lshlrev_b32_e32 v103, 16, v103
	v_and_b32_e32 v84, 0xffff, v84
	v_and_b32_e32 v90, 0xffff, v90
	v_lshlrev_b32_e32 v106, 16, v106
	v_lshlrev_b32_e32 v107, 16, v107
	;; [unrolled: 4-line block ×5, first 2 shown]
	v_lshrrev_b32_e32 v129, 16, v100
	v_and_b32_e32 v130, 0x3f00, v100
	v_lshlrev_b16 v100, 8, v100
	v_lshrrev_b32_e32 v131, 16, v101
	v_or_b32_e32 v96, v96, v102
	v_or_b32_e32 v83, v83, v103
	;; [unrolled: 1-line block ×10, first 2 shown]
	v_and_b32_e32 v110, 0xf0f0f0f, v82
	v_lshlrev_b32_e32 v118, 4, v111
	v_and_b32_e32 v132, 0x3f00, v101
	v_lshlrev_b16 v101, 8, v101
	v_add_nc_u16 v100, v100, 0xe000
	ds_store_2addr_b32 v0, v96, v83 offset1:16
	ds_store_2addr_b32 v1, v84, v90 offset1:16
	ds_store_2addr_b32 v2, v91, v88 offset1:16
	ds_store_2addr_b32 v3, v89, v97 offset1:16
	ds_store_2addr_b32 v4, v98, v99 offset1:16
	v_lshlrev_b16 v83, 8, v131
	v_and_or_b32 v88, 0x30303030, v118, v110
	v_add_nc_u16 v101, v101, 0xe000
	v_lshrrev_b16 v100, 8, v100
	v_lshrrev_b32_e32 v99, 4, v82
	v_add_nc_u16 v83, v83, 0xe000
	v_lshlrev_b16 v89, 8, v88
	v_lshrrev_b16 v101, 8, v101
	v_or_b32_e32 v100, v130, v100
	v_and_b32_e32 v97, 0x3f00, v131
	v_lshrrev_b16 v98, 8, v83
	v_mad_i64_i32 v[82:83], null, 0xd2, v43, v[19:20]
	s_delay_alu instid0(VALU_DEP_4)
	v_add_nc_u16 v100, v100, 0xe000
	v_or_b32_e32 v84, v132, v101
	v_lshrrev_b32_e32 v96, 16, v88
	v_add_nc_u16 v89, v89, 0xe000
	v_and_b32_e32 v101, 0x30303030, v111
	v_and_b32_e32 v143, 0x3f00, v129
	v_lshlrev_b16 v129, 8, v129
	v_or_b32_e32 v97, v97, v98
	v_and_b32_e32 v98, 0x3f00, v88
	v_add_co_u32 v88, vcc_lo, v82, v26
	v_and_b32_e32 v90, 0xffff, v100
	v_lshlrev_b16 v100, 8, v96
	v_lshrrev_b16 v102, 8, v89
	v_and_or_b32 v99, 0xf0f0f0f, v99, v101
	v_add_co_ci_u32_e32 v89, vcc_lo, 0, v83, vcc_lo
	v_add_nc_u16 v129, v129, 0xe000
	v_add_co_u32 v82, vcc_lo, v82, v25
	v_add_nc_u16 v100, v100, 0xe000
	v_add_co_ci_u32_e32 v83, vcc_lo, 0, v83, vcc_lo
	global_load_b32 v101, v[88:89], off offset:128
	v_lshlrev_b16 v88, 8, v99
	v_lshrrev_b16 v116, 8, v129
	v_add_nc_u16 v84, v84, 0xe000
	v_and_b32_e32 v89, 0x3f00, v96
	v_lshrrev_b16 v96, 8, v100
	global_load_b32 v100, v[82:83], off
	v_add_nc_u16 v83, v88, 0xe000
	v_or_b32_e32 v116, v143, v116
	v_and_b32_e32 v82, 0xffff, v84
	v_add_nc_u16 v84, v97, 0xe000
	v_or_b32_e32 v89, v89, v96
	v_and_b32_e32 v96, 0x3f00, v99
	v_lshrrev_b16 v83, 8, v83
	v_add_nc_u16 v116, v116, 0xe000
	v_lshlrev_b32_e32 v84, 16, v84
	s_waitcnt vmcnt(14)
	v_ashrrev_i32_e32 v97, v27, v122
	v_or_b32_e32 v88, v98, v102
	v_or_b32_e32 v83, v96, v83
	v_lshlrev_b32_e32 v91, 16, v116
	v_or_b32_e32 v84, v82, v84
	v_add_nc_u16 v89, v89, 0xe000
	v_add_nc_u16 v88, v88, 0xe000
	;; [unrolled: 1-line block ×3, first 2 shown]
	v_mad_i64_i32 v[82:83], null, 0xd2, v44, v[19:20]
	v_or_b32_e32 v90, v90, v91
	v_lshrrev_b32_e32 v91, 16, v99
	v_and_b32_e32 v99, 0xf0f0f0f, v121
	v_lshlrev_b32_e32 v19, 4, v97
	v_and_b32_e32 v88, 0xffff, v88
	ds_store_2addr_b32 v5, v90, v84 offset1:16
	v_lshlrev_b32_e32 v89, 16, v89
	v_lshlrev_b16 v98, 8, v91
	v_and_or_b32 v90, 0x30303030, v19, v99
	v_add_co_u32 v19, vcc_lo, v82, v26
	v_add_co_ci_u32_e32 v20, vcc_lo, 0, v83, vcc_lo
	v_add_co_u32 v82, vcc_lo, v82, v25
	v_or_b32_e32 v84, v88, v89
	v_and_b32_e32 v88, 0xffff, v96
	v_add_co_ci_u32_e32 v83, vcc_lo, 0, v83, vcc_lo
	global_load_b32 v96, v[19:20], off offset:128
	v_add_nc_u16 v89, v98, 0xe000
	v_lshrrev_b32_e32 v19, 16, v90
	global_load_b32 v98, v[82:83], off
	v_and_b32_e32 v20, 0x3f00, v91
	v_lshlrev_b16 v91, 8, v90
	v_lshrrev_b16 v82, 8, v89
	v_lshlrev_b16 v83, 8, v19
	v_lshrrev_b32_e32 v89, 4, v121
	v_and_b32_e32 v97, 0x30303030, v97
	v_add_nc_u16 v91, v91, 0xe000
	v_or_b32_e32 v20, v20, v82
	v_add_nc_u16 v82, v83, 0xe000
	v_and_b32_e32 v83, 0x3f00, v90
	v_and_or_b32 v89, 0xf0f0f0f, v89, v97
	v_lshrrev_b16 v90, 8, v91
	v_and_b32_e32 v19, 0x3f00, v19
	v_lshrrev_b16 v82, 8, v82
	v_add_nc_u16 v20, v20, 0xe000
	v_lshlrev_b16 v91, 8, v89
	v_or_b32_e32 v83, v83, v90
	v_lshrrev_b32_e32 v90, 16, v89
	v_or_b32_e32 v19, v19, v82
	v_and_b32_e32 v89, 0x3f00, v89
	v_add_nc_u16 v82, v91, 0xe000
	v_add_nc_u16 v83, v83, 0xe000
	v_lshlrev_b16 v91, 8, v90
	v_add_nc_u16 v19, v19, 0xe000
	v_lshlrev_b32_e32 v20, 16, v20
	v_lshrrev_b16 v82, 8, v82
	v_and_b32_e32 v83, 0xffff, v83
	v_add_nc_u16 v91, v91, 0xe000
	v_lshlrev_b32_e32 v19, 16, v19
	s_waitcnt vmcnt(14)
	v_ashrrev_i32_e32 v97, v27, v105
	v_or_b32_e32 v82, v89, v82
	v_and_b32_e32 v89, 0x3f00, v90
	v_lshrrev_b16 v90, 8, v91
	v_or_b32_e32 v102, v88, v20
	v_or_b32_e32 v103, v83, v19
	v_add_nc_u16 v88, v82, 0xe000
	v_add_co_u32 v82, s6, s16, v46
	v_or_b32_e32 v89, v89, v90
	v_mad_i64_i32 v[19:20], null, 0xd2, v45, s[16:17]
	v_add_co_ci_u32_e64 v83, null, s17, 0, s6
	v_and_b32_e32 v91, 0xf0f0f0f, v104
	v_lshlrev_b32_e32 v99, 4, v97
	v_and_b32_e32 v105, 0xffff, v88
	v_add_nc_u16 v106, v89, 0xe000
	v_mad_i64_i32 v[88:89], null, 0xd2, v48, v[82:83]
	s_delay_alu instid0(VALU_DEP_4)
	v_and_or_b32 v99, 0x30303030, v99, v91
	v_mad_i64_i32 v[90:91], null, 0xd2, v49, v[82:83]
	s_clause 0x2
	global_load_u16 v19, v[19:20], off offset:208
	global_load_b32 v88, v[88:89], off offset:192
	global_load_b32 v89, v[90:91], off offset:192
	v_lshlrev_b16 v107, 8, v99
	v_lshlrev_b32_e32 v20, 16, v106
	v_lshrrev_b32_e32 v82, 4, v104
	v_and_b32_e32 v83, 0x30303030, v97
	v_lshrrev_b32_e32 v97, 16, v99
	v_add_nc_u16 v104, v107, 0xe000
	v_or_b32_e32 v20, v105, v20
	v_and_b32_e32 v91, 0x3f00, v99
	v_and_or_b32 v82, 0xf0f0f0f, v82, v83
	v_lshlrev_b16 v90, 8, v97
	v_lshrrev_b16 v83, 8, v104
	ds_store_2addr_b32 v6, v84, v102 offset1:16
	ds_store_2addr_b32 v7, v103, v20 offset1:16
	v_lshrrev_b32_e32 v20, 16, v82
	v_add_nc_u16 v84, v90, 0xe000
	v_or_b32_e32 v83, v91, v83
	v_and_b32_e32 v90, 0x3f00, v97
	v_lshlrev_b16 v91, 8, v82
	v_lshlrev_b16 v97, 8, v20
	v_lshrrev_b16 v84, 8, v84
	s_waitcnt vmcnt(15)
	v_ashrrev_i32_e32 v95, v27, v95
	v_and_b32_e32 v20, 0x3f00, v20
	v_and_b32_e32 v82, 0x3f00, v82
	v_add_nc_u16 v83, v83, 0xe000
	v_or_b32_e32 v84, v90, v84
	v_add_nc_u16 v90, v91, 0xe000
	v_add_nc_u16 v91, v97, 0xe000
	v_and_b32_e32 v97, 0xf0f0f0f, v94
	v_lshlrev_b32_e32 v99, 4, v95
	v_add_nc_u16 v84, v84, 0xe000
	v_lshrrev_b16 v90, 8, v90
	v_lshrrev_b16 v91, 8, v91
	v_lshrrev_b32_e32 v94, 4, v94
	v_and_or_b32 v97, 0x30303030, v99, v97
	v_and_b32_e32 v95, 0x30303030, v95
	v_or_b32_e32 v82, v82, v90
	v_or_b32_e32 v20, v20, v91
	v_and_b32_e32 v83, 0xffff, v83
	v_lshrrev_b32_e32 v91, 16, v97
	v_lshlrev_b16 v90, 8, v97
	v_lshlrev_b32_e32 v84, 16, v84
	v_add_nc_u16 v82, v82, 0xe000
	v_add_nc_u16 v20, v20, 0xe000
	v_lshlrev_b16 v99, 8, v91
	v_add_nc_u16 v90, v90, 0xe000
	v_and_or_b32 v94, 0xf0f0f0f, v94, v95
	v_and_b32_e32 v97, 0x3f00, v97
	v_and_b32_e32 v82, 0xffff, v82
	v_add_nc_u16 v99, v99, 0xe000
	v_lshrrev_b16 v90, 8, v90
	v_lshlrev_b32_e32 v20, 16, v20
	v_and_b32_e32 v91, 0x3f00, v91
	v_or_b32_e32 v83, v83, v84
	v_lshrrev_b16 v95, 8, v99
	v_lshrrev_b32_e32 v84, 16, v94
	v_or_b32_e32 v90, v97, v90
	v_or_b32_e32 v20, v82, v20
	s_waitcnt vmcnt(13)
	v_ashrrev_i32_e32 v93, v27, v93
	v_or_b32_e32 v82, v91, v95
	v_lshlrev_b16 v95, 8, v84
	v_add_nc_u16 v90, v90, 0xe000
	v_lshlrev_b16 v91, 8, v94
	v_and_b32_e32 v97, 0xf0f0f0f, v92
	v_add_nc_u16 v82, v82, 0xe000
	v_add_nc_u16 v95, v95, 0xe000
	v_lshlrev_b32_e32 v99, 4, v93
	v_and_b32_e32 v90, 0xffff, v90
	v_add_nc_u16 v91, v91, 0xe000
	v_and_b32_e32 v84, 0x3f00, v84
	v_lshrrev_b16 v95, 8, v95
	v_and_or_b32 v97, 0x30303030, v99, v97
	v_lshlrev_b32_e32 v82, 16, v82
	v_and_b32_e32 v94, 0x3f00, v94
	v_lshrrev_b16 v91, 8, v91
	ds_store_2addr_b32 v8, v83, v20 offset1:16
	v_or_b32_e32 v83, v84, v95
	v_lshlrev_b16 v84, 8, v97
	v_or_b32_e32 v82, v90, v82
	v_lshrrev_b32_e32 v90, 16, v97
	v_or_b32_e32 v20, v94, v91
	v_lshrrev_b32_e32 v91, 4, v92
	v_add_nc_u16 v84, v84, 0xe000
	v_and_b32_e32 v93, 0x30303030, v93
	v_lshlrev_b16 v92, 8, v90
	v_add_nc_u16 v20, v20, 0xe000
	v_add_nc_u16 v83, v83, 0xe000
	v_and_b32_e32 v94, 0x3f00, v97
	v_lshrrev_b16 v84, 8, v84
	v_add_nc_u16 v92, v92, 0xe000
	v_and_or_b32 v91, 0xf0f0f0f, v91, v93
	v_and_b32_e32 v20, 0xffff, v20
	v_lshlrev_b32_e32 v83, 16, v83
	v_or_b32_e32 v84, v94, v84
	v_and_b32_e32 v90, 0x3f00, v90
	v_lshrrev_b16 v92, 8, v92
	v_lshrrev_b32_e32 v93, 16, v91
	v_or_b32_e32 v20, v20, v83
	v_lshlrev_b16 v83, 8, v91
	v_add_nc_u16 v84, v84, 0xe000
	v_or_b32_e32 v90, v90, v92
	v_lshlrev_b16 v92, 8, v93
	ds_store_2addr_b32 v9, v82, v20 offset1:16
	v_add_nc_u16 v20, v83, 0xe000
	v_and_b32_e32 v82, 0xffff, v84
	s_waitcnt vmcnt(11)
	v_ashrrev_i32_e32 v87, v27, v87
	v_add_nc_u16 v84, v92, 0xe000
	v_add_nc_u16 v83, v90, 0xe000
	v_and_b32_e32 v90, 0x3f00, v91
	v_lshrrev_b16 v20, 8, v20
	v_and_b32_e32 v91, 0x3f00, v93
	v_lshrrev_b16 v84, 8, v84
	v_and_b32_e32 v92, 0xf0f0f0f, v86
	v_lshlrev_b32_e32 v93, 4, v87
	v_lshlrev_b32_e32 v83, 16, v83
	v_or_b32_e32 v20, v90, v20
	v_or_b32_e32 v84, v91, v84
	v_lshrrev_b32_e32 v86, 4, v86
	v_and_b32_e32 v87, 0x30303030, v87
	v_and_or_b32 v90, 0x30303030, v93, v92
	v_or_b32_e32 v82, v82, v83
	v_add_nc_u16 v83, v84, 0xe000
	s_waitcnt vmcnt(9)
	v_ashrrev_i32_e32 v85, v27, v85
	v_and_or_b32 v84, 0xf0f0f0f, v86, v87
	v_lshrrev_b32_e32 v86, 16, v90
	v_lshlrev_b16 v87, 8, v90
	v_and_b32_e32 v90, 0x3f00, v90
	v_add_nc_u16 v20, v20, 0xe000
	v_lshrrev_b32_e32 v91, 16, v84
	v_lshlrev_b16 v92, 8, v86
	v_add_nc_u16 v87, v87, 0xe000
	v_lshlrev_b16 v93, 8, v84
	v_and_b32_e32 v86, 0x3f00, v86
	v_lshlrev_b16 v94, 8, v91
	v_add_nc_u16 v92, v92, 0xe000
	v_lshrrev_b16 v87, 8, v87
	v_add_nc_u16 v93, v93, 0xe000
	v_and_b32_e32 v84, 0x3f00, v84
	v_add_nc_u16 v94, v94, 0xe000
	v_lshrrev_b16 v92, 8, v92
	v_and_b32_e32 v91, 0x3f00, v91
	v_lshrrev_b16 v93, 8, v93
	v_or_b32_e32 v87, v90, v87
	v_lshrrev_b16 v94, 8, v94
	v_or_b32_e32 v86, v86, v92
	v_lshlrev_b32_e32 v92, 4, v85
	v_or_b32_e32 v84, v84, v93
	v_add_nc_u16 v87, v87, 0xe000
	v_or_b32_e32 v90, v91, v94
	v_and_b32_e32 v91, 0xf0f0f0f, v81
	v_add_nc_u16 v86, v86, 0xe000
	v_and_b32_e32 v20, 0xffff, v20
	v_lshlrev_b32_e32 v83, 16, v83
	v_add_nc_u16 v84, v84, 0xe000
	v_add_nc_u16 v90, v90, 0xe000
	v_and_or_b32 v91, 0x30303030, v92, v91
	v_and_b32_e32 v87, 0xffff, v87
	v_lshlrev_b32_e32 v86, 16, v86
	v_and_b32_e32 v84, 0xffff, v84
	v_lshlrev_b32_e32 v90, 16, v90
	v_or_b32_e32 v20, v20, v83
	v_lshrrev_b32_e32 v81, 4, v81
	v_or_b32_e32 v83, v87, v86
	v_lshrrev_b32_e32 v86, 16, v91
	v_and_b32_e32 v85, 0x30303030, v85
	v_lshlrev_b16 v92, 8, v91
	v_or_b32_e32 v84, v84, v90
	ds_store_2addr_b32 v10, v82, v20 offset1:16
	v_lshlrev_b16 v90, 8, v86
	v_and_or_b32 v20, 0xf0f0f0f, v81, v85
	v_add_nc_u16 v87, v92, 0xe000
	ds_store_2addr_b32 v11, v83, v84 offset1:16
	v_and_b32_e32 v91, 0x3f00, v91
	v_add_nc_u16 v81, v90, 0xe000
	v_lshrrev_b32_e32 v84, 16, v20
	v_lshrrev_b16 v87, 8, v87
	v_and_b32_e32 v83, 0x3f00, v86
	v_lshlrev_b16 v85, 8, v20
	v_lshrrev_b16 v81, 8, v81
	s_waitcnt vmcnt(7)
	v_ashrrev_i32_e32 v80, v27, v80
	v_lshlrev_b16 v86, 8, v84
	v_or_b32_e32 v82, v91, v87
	v_and_b32_e32 v20, 0x3f00, v20
	v_or_b32_e32 v81, v83, v81
	v_add_nc_u16 v83, v85, 0xe000
	v_and_b32_e32 v85, 0xf0f0f0f, v79
	v_lshlrev_b32_e32 v87, 4, v80
	v_add_nc_u16 v86, v86, 0xe000
	v_and_b32_e32 v84, 0x3f00, v84
	v_lshrrev_b16 v83, 8, v83
	v_lshrrev_b32_e32 v79, 4, v79
	v_and_or_b32 v85, 0x30303030, v87, v85
	v_lshrrev_b16 v86, 8, v86
	v_and_b32_e32 v80, 0x30303030, v80
	v_or_b32_e32 v20, v20, v83
	v_add_nc_u16 v82, v82, 0xe000
	v_lshrrev_b32_e32 v83, 16, v85
	v_or_b32_e32 v84, v84, v86
	v_lshlrev_b16 v86, 8, v85
	v_add_nc_u16 v20, v20, 0xe000
	v_and_b32_e32 v85, 0x3f00, v85
	v_lshlrev_b16 v87, 8, v83
	v_add_nc_u16 v84, v84, 0xe000
	v_add_nc_u16 v86, v86, 0xe000
	v_and_or_b32 v79, 0xf0f0f0f, v79, v80
	v_add_nc_u16 v81, v81, 0xe000
	v_add_nc_u16 v87, v87, 0xe000
	v_and_b32_e32 v83, 0x3f00, v83
	v_lshrrev_b16 v86, 8, v86
	v_and_b32_e32 v20, 0xffff, v20
	v_lshlrev_b32_e32 v84, 16, v84
	v_lshrrev_b16 v80, 8, v87
	v_and_b32_e32 v82, 0xffff, v82
	v_or_b32_e32 v85, v85, v86
	v_lshlrev_b16 v86, 8, v79
	v_lshlrev_b32_e32 v81, 16, v81
	v_or_b32_e32 v80, v83, v80
	v_or_b32_e32 v20, v20, v84
	s_waitcnt vmcnt(6)
	v_ashrrev_i32_e32 v84, v27, v101
	v_add_nc_u16 v83, v86, 0xe000
	v_or_b32_e32 v81, v82, v81
	v_add_nc_u16 v82, v85, 0xe000
	v_add_nc_u16 v80, v80, 0xe000
	v_lshrrev_b32_e32 v85, 16, v79
	v_and_b32_e32 v79, 0x3f00, v79
	v_lshrrev_b16 v83, 8, v83
	s_waitcnt vmcnt(5)
	v_and_b32_e32 v86, 0xf0f0f0f, v100
	v_lshlrev_b32_e32 v87, 4, v84
	v_and_b32_e32 v82, 0xffff, v82
	v_lshlrev_b32_e32 v80, 16, v80
	v_or_b32_e32 v79, v79, v83
	v_lshlrev_b16 v83, 8, v85
	v_and_or_b32 v86, 0x30303030, v87, v86
	ds_store_2addr_b32 v12, v81, v20 offset1:16
	v_or_b32_e32 v20, v82, v80
	v_lshrrev_b32_e32 v82, 4, v100
	v_add_nc_u16 v80, v83, 0xe000
	v_lshlrev_b16 v81, 8, v86
	v_and_b32_e32 v83, 0x30303030, v84
	v_and_b32_e32 v84, 0x3f00, v85
	v_lshrrev_b32_e32 v85, 16, v86
	v_lshrrev_b16 v80, 8, v80
	v_add_nc_u16 v81, v81, 0xe000
	v_and_or_b32 v82, 0xf0f0f0f, v82, v83
	v_and_b32_e32 v83, 0x3f00, v86
	v_lshlrev_b16 v86, 8, v85
	v_or_b32_e32 v80, v84, v80
	v_lshrrev_b16 v81, 8, v81
	v_lshlrev_b16 v84, 8, v82
	v_add_nc_u16 v79, v79, 0xe000
	v_add_nc_u16 v86, v86, 0xe000
	;; [unrolled: 1-line block ×3, first 2 shown]
	v_or_b32_e32 v81, v83, v81
	v_add_nc_u16 v83, v84, 0xe000
	v_and_b32_e32 v84, 0x3f00, v85
	v_lshrrev_b16 v85, 8, v86
	v_and_b32_e32 v86, 0x3f00, v82
	v_lshrrev_b32_e32 v82, 16, v82
	v_lshrrev_b16 v83, 8, v83
	v_add_nc_u16 v81, v81, 0xe000
	v_or_b32_e32 v84, v84, v85
	s_waitcnt vmcnt(4)
	v_ashrrev_i32_e32 v85, v27, v96
	s_waitcnt vmcnt(3)
	v_lshrrev_b32_e32 v91, 4, v98
	v_or_b32_e32 v83, v86, v83
	v_and_b32_e32 v86, 0xf0f0f0f, v98
	v_lshlrev_b16 v90, 8, v82
	v_lshlrev_b32_e32 v87, 4, v85
	v_and_b32_e32 v85, 0x30303030, v85
	v_and_b32_e32 v82, 0x3f00, v82
	v_add_nc_u16 v84, v84, 0xe000
	v_add_nc_u16 v83, v83, 0xe000
	v_and_or_b32 v86, 0x30303030, v87, v86
	v_and_or_b32 v85, 0xf0f0f0f, v91, v85
	v_add_nc_u16 v87, v90, 0xe000
	v_and_b32_e32 v79, 0xffff, v79
	v_lshlrev_b32_e32 v80, 16, v80
	v_lshrrev_b32_e32 v90, 16, v86
	v_lshrrev_b32_e32 v92, 16, v85
	v_lshlrev_b16 v91, 8, v86
	v_lshlrev_b16 v94, 8, v85
	v_lshrrev_b16 v87, 8, v87
	v_lshlrev_b16 v93, 8, v90
	v_lshlrev_b16 v95, 8, v92
	v_add_nc_u16 v91, v91, 0xe000
	v_add_nc_u16 v94, v94, 0xe000
	v_and_b32_e32 v86, 0x3f00, v86
	v_add_nc_u16 v93, v93, 0xe000
	v_add_nc_u16 v95, v95, 0xe000
	v_lshrrev_b16 v91, 8, v91
	v_and_b32_e32 v90, 0x3f00, v90
	v_and_b32_e32 v85, 0x3f00, v85
	v_lshrrev_b16 v93, 8, v93
	v_lshrrev_b16 v94, 8, v94
	v_and_b32_e32 v92, 0x3f00, v92
	v_lshrrev_b16 v95, 8, v95
	v_or_b32_e32 v82, v82, v87
	v_or_b32_e32 v86, v86, v91
	;; [unrolled: 1-line block ×5, first 2 shown]
	v_add_nc_u16 v82, v82, 0xe000
	v_add_nc_u16 v86, v86, 0xe000
	;; [unrolled: 1-line block ×5, first 2 shown]
	v_and_b32_e32 v81, 0xffff, v81
	v_lshlrev_b32_e32 v84, 16, v84
	v_and_b32_e32 v83, 0xffff, v83
	v_lshlrev_b32_e32 v82, 16, v82
	;; [unrolled: 2-line block ×4, first 2 shown]
	v_or_b32_e32 v79, v79, v80
	v_or_b32_e32 v80, v81, v84
	;; [unrolled: 1-line block ×5, first 2 shown]
	s_waitcnt vmcnt(2)
	v_cvt_f32_f16_e32 v19, v19
	s_lshl_b32 s16, s18, 8
	ds_store_2addr_b32 v13, v20, v79 offset1:16
	s_cmp_lt_i32 s16, s5
	ds_store_2addr_b32 v14, v80, v81 offset1:16
	ds_store_2addr_b32 v16, v82, v83 offset1:16
	ds_store_b32 v47, v19
	s_waitcnt vmcnt(1)
	ds_store_b32 v77, v88
	s_waitcnt vmcnt(0)
	ds_store_b32 v78, v89
	s_cbranch_scc0 .LBB196_4
; %bb.6:                                ;   in Loop: Header=BB196_5 Depth=1
	s_lshl_b32 s6, s18, 3
	s_delay_alu instid0(SALU_CYCLE_1) | instskip(NEXT) | instid1(VALU_DEP_1)
	v_add_nc_u32_e32 v19, s6, v54
	v_cmp_gt_i32_e32 vcc_lo, s8, v19
	s_and_b32 s21, s1, vcc_lo
	s_delay_alu instid0(SALU_CYCLE_1)
	s_and_saveexec_b32 s17, s21
	s_cbranch_execz .LBB196_8
; %bb.7:                                ;   in Loop: Header=BB196_5 Depth=1
	v_add_nc_u32_e32 v79, v64, v19
	s_delay_alu instid0(VALU_DEP_1)
	v_mad_i64_i32 v[19:20], null, v79, 36, v[17:18]
	global_load_b32 v19, v[19:20], off offset:4
	s_waitcnt vmcnt(0)
	ds_store_b32 v51, v19
.LBB196_8:                              ;   in Loop: Header=BB196_5 Depth=1
	s_or_b32 exec_lo, exec_lo, s17
	s_and_saveexec_b32 s17, s0
	s_cbranch_execz .LBB196_11
; %bb.9:                                ;   in Loop: Header=BB196_5 Depth=1
	v_or_b32_e32 v19, s6, v22
	s_delay_alu instid0(VALU_DEP_1) | instskip(SKIP_1) | instid1(SALU_CYCLE_1)
	v_cmp_gt_i32_e32 vcc_lo, s8, v19
	s_and_b32 s21, s1, vcc_lo
	s_and_b32 exec_lo, exec_lo, s21
	s_cbranch_execz .LBB196_11
; %bb.10:                               ;   in Loop: Header=BB196_5 Depth=1
	v_add_nc_u32_e32 v79, v64, v19
	s_delay_alu instid0(VALU_DEP_1)
	v_mad_i64_i32 v[19:20], null, v79, 36, s[2:3]
	global_load_b32 v19, v[19:20], off
	s_waitcnt vmcnt(0)
	v_cvt_f32_f16_e32 v19, v19
	ds_store_b32 v53, v19
.LBB196_11:                             ;   in Loop: Header=BB196_5 Depth=1
	s_or_b32 exec_lo, exec_lo, s17
	s_waitcnt lgkmcnt(0)
	s_barrier
	buffer_gl0_inv
	ds_load_b32 v19, v56
	ds_load_b32 v20, v57 offset:128
	ds_load_b32 v79, v58 offset:256
	ds_load_b32 v80, v59 offset:384
	s_mov_b32 s21, 0
	s_mov_b32 s17, -1
.LBB196_12:                             ;   Parent Loop BB196_5 Depth=1
                                        ; =>  This Inner Loop Header: Depth=2
	v_lshl_or_b32 v81, s21, 1, v39
	s_lshr_b32 s22, s21, 1
	s_lshl_b32 s21, s21, 3
	v_add_nc_u32_e32 v93, s22, v60
	v_add_nc_u32_e32 v82, s21, v61
	;; [unrolled: 1-line block ×8, first 2 shown]
	v_lshlrev_b32_e32 v94, 2, v81
	v_lshrrev_b32_e32 v161, 1, v81
	ds_load_2addr_b32 v[97:98], v82 offset0:10 offset1:11
	ds_load_2addr_b32 v[99:100], v82 offset0:8 offset1:9
	;; [unrolled: 1-line block ×5, first 2 shown]
	ds_load_2addr_b32 v[107:108], v82 offset1:1
	ds_load_2addr_b32 v[109:110], v84 offset1:1
	ds_load_b32 v163, v83
	ds_load_2addr_b32 v[111:112], v82 offset0:14 offset1:15
	ds_load_2addr_b32 v[113:114], v82 offset0:12 offset1:13
	ds_load_2addr_b32 v[115:116], v84 offset0:8 offset1:9
	ds_load_2addr_b32 v[117:118], v84 offset0:6 offset1:7
	ds_load_2addr_b32 v[119:120], v84 offset0:4 offset1:5
	ds_load_2addr_b32 v[121:122], v84 offset0:2 offset1:3
	ds_load_b32 v164, v85
	ds_load_2addr_b32 v[123:124], v84 offset0:14 offset1:15
	ds_load_2addr_b32 v[125:126], v84 offset0:12 offset1:13
	;; [unrolled: 1-line block ×6, first 2 shown]
	ds_load_2addr_b32 v[135:136], v86 offset1:1
	ds_load_2addr_b32 v[137:138], v86 offset0:14 offset1:15
	ds_load_2addr_b32 v[139:140], v86 offset0:12 offset1:13
	;; [unrolled: 1-line block ×7, first 2 shown]
	ds_load_2addr_b32 v[151:152], v88 offset1:1
	ds_load_b32 v165, v87
	ds_load_2addr_b32 v[153:154], v88 offset0:14 offset1:15
	ds_load_2addr_b32 v[155:156], v88 offset0:12 offset1:13
	;; [unrolled: 1-line block ×4, first 2 shown]
	ds_load_b128 v[81:84], v94 offset:35440
	ds_load_b128 v[85:88], v94 offset:35424
	;; [unrolled: 1-line block ×3, first 2 shown]
	ds_load_b32 v166, v93
	ds_load_b128 v[93:96], v94 offset:35392
	ds_load_b64 v[161:162], v161 offset:36944
	s_waitcnt lgkmcnt(33)
	v_bfe_i32 v167, v163, 8, 8
	v_bfe_i32 v168, v163, 0, 8
	v_bfe_i32 v169, v163, 16, 8
	v_ashrrev_i32_e32 v163, 24, v163
	s_waitcnt lgkmcnt(26)
	v_bfe_i32 v170, v164, 8, 8
	v_bfe_i32 v171, v164, 0, 8
	v_bfe_i32 v172, v164, 16, 8
	v_ashrrev_i32_e32 v164, 24, v164
	s_mov_b32 s21, 8
	s_waitcnt lgkmcnt(10)
	v_bfe_i32 v173, v165, 8, 8
	v_bfe_i32 v174, v165, 0, 8
	;; [unrolled: 1-line block ×3, first 2 shown]
	v_ashrrev_i32_e32 v165, 24, v165
	s_and_b32 vcc_lo, exec_lo, s17
	s_waitcnt lgkmcnt(5)
	v_dot4_i32_iu8 v111, v111, v83, 0 neg_lo:[1,1,0]
	s_waitcnt lgkmcnt(4)
	v_dot4_i32_iu8 v97, v97, v87, 0 neg_lo:[1,1,0]
	;; [unrolled: 2-line block ×3, first 2 shown]
	v_dot4_i32_iu8 v123, v123, v83, 0 neg_lo:[1,1,0]
	s_waitcnt lgkmcnt(1)
	v_dot4_i32_iu8 v105, v105, v95, 0 neg_lo:[1,1,0]
	v_dot4_i32_iu8 v117, v117, v91, 0 neg_lo:[1,1,0]
	;; [unrolled: 1-line block ×40, first 2 shown]
	v_bfe_i32 v176, v166, 8, 8
	v_bfe_i32 v177, v166, 0, 8
	v_bfe_i32 v178, v166, 16, 8
	v_ashrrev_i32_e32 v166, 24, v166
	v_dot4_i32_iu8 v95, v108, v94, v101 neg_lo:[1,1,0]
	v_dot4_i32_iu8 v101, v110, v94, v109 neg_lo:[1,1,0]
	;; [unrolled: 1-line block ×18, first 2 shown]
	v_mul_lo_u32 v81, v87, v176
	v_mul_lo_u32 v82, v86, v166
	;; [unrolled: 1-line block ×4, first 2 shown]
	v_dot4_i32_iu8 v92, v150, v96, v85 neg_lo:[1,1,0]
	v_mul_lo_u32 v85, v99, v170
	v_mul_lo_u32 v86, v97, v164
	;; [unrolled: 1-line block ×4, first 2 shown]
	v_dot4_i32_iu8 v100, v134, v96, v107 neg_lo:[1,1,0]
	v_mad_u64_u32 v[89:90], null, v91, v177, v[81:82]
	v_mad_u64_u32 v[90:91], null, v94, v178, v[82:83]
	;; [unrolled: 1-line block ×8, first 2 shown]
	v_cvt_f32_i32_e32 v87, v89
	v_cvt_f32_i32_e32 v81, v81
	;; [unrolled: 1-line block ×8, first 2 shown]
	s_waitcnt lgkmcnt(0)
	v_fma_f32 v87, v161, v87, 0
	v_fma_f32 v81, v161, v81, 0
	;; [unrolled: 1-line block ×4, first 2 shown]
	s_mov_b32 s17, 0
	v_fmac_f32_e32 v87, v162, v88
	v_fmac_f32_e32 v81, v162, v82
	;; [unrolled: 1-line block ×4, first 2 shown]
	s_delay_alu instid0(VALU_DEP_4) | instskip(NEXT) | instid1(VALU_DEP_3)
	v_fmac_f32_e32 v23, v19, v87
	v_dual_fmac_f32 v55, v20, v81 :: v_dual_fmac_f32 v50, v79, v83
	s_delay_alu instid0(VALU_DEP_3)
	v_fmac_f32_e32 v15, v80, v85
	s_cbranch_vccnz .LBB196_12
; %bb.13:                               ;   in Loop: Header=BB196_5 Depth=1
	s_bitset1_b32 s16, 7
	s_delay_alu instid0(SALU_CYCLE_1)
	s_cmp_ge_i32 s16, s5
	s_barrier
	buffer_gl0_inv
	s_cbranch_scc1 .LBB196_4
; %bb.14:                               ;   in Loop: Header=BB196_5 Depth=1
	v_add_nc_u32_e32 v19, s6, v52
	s_delay_alu instid0(VALU_DEP_1) | instskip(SKIP_1) | instid1(SALU_CYCLE_1)
	v_cmp_gt_i32_e32 vcc_lo, s8, v19
	s_and_b32 s17, s1, vcc_lo
	s_and_saveexec_b32 s16, s17
	s_cbranch_execz .LBB196_16
; %bb.15:                               ;   in Loop: Header=BB196_5 Depth=1
	v_add_nc_u32_e32 v79, v64, v19
	s_delay_alu instid0(VALU_DEP_1)
	v_mad_i64_i32 v[19:20], null, v79, 36, v[17:18]
	global_load_b32 v19, v[19:20], off offset:4
	s_waitcnt vmcnt(0)
	ds_store_b32 v51, v19
.LBB196_16:                             ;   in Loop: Header=BB196_5 Depth=1
	s_or_b32 exec_lo, exec_lo, s16
	s_and_saveexec_b32 s16, s0
	s_cbranch_execz .LBB196_19
; %bb.17:                               ;   in Loop: Header=BB196_5 Depth=1
	v_or_b32_e32 v19, s6, v22
	s_delay_alu instid0(VALU_DEP_1) | instskip(NEXT) | instid1(VALU_DEP_1)
	v_or_b32_e32 v20, 4, v19
	v_cmp_gt_i32_e32 vcc_lo, s8, v20
	s_and_b32 s6, s1, vcc_lo
	s_delay_alu instid0(SALU_CYCLE_1)
	s_and_b32 exec_lo, exec_lo, s6
	s_cbranch_execz .LBB196_19
; %bb.18:                               ;   in Loop: Header=BB196_5 Depth=1
	v_ashrrev_i32_e32 v20, 31, v19
	v_add_co_u32 v79, vcc_lo, v64, v19
	s_delay_alu instid0(VALU_DEP_2) | instskip(NEXT) | instid1(VALU_DEP_2)
	v_add_co_ci_u32_e32 v80, vcc_lo, v69, v20, vcc_lo
	v_mad_u64_u32 v[19:20], null, v79, 36, s[14:15]
	s_delay_alu instid0(VALU_DEP_1)
	v_mad_i32_i24 v20, v80, 36, v20
	global_load_b32 v19, v[19:20], off
	s_waitcnt vmcnt(0)
	v_cvt_f32_f16_e32 v19, v19
	ds_store_b32 v53, v19
.LBB196_19:                             ;   in Loop: Header=BB196_5 Depth=1
	s_or_b32 exec_lo, exec_lo, s16
	s_waitcnt lgkmcnt(0)
	s_barrier
	buffer_gl0_inv
	ds_load_b32 v19, v56
	ds_load_b32 v20, v57 offset:128
	ds_load_b32 v79, v58 offset:256
	;; [unrolled: 1-line block ×3, first 2 shown]
	v_dual_mov_b32 v81, v76 :: v_dual_mov_b32 v82, v75
	v_dual_mov_b32 v83, v74 :: v_dual_mov_b32 v84, v73
	;; [unrolled: 1-line block ×3, first 2 shown]
	v_mov_b32_e32 v87, v70
	s_mov_b32 s6, 8
.LBB196_20:                             ;   Parent Loop BB196_5 Depth=1
                                        ; =>  This Inner Loop Header: Depth=2
	ds_load_b128 v[88:91], v85
	ds_load_b128 v[92:95], v85 offset:16
	ds_load_b128 v[96:99], v85 offset:32
	;; [unrolled: 1-line block ×3, first 2 shown]
	ds_load_b64 v[104:105], v86
	ds_load_2addr_b32 v[106:107], v87 offset0:6 offset1:7
	ds_load_2addr_b32 v[108:109], v87 offset0:4 offset1:5
	;; [unrolled: 1-line block ×3, first 2 shown]
	ds_load_2addr_b32 v[112:113], v87 offset1:1
	ds_load_2addr_b32 v[114:115], v87 offset0:14 offset1:15
	ds_load_2addr_b32 v[116:117], v87 offset0:12 offset1:13
	ds_load_2addr_b32 v[118:119], v87 offset0:10 offset1:11
	ds_load_2addr_b32 v[120:121], v87 offset0:8 offset1:9
	v_add_nc_u32_e32 v122, 0x2090, v87
	v_add_nc_u32_e32 v124, 0x2088, v87
	;; [unrolled: 1-line block ×24, first 2 shown]
	ds_load_b32 v170, v81
	ds_load_b32 v171, v82
	;; [unrolled: 1-line block ×4, first 2 shown]
	ds_load_2addr_b32 v[122:123], v122 offset1:1
	ds_load_2addr_b32 v[124:125], v124 offset1:1
	;; [unrolled: 1-line block ×24, first 2 shown]
	s_waitcnt lgkmcnt(31)
	v_dot4_i32_iu8 v114, v114, v102, 0 neg_lo:[1,1,0]
	s_waitcnt lgkmcnt(29)
	v_dot4_i32_iu8 v118, v118, v98, 0 neg_lo:[1,1,0]
	v_dot4_i32_iu8 v106, v106, v94, 0 neg_lo:[1,1,0]
	;; [unrolled: 1-line block ×3, first 2 shown]
	v_add_nc_u32_e32 v86, 8, v86
	v_dot4_i32_iu8 v114, v116, v100, v114 neg_lo:[1,1,0]
	s_waitcnt lgkmcnt(28)
	v_dot4_i32_iu8 v116, v120, v96, v118 neg_lo:[1,1,0]
	v_dot4_i32_iu8 v106, v108, v92, v106 neg_lo:[1,1,0]
	;; [unrolled: 1-line block ×3, first 2 shown]
	s_waitcnt lgkmcnt(19)
	v_dot4_i32_iu8 v110, v130, v102, 0 neg_lo:[1,1,0]
	s_waitcnt lgkmcnt(17)
	v_dot4_i32_iu8 v112, v134, v98, 0 neg_lo:[1,1,0]
	v_dot4_i32_iu8 v118, v126, v94, 0 neg_lo:[1,1,0]
	v_dot4_i32_iu8 v120, v124, v90, 0 neg_lo:[1,1,0]
	s_waitcnt lgkmcnt(13)
	v_dot4_i32_iu8 v130, v142, v94, 0 neg_lo:[1,1,0]
	s_waitcnt lgkmcnt(11)
	v_dot4_i32_iu8 v124, v146, v102, 0 neg_lo:[1,1,0]
	s_waitcnt lgkmcnt(5)
	v_dot4_i32_iu8 v94, v158, v94, 0 neg_lo:[1,1,0]
	s_waitcnt lgkmcnt(3)
	v_dot4_i32_iu8 v102, v162, v102, 0 neg_lo:[1,1,0]
	v_dot4_i32_iu8 v126, v150, v98, 0 neg_lo:[1,1,0]
	v_dot4_i32_iu8 v134, v140, v90, 0 neg_lo:[1,1,0]
	s_waitcnt lgkmcnt(1)
	v_dot4_i32_iu8 v98, v166, v98, 0 neg_lo:[1,1,0]
	v_dot4_i32_iu8 v90, v156, v90, 0 neg_lo:[1,1,0]
	;; [unrolled: 1-line block ×13, first 2 shown]
	v_bfe_i32 v174, v170, 8, 8
	v_bfe_i32 v175, v170, 0, 8
	;; [unrolled: 1-line block ×3, first 2 shown]
	v_ashrrev_i32_e32 v170, 24, v170
	v_dot4_i32_iu8 v116, v121, v97, v116 neg_lo:[1,1,0]
	v_dot4_i32_iu8 v118, v152, v96, v126 neg_lo:[1,1,0]
	v_dot4_i32_iu8 v121, v144, v88, v134 neg_lo:[1,1,0]
	s_waitcnt lgkmcnt(0)
	v_dot4_i32_iu8 v96, v168, v96, v98 neg_lo:[1,1,0]
	v_dot4_i32_iu8 v88, v160, v88, v90 neg_lo:[1,1,0]
	;; [unrolled: 1-line block ×12, first 2 shown]
	v_bfe_i32 v177, v171, 8, 8
	v_bfe_i32 v178, v171, 0, 8
	;; [unrolled: 1-line block ×3, first 2 shown]
	v_ashrrev_i32_e32 v171, 24, v171
	v_dot4_i32_iu8 v109, v129, v89, v113 neg_lo:[1,1,0]
	v_dot4_i32_iu8 v113, v145, v89, v121 neg_lo:[1,1,0]
	;; [unrolled: 1-line block ×3, first 2 shown]
	v_mul_lo_u32 v88, v94, v174
	v_mul_lo_u32 v89, v90, v170
	v_dot4_i32_iu8 v94, v131, v103, v106 neg_lo:[1,1,0]
	v_dot4_i32_iu8 v90, v127, v95, v108 neg_lo:[1,1,0]
	v_bfe_i32 v180, v172, 8, 8
	v_dot4_i32_iu8 v108, v143, v95, v112 neg_lo:[1,1,0]
	v_bfe_i32 v181, v172, 0, 8
	v_bfe_i32 v182, v172, 16, 8
	v_ashrrev_i32_e32 v172, 24, v172
	v_dot4_i32_iu8 v111, v153, v97, v118 neg_lo:[1,1,0]
	v_dot4_i32_iu8 v96, v169, v97, v96 neg_lo:[1,1,0]
	;; [unrolled: 1-line block ×3, first 2 shown]
	v_bfe_i32 v183, v173, 8, 8
	v_dot4_i32_iu8 v95, v159, v95, v92 neg_lo:[1,1,0]
	v_bfe_i32 v184, v173, 0, 8
	v_bfe_i32 v185, v173, 16, 8
	v_ashrrev_i32_e32 v173, 24, v173
	v_dot4_i32_iu8 v100, v163, v103, v100 neg_lo:[1,1,0]
	v_dot4_i32_iu8 v106, v125, v91, v109 neg_lo:[1,1,0]
	;; [unrolled: 1-line block ×4, first 2 shown]
	v_mul_lo_u32 v90, v90, v177
	v_mul_lo_u32 v91, v94, v171
	;; [unrolled: 1-line block ×4, first 2 shown]
	v_dot4_i32_iu8 v102, v119, v99, v116 neg_lo:[1,1,0]
	v_mul_lo_u32 v94, v95, v183
	v_dot4_i32_iu8 v101, v135, v99, v107 neg_lo:[1,1,0]
	v_mul_lo_u32 v95, v100, v173
	v_dot4_i32_iu8 v107, v151, v99, v111 neg_lo:[1,1,0]
	v_dot4_i32_iu8 v99, v167, v99, v96 neg_lo:[1,1,0]
	v_mad_u64_u32 v[96:97], null, v98, v175, v[88:89]
	v_mad_u64_u32 v[97:98], null, v102, v176, v[89:90]
	;; [unrolled: 1-line block ×8, first 2 shown]
	v_cvt_f32_i32_e32 v94, v96
	v_cvt_f32_i32_e32 v88, v88
	;; [unrolled: 1-line block ×5, first 2 shown]
	v_fma_f32 v94, v104, v94, 0
	v_cvt_f32_i32_e32 v89, v89
	v_cvt_f32_i32_e32 v91, v91
	;; [unrolled: 1-line block ×3, first 2 shown]
	v_fma_f32 v88, v104, v88, 0
	v_fma_f32 v90, v104, v90, 0
	;; [unrolled: 1-line block ×3, first 2 shown]
	v_add_nc_u32_e32 v87, 64, v87
	v_dual_fmac_f32 v94, v105, v95 :: v_dual_add_nc_u32 v85, 64, v85
	s_delay_alu instid0(VALU_DEP_3)
	v_dual_fmac_f32 v92, v105, v93 :: v_dual_add_nc_u32 v83, 4, v83
	v_fmac_f32_e32 v88, v105, v89
	v_dual_fmac_f32 v90, v105, v91 :: v_dual_add_nc_u32 v81, 4, v81
	v_add_nc_u32_e32 v84, 4, v84
	v_add_nc_u32_e32 v82, 4, v82
	v_fmac_f32_e32 v23, v19, v94
	s_delay_alu instid0(VALU_DEP_4) | instskip(SKIP_2) | instid1(SALU_CYCLE_1)
	v_dual_fmac_f32 v55, v20, v88 :: v_dual_fmac_f32 v50, v79, v90
	v_fmac_f32_e32 v15, v80, v92
	s_add_i32 s6, s6, 8
	s_cmp_lt_u32 s6, 24
	s_cbranch_scc1 .LBB196_20
; %bb.21:                               ;   in Loop: Header=BB196_5 Depth=1
	s_barrier
	buffer_gl0_inv
	s_branch .LBB196_4
.LBB196_22:
	s_mul_i32 s0, s10, s7
	s_waitcnt vmcnt(0)
	v_cmp_gt_i32_e32 vcc_lo, s0, v21
	s_and_saveexec_b32 s0, vcc_lo
	s_cbranch_execz .LBB196_31
; %bb.23:
	v_mul_lo_u32 v0, v21, s9
	v_add_nc_u32_e32 v1, s11, v22
	s_mov_b32 s0, exec_lo
	s_delay_alu instid0(VALU_DEP_1)
	v_cmpx_gt_u32_e64 s9, v1
	s_cbranch_execz .LBB196_25
; %bb.24:
	s_delay_alu instid0(VALU_DEP_3) | instskip(NEXT) | instid1(VALU_DEP_1)
	v_dual_mov_b32 v3, 0 :: v_dual_add_nc_u32 v2, v0, v1
	v_lshlrev_b64 v[2:3], 2, v[2:3]
	s_delay_alu instid0(VALU_DEP_1) | instskip(NEXT) | instid1(VALU_DEP_2)
	v_add_co_u32 v2, vcc_lo, s12, v2
	v_add_co_ci_u32_e32 v3, vcc_lo, s13, v3, vcc_lo
	global_store_b32 v[2:3], v23, off
.LBB196_25:
	s_or_b32 exec_lo, exec_lo, s0
	v_add_nc_u32_e32 v2, 32, v1
	s_mov_b32 s0, exec_lo
	s_delay_alu instid0(VALU_DEP_1)
	v_cmpx_gt_u32_e64 s9, v2
	s_cbranch_execz .LBB196_27
; %bb.26:
	v_dual_mov_b32 v3, 0 :: v_dual_add_nc_u32 v2, v0, v2
	s_delay_alu instid0(VALU_DEP_1) | instskip(NEXT) | instid1(VALU_DEP_1)
	v_lshlrev_b64 v[2:3], 2, v[2:3]
	v_add_co_u32 v2, vcc_lo, s12, v2
	s_delay_alu instid0(VALU_DEP_2)
	v_add_co_ci_u32_e32 v3, vcc_lo, s13, v3, vcc_lo
	global_store_b32 v[2:3], v55, off
.LBB196_27:
	s_or_b32 exec_lo, exec_lo, s0
	v_add_nc_u32_e32 v2, 64, v1
	s_mov_b32 s0, exec_lo
	s_delay_alu instid0(VALU_DEP_1)
	v_cmpx_gt_u32_e64 s9, v2
	s_cbranch_execz .LBB196_29
; %bb.28:
	v_dual_mov_b32 v3, 0 :: v_dual_add_nc_u32 v2, v0, v2
	s_delay_alu instid0(VALU_DEP_1) | instskip(NEXT) | instid1(VALU_DEP_1)
	v_lshlrev_b64 v[2:3], 2, v[2:3]
	v_add_co_u32 v2, vcc_lo, s12, v2
	s_delay_alu instid0(VALU_DEP_2)
	v_add_co_ci_u32_e32 v3, vcc_lo, s13, v3, vcc_lo
	global_store_b32 v[2:3], v50, off
.LBB196_29:
	s_or_b32 exec_lo, exec_lo, s0
	v_add_nc_u32_e32 v1, 0x60, v1
	s_delay_alu instid0(VALU_DEP_1)
	v_cmp_gt_u32_e32 vcc_lo, s9, v1
	s_and_b32 exec_lo, exec_lo, vcc_lo
	s_cbranch_execz .LBB196_31
; %bb.30:
	v_dual_mov_b32 v1, 0 :: v_dual_add_nc_u32 v0, v0, v1
	s_delay_alu instid0(VALU_DEP_1) | instskip(NEXT) | instid1(VALU_DEP_1)
	v_lshlrev_b64 v[0:1], 2, v[0:1]
	v_add_co_u32 v0, vcc_lo, s12, v0
	s_delay_alu instid0(VALU_DEP_2)
	v_add_co_ci_u32_e32 v1, vcc_lo, s13, v1, vcc_lo
	global_store_b32 v[0:1], v15, off
.LBB196_31:
	s_nop 0
	s_sendmsg sendmsg(MSG_DEALLOC_VGPRS)
	s_endpgm
	.section	.rodata,"a",@progbits
	.p2align	6, 0x0
	.amdhsa_kernel _ZL8moe_q6_KIfLb1EEvPKvS1_PT_PKiS5_S5_iiiiiii
		.amdhsa_group_segment_fixed_size 37072
		.amdhsa_private_segment_fixed_size 0
		.amdhsa_kernarg_size 76
		.amdhsa_user_sgpr_count 14
		.amdhsa_user_sgpr_dispatch_ptr 0
		.amdhsa_user_sgpr_queue_ptr 0
		.amdhsa_user_sgpr_kernarg_segment_ptr 1
		.amdhsa_user_sgpr_dispatch_id 0
		.amdhsa_user_sgpr_private_segment_size 0
		.amdhsa_wavefront_size32 1
		.amdhsa_uses_dynamic_stack 0
		.amdhsa_enable_private_segment 0
		.amdhsa_system_sgpr_workgroup_id_x 1
		.amdhsa_system_sgpr_workgroup_id_y 1
		.amdhsa_system_sgpr_workgroup_id_z 0
		.amdhsa_system_sgpr_workgroup_info 0
		.amdhsa_system_vgpr_workitem_id 1
		.amdhsa_next_free_vgpr 186
		.amdhsa_next_free_sgpr 23
		.amdhsa_reserve_vcc 1
		.amdhsa_float_round_mode_32 0
		.amdhsa_float_round_mode_16_64 0
		.amdhsa_float_denorm_mode_32 3
		.amdhsa_float_denorm_mode_16_64 3
		.amdhsa_dx10_clamp 1
		.amdhsa_ieee_mode 1
		.amdhsa_fp16_overflow 0
		.amdhsa_workgroup_processor_mode 1
		.amdhsa_memory_ordered 1
		.amdhsa_forward_progress 0
		.amdhsa_shared_vgpr_count 0
		.amdhsa_exception_fp_ieee_invalid_op 0
		.amdhsa_exception_fp_denorm_src 0
		.amdhsa_exception_fp_ieee_div_zero 0
		.amdhsa_exception_fp_ieee_overflow 0
		.amdhsa_exception_fp_ieee_underflow 0
		.amdhsa_exception_fp_ieee_inexact 0
		.amdhsa_exception_int_div_zero 0
	.end_amdhsa_kernel
	.section	.text._ZL8moe_q6_KIfLb1EEvPKvS1_PT_PKiS5_S5_iiiiiii,"axG",@progbits,_ZL8moe_q6_KIfLb1EEvPKvS1_PT_PKiS5_S5_iiiiiii,comdat
.Lfunc_end196:
	.size	_ZL8moe_q6_KIfLb1EEvPKvS1_PT_PKiS5_S5_iiiiiii, .Lfunc_end196-_ZL8moe_q6_KIfLb1EEvPKvS1_PT_PKiS5_S5_iiiiiii
                                        ; -- End function
	.section	.AMDGPU.csdata,"",@progbits
; Kernel info:
; codeLenInByte = 11312
; NumSgprs: 25
; NumVgprs: 186
; ScratchSize: 0
; MemoryBound: 0
; FloatMode: 240
; IeeeMode: 1
; LDSByteSize: 37072 bytes/workgroup (compile time only)
; SGPRBlocks: 3
; VGPRBlocks: 23
; NumSGPRsForWavesPerEU: 25
; NumVGPRsForWavesPerEU: 186
; Occupancy: 6
; WaveLimiterHint : 1
; COMPUTE_PGM_RSRC2:SCRATCH_EN: 0
; COMPUTE_PGM_RSRC2:USER_SGPR: 14
; COMPUTE_PGM_RSRC2:TRAP_HANDLER: 0
; COMPUTE_PGM_RSRC2:TGID_X_EN: 1
; COMPUTE_PGM_RSRC2:TGID_Y_EN: 1
; COMPUTE_PGM_RSRC2:TGID_Z_EN: 0
; COMPUTE_PGM_RSRC2:TIDIG_COMP_CNT: 1
	.section	.text._ZL8moe_q4_0IN3c104HalfELb0EEvPKvS3_PT_PKiS7_S7_iiiiiii,"axG",@progbits,_ZL8moe_q4_0IN3c104HalfELb0EEvPKvS3_PT_PKiS7_S7_iiiiiii,comdat
	.globl	_ZL8moe_q4_0IN3c104HalfELb0EEvPKvS3_PT_PKiS7_S7_iiiiiii ; -- Begin function _ZL8moe_q4_0IN3c104HalfELb0EEvPKvS3_PT_PKiS7_S7_iiiiiii
	.p2align	8
	.type	_ZL8moe_q4_0IN3c104HalfELb0EEvPKvS3_PT_PKiS7_S7_iiiiiii,@function
_ZL8moe_q4_0IN3c104HalfELb0EEvPKvS3_PT_PKiS7_S7_iiiiiii: ; @_ZL8moe_q4_0IN3c104HalfELb0EEvPKvS3_PT_PKiS7_S7_iiiiiii
; %bb.0:
	s_load_b128 s[4:7], s[0:1], 0x18
	s_mov_b32 s2, s15
	s_mov_b32 s3, 0
	s_delay_alu instid0(SALU_CYCLE_1)
	s_lshl_b64 s[8:9], s[2:3], 2
	s_waitcnt lgkmcnt(0)
	s_add_u32 s6, s6, s8
	s_addc_u32 s7, s7, s9
	s_load_b32 s12, s[6:7], 0x0
	s_waitcnt lgkmcnt(0)
	s_cmpk_gt_u32 s12, 0xff
	s_cbranch_scc1 .LBB197_32
; %bb.1:
	s_load_b64 s[6:7], s[0:1], 0x28
	s_lshl_b32 s2, s2, 3
	s_waitcnt lgkmcnt(0)
	s_load_b32 s3, s[6:7], 0x0
	s_waitcnt lgkmcnt(0)
	s_cmp_gt_u32 s2, s3
	s_cbranch_scc1 .LBB197_32
; %bb.2:
	v_bfe_u32 v3, v0, 10, 10
	v_mov_b32_e32 v2, 0
	s_lshl_b32 s14, s14, 7
	s_delay_alu instid0(VALU_DEP_2) | instskip(NEXT) | instid1(VALU_DEP_2)
	v_add_nc_u32_e32 v1, s2, v3
	v_dual_mov_b32 v0, v2 :: v_dual_and_b32 v15, 0x3ff, v0
	s_delay_alu instid0(VALU_DEP_2) | instskip(NEXT) | instid1(VALU_DEP_1)
	v_lshlrev_b64 v[4:5], 2, v[1:2]
	v_add_co_u32 v4, vcc_lo, s4, v4
	s_delay_alu instid0(VALU_DEP_2)
	v_add_co_ci_u32_e32 v5, vcc_lo, s5, v5, vcc_lo
	global_load_b32 v14, v[4:5], off
	s_clause 0x2
	s_load_b64 s[10:11], s[0:1], 0x30
	s_load_b64 s[8:9], s[0:1], 0x10
	s_load_b128 s[4:7], s[0:1], 0x3c
	v_mov_b32_e32 v4, v2
	v_mov_b32_e32 v5, v2
	s_waitcnt lgkmcnt(0)
	s_cmp_lt_i32 s11, 32
	s_cbranch_scc1 .LBB197_23
; %bb.3:
	s_load_b128 s[0:3], s[0:1], 0x0
	s_ashr_i32 s13, s11, 31
	s_ashr_i32 s15, s5, 31
	s_mul_i32 s12, s12, s10
	s_lshr_b32 s10, s13, 27
	s_lshr_b32 s13, s15, 27
	s_add_i32 s17, s11, s10
	s_add_i32 s10, s5, s13
	s_ashr_i32 s5, s17, 5
	s_ashr_i32 s15, s12, 31
	s_mul_i32 s13, s5, s14
	s_ashr_i32 s10, s10, 5
	s_mul_hi_i32 s16, s13, 18
	s_mul_i32 s13, s13, 18
	s_waitcnt vmcnt(0)
	v_sub_nc_u32_e32 v5, 0, v14
	v_lshrrev_b32_e32 v21, 3, v15
	v_mul_lo_u32 v19, s5, v3
	v_dual_mov_b32 v17, 0 :: v_dual_lshlrev_b32 v0, 2, v15
	s_delay_alu instid0(VALU_DEP_4)
	v_max_i32_e32 v5, v14, v5
	s_waitcnt lgkmcnt(0)
	s_add_u32 s0, s0, s12
	s_addc_u32 s1, s1, s15
	s_add_u32 s15, s0, s13
	s_addc_u32 s16, s1, s16
	s_abs_i32 s1, s7
	s_lshl_b32 s0, s5, 3
	v_cvt_f32_u32_e32 v2, s1
	s_sub_i32 s12, 0, s1
	v_dual_mov_b32 v77, 0 :: v_dual_add_nc_u32 v20, s0, v19
	v_dual_mov_b32 v79, 0 :: v_dual_and_b32 v4, 31, v15
	s_delay_alu instid0(VALU_DEP_3) | instskip(SKIP_1) | instid1(VALU_DEP_3)
	v_rcp_iflag_f32_e32 v2, v2
	v_lshlrev_b32_e32 v1, 2, v3
	v_add_nc_u32_e32 v22, s0, v20
	v_lshlrev_b32_e32 v67, 7, v3
	v_mad_u32_u24 v24, 0x84, v3, v0
	s_and_not1_b32 s17, s17, 31
	v_and_b32_e32 v62, 0xfc, v15
	v_lshrrev_b32_e32 v16, 2, v15
	v_lshl_or_b32 v4, v4, 2, v67
	v_add_nc_u32_e32 v26, 0x420, v24
	v_mul_f32_e32 v2, 0x4f7ffffe, v2
	v_add_nc_u32_e32 v6, v21, v1
	v_or_b32_e32 v1, v1, v15
	v_add_nc_u32_e32 v57, 0x5280, v4
	v_add_nc_u32_e32 v4, 0x60, v15
	v_cvt_u32_f32_e32 v2, v2
	v_mul_lo_u32 v46, s5, v6
	v_and_b32_e32 v9, 0x1ffc, v6
	v_lshlrev_b32_e32 v10, 5, v6
	v_add_nc_u32_e32 v11, 32, v6
	v_mul_lo_u32 v8, s12, v2
	v_lshl_add_u32 v58, v1, 2, 0x5680
	v_add_nc_u32_e32 v1, 32, v15
	v_and_b32_e32 v4, 0x1fc, v4
	v_add_nc_u32_e32 v51, s17, v46
	v_add_nc_u32_e32 v28, 0x840, v24
	;; [unrolled: 1-line block ×3, first 2 shown]
	v_lshrrev_b32_e32 v60, 3, v1
	v_mul_hi_u32 v8, v2, v8
	v_and_b32_e32 v1, 0x1fc, v1
	v_add_nc_u32_e32 v53, s17, v51
	v_add_nc_u32_e32 v30, 0x1080, v24
	;; [unrolled: 1-line block ×11, first 2 shown]
	v_mul_hi_u32 v2, v5, v2
	v_and_b32_e32 v13, 0x3ffc, v8
	v_lshlrev_b32_e32 v76, 5, v8
	v_and_b32_e32 v8, 0x3ffc, v6
	v_lshlrev_b32_e32 v6, 5, v6
	v_add_nc_u32_e32 v40, 0x2d60, v24
	v_add_nc_u32_e32 v41, 0x3180, v24
	;; [unrolled: 1-line block ×3, first 2 shown]
	v_mul_lo_u32 v55, v2, s1
	v_add_nc_u32_e32 v44, 0x39c0, v24
	v_add_nc_u32_e32 v45, 0x3de0, v24
	;; [unrolled: 1-line block ×3, first 2 shown]
	v_lshl_add_u32 v68, v3, 4, 0x5680
	v_mad_u32_u24 v73, 0x84, v15, 64
	s_add_u32 s12, s2, 0x90
	s_addc_u32 s13, s3, 0
	v_sub_nc_u32_e32 v5, v5, v55
	v_add_nc_u32_e32 v55, s17, v53
	s_mov_b32 s17, 0
	v_mov_b32_e32 v78, 0
	s_delay_alu instid0(VALU_DEP_3) | instskip(SKIP_1) | instid1(VALU_DEP_1)
	v_cmp_le_u32_e32 vcc_lo, s1, v5
	v_and_b32_e32 v18, 7, v15
	v_lshlrev_b32_e32 v7, 2, v18
	s_delay_alu instid0(VALU_DEP_1) | instskip(SKIP_3) | instid1(VALU_DEP_4)
	v_add3_u32 v12, v9, v7, 0x4200
	v_and_b32_e32 v9, 0x3ffc, v11
	v_add3_u32 v13, v13, v7, 0x4200
	v_lshlrev_b32_e32 v11, 5, v11
	v_add_nc_u32_e32 v74, v12, v10
	s_delay_alu instid0(VALU_DEP_4)
	v_add3_u32 v75, v9, v7, 0x4200
	v_add3_u32 v7, v8, v7, 0x4200
	v_add_nc_u32_e32 v8, 1, v2
	v_add_nc_u32_e32 v25, s0, v22
	v_subrev_nc_u32_e32 v9, s1, v5
	v_add_nc_u32_e32 v75, v75, v11
	v_add_nc_u32_e32 v76, v13, v76
	s_delay_alu instid0(VALU_DEP_4) | instskip(NEXT) | instid1(VALU_DEP_4)
	v_dual_cndmask_b32 v2, v2, v8 :: v_dual_add_nc_u32 v27, s0, v25
	v_cndmask_b32_e32 v5, v5, v9, vcc_lo
	v_xor_b32_e32 v8, s7, v14
	v_add_nc_u32_e32 v80, v7, v6
	s_delay_alu instid0(VALU_DEP_4)
	v_add_nc_u32_e32 v9, 1, v2
	v_add_nc_u32_e32 v31, s0, v27
	v_cmp_le_u32_e32 vcc_lo, s1, v5
	v_and_b32_e32 v23, 12, v0
	v_and_b32_e32 v0, 28, v0
	v_ashrrev_i32_e32 v59, 31, v8
	v_dual_cndmask_b32 v2, v2, v9 :: v_dual_add_nc_u32 v35, s0, v31
	v_lshlrev_b32_e32 v5, 5, v15
	v_cmp_gt_u32_e32 vcc_lo, 4, v15
	s_delay_alu instid0(VALU_DEP_3) | instskip(NEXT) | instid1(VALU_DEP_3)
	v_add_nc_u32_e32 v38, s0, v35
	v_add_nc_u32_e32 v1, v5, v1
	s_delay_alu instid0(VALU_DEP_2) | instskip(NEXT) | instid1(VALU_DEP_2)
	v_add_nc_u32_e32 v43, s0, v38
	v_add_nc_u32_e32 v65, 0x4600, v1
	;; [unrolled: 1-line block ×3, first 2 shown]
	s_delay_alu instid0(VALU_DEP_3) | instskip(NEXT) | instid1(VALU_DEP_1)
	v_add_nc_u32_e32 v47, s0, v43
	v_add_nc_u32_e32 v48, s0, v47
	s_delay_alu instid0(VALU_DEP_1) | instskip(NEXT) | instid1(VALU_DEP_1)
	v_add_nc_u32_e32 v49, s0, v48
	v_add_nc_u32_e32 v50, s0, v49
	s_delay_alu instid0(VALU_DEP_1) | instskip(NEXT) | instid1(VALU_DEP_1)
	v_add_nc_u32_e32 v52, s0, v50
	v_add_nc_u32_e32 v54, s0, v52
	s_delay_alu instid0(VALU_DEP_1) | instskip(SKIP_4) | instid1(VALU_DEP_3)
	v_add_nc_u32_e32 v56, s0, v54
	v_add_co_u32 v8, s0, s2, v0
	v_xor_b32_e32 v0, v2, v59
	v_add_nc_u32_e32 v2, 64, v15
	v_add_co_ci_u32_e64 v9, null, s3, 0, s0
	v_sub_nc_u32_e32 v0, v0, v59
	s_delay_alu instid0(VALU_DEP_3) | instskip(SKIP_1) | instid1(VALU_DEP_3)
	v_and_b32_e32 v2, 0x1fc, v2
	v_mul_u32_u24_e32 v59, 0x84, v15
	v_mul_lo_u32 v61, v0, s10
	v_cmp_gt_i32_e64 s0, s4, v0
	v_add_nc_u32_e32 v0, v5, v4
	v_add_nc_u32_e32 v2, v5, v2
	;; [unrolled: 1-line block ×3, first 2 shown]
	s_delay_alu instid0(VALU_DEP_3) | instskip(SKIP_1) | instid1(VALU_DEP_4)
	v_add_nc_u32_e32 v63, 0x4e00, v0
	v_ashrrev_i32_e32 v62, 31, v61
	v_add_nc_u32_e32 v64, 0x4a00, v2
	s_delay_alu instid0(VALU_DEP_4)
	v_add_nc_u32_e32 v66, 0x4200, v4
	v_add_nc_u32_e32 v69, 0x4e10, v0
	;; [unrolled: 1-line block ×4, first 2 shown]
	s_branch .LBB197_5
.LBB197_4:                              ;   in Loop: Header=BB197_5 Depth=1
	s_add_i32 s17, s17, 8
	s_delay_alu instid0(SALU_CYCLE_1)
	s_cmp_ge_i32 s17, s5
	s_cbranch_scc1 .LBB197_22
.LBB197_5:                              ; =>This Loop Header: Depth=1
                                        ;     Child Loop BB197_12 Depth 2
                                        ;     Child Loop BB197_20 Depth 2
	s_mul_i32 s1, s17, 18
	s_mul_hi_u32 s19, s17, 18
	s_add_u32 s18, s15, s1
	s_addc_u32 s19, s16, s19
	s_delay_alu instid0(SALU_CYCLE_1) | instskip(SKIP_2) | instid1(SALU_CYCLE_1)
	v_mad_u64_u32 v[0:1], null, v16, 18, s[18:19]
	v_mad_u64_u32 v[87:88], null, v18, 18, s[18:19]
	s_lshl_b32 s18, s17, 5
	s_cmp_lt_i32 s18, s11
	s_delay_alu instid0(VALU_DEP_2) | instskip(NEXT) | instid1(VALU_DEP_1)
	v_add_co_u32 v0, s1, v0, v23
	v_add_co_ci_u32_e64 v1, s1, 0, v1, s1
	s_delay_alu instid0(VALU_DEP_2) | instskip(NEXT) | instid1(VALU_DEP_1)
	v_add_co_u32 v0, s1, v0, 2
	v_add_co_ci_u32_e64 v1, s1, 0, v1, s1
	s_delay_alu instid0(VALU_DEP_1)
	v_mad_u64_u32 v[2:3], null, v19, 18, v[0:1]
	v_mad_u64_u32 v[4:5], null, v20, 18, v[0:1]
	;; [unrolled: 1-line block ×8, first 2 shown]
	s_clause 0x7
	global_load_b32 v89, v[2:3], off
	global_load_b32 v90, v[4:5], off
	;; [unrolled: 1-line block ×8, first 2 shown]
	v_mad_u64_u32 v[6:7], null, v46, 18, v[87:88]
	v_mad_u64_u32 v[10:11], null, v51, 18, v[87:88]
	;; [unrolled: 1-line block ×8, first 2 shown]
	s_clause 0x3
	global_load_u16 v87, v[6:7], off
	global_load_u16 v88, v[10:11], off
	;; [unrolled: 1-line block ×4, first 2 shown]
	v_mad_u64_u32 v[6:7], null, v50, 18, v[0:1]
	v_mad_u64_u32 v[10:11], null, v52, 18, v[0:1]
	;; [unrolled: 1-line block ×4, first 2 shown]
	s_clause 0x7
	global_load_b32 v0, v[2:3], off
	global_load_b32 v1, v[4:5], off
	;; [unrolled: 1-line block ×8, first 2 shown]
	s_waitcnt vmcnt(11)
	v_cvt_f32_f16_e32 v10, v87
	s_waitcnt vmcnt(10)
	v_cvt_f32_f16_e32 v11, v88
	;; [unrolled: 2-line block ×4, first 2 shown]
	ds_store_b32 v24, v89
	ds_store_b32 v26, v90
	;; [unrolled: 1-line block ×8, first 2 shown]
	s_waitcnt vmcnt(7)
	ds_store_b32 v36, v0
	s_waitcnt vmcnt(6)
	ds_store_b32 v37, v1
	;; [unrolled: 2-line block ×8, first 2 shown]
	ds_store_b32 v74, v10
	ds_store_b32 v75, v11
	;; [unrolled: 1-line block ×4, first 2 shown]
	s_cbranch_scc0 .LBB197_4
; %bb.6:                                ;   in Loop: Header=BB197_5 Depth=1
	v_add_nc_u32_e32 v0, s17, v21
	s_delay_alu instid0(VALU_DEP_1) | instskip(NEXT) | instid1(VALU_DEP_1)
	v_cmp_gt_i32_e64 s1, s10, v0
	s_and_b32 s19, s0, s1
	s_delay_alu instid0(SALU_CYCLE_1)
	s_and_saveexec_b32 s1, s19
	s_cbranch_execz .LBB197_8
; %bb.7:                                ;   in Loop: Header=BB197_5 Depth=1
	v_add_nc_u32_e32 v2, v61, v0
	s_delay_alu instid0(VALU_DEP_1)
	v_mad_i64_i32 v[0:1], null, v2, 36, v[8:9]
	global_load_b32 v0, v[0:1], off offset:4
	s_waitcnt vmcnt(0)
	ds_store_b32 v57, v0
.LBB197_8:                              ;   in Loop: Header=BB197_5 Depth=1
	s_or_b32 exec_lo, exec_lo, s1
	s_and_saveexec_b32 s19, vcc_lo
	s_cbranch_execz .LBB197_11
; %bb.9:                                ;   in Loop: Header=BB197_5 Depth=1
	v_or_b32_e32 v0, s17, v15
	s_delay_alu instid0(VALU_DEP_1) | instskip(NEXT) | instid1(VALU_DEP_1)
	v_cmp_gt_i32_e64 s1, s10, v0
	s_and_b32 s1, s0, s1
	s_delay_alu instid0(SALU_CYCLE_1)
	s_and_b32 exec_lo, exec_lo, s1
	s_cbranch_execz .LBB197_11
; %bb.10:                               ;   in Loop: Header=BB197_5 Depth=1
	v_add_nc_u32_e32 v2, v61, v0
	s_delay_alu instid0(VALU_DEP_1)
	v_mad_i64_i32 v[0:1], null, v2, 36, s[2:3]
	global_load_b32 v0, v[0:1], off
	s_waitcnt vmcnt(0)
	ds_store_b32 v58, v0
.LBB197_11:                             ;   in Loop: Header=BB197_5 Depth=1
	s_or_b32 exec_lo, exec_lo, s19
	v_dual_mov_b32 v81, v68 :: v_dual_mov_b32 v82, v67
	v_dual_mov_b32 v83, v59 :: v_dual_mov_b32 v84, v66
	v_dual_mov_b32 v85, v65 :: v_dual_mov_b32 v86, v64
	v_mov_b32_e32 v87, v63
	s_mov_b32 s1, -4
	s_waitcnt lgkmcnt(0)
	s_barrier
	buffer_gl0_inv
.LBB197_12:                             ;   Parent Loop BB197_5 Depth=1
                                        ; =>  This Inner Loop Header: Depth=2
	ds_load_b128 v[4:7], v82
	ds_load_b128 v[0:3], v82 offset:16
	ds_load_2addr_b32 v[10:11], v83 offset1:1
	ds_load_2addr_b32 v[12:13], v83 offset0:2 offset1:3
	ds_load_b32 v88, v85
	ds_load_b32 v101, v84
	;; [unrolled: 1-line block ×4, first 2 shown]
	v_add_nc_u32_e32 v89, 0x1080, v83
	v_add_nc_u32_e32 v91, 0x1088, v83
	;; [unrolled: 1-line block ×6, first 2 shown]
	ds_load_2addr_b32 v[89:90], v89 offset1:1
	ds_load_2addr_b32 v[91:92], v91 offset1:1
	ds_load_2addr_b32 v[93:94], v93 offset1:1
	ds_load_2addr_b32 v[95:96], v95 offset1:1
	ds_load_2addr_b32 v[97:98], v97 offset1:1
	ds_load_2addr_b32 v[99:100], v99 offset1:1
	ds_load_b32 v104, v81
	v_add_nc_u32_e32 v87, 4, v87
	v_add_nc_u32_e32 v85, 4, v85
	;; [unrolled: 1-line block ×5, first 2 shown]
	s_add_i32 s1, s1, 4
	s_delay_alu instid0(SALU_CYCLE_1)
	s_cmp_lt_u32 s1, 12
	s_waitcnt lgkmcnt(14)
	v_bfe_i32 v105, v4, 0, 8
	s_waitcnt lgkmcnt(13)
	v_bfe_i32 v108, v0, 0, 8
	s_waitcnt lgkmcnt(12)
	v_and_b32_e32 v130, 15, v10
	v_bfe_u32 v134, v10, 4, 4
	v_bfe_i32 v111, v5, 0, 8
	s_waitcnt lgkmcnt(6)
	v_and_b32_e32 v158, 15, v89
	v_bfe_i32 v114, v1, 0, 8
	v_mul_i32_i24_e32 v130, v130, v105
	s_waitcnt lgkmcnt(4)
	v_and_b32_e32 v186, 15, v93
	s_waitcnt lgkmcnt(2)
	v_and_b32_e32 v213, 15, v97
	v_and_b32_e32 v137, 15, v11
	v_bfe_u32 v141, v11, 4, 4
	v_bfe_u32 v162, v89, 4, 4
	v_and_b32_e32 v165, 15, v90
	v_bfe_u32 v169, v90, 4, 4
	v_bfe_u32 v190, v93, 4, 4
	;; [unrolled: 3-line block ×3, first 2 shown]
	v_and_b32_e32 v219, 15, v98
	v_bfe_u32 v220, v98, 4, 4
	v_mad_i32_i24 v130, v134, v108, v130
	v_mul_i32_i24_e32 v134, v158, v105
	v_mul_i32_i24_e32 v158, v186, v105
	;; [unrolled: 1-line block ×3, first 2 shown]
	v_bfe_i32 v106, v4, 8, 8
	v_bfe_i32 v115, v1, 8, 8
	;; [unrolled: 1-line block ×3, first 2 shown]
	v_ashrrev_i32_e32 v1, 24, v1
	v_bfe_i32 v117, v6, 0, 8
	v_bfe_u32 v131, v10, 8, 4
	v_bfe_u32 v136, v11, 20, 4
	;; [unrolled: 1-line block ×6, first 2 shown]
	v_lshrrev_b32_e32 v11, 28, v11
	v_and_b32_e32 v144, 15, v12
	v_mul_i32_i24_e32 v137, v137, v111
	v_mul_i32_i24_e32 v141, v141, v114
	v_bfe_u32 v159, v89, 8, 4
	v_bfe_u32 v164, v90, 20, 4
	;; [unrolled: 1-line block ×6, first 2 shown]
	v_lshrrev_b32_e32 v90, 28, v90
	v_and_b32_e32 v172, 15, v91
	v_bfe_u32 v187, v93, 8, 4
	v_bfe_u32 v192, v94, 20, 4
	v_bfe_u32 v194, v94, 8, 4
	v_bfe_u32 v195, v94, 16, 4
	v_bfe_u32 v196, v94, 24, 4
	v_bfe_u32 v198, v94, 12, 4
	v_lshrrev_b32_e32 v94, 28, v94
	v_and_b32_e32 v200, 15, v95
	v_bfe_u32 v216, v97, 8, 4
	v_bfe_u32 v222, v98, 20, 4
	;; [unrolled: 1-line block ×6, first 2 shown]
	v_lshrrev_b32_e32 v98, 28, v98
	s_waitcnt lgkmcnt(1)
	v_and_b32_e32 v228, 15, v99
	v_mul_i32_i24_e32 v165, v165, v111
	v_mul_i32_i24_e32 v169, v169, v114
	;; [unrolled: 1-line block ×6, first 2 shown]
	v_mad_i32_i24 v134, v162, v108, v134
	v_mad_i32_i24 v158, v190, v108, v158
	v_mad_i32_i24 v105, v214, v108, v105
	v_bfe_i32 v107, v4, 16, 8
	v_ashrrev_i32_e32 v4, 24, v4
	v_bfe_i32 v118, v6, 8, 8
	v_bfe_i32 v120, v2, 0, 8
	v_bfe_u32 v132, v10, 16, 4
	v_bfe_u32 v133, v10, 24, 4
	;; [unrolled: 1-line block ×11, first 2 shown]
	v_mul_i32_i24_e32 v131, v131, v106
	v_mul_i32_i24_e32 v144, v144, v117
	v_bfe_u32 v217, v97, 16, 4
	v_bfe_u32 v218, v97, 24, 4
	;; [unrolled: 1-line block ×3, first 2 shown]
	v_mul_i32_i24_e32 v11, v11, v1
	v_mul_i32_i24_e32 v159, v159, v106
	;; [unrolled: 1-line block ×10, first 2 shown]
	v_add3_u32 v108, v130, v137, v141
	v_add3_u32 v130, v134, v165, v169
	;; [unrolled: 1-line block ×4, first 2 shown]
	v_bfe_i32 v119, v6, 16, 8
	v_ashrrev_i32_e32 v6, 24, v6
	v_bfe_i32 v123, v7, 0, 8
	v_and_b32_e32 v151, 15, v13
	v_and_b32_e32 v179, 15, v92
	v_bfe_u32 v203, v95, 24, 4
	v_and_b32_e32 v207, 15, v96
	v_and_b32_e32 v235, 15, v100
	v_mul_i32_i24_e32 v132, v132, v107
	v_mul_i32_i24_e32 v133, v133, v4
	;; [unrolled: 1-line block ×14, first 2 shown]
	v_add3_u32 v108, v108, v144, v131
	v_add3_u32 v114, v130, v172, v159
	v_add3_u32 v120, v134, v197, v187
	v_add3_u32 v98, v105, v98, v106
	v_bfe_i32 v109, v0, 8, 8
	v_bfe_i32 v110, v0, 16, 8
	v_bfe_u32 v129, v10, 20, 4
	v_bfe_u32 v135, v10, 12, 4
	;; [unrolled: 1-line block ×8, first 2 shown]
	v_mul_i32_i24_e32 v151, v151, v123
	v_mul_i32_i24_e32 v179, v179, v123
	;; [unrolled: 1-line block ×5, first 2 shown]
	v_add3_u32 v106, v108, v132, v133
	v_add3_u32 v108, v114, v160, v161
	;; [unrolled: 1-line block ×4, first 2 shown]
	v_ashrrev_i32_e32 v0, 24, v0
	v_bfe_i32 v112, v5, 8, 8
	v_lshrrev_b32_e32 v10, 28, v10
	v_lshrrev_b32_e32 v89, 28, v89
	;; [unrolled: 1-line block ×4, first 2 shown]
	v_mul_i32_i24_e32 v135, v135, v109
	v_mul_i32_i24_e32 v129, v129, v110
	;; [unrolled: 1-line block ×8, first 2 shown]
	v_add3_u32 v98, v106, v148, v151
	v_add3_u32 v106, v108, v176, v179
	;; [unrolled: 1-line block ×4, first 2 shown]
	v_bfe_i32 v113, v5, 16, 8
	v_ashrrev_i32_e32 v5, 24, v5
	v_mul_i32_i24_e32 v10, v10, v0
	v_mul_i32_i24_e32 v138, v138, v112
	;; [unrolled: 1-line block ×8, first 2 shown]
	v_add3_u32 v98, v98, v135, v129
	v_add3_u32 v106, v106, v163, v157
	;; [unrolled: 1-line block ×4, first 2 shown]
	v_bfe_i32 v124, v7, 8, 8
	v_bfe_i32 v126, v3, 0, 8
	v_bfe_u32 v155, v13, 4, 4
	v_bfe_u32 v183, v92, 4, 4
	;; [unrolled: 1-line block ×5, first 2 shown]
	v_mul_i32_i24_e32 v139, v139, v113
	v_mul_i32_i24_e32 v140, v140, v5
	;; [unrolled: 1-line block ×8, first 2 shown]
	v_add3_u32 v10, v98, v10, v138
	v_add3_u32 v89, v106, v89, v97
	;; [unrolled: 1-line block ×4, first 2 shown]
	v_mul_i32_i24_e32 v142, v142, v115
	v_mul_i32_i24_e32 v155, v155, v126
	;; [unrolled: 1-line block ×9, first 2 shown]
	v_add3_u32 v10, v10, v139, v140
	v_add3_u32 v89, v89, v167, v168
	;; [unrolled: 1-line block ×4, first 2 shown]
	v_bfe_u32 v145, v12, 8, 4
	v_bfe_u32 v146, v12, 16, 4
	v_bfe_u32 v174, v91, 16, 4
	v_bfe_u32 v202, v95, 16, 4
	v_bfe_u32 v229, v99, 8, 4
	v_bfe_u32 v230, v99, 16, 4
	v_mul_i32_i24_e32 v136, v136, v116
	v_mul_i32_i24_e32 v164, v164, v116
	;; [unrolled: 1-line block ×4, first 2 shown]
	v_add3_u32 v5, v10, v155, v142
	v_add3_u32 v10, v89, v183, v170
	v_add3_u32 v89, v93, v208, v196
	v_add3_u32 v0, v0, v4, v115
	v_bfe_i32 v121, v2, 8, 8
	v_bfe_u32 v147, v12, 24, 4
	v_bfe_u32 v149, v12, 12, 4
	;; [unrolled: 1-line block ×7, first 2 shown]
	v_mul_i32_i24_e32 v145, v145, v118
	v_mul_i32_i24_e32 v146, v146, v119
	;; [unrolled: 1-line block ×6, first 2 shown]
	v_add3_u32 v5, v5, v136, v11
	v_add3_u32 v10, v10, v164, v90
	;; [unrolled: 1-line block ×4, first 2 shown]
	v_bfe_i32 v122, v2, 16, 8
	v_ashrrev_i32_e32 v2, 24, v2
	v_bfe_u32 v143, v12, 20, 4
	v_lshrrev_b32_e32 v12, 28, v12
	v_bfe_u32 v171, v91, 20, 4
	v_lshrrev_b32_e32 v91, 28, v91
	;; [unrolled: 2-line block ×4, first 2 shown]
	v_mul_i32_i24_e32 v147, v147, v6
	v_mul_i32_i24_e32 v149, v149, v121
	;; [unrolled: 1-line block ×7, first 2 shown]
	v_add3_u32 v5, v5, v145, v146
	v_add3_u32 v10, v10, v117, v174
	;; [unrolled: 1-line block ×4, first 2 shown]
	v_bfe_i32 v125, v7, 16, 8
	v_bfe_u32 v152, v13, 8, 4
	v_bfe_u32 v153, v13, 16, 4
	;; [unrolled: 1-line block ×7, first 2 shown]
	v_mul_i32_i24_e32 v143, v143, v122
	v_mul_i32_i24_e32 v12, v12, v2
	;; [unrolled: 1-line block ×8, first 2 shown]
	v_add3_u32 v5, v5, v147, v149
	v_add3_u32 v10, v10, v175, v177
	;; [unrolled: 1-line block ×4, first 2 shown]
	v_ashrrev_i32_e32 v7, 24, v7
	v_bfe_i32 v127, v3, 8, 8
	v_bfe_u32 v154, v13, 24, 4
	v_bfe_u32 v156, v13, 12, 4
	;; [unrolled: 1-line block ×8, first 2 shown]
	v_mul_i32_i24_e32 v152, v152, v124
	v_mul_i32_i24_e32 v153, v153, v125
	;; [unrolled: 1-line block ×7, first 2 shown]
	v_add3_u32 v5, v5, v143, v12
	v_add3_u32 v10, v10, v171, v91
	;; [unrolled: 1-line block ×4, first 2 shown]
	v_bfe_i32 v128, v3, 16, 8
	v_ashrrev_i32_e32 v3, 24, v3
	v_bfe_u32 v150, v13, 20, 4
	v_lshrrev_b32_e32 v13, 28, v13
	v_bfe_u32 v178, v92, 20, 4
	v_lshrrev_b32_e32 v92, 28, v92
	;; [unrolled: 2-line block ×4, first 2 shown]
	v_mul_i32_i24_e32 v154, v154, v7
	v_mul_i32_i24_e32 v156, v156, v127
	;; [unrolled: 1-line block ×8, first 2 shown]
	v_add3_u32 v5, v5, v152, v153
	v_add3_u32 v10, v10, v180, v181
	;; [unrolled: 1-line block ×4, first 2 shown]
	s_waitcnt lgkmcnt(0)
	v_lshrrev_b32_e32 v241, 16, v104
	v_mul_i32_i24_e32 v150, v150, v128
	v_mul_i32_i24_e32 v13, v13, v3
	;; [unrolled: 1-line block ×8, first 2 shown]
	v_add3_u32 v3, v5, v154, v156
	v_add3_u32 v4, v10, v182, v184
	;; [unrolled: 1-line block ×4, first 2 shown]
	v_cvt_f32_f16_e64 v6, v241
	v_add3_u32 v3, v3, v150, v13
	v_add3_u32 v4, v4, v178, v92
	;; [unrolled: 1-line block ×4, first 2 shown]
	v_dual_mul_f32 v1, 0xc1000000, v6 :: v_dual_add_nc_u32 v84, 4, v84
	v_cvt_f32_i32_e32 v2, v3
	v_cvt_f32_i32_e32 v3, v4
	;; [unrolled: 1-line block ×4, first 2 shown]
	s_delay_alu instid0(VALU_DEP_4) | instskip(NEXT) | instid1(VALU_DEP_4)
	v_fma_mix_f32 v2, v104, v2, v1 op_sel_hi:[1,0,0]
	v_fma_mix_f32 v3, v104, v3, v1 op_sel_hi:[1,0,0]
	s_delay_alu instid0(VALU_DEP_4) | instskip(NEXT) | instid1(VALU_DEP_4)
	v_fma_mix_f32 v4, v104, v4, v1 op_sel_hi:[1,0,0]
	v_fma_mix_f32 v0, v104, v0, v1 op_sel_hi:[1,0,0]
	v_add_nc_u32_e32 v86, 4, v86
	v_fmac_f32_e32 v17, v101, v2
	s_delay_alu instid0(VALU_DEP_4) | instskip(NEXT) | instid1(VALU_DEP_4)
	v_dual_fmac_f32 v77, v88, v3 :: v_dual_fmac_f32 v78, v102, v4
	v_fmac_f32_e32 v79, v103, v0
	s_cbranch_scc1 .LBB197_12
; %bb.13:                               ;   in Loop: Header=BB197_5 Depth=1
	s_bitset1_b32 s18, 7
	s_delay_alu instid0(SALU_CYCLE_1)
	s_cmp_ge_i32 s18, s11
	s_barrier
	buffer_gl0_inv
	s_cbranch_scc1 .LBB197_4
; %bb.14:                               ;   in Loop: Header=BB197_5 Depth=1
	v_add_nc_u32_e32 v0, s17, v60
	s_delay_alu instid0(VALU_DEP_1) | instskip(NEXT) | instid1(VALU_DEP_1)
	v_cmp_gt_i32_e64 s1, s10, v0
	s_and_b32 s18, s0, s1
	s_delay_alu instid0(SALU_CYCLE_1)
	s_and_saveexec_b32 s1, s18
	s_cbranch_execz .LBB197_16
; %bb.15:                               ;   in Loop: Header=BB197_5 Depth=1
	v_add_nc_u32_e32 v2, v61, v0
	s_delay_alu instid0(VALU_DEP_1)
	v_mad_i64_i32 v[0:1], null, v2, 36, v[8:9]
	global_load_b32 v0, v[0:1], off offset:4
	s_waitcnt vmcnt(0)
	ds_store_b32 v57, v0
.LBB197_16:                             ;   in Loop: Header=BB197_5 Depth=1
	s_or_b32 exec_lo, exec_lo, s1
	s_and_saveexec_b32 s18, vcc_lo
	s_cbranch_execz .LBB197_19
; %bb.17:                               ;   in Loop: Header=BB197_5 Depth=1
	v_or_b32_e32 v0, s17, v15
	s_delay_alu instid0(VALU_DEP_1) | instskip(NEXT) | instid1(VALU_DEP_1)
	v_or_b32_e32 v1, 4, v0
	v_cmp_gt_i32_e64 s1, s10, v1
	s_delay_alu instid0(VALU_DEP_1) | instskip(NEXT) | instid1(SALU_CYCLE_1)
	s_and_b32 s1, s0, s1
	s_and_b32 exec_lo, exec_lo, s1
	s_cbranch_execz .LBB197_19
; %bb.18:                               ;   in Loop: Header=BB197_5 Depth=1
	v_ashrrev_i32_e32 v1, 31, v0
	v_add_co_u32 v2, s1, v61, v0
	s_delay_alu instid0(VALU_DEP_1) | instskip(NEXT) | instid1(VALU_DEP_2)
	v_add_co_ci_u32_e64 v3, s1, v62, v1, s1
	v_mad_u64_u32 v[0:1], null, v2, 36, s[12:13]
	s_delay_alu instid0(VALU_DEP_1)
	v_mad_i32_i24 v1, v3, 36, v1
	global_load_b32 v0, v[0:1], off
	s_waitcnt vmcnt(0)
	ds_store_b32 v58, v0
.LBB197_19:                             ;   in Loop: Header=BB197_5 Depth=1
	s_or_b32 exec_lo, exec_lo, s18
	v_dual_mov_b32 v0, v68 :: v_dual_mov_b32 v1, v67
	v_dual_mov_b32 v2, v73 :: v_dual_mov_b32 v3, v72
	v_dual_mov_b32 v4, v71 :: v_dual_mov_b32 v5, v70
	v_mov_b32_e32 v6, v69
	s_mov_b32 s1, 12
	s_waitcnt lgkmcnt(0)
	s_barrier
	buffer_gl0_inv
.LBB197_20:                             ;   Parent Loop BB197_5 Depth=1
                                        ; =>  This Inner Loop Header: Depth=2
	ds_load_b128 v[81:84], v1
	ds_load_b128 v[85:88], v1 offset:16
	ds_load_b32 v7, v0
	ds_load_2addr_b32 v[12:13], v2 offset1:1
	ds_load_b32 v10, v4
	ds_load_b32 v11, v3
	ds_load_2addr_b32 v[89:90], v2 offset0:2 offset1:3
	ds_load_b32 v103, v5
	ds_load_b32 v104, v6
	v_add_nc_u32_e32 v91, 0x1080, v2
	v_add_nc_u32_e32 v93, 0x1088, v2
	;; [unrolled: 1-line block ×6, first 2 shown]
	ds_load_2addr_b32 v[91:92], v91 offset1:1
	ds_load_2addr_b32 v[93:94], v93 offset1:1
	ds_load_2addr_b32 v[95:96], v95 offset1:1
	ds_load_2addr_b32 v[97:98], v97 offset1:1
	ds_load_2addr_b32 v[99:100], v99 offset1:1
	ds_load_2addr_b32 v[101:102], v101 offset1:1
	v_add_nc_u32_e32 v3, 4, v3
	v_add_nc_u32_e32 v1, 32, v1
	;; [unrolled: 1-line block ×3, first 2 shown]
	s_add_i32 s1, s1, 4
	s_delay_alu instid0(SALU_CYCLE_1)
	s_cmp_lt_u32 s1, 28
	s_waitcnt lgkmcnt(14)
	v_bfe_i32 v105, v81, 0, 8
	v_bfe_i32 v106, v81, 8, 8
	s_waitcnt lgkmcnt(11)
	v_and_b32_e32 v131, 15, v12
	v_bfe_i32 v107, v81, 16, 8
	v_ashrrev_i32_e32 v81, 24, v81
	v_bfe_i32 v108, v85, 0, 8
	v_bfe_i32 v109, v85, 8, 8
	v_bfe_i32 v111, v82, 0, 8
	v_bfe_i32 v112, v82, 8, 8
	v_bfe_i32 v113, v82, 16, 8
	v_ashrrev_i32_e32 v82, 24, v82
	v_bfe_i32 v114, v86, 0, 8
	v_bfe_i32 v115, v86, 8, 8
	v_bfe_i32 v117, v83, 0, 8
	v_bfe_i32 v118, v83, 8, 8
	;; [unrolled: 6-line block ×3, first 2 shown]
	v_bfe_i32 v125, v84, 16, 8
	v_ashrrev_i32_e32 v84, 24, v84
	v_bfe_i32 v126, v88, 0, 8
	v_bfe_i32 v127, v88, 8, 8
	v_bfe_u32 v135, v12, 4, 4
	v_mul_i32_i24_e32 v131, v131, v105
	s_waitcnt lgkmcnt(5)
	v_and_b32_e32 v159, 15, v91
	v_bfe_u32 v160, v91, 8, 4
	v_bfe_u32 v161, v91, 16, 4
	;; [unrolled: 1-line block ×4, first 2 shown]
	v_and_b32_e32 v166, 15, v92
	v_bfe_u32 v167, v92, 8, 4
	v_bfe_u32 v168, v92, 16, 4
	;; [unrolled: 1-line block ×5, first 2 shown]
	s_waitcnt lgkmcnt(4)
	v_and_b32_e32 v173, 15, v93
	v_bfe_u32 v174, v93, 8, 4
	v_bfe_u32 v175, v93, 16, 4
	;; [unrolled: 1-line block ×5, first 2 shown]
	v_and_b32_e32 v180, 15, v94
	v_bfe_u32 v181, v94, 8, 4
	v_bfe_u32 v182, v94, 16, 4
	;; [unrolled: 1-line block ×5, first 2 shown]
	s_waitcnt lgkmcnt(3)
	v_and_b32_e32 v187, 15, v95
	s_waitcnt lgkmcnt(1)
	v_and_b32_e32 v215, 15, v99
	v_bfe_i32 v110, v85, 16, 8
	v_ashrrev_i32_e32 v85, 24, v85
	v_bfe_i32 v116, v86, 16, 8
	v_ashrrev_i32_e32 v86, 24, v86
	v_bfe_u32 v130, v12, 20, 4
	v_bfe_u32 v132, v12, 8, 4
	;; [unrolled: 1-line block ×5, first 2 shown]
	v_lshrrev_b32_e32 v12, 28, v12
	v_bfe_u32 v137, v13, 20, 4
	v_and_b32_e32 v138, 15, v13
	v_bfe_u32 v139, v13, 8, 4
	v_bfe_u32 v140, v13, 16, 4
	v_bfe_u32 v141, v13, 24, 4
	v_bfe_u32 v142, v13, 4, 4
	v_bfe_u32 v143, v13, 12, 4
	v_lshrrev_b32_e32 v13, 28, v13
	v_and_b32_e32 v145, 15, v89
	v_bfe_u32 v146, v89, 8, 4
	v_bfe_u32 v158, v91, 20, 4
	;; [unrolled: 1-line block ×3, first 2 shown]
	v_lshrrev_b32_e32 v91, 28, v91
	v_bfe_u32 v165, v92, 20, 4
	v_lshrrev_b32_e32 v92, 28, v92
	v_bfe_u32 v186, v95, 20, 4
	v_bfe_u32 v188, v95, 8, 4
	;; [unrolled: 1-line block ×6, first 2 shown]
	v_lshrrev_b32_e32 v95, 28, v95
	v_bfe_u32 v193, v96, 20, 4
	v_and_b32_e32 v194, 15, v96
	v_bfe_u32 v195, v96, 8, 4
	v_bfe_u32 v196, v96, 16, 4
	;; [unrolled: 1-line block ×5, first 2 shown]
	v_lshrrev_b32_e32 v96, 28, v96
	v_and_b32_e32 v201, 15, v97
	v_bfe_u32 v202, v97, 8, 4
	v_bfe_u32 v214, v99, 20, 4
	;; [unrolled: 1-line block ×7, first 2 shown]
	v_lshrrev_b32_e32 v99, 28, v99
	v_bfe_u32 v221, v100, 20, 4
	v_and_b32_e32 v222, 15, v100
	v_bfe_u32 v223, v100, 8, 4
	v_bfe_u32 v224, v100, 16, 4
	;; [unrolled: 1-line block ×5, first 2 shown]
	v_lshrrev_b32_e32 v100, 28, v100
	s_waitcnt lgkmcnt(0)
	v_and_b32_e32 v229, 15, v101
	v_bfe_u32 v230, v101, 8, 4
	v_mad_i32_i24 v131, v135, v108, v131
	v_mul_i32_i24_e32 v135, v159, v105
	v_mul_i32_i24_e32 v159, v160, v106
	;; [unrolled: 1-line block ×25, first 2 shown]
	v_bfe_u32 v147, v89, 16, 4
	v_mul_i32_i24_e32 v12, v12, v85
	v_mul_i32_i24_e32 v138, v138, v111
	;; [unrolled: 1-line block ×10, first 2 shown]
	v_bfe_u32 v203, v97, 16, 4
	v_bfe_u32 v231, v101, 16, 4
	v_mul_i32_i24_e32 v91, v91, v85
	v_mul_i32_i24_e32 v165, v165, v116
	;; [unrolled: 1-line block ×28, first 2 shown]
	v_mad_i32_i24 v117, v163, v108, v135
	v_mad_i32_i24 v118, v191, v108, v185
	;; [unrolled: 1-line block ×3, first 2 shown]
	v_mul_i32_i24_e32 v132, v132, v106
	v_mul_i32_i24_e32 v147, v147, v119
	;; [unrolled: 1-line block ×5, first 2 shown]
	v_add3_u32 v119, v131, v138, v142
	v_add3_u32 v117, v117, v164, v169
	;; [unrolled: 1-line block ×4, first 2 shown]
	v_bfe_u32 v149, v89, 4, 4
	v_and_b32_e32 v152, 15, v90
	v_mul_i32_i24_e32 v133, v133, v107
	v_mul_i32_i24_e32 v134, v134, v81
	v_bfe_u32 v204, v97, 24, 4
	v_bfe_u32 v205, v97, 4, 4
	;; [unrolled: 1-line block ×3, first 2 shown]
	v_and_b32_e32 v208, 15, v98
	v_bfe_u32 v233, v101, 4, 4
	v_and_b32_e32 v236, 15, v102
	v_mul_i32_i24_e32 v107, v217, v107
	v_mul_i32_i24_e32 v81, v218, v81
	v_add3_u32 v113, v119, v145, v132
	v_add3_u32 v117, v117, v171, v159
	;; [unrolled: 1-line block ×4, first 2 shown]
	v_mul_i32_i24_e32 v149, v149, v120
	v_mul_i32_i24_e32 v152, v152, v123
	;; [unrolled: 1-line block ×8, first 2 shown]
	v_add3_u32 v106, v113, v133, v134
	v_add3_u32 v113, v117, v160, v161
	;; [unrolled: 1-line block ×4, first 2 shown]
	v_mul_i32_i24_e32 v136, v136, v109
	v_mul_i32_i24_e32 v130, v130, v110
	;; [unrolled: 1-line block ×6, first 2 shown]
	v_add3_u32 v99, v106, v149, v152
	v_add3_u32 v106, v113, v176, v178
	;; [unrolled: 1-line block ×4, first 2 shown]
	v_bfe_u32 v156, v90, 4, 4
	v_add3_u32 v99, v99, v136, v130
	v_add3_u32 v105, v106, v162, v158
	;; [unrolled: 1-line block ×4, first 2 shown]
	v_mul_i32_i24_e32 v141, v141, v82
	v_bfe_u32 v209, v98, 8, 4
	v_bfe_u32 v210, v98, 16, 4
	v_bfe_u32 v211, v98, 24, 4
	v_bfe_u32 v212, v98, 4, 4
	v_bfe_u32 v240, v102, 4, 4
	v_mul_i32_i24_e32 v82, v225, v82
	v_add3_u32 v12, v99, v12, v139
	v_add3_u32 v91, v105, v91, v166
	;; [unrolled: 1-line block ×4, first 2 shown]
	v_bfe_i32 v122, v87, 16, 8
	v_ashrrev_i32_e32 v87, 24, v87
	v_bfe_u32 v144, v89, 20, 4
	v_bfe_u32 v148, v89, 24, 4
	;; [unrolled: 1-line block ×3, first 2 shown]
	v_lshrrev_b32_e32 v89, 28, v89
	v_mul_i32_i24_e32 v156, v156, v126
	v_bfe_u32 v172, v93, 20, 4
	v_lshrrev_b32_e32 v93, 28, v93
	v_bfe_u32 v200, v97, 20, 4
	v_lshrrev_b32_e32 v97, 28, v97
	v_bfe_u32 v228, v101, 20, 4
	v_bfe_u32 v232, v101, 24, 4
	;; [unrolled: 1-line block ×3, first 2 shown]
	v_lshrrev_b32_e32 v101, 28, v101
	v_mul_i32_i24_e32 v208, v209, v124
	v_mul_i32_i24_e32 v209, v210, v125
	;; [unrolled: 1-line block ×5, first 2 shown]
	v_add3_u32 v12, v12, v140, v141
	v_add3_u32 v91, v91, v167, v168
	;; [unrolled: 1-line block ×4, first 2 shown]
	v_mul_i32_i24_e32 v89, v89, v87
	v_mul_i32_i24_e32 v93, v93, v87
	;; [unrolled: 1-line block ×4, first 2 shown]
	v_add3_u32 v12, v12, v156, v143
	v_add3_u32 v87, v91, v183, v170
	;; [unrolled: 1-line block ×4, first 2 shown]
	v_mul_i32_i24_e32 v148, v148, v83
	v_add3_u32 v12, v12, v137, v13
	v_add3_u32 v13, v87, v165, v92
	;; [unrolled: 1-line block ×4, first 2 shown]
	v_mul_i32_i24_e32 v150, v150, v121
	v_mul_i32_i24_e32 v83, v232, v83
	;; [unrolled: 1-line block ×3, first 2 shown]
	v_add3_u32 v12, v12, v146, v147
	v_add3_u32 v13, v13, v173, v174
	;; [unrolled: 1-line block ×4, first 2 shown]
	v_bfe_u32 v153, v90, 8, 4
	v_bfe_u32 v154, v90, 16, 4
	v_mul_i32_i24_e32 v144, v144, v122
	v_bfe_u32 v237, v102, 8, 4
	v_bfe_u32 v238, v102, 16, 4
	v_mul_i32_i24_e32 v172, v172, v122
	v_mul_i32_i24_e32 v200, v200, v122
	;; [unrolled: 1-line block ×3, first 2 shown]
	v_add3_u32 v12, v12, v148, v150
	v_add3_u32 v13, v13, v175, v177
	;; [unrolled: 1-line block ×4, first 2 shown]
	v_bfe_u32 v155, v90, 24, 4
	v_bfe_u32 v157, v90, 12, 4
	v_mul_i32_i24_e32 v153, v153, v124
	v_mul_i32_i24_e32 v154, v154, v125
	v_bfe_u32 v213, v98, 12, 4
	v_bfe_u32 v239, v102, 24, 4
	;; [unrolled: 1-line block ×3, first 2 shown]
	v_mul_i32_i24_e32 v85, v237, v124
	v_mul_i32_i24_e32 v86, v238, v125
	v_add3_u32 v12, v12, v144, v89
	v_add3_u32 v13, v13, v172, v93
	;; [unrolled: 1-line block ×4, first 2 shown]
	v_bfe_i32 v128, v88, 16, 8
	v_ashrrev_i32_e32 v88, 24, v88
	v_bfe_u32 v151, v90, 20, 4
	v_lshrrev_b32_e32 v90, 28, v90
	v_mul_i32_i24_e32 v155, v155, v84
	v_mul_i32_i24_e32 v157, v157, v127
	v_bfe_u32 v179, v94, 20, 4
	v_lshrrev_b32_e32 v94, 28, v94
	v_bfe_u32 v207, v98, 20, 4
	v_lshrrev_b32_e32 v98, 28, v98
	;; [unrolled: 2-line block ×3, first 2 shown]
	v_mul_i32_i24_e32 v212, v213, v127
	v_mul_i32_i24_e32 v84, v239, v84
	;; [unrolled: 1-line block ×3, first 2 shown]
	v_add3_u32 v12, v12, v153, v154
	v_add3_u32 v13, v13, v180, v181
	;; [unrolled: 1-line block ×4, first 2 shown]
	v_lshrrev_b32_e32 v129, 16, v7
	v_mul_i32_i24_e32 v151, v151, v128
	v_mul_i32_i24_e32 v90, v90, v88
	;; [unrolled: 1-line block ×8, first 2 shown]
	v_add3_u32 v12, v12, v155, v157
	v_add3_u32 v13, v13, v182, v184
	;; [unrolled: 1-line block ×4, first 2 shown]
	v_cvt_f32_f16_e64 v83, v129
	v_add3_u32 v12, v12, v151, v90
	v_add3_u32 v13, v13, v179, v94
	;; [unrolled: 1-line block ×4, first 2 shown]
	v_dual_mul_f32 v82, 0xc1000000, v83 :: v_dual_add_nc_u32 v5, 4, v5
	v_cvt_f32_i32_e32 v12, v12
	v_cvt_f32_i32_e32 v13, v13
	;; [unrolled: 1-line block ×4, first 2 shown]
	s_delay_alu instid0(VALU_DEP_4) | instskip(NEXT) | instid1(VALU_DEP_4)
	v_fma_mix_f32 v12, v7, v12, v82 op_sel_hi:[1,0,0]
	v_fma_mix_f32 v13, v7, v13, v82 op_sel_hi:[1,0,0]
	s_delay_alu instid0(VALU_DEP_4) | instskip(NEXT) | instid1(VALU_DEP_4)
	v_fma_mix_f32 v83, v7, v83, v82 op_sel_hi:[1,0,0]
	v_fma_mix_f32 v7, v7, v81, v82 op_sel_hi:[1,0,0]
	s_delay_alu instid0(VALU_DEP_4) | instskip(NEXT) | instid1(VALU_DEP_4)
	v_dual_fmac_f32 v17, v11, v12 :: v_dual_add_nc_u32 v6, 4, v6
	v_dual_fmac_f32 v77, v10, v13 :: v_dual_add_nc_u32 v4, 4, v4
	s_delay_alu instid0(VALU_DEP_3)
	v_dual_fmac_f32 v79, v104, v7 :: v_dual_add_nc_u32 v2, 16, v2
	v_fmac_f32_e32 v78, v103, v83
	s_cbranch_scc1 .LBB197_20
; %bb.21:                               ;   in Loop: Header=BB197_5 Depth=1
	s_barrier
	buffer_gl0_inv
	s_branch .LBB197_4
.LBB197_22:
	v_cvt_f16_f32_e32 v5, v17
	v_cvt_f16_f32_e32 v4, v77
	;; [unrolled: 1-line block ×4, first 2 shown]
.LBB197_23:
	s_mul_i32 s0, s7, s4
	s_waitcnt vmcnt(0)
	v_cmp_gt_i32_e32 vcc_lo, s0, v14
	s_and_saveexec_b32 s0, vcc_lo
	s_cbranch_execz .LBB197_32
; %bb.24:
	v_mul_lo_u32 v1, v14, s6
	v_add_nc_u32_e32 v3, s14, v15
	s_mov_b32 s0, exec_lo
	s_delay_alu instid0(VALU_DEP_1)
	v_cmpx_gt_u32_e64 s6, v3
	s_cbranch_execz .LBB197_26
; %bb.25:
	s_delay_alu instid0(VALU_DEP_3) | instskip(NEXT) | instid1(VALU_DEP_1)
	v_dual_mov_b32 v7, 0 :: v_dual_add_nc_u32 v6, v1, v3
	v_lshlrev_b64 v[6:7], 1, v[6:7]
	s_delay_alu instid0(VALU_DEP_1) | instskip(NEXT) | instid1(VALU_DEP_2)
	v_add_co_u32 v6, vcc_lo, s8, v6
	v_add_co_ci_u32_e32 v7, vcc_lo, s9, v7, vcc_lo
	global_store_b16 v[6:7], v5, off
.LBB197_26:
	s_or_b32 exec_lo, exec_lo, s0
	v_add_nc_u32_e32 v5, 32, v3
	s_mov_b32 s0, exec_lo
	s_delay_alu instid0(VALU_DEP_1)
	v_cmpx_gt_u32_e64 s6, v5
	s_cbranch_execz .LBB197_28
; %bb.27:
	v_dual_mov_b32 v6, 0 :: v_dual_add_nc_u32 v5, v1, v5
	s_delay_alu instid0(VALU_DEP_1) | instskip(NEXT) | instid1(VALU_DEP_1)
	v_lshlrev_b64 v[5:6], 1, v[5:6]
	v_add_co_u32 v5, vcc_lo, s8, v5
	s_delay_alu instid0(VALU_DEP_2)
	v_add_co_ci_u32_e32 v6, vcc_lo, s9, v6, vcc_lo
	global_store_b16 v[5:6], v4, off
.LBB197_28:
	s_or_b32 exec_lo, exec_lo, s0
	v_add_nc_u32_e32 v4, 64, v3
	s_mov_b32 s0, exec_lo
	s_delay_alu instid0(VALU_DEP_1)
	v_cmpx_gt_u32_e64 s6, v4
	s_cbranch_execz .LBB197_30
; %bb.29:
	v_dual_mov_b32 v5, 0 :: v_dual_add_nc_u32 v4, v1, v4
	s_delay_alu instid0(VALU_DEP_1) | instskip(NEXT) | instid1(VALU_DEP_1)
	v_lshlrev_b64 v[4:5], 1, v[4:5]
	v_add_co_u32 v4, vcc_lo, s8, v4
	s_delay_alu instid0(VALU_DEP_2)
	v_add_co_ci_u32_e32 v5, vcc_lo, s9, v5, vcc_lo
	global_store_b16 v[4:5], v0, off
.LBB197_30:
	s_or_b32 exec_lo, exec_lo, s0
	v_add_nc_u32_e32 v0, 0x60, v3
	s_delay_alu instid0(VALU_DEP_1)
	v_cmp_gt_u32_e32 vcc_lo, s6, v0
	s_and_b32 exec_lo, exec_lo, vcc_lo
	s_cbranch_execz .LBB197_32
; %bb.31:
	v_dual_mov_b32 v1, 0 :: v_dual_add_nc_u32 v0, v1, v0
	s_delay_alu instid0(VALU_DEP_1) | instskip(NEXT) | instid1(VALU_DEP_1)
	v_lshlrev_b64 v[0:1], 1, v[0:1]
	v_add_co_u32 v0, vcc_lo, s8, v0
	s_delay_alu instid0(VALU_DEP_2)
	v_add_co_ci_u32_e32 v1, vcc_lo, s9, v1, vcc_lo
	global_store_b16 v[0:1], v2, off
.LBB197_32:
	s_nop 0
	s_sendmsg sendmsg(MSG_DEALLOC_VGPRS)
	s_endpgm
	.section	.rodata,"a",@progbits
	.p2align	6, 0x0
	.amdhsa_kernel _ZL8moe_q4_0IN3c104HalfELb0EEvPKvS3_PT_PKiS7_S7_iiiiiii
		.amdhsa_group_segment_fixed_size 22272
		.amdhsa_private_segment_fixed_size 0
		.amdhsa_kernarg_size 76
		.amdhsa_user_sgpr_count 14
		.amdhsa_user_sgpr_dispatch_ptr 0
		.amdhsa_user_sgpr_queue_ptr 0
		.amdhsa_user_sgpr_kernarg_segment_ptr 1
		.amdhsa_user_sgpr_dispatch_id 0
		.amdhsa_user_sgpr_private_segment_size 0
		.amdhsa_wavefront_size32 1
		.amdhsa_uses_dynamic_stack 0
		.amdhsa_enable_private_segment 0
		.amdhsa_system_sgpr_workgroup_id_x 1
		.amdhsa_system_sgpr_workgroup_id_y 1
		.amdhsa_system_sgpr_workgroup_id_z 0
		.amdhsa_system_sgpr_workgroup_info 0
		.amdhsa_system_vgpr_workitem_id 1
		.amdhsa_next_free_vgpr 242
		.amdhsa_next_free_sgpr 20
		.amdhsa_reserve_vcc 1
		.amdhsa_float_round_mode_32 0
		.amdhsa_float_round_mode_16_64 0
		.amdhsa_float_denorm_mode_32 3
		.amdhsa_float_denorm_mode_16_64 3
		.amdhsa_dx10_clamp 1
		.amdhsa_ieee_mode 1
		.amdhsa_fp16_overflow 0
		.amdhsa_workgroup_processor_mode 1
		.amdhsa_memory_ordered 1
		.amdhsa_forward_progress 0
		.amdhsa_shared_vgpr_count 0
		.amdhsa_exception_fp_ieee_invalid_op 0
		.amdhsa_exception_fp_denorm_src 0
		.amdhsa_exception_fp_ieee_div_zero 0
		.amdhsa_exception_fp_ieee_overflow 0
		.amdhsa_exception_fp_ieee_underflow 0
		.amdhsa_exception_fp_ieee_inexact 0
		.amdhsa_exception_int_div_zero 0
	.end_amdhsa_kernel
	.section	.text._ZL8moe_q4_0IN3c104HalfELb0EEvPKvS3_PT_PKiS7_S7_iiiiiii,"axG",@progbits,_ZL8moe_q4_0IN3c104HalfELb0EEvPKvS3_PT_PKiS7_S7_iiiiiii,comdat
.Lfunc_end197:
	.size	_ZL8moe_q4_0IN3c104HalfELb0EEvPKvS3_PT_PKiS7_S7_iiiiiii, .Lfunc_end197-_ZL8moe_q4_0IN3c104HalfELb0EEvPKvS3_PT_PKiS7_S7_iiiiiii
                                        ; -- End function
	.section	.AMDGPU.csdata,"",@progbits
; Kernel info:
; codeLenInByte = 7584
; NumSgprs: 22
; NumVgprs: 242
; ScratchSize: 0
; MemoryBound: 0
; FloatMode: 240
; IeeeMode: 1
; LDSByteSize: 22272 bytes/workgroup (compile time only)
; SGPRBlocks: 2
; VGPRBlocks: 30
; NumSGPRsForWavesPerEU: 22
; NumVGPRsForWavesPerEU: 242
; Occupancy: 5
; WaveLimiterHint : 1
; COMPUTE_PGM_RSRC2:SCRATCH_EN: 0
; COMPUTE_PGM_RSRC2:USER_SGPR: 14
; COMPUTE_PGM_RSRC2:TRAP_HANDLER: 0
; COMPUTE_PGM_RSRC2:TGID_X_EN: 1
; COMPUTE_PGM_RSRC2:TGID_Y_EN: 1
; COMPUTE_PGM_RSRC2:TGID_Z_EN: 0
; COMPUTE_PGM_RSRC2:TIDIG_COMP_CNT: 1
	.section	.text._ZL8moe_q4_0IN3c104HalfELb1EEvPKvS3_PT_PKiS7_S7_iiiiiii,"axG",@progbits,_ZL8moe_q4_0IN3c104HalfELb1EEvPKvS3_PT_PKiS7_S7_iiiiiii,comdat
	.globl	_ZL8moe_q4_0IN3c104HalfELb1EEvPKvS3_PT_PKiS7_S7_iiiiiii ; -- Begin function _ZL8moe_q4_0IN3c104HalfELb1EEvPKvS3_PT_PKiS7_S7_iiiiiii
	.p2align	8
	.type	_ZL8moe_q4_0IN3c104HalfELb1EEvPKvS3_PT_PKiS7_S7_iiiiiii,@function
_ZL8moe_q4_0IN3c104HalfELb1EEvPKvS3_PT_PKiS7_S7_iiiiiii: ; @_ZL8moe_q4_0IN3c104HalfELb1EEvPKvS3_PT_PKiS7_S7_iiiiiii
; %bb.0:
	s_load_b128 s[4:7], s[0:1], 0x18
	s_mov_b32 s2, s15
	s_mov_b32 s3, 0
	s_delay_alu instid0(SALU_CYCLE_1)
	s_lshl_b64 s[8:9], s[2:3], 2
	s_waitcnt lgkmcnt(0)
	s_add_u32 s6, s6, s8
	s_addc_u32 s7, s7, s9
	s_load_b32 s15, s[6:7], 0x0
	s_waitcnt lgkmcnt(0)
	s_cmpk_gt_u32 s15, 0xff
	s_cbranch_scc1 .LBB198_32
; %bb.1:
	s_load_b64 s[6:7], s[0:1], 0x28
	s_lshl_b32 s2, s2, 3
	s_waitcnt lgkmcnt(0)
	s_load_b32 s3, s[6:7], 0x0
	s_waitcnt lgkmcnt(0)
	s_cmp_gt_u32 s2, s3
	s_cbranch_scc1 .LBB198_32
; %bb.2:
	v_bfe_u32 v3, v0, 10, 10
	s_delay_alu instid0(VALU_DEP_1) | instskip(NEXT) | instid1(VALU_DEP_1)
	v_dual_mov_b32 v2, 0 :: v_dual_add_nc_u32 v1, s2, v3
	v_dual_mov_b32 v0, v2 :: v_dual_and_b32 v31, 0x3ff, v0
	s_delay_alu instid0(VALU_DEP_2) | instskip(NEXT) | instid1(VALU_DEP_1)
	v_lshlrev_b64 v[4:5], 2, v[1:2]
	v_add_co_u32 v4, vcc_lo, s4, v4
	s_delay_alu instid0(VALU_DEP_2)
	v_add_co_ci_u32_e32 v5, vcc_lo, s5, v5, vcc_lo
	global_load_b32 v30, v[4:5], off
	s_clause 0x1
	s_load_b256 s[4:11], s[0:1], 0x30
	s_load_b64 s[12:13], s[0:1], 0x10
	v_mov_b32_e32 v4, v2
	v_mov_b32_e32 v5, v2
	s_waitcnt lgkmcnt(0)
	s_lshl_b32 s11, s14, 7
	s_cmp_lt_i32 s5, 32
	s_cbranch_scc1 .LBB198_23
; %bb.3:
	s_load_b128 s[0:3], s[0:1], 0x0
	s_ashr_i32 s14, s5, 31
	s_mul_i32 s15, s15, s4
	s_lshr_b32 s4, s14, 27
	s_ashr_i32 s16, s8, 31
	s_add_i32 s4, s5, s4
	s_lshr_b32 s14, s16, 27
	s_ashr_i32 s4, s4, 5
	s_add_i32 s8, s8, s14
	s_mul_i32 s14, s4, s11
	s_ashr_i32 s16, s15, 31
	s_ashr_i32 s8, s8, 5
	s_mul_hi_i32 s17, s14, 18
	s_mul_i32 s14, s14, 18
	v_add_nc_u32_e32 v1, 8, v3
	v_dual_mov_b32 v33, 0 :: v_dual_lshlrev_b32 v0, 2, v31
	v_add_nc_u32_e32 v2, 16, v3
	v_dual_mov_b32 v78, 0 :: v_dual_add_nc_u32 v5, 24, v3
	s_waitcnt lgkmcnt(0)
	s_add_u32 s0, s0, s15
	s_addc_u32 s1, s1, s16
	s_add_u32 s16, s0, s14
	s_addc_u32 s17, s1, s17
	s_not_b32 s0, s11
	s_abs_i32 s1, s10
	s_add_i32 s0, s0, s6
	v_add_nc_u32_e32 v6, 0x70, v3
	v_min_i32_e32 v4, s0, v3
	v_min_i32_e32 v1, s0, v1
	;; [unrolled: 1-line block ×3, first 2 shown]
	v_add_nc_u32_e32 v23, 0x78, v3
	v_lshrrev_b32_e32 v48, 3, v31
	v_mul_lo_u32 v35, v4, s4
	v_mad_u64_u32 v[8:9], null, 0x84, v4, v[0:1]
	v_mul_lo_u32 v36, v1, s4
	v_mad_u64_u32 v[9:10], null, 0x84, v1, v[0:1]
	v_min_i32_e32 v1, s0, v5
	v_add_nc_u32_e32 v4, 32, v3
	v_mul_lo_u32 v37, v2, s4
	v_cvt_f32_u32_e32 v5, s1
	v_min_i32_e32 v25, s0, v23
	v_mad_u64_u32 v[10:11], null, 0x84, v2, v[0:1]
	v_mul_lo_u32 v38, v1, s4
	v_add_nc_u32_e32 v2, 40, v3
	v_min_i32_e32 v4, s0, v4
	v_mad_u64_u32 v[11:12], null, 0x84, v1, v[0:1]
	v_add_nc_u32_e32 v1, 48, v3
	s_delay_alu instid0(VALU_DEP_4) | instskip(NEXT) | instid1(VALU_DEP_4)
	v_min_i32_e32 v2, s0, v2
	v_mul_lo_u32 v39, v4, s4
	v_mov_b32_e32 v79, 0
	s_sub_i32 s6, 0, s1
	v_mad_u64_u32 v[12:13], null, 0x84, v4, v[0:1]
	v_min_i32_e32 v1, s0, v1
	v_add_nc_u32_e32 v4, 56, v3
	v_mul_lo_u32 v40, v2, s4
	v_mul_lo_u32 v51, v25, s4
	s_waitcnt vmcnt(0)
	v_sub_nc_u32_e32 v27, 0, v30
	v_mad_u64_u32 v[13:14], null, 0x84, v2, v[0:1]
	v_mul_lo_u32 v41, v1, s4
	v_add_nc_u32_e32 v2, 64, v3
	v_min_i32_e32 v4, s0, v4
	v_mad_u64_u32 v[14:15], null, 0x84, v1, v[0:1]
	v_add_nc_u32_e32 v1, 0x48, v3
	s_delay_alu instid0(VALU_DEP_4) | instskip(NEXT) | instid1(VALU_DEP_4)
	v_min_i32_e32 v2, s0, v2
	v_mul_lo_u32 v42, v4, s4
	v_max_i32_e32 v27, v30, v27
	v_and_b32_e32 v52, 7, v31
	v_mad_u64_u32 v[15:16], null, 0x84, v4, v[0:1]
	v_min_i32_e32 v1, s0, v1
	v_add_nc_u32_e32 v4, 0x50, v3
	v_mul_lo_u32 v43, v2, s4
	v_lshlrev_b32_e32 v28, 2, v52
	v_lshlrev_b32_e32 v67, 7, v3
	v_mad_u64_u32 v[16:17], null, 0x84, v2, v[0:1]
	v_mul_lo_u32 v44, v1, s4
	v_add_nc_u32_e32 v2, 0x58, v3
	v_min_i32_e32 v4, s0, v4
	v_mad_u64_u32 v[17:18], null, 0x84, v1, v[0:1]
	v_add_nc_u32_e32 v1, 0x60, v3
	s_delay_alu instid0(VALU_DEP_4) | instskip(NEXT) | instid1(VALU_DEP_4)
	v_min_i32_e32 v2, s0, v2
	v_mul_lo_u32 v45, v4, s4
	v_and_b32_e32 v62, 0xfc, v31
	v_lshrrev_b32_e32 v32, 2, v31
	v_mad_u64_u32 v[18:19], null, 0x84, v4, v[0:1]
	v_min_i32_e32 v1, s0, v1
	v_mul_lo_u32 v46, v2, s4
	v_lshlrev_b32_e32 v4, 2, v3
	v_lshl_add_u32 v68, v3, 4, 0x5680
	v_mad_u32_u24 v73, 0x84, v31, 64
	v_mad_u64_u32 v[19:20], null, 0x84, v2, v[0:1]
	v_add_nc_u32_e32 v2, 0x68, v3
	v_mul_lo_u32 v47, v1, s4
	v_mad_u64_u32 v[20:21], null, 0x84, v1, v[0:1]
	v_rcp_iflag_f32_e32 v1, v5
	s_delay_alu instid0(VALU_DEP_3)
	v_min_i32_e32 v2, s0, v2
	v_min_i32_e32 v5, s0, v6
	v_add_nc_u32_e32 v7, v48, v4
	v_or_b32_e32 v4, v4, v31
	s_add_u32 s14, s2, 0x90
	v_mul_lo_u32 v49, v2, s4
	v_mul_lo_u32 v50, v5, s4
	v_min_i32_e32 v6, s0, v7
	v_lshl_add_u32 v58, v4, 2, 0x5680
	v_mad_u64_u32 v[21:22], null, 0x84, v2, v[0:1]
	v_mul_f32_e32 v1, 0x4f7ffffe, v1
	s_delay_alu instid0(VALU_DEP_4)
	v_ashrrev_i32_e32 v2, 31, v6
	v_add_nc_u32_e32 v4, 64, v31
	v_mul_lo_u32 v53, v6, s4
	s_addc_u32 s15, s3, 0
	v_mad_u64_u32 v[22:23], null, 0x84, v5, v[0:1]
	v_cvt_u32_f32_e32 v1, v1
	v_add_nc_u32_e32 v5, 32, v7
	v_lshrrev_b32_e32 v2, 30, v2
	v_and_b32_e32 v4, 0x1fc, v4
	s_delay_alu instid0(VALU_DEP_4)
	v_mad_u64_u32 v[23:24], null, 0x84, v25, v[0:1]
	v_mul_lo_u32 v24, s6, v1
	v_add_nc_u32_e32 v25, 64, v7
	v_add_nc_u32_e32 v7, 0x60, v7
	v_min_i32_e32 v5, s0, v5
	v_add_nc_u32_e32 v2, v6, v2
	v_lshlrev_b32_e32 v6, 5, v6
	v_min_i32_e32 v25, s0, v25
	v_min_i32_e32 v7, s0, v7
	v_mul_hi_u32 v24, v1, v24
	v_ashrrev_i32_e32 v26, 31, v5
	v_and_b32_e32 v2, -4, v2
	v_ashrrev_i32_e32 v29, 31, v25
	v_mul_lo_u32 v55, v25, s4
	v_lshlrev_b32_e32 v77, 5, v25
	v_lshrrev_b32_e32 v26, 30, v26
	v_add3_u32 v2, v2, v28, 0x4200
	v_add_nc_u32_e32 v1, v1, v24
	v_lshrrev_b32_e32 v24, 30, v29
	v_ashrrev_i32_e32 v29, 31, v7
	v_add_nc_u32_e32 v26, v5, v26
	v_mul_lo_u32 v54, v5, s4
	v_mul_hi_u32 v1, v27, v1
	v_add_nc_u32_e32 v24, v25, v24
	v_lshrrev_b32_e32 v29, 30, v29
	v_and_b32_e32 v26, -4, v26
	v_lshlrev_b32_e32 v5, 5, v5
	v_mul_lo_u32 v56, v7, s4
	v_and_b32_e32 v24, -4, v24
	v_add_nc_u32_e32 v29, v7, v29
	v_mul_lo_u32 v57, v1, s1
	v_add_nc_u32_e32 v25, 1, v1
	v_add3_u32 v26, v26, v28, 0x4200
	v_add3_u32 v76, v24, v28, 0x4200
	v_and_b32_e32 v29, -4, v29
	v_lshlrev_b32_e32 v7, 5, v7
	v_add_nc_u32_e32 v74, v2, v6
	v_add_nc_u32_e32 v75, v26, v5
	v_sub_nc_u32_e32 v24, v27, v57
	v_add3_u32 v27, v29, v28, 0x4200
	v_and_b32_e32 v28, 31, v31
	v_dual_mov_b32 v77, 0 :: v_dual_add_nc_u32 v76, v76, v77
	s_delay_alu instid0(VALU_DEP_4)
	v_subrev_nc_u32_e32 v29, s1, v24
	v_cmp_le_u32_e32 vcc_lo, s1, v24
	v_and_b32_e32 v34, 12, v0
	v_and_b32_e32 v0, 28, v0
	v_lshl_or_b32 v28, v28, 2, v67
	v_add_nc_u32_e32 v67, 0x5280, v67
	v_cndmask_b32_e32 v1, v1, v25, vcc_lo
	v_cndmask_b32_e32 v24, v24, v29, vcc_lo
	v_xor_b32_e32 v25, s10, v30
	v_add_nc_u32_e32 v57, 0x5280, v28
	v_add_nc_u32_e32 v28, 0x60, v31
	;; [unrolled: 1-line block ×3, first 2 shown]
	v_cmp_le_u32_e32 vcc_lo, s1, v24
	v_ashrrev_i32_e32 v59, 31, v25
	v_add_co_u32 v24, s0, s2, v0
	s_delay_alu instid0(VALU_DEP_4) | instskip(SKIP_3) | instid1(VALU_DEP_4)
	v_dual_cndmask_b32 v1, v1, v29 :: v_dual_and_b32 v28, 0x1fc, v28
	v_lshlrev_b32_e32 v29, 5, v31
	v_add_co_ci_u32_e64 v25, null, s3, 0, s0
	v_cmp_gt_u32_e32 vcc_lo, 4, v31
	v_xor_b32_e32 v0, v1, v59
	v_add_nc_u32_e32 v1, 32, v31
	v_add_nc_u32_e32 v4, v29, v4
	;; [unrolled: 1-line block ×3, first 2 shown]
	s_mov_b32 s6, 0
	v_sub_nc_u32_e32 v0, v0, v59
	v_lshrrev_b32_e32 v60, 3, v1
	v_and_b32_e32 v1, 0x1fc, v1
	v_mul_u32_u24_e32 v59, 0x84, v31
	v_add_nc_u32_e32 v64, 0x4a00, v4
	v_mul_lo_u32 v61, v0, s8
	v_cmp_gt_i32_e64 s0, s7, v0
	v_add_nc_u32_e32 v0, v29, v28
	v_add_nc_u32_e32 v1, v29, v1
	;; [unrolled: 1-line block ×4, first 2 shown]
	s_delay_alu instid0(VALU_DEP_4)
	v_add_nc_u32_e32 v63, 0x4e00, v0
	v_ashrrev_i32_e32 v62, 31, v61
	v_add_nc_u32_e32 v65, 0x4600, v1
	v_add_nc_u32_e32 v66, 0x4200, v28
	v_add_nc_u32_e32 v69, 0x4e10, v0
	v_add_nc_u32_e32 v71, 0x4610, v1
	v_add_nc_u32_e32 v72, 0x4210, v28
	s_branch .LBB198_5
.LBB198_4:                              ;   in Loop: Header=BB198_5 Depth=1
	s_add_i32 s6, s6, 8
	s_delay_alu instid0(SALU_CYCLE_1)
	s_cmp_ge_i32 s6, s4
	s_cbranch_scc1 .LBB198_22
.LBB198_5:                              ; =>This Loop Header: Depth=1
                                        ;     Child Loop BB198_12 Depth 2
                                        ;     Child Loop BB198_20 Depth 2
	s_mul_i32 s1, s6, 18
	s_mul_hi_u32 s19, s6, 18
	s_add_u32 s18, s16, s1
	s_addc_u32 s19, s17, s19
	s_delay_alu instid0(SALU_CYCLE_1) | instskip(SKIP_2) | instid1(SALU_CYCLE_1)
	v_mad_u64_u32 v[0:1], null, v32, 18, s[18:19]
	v_mad_u64_u32 v[87:88], null, v52, 18, s[18:19]
	s_lshl_b32 s18, s6, 5
	s_cmp_lt_i32 s18, s5
	s_delay_alu instid0(VALU_DEP_2) | instskip(NEXT) | instid1(VALU_DEP_1)
	v_add_co_u32 v0, s1, v0, v34
	v_add_co_ci_u32_e64 v1, s1, 0, v1, s1
	s_delay_alu instid0(VALU_DEP_2) | instskip(NEXT) | instid1(VALU_DEP_1)
	v_add_co_u32 v0, s1, v0, 2
	v_add_co_ci_u32_e64 v1, s1, 0, v1, s1
	s_delay_alu instid0(VALU_DEP_1)
	v_mad_i64_i32 v[2:3], null, v35, 18, v[0:1]
	v_mad_i64_i32 v[4:5], null, v36, 18, v[0:1]
	;; [unrolled: 1-line block ×8, first 2 shown]
	s_clause 0x7
	global_load_b32 v89, v[2:3], off
	global_load_b32 v90, v[4:5], off
	;; [unrolled: 1-line block ×8, first 2 shown]
	v_mad_i64_i32 v[2:3], null, v53, 18, v[87:88]
	v_mad_i64_i32 v[4:5], null, v54, 18, v[87:88]
	;; [unrolled: 1-line block ×6, first 2 shown]
	s_clause 0x3
	global_load_u16 v87, v[2:3], off
	global_load_u16 v88, v[4:5], off
	;; [unrolled: 1-line block ×4, first 2 shown]
	v_mad_i64_i32 v[2:3], null, v45, 18, v[0:1]
	v_mad_i64_i32 v[4:5], null, v46, 18, v[0:1]
	;; [unrolled: 1-line block ×6, first 2 shown]
	s_clause 0x7
	global_load_b32 v0, v[28:29], off
	global_load_b32 v1, v[81:82], off
	;; [unrolled: 1-line block ×8, first 2 shown]
	s_waitcnt vmcnt(11)
	v_cvt_f32_f16_e32 v26, v87
	s_waitcnt vmcnt(10)
	v_cvt_f32_f16_e32 v27, v88
	;; [unrolled: 2-line block ×4, first 2 shown]
	ds_store_b32 v8, v89
	ds_store_b32 v74, v26
	;; [unrolled: 1-line block ×11, first 2 shown]
	s_waitcnt vmcnt(7)
	ds_store_b32 v16, v0
	s_waitcnt vmcnt(6)
	ds_store_b32 v17, v1
	;; [unrolled: 2-line block ×8, first 2 shown]
	ds_store_b32 v80, v29
	s_cbranch_scc0 .LBB198_4
; %bb.6:                                ;   in Loop: Header=BB198_5 Depth=1
	v_add_nc_u32_e32 v0, s6, v48
	s_delay_alu instid0(VALU_DEP_1) | instskip(NEXT) | instid1(VALU_DEP_1)
	v_cmp_gt_i32_e64 s1, s8, v0
	s_and_b32 s19, s0, s1
	s_delay_alu instid0(SALU_CYCLE_1)
	s_and_saveexec_b32 s1, s19
	s_cbranch_execz .LBB198_8
; %bb.7:                                ;   in Loop: Header=BB198_5 Depth=1
	v_add_nc_u32_e32 v2, v61, v0
	s_delay_alu instid0(VALU_DEP_1)
	v_mad_i64_i32 v[0:1], null, v2, 36, v[24:25]
	global_load_b32 v0, v[0:1], off offset:4
	s_waitcnt vmcnt(0)
	ds_store_b32 v57, v0
.LBB198_8:                              ;   in Loop: Header=BB198_5 Depth=1
	s_or_b32 exec_lo, exec_lo, s1
	s_and_saveexec_b32 s19, vcc_lo
	s_cbranch_execz .LBB198_11
; %bb.9:                                ;   in Loop: Header=BB198_5 Depth=1
	v_or_b32_e32 v0, s6, v31
	s_delay_alu instid0(VALU_DEP_1) | instskip(NEXT) | instid1(VALU_DEP_1)
	v_cmp_gt_i32_e64 s1, s8, v0
	s_and_b32 s1, s0, s1
	s_delay_alu instid0(SALU_CYCLE_1)
	s_and_b32 exec_lo, exec_lo, s1
	s_cbranch_execz .LBB198_11
; %bb.10:                               ;   in Loop: Header=BB198_5 Depth=1
	v_add_nc_u32_e32 v2, v61, v0
	s_delay_alu instid0(VALU_DEP_1)
	v_mad_i64_i32 v[0:1], null, v2, 36, s[2:3]
	global_load_b32 v0, v[0:1], off
	s_waitcnt vmcnt(0)
	ds_store_b32 v58, v0
.LBB198_11:                             ;   in Loop: Header=BB198_5 Depth=1
	s_or_b32 exec_lo, exec_lo, s19
	v_dual_mov_b32 v81, v68 :: v_dual_mov_b32 v82, v67
	v_dual_mov_b32 v83, v59 :: v_dual_mov_b32 v84, v66
	;; [unrolled: 1-line block ×3, first 2 shown]
	v_mov_b32_e32 v87, v63
	s_mov_b32 s1, -4
	s_waitcnt lgkmcnt(0)
	s_barrier
	buffer_gl0_inv
.LBB198_12:                             ;   Parent Loop BB198_5 Depth=1
                                        ; =>  This Inner Loop Header: Depth=2
	ds_load_b128 v[4:7], v82
	ds_load_b128 v[0:3], v82 offset:16
	ds_load_2addr_b32 v[26:27], v83 offset1:1
	ds_load_2addr_b32 v[28:29], v83 offset0:2 offset1:3
	ds_load_b32 v88, v85
	ds_load_b32 v101, v84
	;; [unrolled: 1-line block ×4, first 2 shown]
	v_add_nc_u32_e32 v89, 0x1080, v83
	v_add_nc_u32_e32 v91, 0x1088, v83
	;; [unrolled: 1-line block ×6, first 2 shown]
	ds_load_2addr_b32 v[89:90], v89 offset1:1
	ds_load_2addr_b32 v[91:92], v91 offset1:1
	;; [unrolled: 1-line block ×6, first 2 shown]
	ds_load_b32 v104, v81
	v_add_nc_u32_e32 v87, 4, v87
	v_add_nc_u32_e32 v85, 4, v85
	v_add_nc_u32_e32 v83, 16, v83
	v_add_nc_u32_e32 v82, 32, v82
	v_add_nc_u32_e32 v81, 4, v81
	s_add_i32 s1, s1, 4
	s_delay_alu instid0(SALU_CYCLE_1)
	s_cmp_lt_u32 s1, 12
	s_waitcnt lgkmcnt(14)
	v_bfe_i32 v105, v4, 0, 8
	s_waitcnt lgkmcnt(13)
	v_bfe_i32 v108, v0, 0, 8
	s_waitcnt lgkmcnt(12)
	v_and_b32_e32 v130, 15, v26
	v_bfe_u32 v134, v26, 4, 4
	v_bfe_i32 v111, v5, 0, 8
	s_waitcnt lgkmcnt(6)
	v_and_b32_e32 v158, 15, v89
	v_bfe_i32 v114, v1, 0, 8
	v_mul_i32_i24_e32 v130, v130, v105
	s_waitcnt lgkmcnt(4)
	v_and_b32_e32 v186, 15, v93
	s_waitcnt lgkmcnt(2)
	v_and_b32_e32 v213, 15, v97
	v_and_b32_e32 v137, 15, v27
	v_bfe_u32 v141, v27, 4, 4
	v_bfe_u32 v162, v89, 4, 4
	v_and_b32_e32 v165, 15, v90
	v_bfe_u32 v169, v90, 4, 4
	v_bfe_u32 v190, v93, 4, 4
	;; [unrolled: 3-line block ×3, first 2 shown]
	v_and_b32_e32 v219, 15, v98
	v_bfe_u32 v220, v98, 4, 4
	v_mad_i32_i24 v130, v134, v108, v130
	v_mul_i32_i24_e32 v134, v158, v105
	v_mul_i32_i24_e32 v158, v186, v105
	;; [unrolled: 1-line block ×3, first 2 shown]
	v_bfe_i32 v106, v4, 8, 8
	v_bfe_i32 v115, v1, 8, 8
	;; [unrolled: 1-line block ×3, first 2 shown]
	v_ashrrev_i32_e32 v1, 24, v1
	v_bfe_i32 v117, v6, 0, 8
	v_bfe_u32 v131, v26, 8, 4
	v_bfe_u32 v136, v27, 20, 4
	;; [unrolled: 1-line block ×6, first 2 shown]
	v_lshrrev_b32_e32 v27, 28, v27
	v_and_b32_e32 v144, 15, v28
	v_mul_i32_i24_e32 v137, v137, v111
	v_mul_i32_i24_e32 v141, v141, v114
	v_bfe_u32 v159, v89, 8, 4
	v_bfe_u32 v164, v90, 20, 4
	;; [unrolled: 1-line block ×6, first 2 shown]
	v_lshrrev_b32_e32 v90, 28, v90
	v_and_b32_e32 v172, 15, v91
	v_bfe_u32 v187, v93, 8, 4
	v_bfe_u32 v192, v94, 20, 4
	;; [unrolled: 1-line block ×6, first 2 shown]
	v_lshrrev_b32_e32 v94, 28, v94
	v_and_b32_e32 v200, 15, v95
	v_bfe_u32 v216, v97, 8, 4
	v_bfe_u32 v222, v98, 20, 4
	;; [unrolled: 1-line block ×6, first 2 shown]
	v_lshrrev_b32_e32 v98, 28, v98
	s_waitcnt lgkmcnt(1)
	v_and_b32_e32 v228, 15, v99
	v_mul_i32_i24_e32 v165, v165, v111
	v_mul_i32_i24_e32 v169, v169, v114
	;; [unrolled: 1-line block ×6, first 2 shown]
	v_mad_i32_i24 v134, v162, v108, v134
	v_mad_i32_i24 v158, v190, v108, v158
	;; [unrolled: 1-line block ×3, first 2 shown]
	v_bfe_i32 v107, v4, 16, 8
	v_ashrrev_i32_e32 v4, 24, v4
	v_bfe_i32 v118, v6, 8, 8
	v_bfe_i32 v120, v2, 0, 8
	v_bfe_u32 v132, v26, 16, 4
	v_bfe_u32 v133, v26, 24, 4
	;; [unrolled: 1-line block ×11, first 2 shown]
	v_mul_i32_i24_e32 v131, v131, v106
	v_mul_i32_i24_e32 v144, v144, v117
	v_bfe_u32 v217, v97, 16, 4
	v_bfe_u32 v218, v97, 24, 4
	;; [unrolled: 1-line block ×3, first 2 shown]
	v_mul_i32_i24_e32 v27, v27, v1
	v_mul_i32_i24_e32 v159, v159, v106
	;; [unrolled: 1-line block ×10, first 2 shown]
	v_add3_u32 v108, v130, v137, v141
	v_add3_u32 v130, v134, v165, v169
	;; [unrolled: 1-line block ×4, first 2 shown]
	v_bfe_i32 v119, v6, 16, 8
	v_ashrrev_i32_e32 v6, 24, v6
	v_bfe_i32 v123, v7, 0, 8
	v_and_b32_e32 v151, 15, v29
	v_and_b32_e32 v179, 15, v92
	v_bfe_u32 v203, v95, 24, 4
	v_and_b32_e32 v207, 15, v96
	v_and_b32_e32 v235, 15, v100
	v_mul_i32_i24_e32 v132, v132, v107
	v_mul_i32_i24_e32 v133, v133, v4
	;; [unrolled: 1-line block ×14, first 2 shown]
	v_add3_u32 v108, v108, v144, v131
	v_add3_u32 v114, v130, v172, v159
	;; [unrolled: 1-line block ×4, first 2 shown]
	v_bfe_i32 v109, v0, 8, 8
	v_bfe_i32 v110, v0, 16, 8
	v_bfe_u32 v129, v26, 20, 4
	v_bfe_u32 v135, v26, 12, 4
	;; [unrolled: 1-line block ×8, first 2 shown]
	v_mul_i32_i24_e32 v151, v151, v123
	v_mul_i32_i24_e32 v179, v179, v123
	;; [unrolled: 1-line block ×5, first 2 shown]
	v_add3_u32 v106, v108, v132, v133
	v_add3_u32 v108, v114, v160, v161
	;; [unrolled: 1-line block ×4, first 2 shown]
	v_ashrrev_i32_e32 v0, 24, v0
	v_bfe_i32 v112, v5, 8, 8
	v_lshrrev_b32_e32 v26, 28, v26
	v_lshrrev_b32_e32 v89, 28, v89
	;; [unrolled: 1-line block ×4, first 2 shown]
	v_mul_i32_i24_e32 v135, v135, v109
	v_mul_i32_i24_e32 v129, v129, v110
	;; [unrolled: 1-line block ×8, first 2 shown]
	v_add3_u32 v98, v106, v148, v151
	v_add3_u32 v106, v108, v176, v179
	;; [unrolled: 1-line block ×4, first 2 shown]
	v_bfe_i32 v113, v5, 16, 8
	v_ashrrev_i32_e32 v5, 24, v5
	v_mul_i32_i24_e32 v26, v26, v0
	v_mul_i32_i24_e32 v138, v138, v112
	;; [unrolled: 1-line block ×8, first 2 shown]
	v_add3_u32 v98, v98, v135, v129
	v_add3_u32 v106, v106, v163, v157
	;; [unrolled: 1-line block ×4, first 2 shown]
	v_bfe_i32 v124, v7, 8, 8
	v_bfe_i32 v126, v3, 0, 8
	v_bfe_u32 v155, v29, 4, 4
	v_bfe_u32 v183, v92, 4, 4
	;; [unrolled: 1-line block ×5, first 2 shown]
	v_mul_i32_i24_e32 v139, v139, v113
	v_mul_i32_i24_e32 v140, v140, v5
	;; [unrolled: 1-line block ×8, first 2 shown]
	v_add3_u32 v26, v98, v26, v138
	v_add3_u32 v89, v106, v89, v97
	;; [unrolled: 1-line block ×4, first 2 shown]
	v_mul_i32_i24_e32 v142, v142, v115
	v_mul_i32_i24_e32 v155, v155, v126
	v_mul_i32_i24_e32 v170, v170, v115
	v_mul_i32_i24_e32 v196, v198, v115
	v_mul_i32_i24_e32 v115, v226, v115
	v_mul_i32_i24_e32 v183, v183, v126
	v_mul_i32_i24_e32 v204, v208, v124
	v_mul_i32_i24_e32 v208, v211, v126
	v_mul_i32_i24_e32 v4, v239, v126
	v_add3_u32 v26, v26, v139, v140
	v_add3_u32 v89, v89, v167, v168
	;; [unrolled: 1-line block ×4, first 2 shown]
	v_bfe_u32 v145, v28, 8, 4
	v_bfe_u32 v146, v28, 16, 4
	;; [unrolled: 1-line block ×6, first 2 shown]
	v_mul_i32_i24_e32 v136, v136, v116
	v_mul_i32_i24_e32 v164, v164, v116
	;; [unrolled: 1-line block ×4, first 2 shown]
	v_add3_u32 v5, v26, v155, v142
	v_add3_u32 v26, v89, v183, v170
	v_add3_u32 v89, v93, v208, v196
	v_add3_u32 v0, v0, v4, v115
	v_bfe_i32 v121, v2, 8, 8
	v_bfe_u32 v147, v28, 24, 4
	v_bfe_u32 v149, v28, 12, 4
	;; [unrolled: 1-line block ×7, first 2 shown]
	v_mul_i32_i24_e32 v145, v145, v118
	v_mul_i32_i24_e32 v146, v146, v119
	;; [unrolled: 1-line block ×6, first 2 shown]
	v_add3_u32 v5, v5, v136, v27
	v_add3_u32 v26, v26, v164, v90
	;; [unrolled: 1-line block ×4, first 2 shown]
	v_bfe_i32 v122, v2, 16, 8
	v_ashrrev_i32_e32 v2, 24, v2
	v_bfe_u32 v143, v28, 20, 4
	v_lshrrev_b32_e32 v28, 28, v28
	v_bfe_u32 v171, v91, 20, 4
	v_lshrrev_b32_e32 v91, 28, v91
	;; [unrolled: 2-line block ×4, first 2 shown]
	v_mul_i32_i24_e32 v147, v147, v6
	v_mul_i32_i24_e32 v149, v149, v121
	;; [unrolled: 1-line block ×7, first 2 shown]
	v_add3_u32 v5, v5, v145, v146
	v_add3_u32 v26, v26, v117, v174
	;; [unrolled: 1-line block ×4, first 2 shown]
	v_bfe_i32 v125, v7, 16, 8
	v_bfe_u32 v152, v29, 8, 4
	v_bfe_u32 v153, v29, 16, 4
	;; [unrolled: 1-line block ×7, first 2 shown]
	v_mul_i32_i24_e32 v143, v143, v122
	v_mul_i32_i24_e32 v28, v28, v2
	;; [unrolled: 1-line block ×8, first 2 shown]
	v_add3_u32 v5, v5, v147, v149
	v_add3_u32 v26, v26, v175, v177
	;; [unrolled: 1-line block ×4, first 2 shown]
	v_ashrrev_i32_e32 v7, 24, v7
	v_bfe_i32 v127, v3, 8, 8
	v_bfe_u32 v154, v29, 24, 4
	v_bfe_u32 v156, v29, 12, 4
	;; [unrolled: 1-line block ×8, first 2 shown]
	v_mul_i32_i24_e32 v152, v152, v124
	v_mul_i32_i24_e32 v153, v153, v125
	;; [unrolled: 1-line block ×7, first 2 shown]
	v_add3_u32 v5, v5, v143, v28
	v_add3_u32 v26, v26, v171, v91
	;; [unrolled: 1-line block ×4, first 2 shown]
	v_bfe_i32 v128, v3, 16, 8
	v_ashrrev_i32_e32 v3, 24, v3
	v_bfe_u32 v150, v29, 20, 4
	v_lshrrev_b32_e32 v29, 28, v29
	v_bfe_u32 v178, v92, 20, 4
	v_lshrrev_b32_e32 v92, 28, v92
	;; [unrolled: 2-line block ×4, first 2 shown]
	v_mul_i32_i24_e32 v154, v154, v7
	v_mul_i32_i24_e32 v156, v156, v127
	;; [unrolled: 1-line block ×8, first 2 shown]
	v_add3_u32 v5, v5, v152, v153
	v_add3_u32 v26, v26, v180, v181
	;; [unrolled: 1-line block ×4, first 2 shown]
	s_waitcnt lgkmcnt(0)
	v_lshrrev_b32_e32 v241, 16, v104
	v_mul_i32_i24_e32 v150, v150, v128
	v_mul_i32_i24_e32 v29, v29, v3
	;; [unrolled: 1-line block ×8, first 2 shown]
	v_add3_u32 v3, v5, v154, v156
	v_add3_u32 v4, v26, v182, v184
	;; [unrolled: 1-line block ×4, first 2 shown]
	v_cvt_f32_f16_e64 v6, v241
	v_add3_u32 v3, v3, v150, v29
	v_add3_u32 v4, v4, v178, v92
	;; [unrolled: 1-line block ×4, first 2 shown]
	v_dual_mul_f32 v1, 0xc1000000, v6 :: v_dual_add_nc_u32 v84, 4, v84
	v_cvt_f32_i32_e32 v2, v3
	v_cvt_f32_i32_e32 v3, v4
	;; [unrolled: 1-line block ×4, first 2 shown]
	s_delay_alu instid0(VALU_DEP_4) | instskip(NEXT) | instid1(VALU_DEP_4)
	v_fma_mix_f32 v2, v104, v2, v1 op_sel_hi:[1,0,0]
	v_fma_mix_f32 v3, v104, v3, v1 op_sel_hi:[1,0,0]
	s_delay_alu instid0(VALU_DEP_4) | instskip(NEXT) | instid1(VALU_DEP_4)
	v_fma_mix_f32 v4, v104, v4, v1 op_sel_hi:[1,0,0]
	v_fma_mix_f32 v0, v104, v0, v1 op_sel_hi:[1,0,0]
	v_add_nc_u32_e32 v86, 4, v86
	v_fmac_f32_e32 v33, v101, v2
	s_delay_alu instid0(VALU_DEP_4) | instskip(NEXT) | instid1(VALU_DEP_4)
	v_dual_fmac_f32 v77, v88, v3 :: v_dual_fmac_f32 v78, v102, v4
	v_fmac_f32_e32 v79, v103, v0
	s_cbranch_scc1 .LBB198_12
; %bb.13:                               ;   in Loop: Header=BB198_5 Depth=1
	s_bitset1_b32 s18, 7
	s_delay_alu instid0(SALU_CYCLE_1)
	s_cmp_ge_i32 s18, s5
	s_barrier
	buffer_gl0_inv
	s_cbranch_scc1 .LBB198_4
; %bb.14:                               ;   in Loop: Header=BB198_5 Depth=1
	v_add_nc_u32_e32 v0, s6, v60
	s_delay_alu instid0(VALU_DEP_1) | instskip(NEXT) | instid1(VALU_DEP_1)
	v_cmp_gt_i32_e64 s1, s8, v0
	s_and_b32 s18, s0, s1
	s_delay_alu instid0(SALU_CYCLE_1)
	s_and_saveexec_b32 s1, s18
	s_cbranch_execz .LBB198_16
; %bb.15:                               ;   in Loop: Header=BB198_5 Depth=1
	v_add_nc_u32_e32 v2, v61, v0
	s_delay_alu instid0(VALU_DEP_1)
	v_mad_i64_i32 v[0:1], null, v2, 36, v[24:25]
	global_load_b32 v0, v[0:1], off offset:4
	s_waitcnt vmcnt(0)
	ds_store_b32 v57, v0
.LBB198_16:                             ;   in Loop: Header=BB198_5 Depth=1
	s_or_b32 exec_lo, exec_lo, s1
	s_and_saveexec_b32 s18, vcc_lo
	s_cbranch_execz .LBB198_19
; %bb.17:                               ;   in Loop: Header=BB198_5 Depth=1
	v_or_b32_e32 v0, s6, v31
	s_delay_alu instid0(VALU_DEP_1) | instskip(NEXT) | instid1(VALU_DEP_1)
	v_or_b32_e32 v1, 4, v0
	v_cmp_gt_i32_e64 s1, s8, v1
	s_delay_alu instid0(VALU_DEP_1) | instskip(NEXT) | instid1(SALU_CYCLE_1)
	s_and_b32 s1, s0, s1
	s_and_b32 exec_lo, exec_lo, s1
	s_cbranch_execz .LBB198_19
; %bb.18:                               ;   in Loop: Header=BB198_5 Depth=1
	v_ashrrev_i32_e32 v1, 31, v0
	v_add_co_u32 v2, s1, v61, v0
	s_delay_alu instid0(VALU_DEP_1) | instskip(NEXT) | instid1(VALU_DEP_2)
	v_add_co_ci_u32_e64 v3, s1, v62, v1, s1
	v_mad_u64_u32 v[0:1], null, v2, 36, s[14:15]
	s_delay_alu instid0(VALU_DEP_1)
	v_mad_i32_i24 v1, v3, 36, v1
	global_load_b32 v0, v[0:1], off
	s_waitcnt vmcnt(0)
	ds_store_b32 v58, v0
.LBB198_19:                             ;   in Loop: Header=BB198_5 Depth=1
	s_or_b32 exec_lo, exec_lo, s18
	v_dual_mov_b32 v0, v68 :: v_dual_mov_b32 v1, v67
	v_dual_mov_b32 v2, v73 :: v_dual_mov_b32 v3, v72
	;; [unrolled: 1-line block ×3, first 2 shown]
	v_mov_b32_e32 v6, v69
	s_mov_b32 s1, 12
	s_waitcnt lgkmcnt(0)
	s_barrier
	buffer_gl0_inv
.LBB198_20:                             ;   Parent Loop BB198_5 Depth=1
                                        ; =>  This Inner Loop Header: Depth=2
	ds_load_b128 v[81:84], v1
	ds_load_b128 v[85:88], v1 offset:16
	ds_load_b32 v7, v0
	ds_load_2addr_b32 v[28:29], v2 offset1:1
	ds_load_b32 v26, v4
	ds_load_b32 v27, v3
	ds_load_2addr_b32 v[89:90], v2 offset0:2 offset1:3
	ds_load_b32 v103, v5
	ds_load_b32 v104, v6
	v_add_nc_u32_e32 v91, 0x1080, v2
	v_add_nc_u32_e32 v93, 0x1088, v2
	;; [unrolled: 1-line block ×6, first 2 shown]
	ds_load_2addr_b32 v[91:92], v91 offset1:1
	ds_load_2addr_b32 v[93:94], v93 offset1:1
	;; [unrolled: 1-line block ×6, first 2 shown]
	v_add_nc_u32_e32 v3, 4, v3
	v_add_nc_u32_e32 v1, 32, v1
	;; [unrolled: 1-line block ×3, first 2 shown]
	s_add_i32 s1, s1, 4
	s_delay_alu instid0(SALU_CYCLE_1)
	s_cmp_lt_u32 s1, 28
	s_waitcnt lgkmcnt(14)
	v_bfe_i32 v105, v81, 0, 8
	v_bfe_i32 v106, v81, 8, 8
	s_waitcnt lgkmcnt(11)
	v_and_b32_e32 v131, 15, v28
	v_bfe_i32 v107, v81, 16, 8
	v_ashrrev_i32_e32 v81, 24, v81
	v_bfe_i32 v108, v85, 0, 8
	v_bfe_i32 v109, v85, 8, 8
	v_bfe_i32 v111, v82, 0, 8
	v_bfe_i32 v112, v82, 8, 8
	v_bfe_i32 v113, v82, 16, 8
	v_ashrrev_i32_e32 v82, 24, v82
	v_bfe_i32 v114, v86, 0, 8
	v_bfe_i32 v115, v86, 8, 8
	v_bfe_i32 v117, v83, 0, 8
	v_bfe_i32 v118, v83, 8, 8
	;; [unrolled: 6-line block ×3, first 2 shown]
	v_bfe_i32 v125, v84, 16, 8
	v_ashrrev_i32_e32 v84, 24, v84
	v_bfe_i32 v126, v88, 0, 8
	v_bfe_i32 v127, v88, 8, 8
	v_bfe_u32 v135, v28, 4, 4
	v_mul_i32_i24_e32 v131, v131, v105
	s_waitcnt lgkmcnt(5)
	v_and_b32_e32 v159, 15, v91
	v_bfe_u32 v160, v91, 8, 4
	v_bfe_u32 v161, v91, 16, 4
	;; [unrolled: 1-line block ×4, first 2 shown]
	v_and_b32_e32 v166, 15, v92
	v_bfe_u32 v167, v92, 8, 4
	v_bfe_u32 v168, v92, 16, 4
	;; [unrolled: 1-line block ×5, first 2 shown]
	s_waitcnt lgkmcnt(4)
	v_and_b32_e32 v173, 15, v93
	v_bfe_u32 v174, v93, 8, 4
	v_bfe_u32 v175, v93, 16, 4
	;; [unrolled: 1-line block ×5, first 2 shown]
	v_and_b32_e32 v180, 15, v94
	v_bfe_u32 v181, v94, 8, 4
	v_bfe_u32 v182, v94, 16, 4
	;; [unrolled: 1-line block ×5, first 2 shown]
	s_waitcnt lgkmcnt(3)
	v_and_b32_e32 v187, 15, v95
	s_waitcnt lgkmcnt(1)
	v_and_b32_e32 v215, 15, v99
	v_bfe_i32 v110, v85, 16, 8
	v_ashrrev_i32_e32 v85, 24, v85
	v_bfe_i32 v116, v86, 16, 8
	v_ashrrev_i32_e32 v86, 24, v86
	v_bfe_u32 v130, v28, 20, 4
	v_bfe_u32 v132, v28, 8, 4
	;; [unrolled: 1-line block ×5, first 2 shown]
	v_lshrrev_b32_e32 v28, 28, v28
	v_bfe_u32 v137, v29, 20, 4
	v_and_b32_e32 v138, 15, v29
	v_bfe_u32 v139, v29, 8, 4
	v_bfe_u32 v140, v29, 16, 4
	;; [unrolled: 1-line block ×5, first 2 shown]
	v_lshrrev_b32_e32 v29, 28, v29
	v_and_b32_e32 v145, 15, v89
	v_bfe_u32 v146, v89, 8, 4
	v_bfe_u32 v158, v91, 20, 4
	;; [unrolled: 1-line block ×3, first 2 shown]
	v_lshrrev_b32_e32 v91, 28, v91
	v_bfe_u32 v165, v92, 20, 4
	v_lshrrev_b32_e32 v92, 28, v92
	v_bfe_u32 v186, v95, 20, 4
	v_bfe_u32 v188, v95, 8, 4
	;; [unrolled: 1-line block ×6, first 2 shown]
	v_lshrrev_b32_e32 v95, 28, v95
	v_bfe_u32 v193, v96, 20, 4
	v_and_b32_e32 v194, 15, v96
	v_bfe_u32 v195, v96, 8, 4
	v_bfe_u32 v196, v96, 16, 4
	;; [unrolled: 1-line block ×5, first 2 shown]
	v_lshrrev_b32_e32 v96, 28, v96
	v_and_b32_e32 v201, 15, v97
	v_bfe_u32 v202, v97, 8, 4
	v_bfe_u32 v214, v99, 20, 4
	v_bfe_u32 v216, v99, 8, 4
	v_bfe_u32 v217, v99, 16, 4
	v_bfe_u32 v218, v99, 24, 4
	v_bfe_u32 v219, v99, 4, 4
	v_bfe_u32 v220, v99, 12, 4
	v_lshrrev_b32_e32 v99, 28, v99
	v_bfe_u32 v221, v100, 20, 4
	v_and_b32_e32 v222, 15, v100
	v_bfe_u32 v223, v100, 8, 4
	v_bfe_u32 v224, v100, 16, 4
	v_bfe_u32 v225, v100, 24, 4
	v_bfe_u32 v226, v100, 4, 4
	v_bfe_u32 v227, v100, 12, 4
	v_lshrrev_b32_e32 v100, 28, v100
	s_waitcnt lgkmcnt(0)
	v_and_b32_e32 v229, 15, v101
	v_bfe_u32 v230, v101, 8, 4
	v_mad_i32_i24 v131, v135, v108, v131
	v_mul_i32_i24_e32 v135, v159, v105
	v_mul_i32_i24_e32 v159, v160, v106
	;; [unrolled: 1-line block ×25, first 2 shown]
	v_bfe_u32 v147, v89, 16, 4
	v_mul_i32_i24_e32 v28, v28, v85
	v_mul_i32_i24_e32 v138, v138, v111
	;; [unrolled: 1-line block ×10, first 2 shown]
	v_bfe_u32 v203, v97, 16, 4
	v_bfe_u32 v231, v101, 16, 4
	v_mul_i32_i24_e32 v91, v91, v85
	v_mul_i32_i24_e32 v165, v165, v116
	;; [unrolled: 1-line block ×28, first 2 shown]
	v_mad_i32_i24 v117, v163, v108, v135
	v_mad_i32_i24 v118, v191, v108, v185
	v_mad_i32_i24 v105, v219, v108, v105
	v_mul_i32_i24_e32 v132, v132, v106
	v_mul_i32_i24_e32 v147, v147, v119
	;; [unrolled: 1-line block ×5, first 2 shown]
	v_add3_u32 v119, v131, v138, v142
	v_add3_u32 v117, v117, v164, v169
	;; [unrolled: 1-line block ×4, first 2 shown]
	v_bfe_u32 v149, v89, 4, 4
	v_and_b32_e32 v152, 15, v90
	v_mul_i32_i24_e32 v133, v133, v107
	v_mul_i32_i24_e32 v134, v134, v81
	v_bfe_u32 v204, v97, 24, 4
	v_bfe_u32 v205, v97, 4, 4
	v_bfe_u32 v206, v97, 12, 4
	v_and_b32_e32 v208, 15, v98
	v_bfe_u32 v233, v101, 4, 4
	v_and_b32_e32 v236, 15, v102
	v_mul_i32_i24_e32 v107, v217, v107
	v_mul_i32_i24_e32 v81, v218, v81
	v_add3_u32 v113, v119, v145, v132
	v_add3_u32 v117, v117, v171, v159
	;; [unrolled: 1-line block ×4, first 2 shown]
	v_mul_i32_i24_e32 v149, v149, v120
	v_mul_i32_i24_e32 v152, v152, v123
	;; [unrolled: 1-line block ×8, first 2 shown]
	v_add3_u32 v106, v113, v133, v134
	v_add3_u32 v113, v117, v160, v161
	;; [unrolled: 1-line block ×4, first 2 shown]
	v_mul_i32_i24_e32 v136, v136, v109
	v_mul_i32_i24_e32 v130, v130, v110
	;; [unrolled: 1-line block ×6, first 2 shown]
	v_add3_u32 v99, v106, v149, v152
	v_add3_u32 v106, v113, v176, v178
	;; [unrolled: 1-line block ×4, first 2 shown]
	v_bfe_u32 v156, v90, 4, 4
	v_add3_u32 v99, v99, v136, v130
	v_add3_u32 v105, v106, v162, v158
	;; [unrolled: 1-line block ×4, first 2 shown]
	v_mul_i32_i24_e32 v141, v141, v82
	v_bfe_u32 v209, v98, 8, 4
	v_bfe_u32 v210, v98, 16, 4
	v_bfe_u32 v211, v98, 24, 4
	v_bfe_u32 v212, v98, 4, 4
	v_bfe_u32 v240, v102, 4, 4
	v_mul_i32_i24_e32 v82, v225, v82
	v_add3_u32 v28, v99, v28, v139
	v_add3_u32 v91, v105, v91, v166
	;; [unrolled: 1-line block ×4, first 2 shown]
	v_bfe_i32 v122, v87, 16, 8
	v_ashrrev_i32_e32 v87, 24, v87
	v_bfe_u32 v144, v89, 20, 4
	v_bfe_u32 v148, v89, 24, 4
	;; [unrolled: 1-line block ×3, first 2 shown]
	v_lshrrev_b32_e32 v89, 28, v89
	v_mul_i32_i24_e32 v156, v156, v126
	v_bfe_u32 v172, v93, 20, 4
	v_lshrrev_b32_e32 v93, 28, v93
	v_bfe_u32 v200, v97, 20, 4
	v_lshrrev_b32_e32 v97, 28, v97
	v_bfe_u32 v228, v101, 20, 4
	v_bfe_u32 v232, v101, 24, 4
	;; [unrolled: 1-line block ×3, first 2 shown]
	v_lshrrev_b32_e32 v101, 28, v101
	v_mul_i32_i24_e32 v208, v209, v124
	v_mul_i32_i24_e32 v209, v210, v125
	;; [unrolled: 1-line block ×5, first 2 shown]
	v_add3_u32 v28, v28, v140, v141
	v_add3_u32 v91, v91, v167, v168
	v_add3_u32 v95, v95, v195, v196
	v_add3_u32 v81, v81, v112, v82
	v_mul_i32_i24_e32 v89, v89, v87
	v_mul_i32_i24_e32 v93, v93, v87
	;; [unrolled: 1-line block ×4, first 2 shown]
	v_add3_u32 v28, v28, v156, v143
	v_add3_u32 v87, v91, v183, v170
	;; [unrolled: 1-line block ×4, first 2 shown]
	v_mul_i32_i24_e32 v148, v148, v83
	v_add3_u32 v28, v28, v137, v29
	v_add3_u32 v29, v87, v165, v92
	v_add3_u32 v87, v91, v193, v96
	v_add3_u32 v81, v81, v115, v86
	v_mul_i32_i24_e32 v150, v150, v121
	v_mul_i32_i24_e32 v83, v232, v83
	;; [unrolled: 1-line block ×3, first 2 shown]
	v_add3_u32 v28, v28, v146, v147
	v_add3_u32 v29, v29, v173, v174
	;; [unrolled: 1-line block ×4, first 2 shown]
	v_bfe_u32 v153, v90, 8, 4
	v_bfe_u32 v154, v90, 16, 4
	v_mul_i32_i24_e32 v144, v144, v122
	v_bfe_u32 v237, v102, 8, 4
	v_bfe_u32 v238, v102, 16, 4
	v_mul_i32_i24_e32 v172, v172, v122
	v_mul_i32_i24_e32 v200, v200, v122
	;; [unrolled: 1-line block ×3, first 2 shown]
	v_add3_u32 v28, v28, v148, v150
	v_add3_u32 v29, v29, v175, v177
	;; [unrolled: 1-line block ×4, first 2 shown]
	v_bfe_u32 v155, v90, 24, 4
	v_bfe_u32 v157, v90, 12, 4
	v_mul_i32_i24_e32 v153, v153, v124
	v_mul_i32_i24_e32 v154, v154, v125
	v_bfe_u32 v213, v98, 12, 4
	v_bfe_u32 v239, v102, 24, 4
	;; [unrolled: 1-line block ×3, first 2 shown]
	v_mul_i32_i24_e32 v85, v237, v124
	v_mul_i32_i24_e32 v86, v238, v125
	v_add3_u32 v28, v28, v144, v89
	v_add3_u32 v29, v29, v172, v93
	;; [unrolled: 1-line block ×4, first 2 shown]
	v_bfe_i32 v128, v88, 16, 8
	v_ashrrev_i32_e32 v88, 24, v88
	v_bfe_u32 v151, v90, 20, 4
	v_lshrrev_b32_e32 v90, 28, v90
	v_mul_i32_i24_e32 v155, v155, v84
	v_mul_i32_i24_e32 v157, v157, v127
	v_bfe_u32 v179, v94, 20, 4
	v_lshrrev_b32_e32 v94, 28, v94
	v_bfe_u32 v207, v98, 20, 4
	v_lshrrev_b32_e32 v98, 28, v98
	;; [unrolled: 2-line block ×3, first 2 shown]
	v_mul_i32_i24_e32 v212, v213, v127
	v_mul_i32_i24_e32 v84, v239, v84
	;; [unrolled: 1-line block ×3, first 2 shown]
	v_add3_u32 v28, v28, v153, v154
	v_add3_u32 v29, v29, v180, v181
	;; [unrolled: 1-line block ×4, first 2 shown]
	v_lshrrev_b32_e32 v129, 16, v7
	v_mul_i32_i24_e32 v151, v151, v128
	v_mul_i32_i24_e32 v90, v90, v88
	;; [unrolled: 1-line block ×8, first 2 shown]
	v_add3_u32 v28, v28, v155, v157
	v_add3_u32 v29, v29, v182, v184
	;; [unrolled: 1-line block ×4, first 2 shown]
	v_cvt_f32_f16_e64 v83, v129
	v_add3_u32 v28, v28, v151, v90
	v_add3_u32 v29, v29, v179, v94
	;; [unrolled: 1-line block ×4, first 2 shown]
	v_dual_mul_f32 v82, 0xc1000000, v83 :: v_dual_add_nc_u32 v5, 4, v5
	v_cvt_f32_i32_e32 v28, v28
	v_cvt_f32_i32_e32 v29, v29
	;; [unrolled: 1-line block ×4, first 2 shown]
	s_delay_alu instid0(VALU_DEP_4) | instskip(NEXT) | instid1(VALU_DEP_4)
	v_fma_mix_f32 v28, v7, v28, v82 op_sel_hi:[1,0,0]
	v_fma_mix_f32 v29, v7, v29, v82 op_sel_hi:[1,0,0]
	s_delay_alu instid0(VALU_DEP_4) | instskip(NEXT) | instid1(VALU_DEP_4)
	v_fma_mix_f32 v83, v7, v83, v82 op_sel_hi:[1,0,0]
	v_fma_mix_f32 v7, v7, v81, v82 op_sel_hi:[1,0,0]
	s_delay_alu instid0(VALU_DEP_4) | instskip(NEXT) | instid1(VALU_DEP_4)
	v_dual_fmac_f32 v33, v27, v28 :: v_dual_add_nc_u32 v6, 4, v6
	v_dual_fmac_f32 v77, v26, v29 :: v_dual_add_nc_u32 v4, 4, v4
	s_delay_alu instid0(VALU_DEP_3)
	v_dual_fmac_f32 v79, v104, v7 :: v_dual_add_nc_u32 v2, 16, v2
	v_fmac_f32_e32 v78, v103, v83
	s_cbranch_scc1 .LBB198_20
; %bb.21:                               ;   in Loop: Header=BB198_5 Depth=1
	s_barrier
	buffer_gl0_inv
	s_branch .LBB198_4
.LBB198_22:
	v_cvt_f16_f32_e32 v5, v33
	v_cvt_f16_f32_e32 v4, v77
	;; [unrolled: 1-line block ×4, first 2 shown]
.LBB198_23:
	s_mul_i32 s0, s10, s7
	s_waitcnt vmcnt(0)
	v_cmp_gt_i32_e32 vcc_lo, s0, v30
	s_and_saveexec_b32 s0, vcc_lo
	s_cbranch_execz .LBB198_32
; %bb.24:
	v_mul_lo_u32 v1, v30, s9
	v_add_nc_u32_e32 v3, s11, v31
	s_mov_b32 s0, exec_lo
	s_delay_alu instid0(VALU_DEP_1)
	v_cmpx_gt_u32_e64 s9, v3
	s_cbranch_execz .LBB198_26
; %bb.25:
	s_delay_alu instid0(VALU_DEP_3) | instskip(NEXT) | instid1(VALU_DEP_1)
	v_dual_mov_b32 v7, 0 :: v_dual_add_nc_u32 v6, v1, v3
	v_lshlrev_b64 v[6:7], 1, v[6:7]
	s_delay_alu instid0(VALU_DEP_1) | instskip(NEXT) | instid1(VALU_DEP_2)
	v_add_co_u32 v6, vcc_lo, s12, v6
	v_add_co_ci_u32_e32 v7, vcc_lo, s13, v7, vcc_lo
	global_store_b16 v[6:7], v5, off
.LBB198_26:
	s_or_b32 exec_lo, exec_lo, s0
	v_add_nc_u32_e32 v5, 32, v3
	s_mov_b32 s0, exec_lo
	s_delay_alu instid0(VALU_DEP_1)
	v_cmpx_gt_u32_e64 s9, v5
	s_cbranch_execz .LBB198_28
; %bb.27:
	v_dual_mov_b32 v6, 0 :: v_dual_add_nc_u32 v5, v1, v5
	s_delay_alu instid0(VALU_DEP_1) | instskip(NEXT) | instid1(VALU_DEP_1)
	v_lshlrev_b64 v[5:6], 1, v[5:6]
	v_add_co_u32 v5, vcc_lo, s12, v5
	s_delay_alu instid0(VALU_DEP_2)
	v_add_co_ci_u32_e32 v6, vcc_lo, s13, v6, vcc_lo
	global_store_b16 v[5:6], v4, off
.LBB198_28:
	s_or_b32 exec_lo, exec_lo, s0
	v_add_nc_u32_e32 v4, 64, v3
	s_mov_b32 s0, exec_lo
	s_delay_alu instid0(VALU_DEP_1)
	v_cmpx_gt_u32_e64 s9, v4
	s_cbranch_execz .LBB198_30
; %bb.29:
	v_dual_mov_b32 v5, 0 :: v_dual_add_nc_u32 v4, v1, v4
	s_delay_alu instid0(VALU_DEP_1) | instskip(NEXT) | instid1(VALU_DEP_1)
	v_lshlrev_b64 v[4:5], 1, v[4:5]
	v_add_co_u32 v4, vcc_lo, s12, v4
	s_delay_alu instid0(VALU_DEP_2)
	v_add_co_ci_u32_e32 v5, vcc_lo, s13, v5, vcc_lo
	global_store_b16 v[4:5], v0, off
.LBB198_30:
	s_or_b32 exec_lo, exec_lo, s0
	v_add_nc_u32_e32 v0, 0x60, v3
	s_delay_alu instid0(VALU_DEP_1)
	v_cmp_gt_u32_e32 vcc_lo, s9, v0
	s_and_b32 exec_lo, exec_lo, vcc_lo
	s_cbranch_execz .LBB198_32
; %bb.31:
	v_dual_mov_b32 v1, 0 :: v_dual_add_nc_u32 v0, v1, v0
	s_delay_alu instid0(VALU_DEP_1) | instskip(NEXT) | instid1(VALU_DEP_1)
	v_lshlrev_b64 v[0:1], 1, v[0:1]
	v_add_co_u32 v0, vcc_lo, s12, v0
	s_delay_alu instid0(VALU_DEP_2)
	v_add_co_ci_u32_e32 v1, vcc_lo, s13, v1, vcc_lo
	global_store_b16 v[0:1], v2, off
.LBB198_32:
	s_nop 0
	s_sendmsg sendmsg(MSG_DEALLOC_VGPRS)
	s_endpgm
	.section	.rodata,"a",@progbits
	.p2align	6, 0x0
	.amdhsa_kernel _ZL8moe_q4_0IN3c104HalfELb1EEvPKvS3_PT_PKiS7_S7_iiiiiii
		.amdhsa_group_segment_fixed_size 22272
		.amdhsa_private_segment_fixed_size 0
		.amdhsa_kernarg_size 76
		.amdhsa_user_sgpr_count 14
		.amdhsa_user_sgpr_dispatch_ptr 0
		.amdhsa_user_sgpr_queue_ptr 0
		.amdhsa_user_sgpr_kernarg_segment_ptr 1
		.amdhsa_user_sgpr_dispatch_id 0
		.amdhsa_user_sgpr_private_segment_size 0
		.amdhsa_wavefront_size32 1
		.amdhsa_uses_dynamic_stack 0
		.amdhsa_enable_private_segment 0
		.amdhsa_system_sgpr_workgroup_id_x 1
		.amdhsa_system_sgpr_workgroup_id_y 1
		.amdhsa_system_sgpr_workgroup_id_z 0
		.amdhsa_system_sgpr_workgroup_info 0
		.amdhsa_system_vgpr_workitem_id 1
		.amdhsa_next_free_vgpr 242
		.amdhsa_next_free_sgpr 20
		.amdhsa_reserve_vcc 1
		.amdhsa_float_round_mode_32 0
		.amdhsa_float_round_mode_16_64 0
		.amdhsa_float_denorm_mode_32 3
		.amdhsa_float_denorm_mode_16_64 3
		.amdhsa_dx10_clamp 1
		.amdhsa_ieee_mode 1
		.amdhsa_fp16_overflow 0
		.amdhsa_workgroup_processor_mode 1
		.amdhsa_memory_ordered 1
		.amdhsa_forward_progress 0
		.amdhsa_shared_vgpr_count 0
		.amdhsa_exception_fp_ieee_invalid_op 0
		.amdhsa_exception_fp_denorm_src 0
		.amdhsa_exception_fp_ieee_div_zero 0
		.amdhsa_exception_fp_ieee_overflow 0
		.amdhsa_exception_fp_ieee_underflow 0
		.amdhsa_exception_fp_ieee_inexact 0
		.amdhsa_exception_int_div_zero 0
	.end_amdhsa_kernel
	.section	.text._ZL8moe_q4_0IN3c104HalfELb1EEvPKvS3_PT_PKiS7_S7_iiiiiii,"axG",@progbits,_ZL8moe_q4_0IN3c104HalfELb1EEvPKvS3_PT_PKiS7_S7_iiiiiii,comdat
.Lfunc_end198:
	.size	_ZL8moe_q4_0IN3c104HalfELb1EEvPKvS3_PT_PKiS7_S7_iiiiiii, .Lfunc_end198-_ZL8moe_q4_0IN3c104HalfELb1EEvPKvS3_PT_PKiS7_S7_iiiiiii
                                        ; -- End function
	.section	.AMDGPU.csdata,"",@progbits
; Kernel info:
; codeLenInByte = 7880
; NumSgprs: 22
; NumVgprs: 242
; ScratchSize: 0
; MemoryBound: 0
; FloatMode: 240
; IeeeMode: 1
; LDSByteSize: 22272 bytes/workgroup (compile time only)
; SGPRBlocks: 2
; VGPRBlocks: 30
; NumSGPRsForWavesPerEU: 22
; NumVGPRsForWavesPerEU: 242
; Occupancy: 5
; WaveLimiterHint : 1
; COMPUTE_PGM_RSRC2:SCRATCH_EN: 0
; COMPUTE_PGM_RSRC2:USER_SGPR: 14
; COMPUTE_PGM_RSRC2:TRAP_HANDLER: 0
; COMPUTE_PGM_RSRC2:TGID_X_EN: 1
; COMPUTE_PGM_RSRC2:TGID_Y_EN: 1
; COMPUTE_PGM_RSRC2:TGID_Z_EN: 0
; COMPUTE_PGM_RSRC2:TIDIG_COMP_CNT: 1
	.section	.text._ZL8moe_q4_1IN3c104HalfELb0EEvPKvS3_PT_PKiS7_S7_iiiiiii,"axG",@progbits,_ZL8moe_q4_1IN3c104HalfELb0EEvPKvS3_PT_PKiS7_S7_iiiiiii,comdat
	.globl	_ZL8moe_q4_1IN3c104HalfELb0EEvPKvS3_PT_PKiS7_S7_iiiiiii ; -- Begin function _ZL8moe_q4_1IN3c104HalfELb0EEvPKvS3_PT_PKiS7_S7_iiiiiii
	.p2align	8
	.type	_ZL8moe_q4_1IN3c104HalfELb0EEvPKvS3_PT_PKiS7_S7_iiiiiii,@function
_ZL8moe_q4_1IN3c104HalfELb0EEvPKvS3_PT_PKiS7_S7_iiiiiii: ; @_ZL8moe_q4_1IN3c104HalfELb0EEvPKvS3_PT_PKiS7_S7_iiiiiii
; %bb.0:
	s_load_b128 s[4:7], s[0:1], 0x18
	s_mov_b32 s2, s15
	s_mov_b32 s3, 0
	s_delay_alu instid0(SALU_CYCLE_1)
	s_lshl_b64 s[8:9], s[2:3], 2
	s_waitcnt lgkmcnt(0)
	s_add_u32 s6, s6, s8
	s_addc_u32 s7, s7, s9
	s_load_b32 s12, s[6:7], 0x0
	s_waitcnt lgkmcnt(0)
	s_cmpk_gt_u32 s12, 0xff
	s_cbranch_scc1 .LBB199_32
; %bb.1:
	s_load_b64 s[6:7], s[0:1], 0x28
	s_lshl_b32 s2, s2, 3
	s_waitcnt lgkmcnt(0)
	s_load_b32 s3, s[6:7], 0x0
	s_waitcnt lgkmcnt(0)
	s_cmp_gt_u32 s2, s3
	s_cbranch_scc1 .LBB199_32
; %bb.2:
	v_bfe_u32 v3, v0, 10, 10
	v_mov_b32_e32 v2, 0
	s_lshl_b32 s14, s14, 7
	s_delay_alu instid0(VALU_DEP_2) | instskip(NEXT) | instid1(VALU_DEP_2)
	v_add_nc_u32_e32 v1, s2, v3
	v_dual_mov_b32 v0, v2 :: v_dual_and_b32 v15, 0x3ff, v0
	s_delay_alu instid0(VALU_DEP_2) | instskip(NEXT) | instid1(VALU_DEP_1)
	v_lshlrev_b64 v[4:5], 2, v[1:2]
	v_add_co_u32 v4, vcc_lo, s4, v4
	s_delay_alu instid0(VALU_DEP_2)
	v_add_co_ci_u32_e32 v5, vcc_lo, s5, v5, vcc_lo
	global_load_b32 v14, v[4:5], off
	s_clause 0x2
	s_load_b64 s[10:11], s[0:1], 0x30
	s_load_b64 s[8:9], s[0:1], 0x10
	s_load_b128 s[4:7], s[0:1], 0x3c
	v_mov_b32_e32 v4, v2
	v_mov_b32_e32 v5, v2
	s_waitcnt lgkmcnt(0)
	s_cmp_lt_i32 s11, 32
	s_cbranch_scc1 .LBB199_23
; %bb.3:
	s_load_b128 s[0:3], s[0:1], 0x0
	s_ashr_i32 s13, s11, 31
	s_ashr_i32 s15, s5, 31
	s_mul_i32 s12, s12, s10
	s_lshr_b32 s10, s13, 27
	s_lshr_b32 s13, s15, 27
	s_add_i32 s17, s11, s10
	s_add_i32 s10, s5, s13
	s_ashr_i32 s5, s17, 5
	s_ashr_i32 s15, s12, 31
	s_mul_i32 s13, s5, s14
	s_ashr_i32 s10, s10, 5
	s_mul_hi_i32 s16, s13, 20
	s_mul_i32 s13, s13, 20
	s_waitcnt vmcnt(0)
	v_sub_nc_u32_e32 v5, 0, v14
	v_lshrrev_b32_e32 v21, 3, v15
	v_mul_lo_u32 v19, s5, v3
	v_dual_mov_b32 v17, 0 :: v_dual_lshlrev_b32 v0, 2, v15
	s_delay_alu instid0(VALU_DEP_4)
	v_max_i32_e32 v5, v14, v5
	s_waitcnt lgkmcnt(0)
	s_add_u32 s0, s0, s12
	s_addc_u32 s1, s1, s15
	s_add_u32 s15, s0, s13
	s_addc_u32 s16, s1, s16
	s_abs_i32 s1, s7
	s_lshl_b32 s0, s5, 3
	v_cvt_f32_u32_e32 v2, s1
	s_sub_i32 s12, 0, s1
	v_dual_mov_b32 v77, 0 :: v_dual_add_nc_u32 v20, s0, v19
	v_dual_mov_b32 v79, 0 :: v_dual_and_b32 v4, 31, v15
	s_delay_alu instid0(VALU_DEP_3) | instskip(SKIP_1) | instid1(VALU_DEP_3)
	v_rcp_iflag_f32_e32 v2, v2
	v_lshlrev_b32_e32 v1, 2, v3
	v_add_nc_u32_e32 v22, s0, v20
	v_lshlrev_b32_e32 v67, 7, v3
	v_mad_u32_u24 v24, 0x84, v3, v0
	s_and_not1_b32 s17, s17, 31
	v_and_b32_e32 v62, 0xfc, v15
	v_lshrrev_b32_e32 v16, 2, v15
	v_lshl_or_b32 v4, v4, 2, v67
	v_add_nc_u32_e32 v26, 0x420, v24
	v_mul_f32_e32 v2, 0x4f7ffffe, v2
	v_add_nc_u32_e32 v6, v21, v1
	v_or_b32_e32 v1, v1, v15
	v_add_nc_u32_e32 v57, 0x5280, v4
	v_add_nc_u32_e32 v4, 0x60, v15
	v_cvt_u32_f32_e32 v2, v2
	v_mul_lo_u32 v46, s5, v6
	v_and_b32_e32 v9, 0x1ffc, v6
	v_lshlrev_b32_e32 v10, 5, v6
	v_add_nc_u32_e32 v11, 32, v6
	v_mul_lo_u32 v8, s12, v2
	v_lshl_add_u32 v58, v1, 2, 0x5680
	v_add_nc_u32_e32 v1, 32, v15
	v_and_b32_e32 v4, 0x1fc, v4
	v_add_nc_u32_e32 v51, s17, v46
	v_add_nc_u32_e32 v28, 0x840, v24
	;; [unrolled: 1-line block ×3, first 2 shown]
	v_lshrrev_b32_e32 v60, 3, v1
	v_mul_hi_u32 v8, v2, v8
	v_and_b32_e32 v1, 0x1fc, v1
	v_add_nc_u32_e32 v53, s17, v51
	v_add_nc_u32_e32 v30, 0x1080, v24
	;; [unrolled: 1-line block ×11, first 2 shown]
	v_mul_hi_u32 v2, v5, v2
	v_and_b32_e32 v13, 0x3ffc, v8
	v_lshlrev_b32_e32 v76, 5, v8
	v_and_b32_e32 v8, 0x3ffc, v6
	v_lshlrev_b32_e32 v6, 5, v6
	v_add_nc_u32_e32 v40, 0x2d60, v24
	v_add_nc_u32_e32 v41, 0x3180, v24
	;; [unrolled: 1-line block ×3, first 2 shown]
	v_mul_lo_u32 v55, v2, s1
	v_add_nc_u32_e32 v44, 0x39c0, v24
	v_add_nc_u32_e32 v45, 0x3de0, v24
	;; [unrolled: 1-line block ×3, first 2 shown]
	v_lshl_add_u32 v68, v3, 4, 0x5680
	v_mad_u32_u24 v73, 0x84, v15, 64
	s_add_u32 s12, s2, 0x90
	s_addc_u32 s13, s3, 0
	v_sub_nc_u32_e32 v5, v5, v55
	v_add_nc_u32_e32 v55, s17, v53
	s_mov_b32 s17, 0
	v_mov_b32_e32 v78, 0
	s_delay_alu instid0(VALU_DEP_3) | instskip(SKIP_1) | instid1(VALU_DEP_1)
	v_cmp_le_u32_e32 vcc_lo, s1, v5
	v_and_b32_e32 v18, 7, v15
	v_lshlrev_b32_e32 v7, 2, v18
	s_delay_alu instid0(VALU_DEP_1) | instskip(SKIP_3) | instid1(VALU_DEP_4)
	v_add3_u32 v12, v9, v7, 0x4200
	v_and_b32_e32 v9, 0x3ffc, v11
	v_add3_u32 v13, v13, v7, 0x4200
	v_lshlrev_b32_e32 v11, 5, v11
	v_add_nc_u32_e32 v74, v12, v10
	s_delay_alu instid0(VALU_DEP_4)
	v_add3_u32 v75, v9, v7, 0x4200
	v_add3_u32 v7, v8, v7, 0x4200
	v_add_nc_u32_e32 v8, 1, v2
	v_add_nc_u32_e32 v25, s0, v22
	v_subrev_nc_u32_e32 v9, s1, v5
	v_add_nc_u32_e32 v75, v75, v11
	v_add_nc_u32_e32 v76, v13, v76
	s_delay_alu instid0(VALU_DEP_4) | instskip(NEXT) | instid1(VALU_DEP_4)
	v_dual_cndmask_b32 v2, v2, v8 :: v_dual_add_nc_u32 v27, s0, v25
	v_cndmask_b32_e32 v5, v5, v9, vcc_lo
	v_xor_b32_e32 v8, s7, v14
	v_add_nc_u32_e32 v80, v7, v6
	s_delay_alu instid0(VALU_DEP_4)
	v_add_nc_u32_e32 v9, 1, v2
	v_add_nc_u32_e32 v31, s0, v27
	v_cmp_le_u32_e32 vcc_lo, s1, v5
	v_and_b32_e32 v23, 12, v0
	v_and_b32_e32 v0, 28, v0
	v_ashrrev_i32_e32 v59, 31, v8
	v_dual_cndmask_b32 v2, v2, v9 :: v_dual_add_nc_u32 v35, s0, v31
	v_lshlrev_b32_e32 v5, 5, v15
	v_cmp_gt_u32_e32 vcc_lo, 4, v15
	s_delay_alu instid0(VALU_DEP_3) | instskip(NEXT) | instid1(VALU_DEP_3)
	v_add_nc_u32_e32 v38, s0, v35
	v_add_nc_u32_e32 v1, v5, v1
	s_delay_alu instid0(VALU_DEP_2) | instskip(NEXT) | instid1(VALU_DEP_2)
	v_add_nc_u32_e32 v43, s0, v38
	v_add_nc_u32_e32 v65, 0x4600, v1
	v_add_nc_u32_e32 v71, 0x4610, v1
	s_delay_alu instid0(VALU_DEP_3) | instskip(NEXT) | instid1(VALU_DEP_1)
	v_add_nc_u32_e32 v47, s0, v43
	v_add_nc_u32_e32 v48, s0, v47
	s_delay_alu instid0(VALU_DEP_1) | instskip(NEXT) | instid1(VALU_DEP_1)
	v_add_nc_u32_e32 v49, s0, v48
	v_add_nc_u32_e32 v50, s0, v49
	s_delay_alu instid0(VALU_DEP_1) | instskip(NEXT) | instid1(VALU_DEP_1)
	v_add_nc_u32_e32 v52, s0, v50
	v_add_nc_u32_e32 v54, s0, v52
	s_delay_alu instid0(VALU_DEP_1) | instskip(SKIP_4) | instid1(VALU_DEP_3)
	v_add_nc_u32_e32 v56, s0, v54
	v_add_co_u32 v8, s0, s2, v0
	v_xor_b32_e32 v0, v2, v59
	v_add_nc_u32_e32 v2, 64, v15
	v_add_co_ci_u32_e64 v9, null, s3, 0, s0
	v_sub_nc_u32_e32 v0, v0, v59
	s_delay_alu instid0(VALU_DEP_3) | instskip(SKIP_1) | instid1(VALU_DEP_3)
	v_and_b32_e32 v2, 0x1fc, v2
	v_mul_u32_u24_e32 v59, 0x84, v15
	v_mul_lo_u32 v61, v0, s10
	v_cmp_gt_i32_e64 s0, s4, v0
	v_add_nc_u32_e32 v0, v5, v4
	v_add_nc_u32_e32 v2, v5, v2
	;; [unrolled: 1-line block ×3, first 2 shown]
	s_delay_alu instid0(VALU_DEP_3) | instskip(SKIP_1) | instid1(VALU_DEP_4)
	v_add_nc_u32_e32 v63, 0x4e00, v0
	v_ashrrev_i32_e32 v62, 31, v61
	v_add_nc_u32_e32 v64, 0x4a00, v2
	s_delay_alu instid0(VALU_DEP_4)
	v_add_nc_u32_e32 v66, 0x4200, v4
	v_add_nc_u32_e32 v69, 0x4e10, v0
	;; [unrolled: 1-line block ×4, first 2 shown]
	s_branch .LBB199_5
.LBB199_4:                              ;   in Loop: Header=BB199_5 Depth=1
	s_add_i32 s17, s17, 8
	s_delay_alu instid0(SALU_CYCLE_1)
	s_cmp_ge_i32 s17, s5
	s_cbranch_scc1 .LBB199_22
.LBB199_5:                              ; =>This Loop Header: Depth=1
                                        ;     Child Loop BB199_12 Depth 2
                                        ;     Child Loop BB199_20 Depth 2
	s_mul_i32 s1, s17, 20
	s_mul_hi_u32 s19, s17, 20
	s_add_u32 s18, s15, s1
	s_addc_u32 s19, s16, s19
	s_delay_alu instid0(SALU_CYCLE_1) | instskip(NEXT) | instid1(VALU_DEP_1)
	v_mad_u64_u32 v[0:1], null, v16, 20, s[18:19]
	v_add_co_u32 v0, s1, v0, v23
	s_delay_alu instid0(VALU_DEP_1) | instskip(NEXT) | instid1(VALU_DEP_2)
	v_add_co_ci_u32_e64 v1, s1, 0, v1, s1
	v_add_co_u32 v0, s1, v0, 4
	s_delay_alu instid0(VALU_DEP_1) | instskip(NEXT) | instid1(VALU_DEP_1)
	v_add_co_ci_u32_e64 v1, s1, 0, v1, s1
	v_mad_u64_u32 v[2:3], null, v19, 20, v[0:1]
	v_mad_u64_u32 v[4:5], null, v20, 20, v[0:1]
	;; [unrolled: 1-line block ×8, first 2 shown]
	s_clause 0x7
	global_load_b32 v95, v[2:3], off
	global_load_b32 v96, v[4:5], off
	;; [unrolled: 1-line block ×8, first 2 shown]
	v_mad_u64_u32 v[81:82], null, v18, 20, s[18:19]
	v_mad_u64_u32 v[2:3], null, v43, 20, v[0:1]
	;; [unrolled: 1-line block ×13, first 2 shown]
	s_clause 0xb
	global_load_b32 v2, v[2:3], off
	global_load_b32 v3, v[4:5], off
	;; [unrolled: 1-line block ×12, first 2 shown]
	s_lshl_b32 s18, s17, 5
	s_waitcnt vmcnt(19)
	ds_store_b32 v24, v95
	s_waitcnt vmcnt(18)
	ds_store_b32 v26, v96
	;; [unrolled: 2-line block ×20, first 2 shown]
	s_cmp_lt_i32 s18, s11
	s_cbranch_scc0 .LBB199_4
; %bb.6:                                ;   in Loop: Header=BB199_5 Depth=1
	v_add_nc_u32_e32 v0, s17, v21
	s_delay_alu instid0(VALU_DEP_1) | instskip(NEXT) | instid1(VALU_DEP_1)
	v_cmp_gt_i32_e64 s1, s10, v0
	s_and_b32 s19, s0, s1
	s_delay_alu instid0(SALU_CYCLE_1)
	s_and_saveexec_b32 s1, s19
	s_cbranch_execz .LBB199_8
; %bb.7:                                ;   in Loop: Header=BB199_5 Depth=1
	v_add_nc_u32_e32 v2, v61, v0
	s_delay_alu instid0(VALU_DEP_1)
	v_mad_i64_i32 v[0:1], null, v2, 36, v[8:9]
	global_load_b32 v0, v[0:1], off offset:4
	s_waitcnt vmcnt(0)
	ds_store_b32 v57, v0
.LBB199_8:                              ;   in Loop: Header=BB199_5 Depth=1
	s_or_b32 exec_lo, exec_lo, s1
	s_and_saveexec_b32 s19, vcc_lo
	s_cbranch_execz .LBB199_11
; %bb.9:                                ;   in Loop: Header=BB199_5 Depth=1
	v_or_b32_e32 v0, s17, v15
	s_delay_alu instid0(VALU_DEP_1) | instskip(NEXT) | instid1(VALU_DEP_1)
	v_cmp_gt_i32_e64 s1, s10, v0
	s_and_b32 s1, s0, s1
	s_delay_alu instid0(SALU_CYCLE_1)
	s_and_b32 exec_lo, exec_lo, s1
	s_cbranch_execz .LBB199_11
; %bb.10:                               ;   in Loop: Header=BB199_5 Depth=1
	v_add_nc_u32_e32 v2, v61, v0
	s_delay_alu instid0(VALU_DEP_1)
	v_mad_i64_i32 v[0:1], null, v2, 36, s[2:3]
	global_load_b32 v0, v[0:1], off
	s_waitcnt vmcnt(0)
	ds_store_b32 v58, v0
.LBB199_11:                             ;   in Loop: Header=BB199_5 Depth=1
	s_or_b32 exec_lo, exec_lo, s19
	v_dual_mov_b32 v81, v68 :: v_dual_mov_b32 v82, v67
	v_dual_mov_b32 v83, v59 :: v_dual_mov_b32 v84, v66
	v_dual_mov_b32 v85, v65 :: v_dual_mov_b32 v86, v64
	v_mov_b32_e32 v87, v63
	s_mov_b32 s1, -4
	s_waitcnt lgkmcnt(0)
	s_barrier
	buffer_gl0_inv
.LBB199_12:                             ;   Parent Loop BB199_5 Depth=1
                                        ; =>  This Inner Loop Header: Depth=2
	ds_load_b128 v[4:7], v82
	ds_load_b128 v[0:3], v82 offset:16
	ds_load_2addr_b32 v[10:11], v83 offset1:1
	ds_load_2addr_b32 v[12:13], v83 offset0:2 offset1:3
	v_add_nc_u32_e32 v88, 0x1080, v83
	v_add_nc_u32_e32 v90, 0x1088, v83
	;; [unrolled: 1-line block ×6, first 2 shown]
	ds_load_b32 v100, v85
	ds_load_b32 v101, v84
	;; [unrolled: 1-line block ×4, first 2 shown]
	ds_load_2addr_b32 v[88:89], v88 offset1:1
	ds_load_2addr_b32 v[90:91], v90 offset1:1
	;; [unrolled: 1-line block ×6, first 2 shown]
	ds_load_b32 v104, v81
	v_add_nc_u32_e32 v85, 4, v85
	v_add_nc_u32_e32 v84, 4, v84
	;; [unrolled: 1-line block ×5, first 2 shown]
	s_add_i32 s1, s1, 4
	s_delay_alu instid0(SALU_CYCLE_1)
	s_cmp_lt_u32 s1, 12
	s_waitcnt lgkmcnt(14)
	v_bfe_i32 v105, v4, 0, 8
	s_waitcnt lgkmcnt(13)
	v_bfe_i32 v108, v0, 0, 8
	s_waitcnt lgkmcnt(12)
	v_and_b32_e32 v130, 15, v10
	v_bfe_u32 v134, v10, 4, 4
	v_bfe_i32 v111, v5, 0, 8
	s_waitcnt lgkmcnt(6)
	v_and_b32_e32 v158, 15, v88
	v_bfe_i32 v114, v1, 0, 8
	v_mul_i32_i24_e32 v130, v130, v105
	s_waitcnt lgkmcnt(4)
	v_and_b32_e32 v186, 15, v92
	s_waitcnt lgkmcnt(2)
	v_and_b32_e32 v213, 15, v96
	v_and_b32_e32 v137, 15, v11
	v_bfe_u32 v141, v11, 4, 4
	v_bfe_u32 v162, v88, 4, 4
	v_and_b32_e32 v165, 15, v89
	v_bfe_u32 v169, v89, 4, 4
	v_bfe_u32 v190, v92, 4, 4
	;; [unrolled: 3-line block ×3, first 2 shown]
	v_and_b32_e32 v219, 15, v97
	v_bfe_u32 v220, v97, 4, 4
	v_mad_i32_i24 v130, v134, v108, v130
	v_mul_i32_i24_e32 v134, v158, v105
	v_mul_i32_i24_e32 v158, v186, v105
	;; [unrolled: 1-line block ×3, first 2 shown]
	v_bfe_i32 v106, v4, 8, 8
	v_bfe_i32 v115, v1, 8, 8
	;; [unrolled: 1-line block ×3, first 2 shown]
	v_ashrrev_i32_e32 v1, 24, v1
	v_bfe_i32 v117, v6, 0, 8
	v_bfe_u32 v131, v10, 8, 4
	v_bfe_u32 v136, v11, 20, 4
	v_bfe_u32 v138, v11, 8, 4
	v_bfe_u32 v139, v11, 16, 4
	v_bfe_u32 v140, v11, 24, 4
	v_bfe_u32 v142, v11, 12, 4
	v_lshrrev_b32_e32 v11, 28, v11
	v_and_b32_e32 v144, 15, v12
	v_mul_i32_i24_e32 v137, v137, v111
	v_mul_i32_i24_e32 v141, v141, v114
	v_bfe_u32 v159, v88, 8, 4
	v_bfe_u32 v164, v89, 20, 4
	;; [unrolled: 1-line block ×6, first 2 shown]
	v_lshrrev_b32_e32 v89, 28, v89
	v_and_b32_e32 v172, 15, v90
	v_bfe_u32 v187, v92, 8, 4
	v_bfe_u32 v192, v93, 20, 4
	;; [unrolled: 1-line block ×6, first 2 shown]
	v_lshrrev_b32_e32 v93, 28, v93
	v_and_b32_e32 v200, 15, v94
	v_bfe_u32 v216, v96, 8, 4
	v_bfe_u32 v222, v97, 20, 4
	;; [unrolled: 1-line block ×6, first 2 shown]
	v_lshrrev_b32_e32 v97, 28, v97
	s_waitcnt lgkmcnt(1)
	v_and_b32_e32 v228, 15, v98
	v_mul_i32_i24_e32 v165, v165, v111
	v_mul_i32_i24_e32 v169, v169, v114
	v_mul_i32_i24_e32 v186, v193, v111
	v_mul_i32_i24_e32 v193, v197, v114
	v_mul_i32_i24_e32 v111, v219, v111
	v_mul_i32_i24_e32 v114, v220, v114
	v_mad_i32_i24 v134, v162, v108, v134
	v_mad_i32_i24 v158, v190, v108, v158
	;; [unrolled: 1-line block ×3, first 2 shown]
	v_bfe_i32 v107, v4, 16, 8
	v_ashrrev_i32_e32 v4, 24, v4
	v_bfe_u32 v132, v10, 16, 4
	v_bfe_u32 v133, v10, 24, 4
	;; [unrolled: 1-line block ×6, first 2 shown]
	v_mul_i32_i24_e32 v131, v131, v106
	v_mul_i32_i24_e32 v144, v144, v117
	v_bfe_u32 v217, v96, 16, 4
	v_bfe_u32 v218, v96, 24, 4
	v_mul_i32_i24_e32 v11, v11, v1
	v_mul_i32_i24_e32 v159, v159, v106
	;; [unrolled: 1-line block ×10, first 2 shown]
	v_add3_u32 v130, v130, v137, v141
	v_add3_u32 v134, v134, v165, v169
	v_add3_u32 v137, v158, v186, v193
	v_add3_u32 v105, v105, v111, v114
	v_bfe_i32 v118, v6, 8, 8
	v_bfe_i32 v119, v6, 16, 8
	v_ashrrev_i32_e32 v6, 24, v6
	v_bfe_i32 v120, v2, 0, 8
	v_bfe_i32 v123, v7, 0, 8
	v_bfe_u32 v148, v12, 4, 4
	v_and_b32_e32 v151, 15, v13
	v_bfe_u32 v176, v90, 4, 4
	v_and_b32_e32 v179, 15, v91
	v_bfe_u32 v201, v94, 8, 4
	v_bfe_u32 v203, v94, 24, 4
	;; [unrolled: 1-line block ×3, first 2 shown]
	v_and_b32_e32 v207, 15, v95
	v_bfe_u32 v232, v98, 4, 4
	v_and_b32_e32 v235, 15, v99
	v_mul_i32_i24_e32 v132, v132, v107
	v_mul_i32_i24_e32 v133, v133, v4
	;; [unrolled: 1-line block ×8, first 2 shown]
	v_add3_u32 v111, v130, v144, v131
	v_add3_u32 v114, v134, v172, v159
	;; [unrolled: 1-line block ×4, first 2 shown]
	v_bfe_i32 v109, v0, 8, 8
	v_bfe_i32 v110, v0, 16, 8
	v_bfe_u32 v129, v10, 20, 4
	v_bfe_u32 v135, v10, 12, 4
	;; [unrolled: 1-line block ×8, first 2 shown]
	v_mul_i32_i24_e32 v148, v148, v120
	v_mul_i32_i24_e32 v151, v151, v123
	;; [unrolled: 1-line block ×10, first 2 shown]
	v_add3_u32 v111, v111, v132, v133
	v_add3_u32 v114, v114, v160, v161
	;; [unrolled: 1-line block ×4, first 2 shown]
	v_ashrrev_i32_e32 v0, 24, v0
	v_bfe_i32 v112, v5, 8, 8
	v_lshrrev_b32_e32 v10, 28, v10
	v_lshrrev_b32_e32 v88, 28, v88
	;; [unrolled: 1-line block ×4, first 2 shown]
	v_mul_i32_i24_e32 v135, v135, v109
	v_mul_i32_i24_e32 v129, v129, v110
	v_mul_i32_i24_e32 v163, v163, v109
	v_mul_i32_i24_e32 v191, v191, v109
	v_mul_i32_i24_e32 v109, v221, v109
	v_mul_i32_i24_e32 v157, v157, v110
	v_mul_i32_i24_e32 v185, v185, v110
	v_mul_i32_i24_e32 v110, v215, v110
	v_add3_u32 v105, v111, v148, v151
	v_add3_u32 v107, v114, v176, v179
	;; [unrolled: 1-line block ×4, first 2 shown]
	v_bfe_i32 v113, v5, 16, 8
	v_ashrrev_i32_e32 v5, 24, v5
	v_mul_i32_i24_e32 v10, v10, v0
	v_mul_i32_i24_e32 v138, v138, v112
	;; [unrolled: 1-line block ×8, first 2 shown]
	v_add3_u32 v105, v105, v135, v129
	v_add3_u32 v107, v107, v163, v157
	;; [unrolled: 1-line block ×4, first 2 shown]
	v_bfe_i32 v124, v7, 8, 8
	v_bfe_i32 v126, v3, 0, 8
	v_bfe_u32 v155, v13, 4, 4
	v_bfe_u32 v183, v91, 4, 4
	;; [unrolled: 1-line block ×5, first 2 shown]
	v_mul_i32_i24_e32 v139, v139, v113
	v_mul_i32_i24_e32 v140, v140, v5
	;; [unrolled: 1-line block ×8, first 2 shown]
	v_add3_u32 v10, v105, v10, v138
	v_add3_u32 v88, v107, v88, v96
	;; [unrolled: 1-line block ×4, first 2 shown]
	v_mul_i32_i24_e32 v142, v142, v115
	v_mul_i32_i24_e32 v155, v155, v126
	;; [unrolled: 1-line block ×9, first 2 shown]
	v_add3_u32 v10, v10, v139, v140
	v_add3_u32 v88, v88, v167, v168
	;; [unrolled: 1-line block ×4, first 2 shown]
	v_bfe_u32 v145, v12, 8, 4
	v_bfe_u32 v146, v12, 16, 4
	;; [unrolled: 1-line block ×7, first 2 shown]
	v_mul_i32_i24_e32 v136, v136, v116
	v_mul_i32_i24_e32 v164, v164, v116
	;; [unrolled: 1-line block ×4, first 2 shown]
	v_add3_u32 v5, v10, v155, v142
	v_add3_u32 v10, v88, v183, v170
	;; [unrolled: 1-line block ×4, first 2 shown]
	v_bfe_i32 v121, v2, 8, 8
	v_bfe_u32 v147, v12, 24, 4
	v_bfe_u32 v149, v12, 12, 4
	;; [unrolled: 1-line block ×7, first 2 shown]
	v_mul_i32_i24_e32 v145, v145, v118
	v_mul_i32_i24_e32 v146, v146, v119
	v_mul_i32_i24_e32 v173, v173, v118
	v_mul_i32_i24_e32 v118, v229, v118
	v_mul_i32_i24_e32 v174, v174, v119
	v_mul_i32_i24_e32 v198, v202, v119
	v_mul_i32_i24_e32 v119, v230, v119
	v_add3_u32 v5, v5, v136, v11
	v_add3_u32 v10, v10, v164, v89
	;; [unrolled: 1-line block ×4, first 2 shown]
	v_bfe_i32 v122, v2, 16, 8
	v_ashrrev_i32_e32 v2, 24, v2
	v_bfe_u32 v143, v12, 20, 4
	v_lshrrev_b32_e32 v12, 28, v12
	v_bfe_u32 v171, v90, 20, 4
	v_lshrrev_b32_e32 v90, 28, v90
	;; [unrolled: 2-line block ×4, first 2 shown]
	v_mul_i32_i24_e32 v147, v147, v6
	v_mul_i32_i24_e32 v149, v149, v121
	;; [unrolled: 1-line block ×7, first 2 shown]
	v_add3_u32 v5, v5, v145, v146
	v_add3_u32 v10, v10, v173, v174
	;; [unrolled: 1-line block ×4, first 2 shown]
	v_bfe_i32 v125, v7, 16, 8
	v_bfe_u32 v152, v13, 8, 4
	v_bfe_u32 v153, v13, 16, 4
	;; [unrolled: 1-line block ×7, first 2 shown]
	v_mul_i32_i24_e32 v143, v143, v122
	v_mul_i32_i24_e32 v12, v12, v2
	;; [unrolled: 1-line block ×8, first 2 shown]
	v_add3_u32 v5, v5, v147, v149
	v_add3_u32 v10, v10, v175, v177
	;; [unrolled: 1-line block ×4, first 2 shown]
	v_ashrrev_i32_e32 v7, 24, v7
	v_bfe_i32 v127, v3, 8, 8
	v_bfe_u32 v154, v13, 24, 4
	v_bfe_u32 v156, v13, 12, 4
	;; [unrolled: 1-line block ×8, first 2 shown]
	v_mul_i32_i24_e32 v152, v152, v124
	v_mul_i32_i24_e32 v153, v153, v125
	;; [unrolled: 1-line block ×7, first 2 shown]
	v_add3_u32 v5, v5, v143, v12
	v_add3_u32 v10, v10, v171, v90
	;; [unrolled: 1-line block ×4, first 2 shown]
	v_bfe_i32 v128, v3, 16, 8
	v_ashrrev_i32_e32 v3, 24, v3
	v_bfe_u32 v150, v13, 20, 4
	v_lshrrev_b32_e32 v13, 28, v13
	v_bfe_u32 v178, v91, 20, 4
	v_lshrrev_b32_e32 v91, 28, v91
	;; [unrolled: 2-line block ×4, first 2 shown]
	v_mul_i32_i24_e32 v154, v154, v7
	v_mul_i32_i24_e32 v156, v156, v127
	;; [unrolled: 1-line block ×8, first 2 shown]
	v_add3_u32 v5, v5, v152, v153
	v_add3_u32 v10, v10, v180, v181
	;; [unrolled: 1-line block ×4, first 2 shown]
	v_mul_i32_i24_e32 v150, v150, v128
	v_mul_i32_i24_e32 v13, v13, v3
	;; [unrolled: 1-line block ×8, first 2 shown]
	v_add3_u32 v3, v5, v154, v156
	v_add3_u32 v4, v10, v182, v184
	;; [unrolled: 1-line block ×4, first 2 shown]
	s_waitcnt lgkmcnt(0)
	v_pk_mul_f16 v101, v104, v101
	v_add3_u32 v3, v3, v150, v13
	v_add3_u32 v4, v4, v178, v91
	;; [unrolled: 1-line block ×4, first 2 shown]
	v_pk_mul_f16 v100, v104, v100
	v_pk_mul_f16 v6, v104, v102
	;; [unrolled: 1-line block ×3, first 2 shown]
	v_cvt_f32_i32_e32 v2, v3
	v_cvt_f32_i32_e32 v3, v4
	;; [unrolled: 1-line block ×4, first 2 shown]
	s_delay_alu instid0(VALU_DEP_4) | instskip(NEXT) | instid1(VALU_DEP_4)
	v_fma_mix_f32 v2, v101, v2, v101 op_sel:[0,0,1] op_sel_hi:[1,0,1]
	v_fma_mix_f32 v3, v100, v3, v100 op_sel:[0,0,1] op_sel_hi:[1,0,1]
	s_delay_alu instid0(VALU_DEP_4) | instskip(NEXT) | instid1(VALU_DEP_4)
	v_fma_mix_f32 v4, v6, v4, v6 op_sel:[0,0,1] op_sel_hi:[1,0,1]
	v_fma_mix_f32 v0, v1, v0, v1 op_sel:[0,0,1] op_sel_hi:[1,0,1]
	v_add_nc_u32_e32 v87, 4, v87
	s_delay_alu instid0(VALU_DEP_4) | instskip(NEXT) | instid1(VALU_DEP_4)
	v_dual_add_f32 v77, v77, v3 :: v_dual_add_nc_u32 v86, 4, v86
	v_dual_add_f32 v17, v17, v2 :: v_dual_add_f32 v78, v78, v4
	s_delay_alu instid0(VALU_DEP_4)
	v_add_f32_e32 v79, v79, v0
	s_cbranch_scc1 .LBB199_12
; %bb.13:                               ;   in Loop: Header=BB199_5 Depth=1
	s_bitset1_b32 s18, 7
	s_delay_alu instid0(SALU_CYCLE_1)
	s_cmp_ge_i32 s18, s11
	s_barrier
	buffer_gl0_inv
	s_cbranch_scc1 .LBB199_4
; %bb.14:                               ;   in Loop: Header=BB199_5 Depth=1
	v_add_nc_u32_e32 v0, s17, v60
	s_delay_alu instid0(VALU_DEP_1) | instskip(NEXT) | instid1(VALU_DEP_1)
	v_cmp_gt_i32_e64 s1, s10, v0
	s_and_b32 s18, s0, s1
	s_delay_alu instid0(SALU_CYCLE_1)
	s_and_saveexec_b32 s1, s18
	s_cbranch_execz .LBB199_16
; %bb.15:                               ;   in Loop: Header=BB199_5 Depth=1
	v_add_nc_u32_e32 v2, v61, v0
	s_delay_alu instid0(VALU_DEP_1)
	v_mad_i64_i32 v[0:1], null, v2, 36, v[8:9]
	global_load_b32 v0, v[0:1], off offset:4
	s_waitcnt vmcnt(0)
	ds_store_b32 v57, v0
.LBB199_16:                             ;   in Loop: Header=BB199_5 Depth=1
	s_or_b32 exec_lo, exec_lo, s1
	s_and_saveexec_b32 s18, vcc_lo
	s_cbranch_execz .LBB199_19
; %bb.17:                               ;   in Loop: Header=BB199_5 Depth=1
	v_or_b32_e32 v0, s17, v15
	s_delay_alu instid0(VALU_DEP_1) | instskip(NEXT) | instid1(VALU_DEP_1)
	v_or_b32_e32 v1, 4, v0
	v_cmp_gt_i32_e64 s1, s10, v1
	s_delay_alu instid0(VALU_DEP_1) | instskip(NEXT) | instid1(SALU_CYCLE_1)
	s_and_b32 s1, s0, s1
	s_and_b32 exec_lo, exec_lo, s1
	s_cbranch_execz .LBB199_19
; %bb.18:                               ;   in Loop: Header=BB199_5 Depth=1
	v_ashrrev_i32_e32 v1, 31, v0
	v_add_co_u32 v2, s1, v61, v0
	s_delay_alu instid0(VALU_DEP_1) | instskip(NEXT) | instid1(VALU_DEP_2)
	v_add_co_ci_u32_e64 v3, s1, v62, v1, s1
	v_mad_u64_u32 v[0:1], null, v2, 36, s[12:13]
	s_delay_alu instid0(VALU_DEP_1)
	v_mad_i32_i24 v1, v3, 36, v1
	global_load_b32 v0, v[0:1], off
	s_waitcnt vmcnt(0)
	ds_store_b32 v58, v0
.LBB199_19:                             ;   in Loop: Header=BB199_5 Depth=1
	s_or_b32 exec_lo, exec_lo, s18
	v_dual_mov_b32 v0, v68 :: v_dual_mov_b32 v1, v67
	v_dual_mov_b32 v2, v73 :: v_dual_mov_b32 v3, v72
	;; [unrolled: 1-line block ×3, first 2 shown]
	v_mov_b32_e32 v6, v69
	s_mov_b32 s1, 12
	s_waitcnt lgkmcnt(0)
	s_barrier
	buffer_gl0_inv
.LBB199_20:                             ;   Parent Loop BB199_5 Depth=1
                                        ; =>  This Inner Loop Header: Depth=2
	s_delay_alu instid0(VALU_DEP_2)
	v_add_nc_u32_e32 v89, 0x1080, v2
	v_add_nc_u32_e32 v91, 0x1088, v2
	ds_load_b128 v[10:13], v1
	ds_load_b128 v[81:84], v1 offset:16
	ds_load_b32 v7, v0
	ds_load_2addr_b32 v[85:86], v2 offset1:1
	ds_load_b32 v101, v4
	ds_load_b32 v102, v3
	ds_load_2addr_b32 v[87:88], v2 offset0:2 offset1:3
	v_add_nc_u32_e32 v93, 0x2100, v2
	v_add_nc_u32_e32 v95, 0x2108, v2
	;; [unrolled: 1-line block ×4, first 2 shown]
	ds_load_b32 v103, v5
	ds_load_b32 v104, v6
	ds_load_2addr_b32 v[89:90], v89 offset1:1
	ds_load_2addr_b32 v[91:92], v91 offset1:1
	;; [unrolled: 1-line block ×6, first 2 shown]
	v_add_nc_u32_e32 v5, 4, v5
	v_add_nc_u32_e32 v3, 4, v3
	;; [unrolled: 1-line block ×4, first 2 shown]
	s_add_i32 s1, s1, 4
	s_delay_alu instid0(SALU_CYCLE_1)
	s_cmp_lt_u32 s1, 28
	s_waitcnt lgkmcnt(14)
	v_bfe_i32 v105, v10, 0, 8
	v_bfe_i32 v106, v10, 8, 8
	v_bfe_i32 v107, v10, 16, 8
	s_waitcnt lgkmcnt(11)
	v_and_b32_e32 v130, 15, v85
	v_ashrrev_i32_e32 v10, 24, v10
	v_bfe_i32 v108, v81, 0, 8
	v_bfe_i32 v109, v81, 8, 8
	v_bfe_i32 v111, v11, 0, 8
	v_bfe_i32 v112, v11, 8, 8
	v_bfe_i32 v113, v11, 16, 8
	v_ashrrev_i32_e32 v11, 24, v11
	v_bfe_i32 v114, v82, 0, 8
	v_bfe_i32 v115, v82, 8, 8
	v_bfe_i32 v117, v12, 0, 8
	v_bfe_i32 v118, v12, 8, 8
	v_bfe_i32 v119, v12, 16, 8
	;; [unrolled: 6-line block ×3, first 2 shown]
	v_ashrrev_i32_e32 v13, 24, v13
	v_bfe_i32 v126, v84, 0, 8
	v_bfe_i32 v127, v84, 8, 8
	v_bfe_u32 v134, v85, 4, 4
	v_mul_i32_i24_e32 v130, v130, v105
	s_waitcnt lgkmcnt(5)
	v_and_b32_e32 v158, 15, v89
	v_bfe_u32 v159, v89, 8, 4
	v_bfe_u32 v160, v89, 16, 4
	;; [unrolled: 1-line block ×4, first 2 shown]
	v_and_b32_e32 v165, 15, v90
	v_bfe_u32 v166, v90, 8, 4
	v_bfe_u32 v167, v90, 16, 4
	;; [unrolled: 1-line block ×5, first 2 shown]
	s_waitcnt lgkmcnt(4)
	v_and_b32_e32 v172, 15, v91
	v_bfe_u32 v173, v91, 8, 4
	v_bfe_u32 v174, v91, 16, 4
	;; [unrolled: 1-line block ×5, first 2 shown]
	v_and_b32_e32 v179, 15, v92
	v_bfe_u32 v180, v92, 8, 4
	v_bfe_u32 v181, v92, 16, 4
	;; [unrolled: 1-line block ×5, first 2 shown]
	s_waitcnt lgkmcnt(3)
	v_and_b32_e32 v186, 15, v93
	s_waitcnt lgkmcnt(1)
	v_and_b32_e32 v214, 15, v97
	v_bfe_i32 v110, v81, 16, 8
	v_ashrrev_i32_e32 v81, 24, v81
	v_bfe_i32 v116, v82, 16, 8
	v_ashrrev_i32_e32 v82, 24, v82
	v_bfe_u32 v129, v85, 20, 4
	v_bfe_u32 v131, v85, 8, 4
	;; [unrolled: 1-line block ×5, first 2 shown]
	v_lshrrev_b32_e32 v85, 28, v85
	v_bfe_u32 v136, v86, 20, 4
	v_and_b32_e32 v137, 15, v86
	v_bfe_u32 v138, v86, 8, 4
	v_bfe_u32 v139, v86, 16, 4
	;; [unrolled: 1-line block ×5, first 2 shown]
	v_lshrrev_b32_e32 v86, 28, v86
	v_and_b32_e32 v144, 15, v87
	v_bfe_u32 v145, v87, 8, 4
	v_bfe_u32 v157, v89, 20, 4
	v_bfe_u32 v162, v89, 4, 4
	v_lshrrev_b32_e32 v89, 28, v89
	v_bfe_u32 v164, v90, 20, 4
	v_lshrrev_b32_e32 v90, 28, v90
	v_bfe_u32 v185, v93, 20, 4
	v_bfe_u32 v187, v93, 8, 4
	;; [unrolled: 1-line block ×6, first 2 shown]
	v_lshrrev_b32_e32 v93, 28, v93
	v_bfe_u32 v192, v94, 20, 4
	v_and_b32_e32 v193, 15, v94
	v_bfe_u32 v194, v94, 8, 4
	v_bfe_u32 v195, v94, 16, 4
	v_bfe_u32 v196, v94, 24, 4
	v_bfe_u32 v197, v94, 4, 4
	v_bfe_u32 v198, v94, 12, 4
	v_lshrrev_b32_e32 v94, 28, v94
	v_and_b32_e32 v200, 15, v95
	v_bfe_u32 v201, v95, 8, 4
	v_bfe_u32 v213, v97, 20, 4
	;; [unrolled: 1-line block ×7, first 2 shown]
	v_lshrrev_b32_e32 v97, 28, v97
	v_bfe_u32 v220, v98, 20, 4
	v_and_b32_e32 v221, 15, v98
	v_bfe_u32 v222, v98, 8, 4
	v_bfe_u32 v223, v98, 16, 4
	;; [unrolled: 1-line block ×5, first 2 shown]
	v_lshrrev_b32_e32 v98, 28, v98
	s_waitcnt lgkmcnt(0)
	v_and_b32_e32 v228, 15, v99
	v_bfe_u32 v229, v99, 8, 4
	v_mad_i32_i24 v130, v134, v108, v130
	v_mul_i32_i24_e32 v134, v158, v105
	v_mul_i32_i24_e32 v158, v159, v106
	;; [unrolled: 1-line block ×25, first 2 shown]
	v_bfe_u32 v146, v87, 16, 4
	v_mul_i32_i24_e32 v85, v85, v81
	v_mul_i32_i24_e32 v137, v137, v111
	;; [unrolled: 1-line block ×10, first 2 shown]
	v_bfe_u32 v202, v95, 16, 4
	v_bfe_u32 v230, v99, 16, 4
	v_mul_i32_i24_e32 v89, v89, v81
	v_mul_i32_i24_e32 v164, v164, v116
	;; [unrolled: 1-line block ×28, first 2 shown]
	v_mad_i32_i24 v117, v162, v108, v134
	v_mad_i32_i24 v118, v190, v108, v184
	;; [unrolled: 1-line block ×3, first 2 shown]
	v_mul_i32_i24_e32 v131, v131, v106
	v_mul_i32_i24_e32 v146, v146, v119
	;; [unrolled: 1-line block ×5, first 2 shown]
	v_add3_u32 v119, v130, v137, v141
	v_add3_u32 v117, v117, v163, v168
	;; [unrolled: 1-line block ×4, first 2 shown]
	v_bfe_u32 v148, v87, 4, 4
	v_and_b32_e32 v151, 15, v88
	v_mul_i32_i24_e32 v132, v132, v107
	v_mul_i32_i24_e32 v133, v133, v10
	v_bfe_u32 v203, v95, 24, 4
	v_bfe_u32 v204, v95, 4, 4
	;; [unrolled: 1-line block ×3, first 2 shown]
	v_and_b32_e32 v207, 15, v96
	v_bfe_u32 v232, v99, 4, 4
	v_and_b32_e32 v235, 15, v100
	v_mul_i32_i24_e32 v107, v216, v107
	v_mul_i32_i24_e32 v10, v217, v10
	v_add3_u32 v113, v119, v144, v131
	v_add3_u32 v117, v117, v170, v158
	;; [unrolled: 1-line block ×4, first 2 shown]
	v_mul_i32_i24_e32 v148, v148, v120
	v_mul_i32_i24_e32 v151, v151, v123
	v_mul_i32_i24_e32 v202, v203, v12
	v_mul_i32_i24_e32 v203, v204, v120
	v_mul_i32_i24_e32 v204, v205, v121
	v_mul_i32_i24_e32 v205, v207, v123
	v_mul_i32_i24_e32 v105, v232, v120
	v_mul_i32_i24_e32 v98, v235, v123
	v_add3_u32 v106, v113, v132, v133
	v_add3_u32 v113, v117, v159, v160
	;; [unrolled: 1-line block ×4, first 2 shown]
	v_mul_i32_i24_e32 v135, v135, v109
	v_mul_i32_i24_e32 v129, v129, v110
	;; [unrolled: 1-line block ×6, first 2 shown]
	v_add3_u32 v97, v106, v148, v151
	v_add3_u32 v106, v113, v175, v177
	;; [unrolled: 1-line block ×4, first 2 shown]
	v_bfe_u32 v155, v88, 4, 4
	v_add3_u32 v97, v97, v135, v129
	v_add3_u32 v105, v106, v161, v157
	;; [unrolled: 1-line block ×4, first 2 shown]
	v_mul_i32_i24_e32 v140, v140, v11
	v_bfe_u32 v208, v96, 8, 4
	v_bfe_u32 v209, v96, 16, 4
	;; [unrolled: 1-line block ×5, first 2 shown]
	v_mul_i32_i24_e32 v11, v224, v11
	v_add3_u32 v85, v97, v85, v138
	v_add3_u32 v89, v105, v89, v165
	;; [unrolled: 1-line block ×4, first 2 shown]
	v_bfe_i32 v122, v83, 16, 8
	v_ashrrev_i32_e32 v83, 24, v83
	v_bfe_u32 v143, v87, 20, 4
	v_bfe_u32 v147, v87, 24, 4
	v_bfe_u32 v149, v87, 12, 4
	v_lshrrev_b32_e32 v87, 28, v87
	v_mul_i32_i24_e32 v155, v155, v126
	v_bfe_u32 v171, v91, 20, 4
	v_lshrrev_b32_e32 v91, 28, v91
	v_bfe_u32 v199, v95, 20, 4
	v_lshrrev_b32_e32 v95, 28, v95
	v_bfe_u32 v227, v99, 20, 4
	v_bfe_u32 v231, v99, 24, 4
	;; [unrolled: 1-line block ×3, first 2 shown]
	v_lshrrev_b32_e32 v99, 28, v99
	v_mul_i32_i24_e32 v207, v208, v124
	v_mul_i32_i24_e32 v208, v209, v125
	;; [unrolled: 1-line block ×5, first 2 shown]
	v_add3_u32 v85, v85, v139, v140
	v_add3_u32 v89, v89, v166, v167
	v_add3_u32 v93, v93, v194, v195
	v_add3_u32 v10, v10, v112, v11
	v_mul_i32_i24_e32 v87, v87, v83
	v_mul_i32_i24_e32 v91, v91, v83
	;; [unrolled: 1-line block ×4, first 2 shown]
	v_add3_u32 v83, v85, v155, v142
	v_add3_u32 v85, v89, v182, v169
	v_add3_u32 v89, v93, v210, v197
	v_add3_u32 v10, v10, v81, v114
	v_mul_i32_i24_e32 v147, v147, v12
	v_add3_u32 v83, v83, v136, v86
	v_add3_u32 v85, v85, v164, v90
	;; [unrolled: 1-line block ×4, first 2 shown]
	v_mul_i32_i24_e32 v149, v149, v121
	v_mul_i32_i24_e32 v12, v231, v12
	v_mul_i32_i24_e32 v98, v233, v121
	v_add3_u32 v83, v83, v145, v146
	v_add3_u32 v85, v85, v172, v173
	;; [unrolled: 1-line block ×4, first 2 shown]
	v_bfe_u32 v152, v88, 8, 4
	v_bfe_u32 v153, v88, 16, 4
	v_mul_i32_i24_e32 v143, v143, v122
	v_bfe_u32 v236, v100, 8, 4
	v_bfe_u32 v237, v100, 16, 4
	v_mul_i32_i24_e32 v171, v171, v122
	v_mul_i32_i24_e32 v199, v199, v122
	;; [unrolled: 1-line block ×3, first 2 shown]
	v_add3_u32 v83, v83, v147, v149
	v_add3_u32 v85, v85, v174, v176
	;; [unrolled: 1-line block ×4, first 2 shown]
	v_bfe_u32 v154, v88, 24, 4
	v_bfe_u32 v156, v88, 12, 4
	v_mul_i32_i24_e32 v152, v152, v124
	v_mul_i32_i24_e32 v153, v153, v125
	v_bfe_u32 v212, v96, 12, 4
	v_bfe_u32 v238, v100, 24, 4
	;; [unrolled: 1-line block ×3, first 2 shown]
	v_mul_i32_i24_e32 v81, v236, v124
	v_mul_i32_i24_e32 v82, v237, v125
	v_add3_u32 v83, v83, v143, v87
	v_add3_u32 v85, v85, v171, v91
	;; [unrolled: 1-line block ×4, first 2 shown]
	v_bfe_i32 v128, v84, 16, 8
	v_ashrrev_i32_e32 v84, 24, v84
	v_bfe_u32 v150, v88, 20, 4
	v_lshrrev_b32_e32 v88, 28, v88
	v_mul_i32_i24_e32 v154, v154, v13
	v_mul_i32_i24_e32 v156, v156, v127
	v_bfe_u32 v178, v92, 20, 4
	v_lshrrev_b32_e32 v92, 28, v92
	v_bfe_u32 v206, v96, 20, 4
	v_lshrrev_b32_e32 v96, 28, v96
	;; [unrolled: 2-line block ×3, first 2 shown]
	v_mul_i32_i24_e32 v211, v212, v127
	v_mul_i32_i24_e32 v13, v238, v13
	;; [unrolled: 1-line block ×3, first 2 shown]
	v_add3_u32 v83, v83, v152, v153
	v_add3_u32 v85, v85, v179, v180
	;; [unrolled: 1-line block ×4, first 2 shown]
	v_mul_i32_i24_e32 v150, v150, v128
	v_mul_i32_i24_e32 v88, v88, v84
	;; [unrolled: 1-line block ×8, first 2 shown]
	v_add3_u32 v82, v83, v154, v156
	v_add3_u32 v83, v85, v181, v183
	;; [unrolled: 1-line block ×4, first 2 shown]
	v_pk_mul_f16 v102, v7, v102
	v_add3_u32 v13, v82, v150, v88
	v_add3_u32 v82, v83, v178, v92
	;; [unrolled: 1-line block ×4, first 2 shown]
	v_pk_mul_f16 v101, v7, v101
	v_pk_mul_f16 v12, v7, v103
	;; [unrolled: 1-line block ×3, first 2 shown]
	v_cvt_f32_i32_e32 v11, v13
	v_cvt_f32_i32_e32 v13, v82
	v_cvt_f32_i32_e32 v81, v83
	v_cvt_f32_i32_e32 v10, v10
	s_delay_alu instid0(VALU_DEP_4) | instskip(NEXT) | instid1(VALU_DEP_4)
	v_fma_mix_f32 v11, v102, v11, v102 op_sel:[0,0,1] op_sel_hi:[1,0,1]
	v_fma_mix_f32 v13, v101, v13, v101 op_sel:[0,0,1] op_sel_hi:[1,0,1]
	s_delay_alu instid0(VALU_DEP_4) | instskip(NEXT) | instid1(VALU_DEP_4)
	v_fma_mix_f32 v12, v12, v81, v12 op_sel:[0,0,1] op_sel_hi:[1,0,1]
	v_fma_mix_f32 v7, v7, v10, v7 op_sel:[0,0,1] op_sel_hi:[1,0,1]
	s_delay_alu instid0(VALU_DEP_4) | instskip(NEXT) | instid1(VALU_DEP_4)
	v_dual_add_f32 v17, v17, v11 :: v_dual_add_nc_u32 v6, 4, v6
	v_dual_add_f32 v77, v77, v13 :: v_dual_add_nc_u32 v4, 4, v4
	s_delay_alu instid0(VALU_DEP_3)
	v_dual_add_f32 v79, v79, v7 :: v_dual_add_nc_u32 v2, 16, v2
	v_add_f32_e32 v78, v78, v12
	s_cbranch_scc1 .LBB199_20
; %bb.21:                               ;   in Loop: Header=BB199_5 Depth=1
	s_barrier
	buffer_gl0_inv
	s_branch .LBB199_4
.LBB199_22:
	v_cvt_f16_f32_e32 v5, v17
	v_cvt_f16_f32_e32 v4, v77
	;; [unrolled: 1-line block ×4, first 2 shown]
.LBB199_23:
	s_mul_i32 s0, s7, s4
	s_waitcnt vmcnt(0)
	v_cmp_gt_i32_e32 vcc_lo, s0, v14
	s_and_saveexec_b32 s0, vcc_lo
	s_cbranch_execz .LBB199_32
; %bb.24:
	v_mul_lo_u32 v1, v14, s6
	v_add_nc_u32_e32 v3, s14, v15
	s_mov_b32 s0, exec_lo
	s_delay_alu instid0(VALU_DEP_1)
	v_cmpx_gt_u32_e64 s6, v3
	s_cbranch_execz .LBB199_26
; %bb.25:
	s_delay_alu instid0(VALU_DEP_3) | instskip(NEXT) | instid1(VALU_DEP_1)
	v_dual_mov_b32 v7, 0 :: v_dual_add_nc_u32 v6, v1, v3
	v_lshlrev_b64 v[6:7], 1, v[6:7]
	s_delay_alu instid0(VALU_DEP_1) | instskip(NEXT) | instid1(VALU_DEP_2)
	v_add_co_u32 v6, vcc_lo, s8, v6
	v_add_co_ci_u32_e32 v7, vcc_lo, s9, v7, vcc_lo
	global_store_b16 v[6:7], v5, off
.LBB199_26:
	s_or_b32 exec_lo, exec_lo, s0
	v_add_nc_u32_e32 v5, 32, v3
	s_mov_b32 s0, exec_lo
	s_delay_alu instid0(VALU_DEP_1)
	v_cmpx_gt_u32_e64 s6, v5
	s_cbranch_execz .LBB199_28
; %bb.27:
	v_dual_mov_b32 v6, 0 :: v_dual_add_nc_u32 v5, v1, v5
	s_delay_alu instid0(VALU_DEP_1) | instskip(NEXT) | instid1(VALU_DEP_1)
	v_lshlrev_b64 v[5:6], 1, v[5:6]
	v_add_co_u32 v5, vcc_lo, s8, v5
	s_delay_alu instid0(VALU_DEP_2)
	v_add_co_ci_u32_e32 v6, vcc_lo, s9, v6, vcc_lo
	global_store_b16 v[5:6], v4, off
.LBB199_28:
	s_or_b32 exec_lo, exec_lo, s0
	v_add_nc_u32_e32 v4, 64, v3
	s_mov_b32 s0, exec_lo
	s_delay_alu instid0(VALU_DEP_1)
	v_cmpx_gt_u32_e64 s6, v4
	s_cbranch_execz .LBB199_30
; %bb.29:
	v_dual_mov_b32 v5, 0 :: v_dual_add_nc_u32 v4, v1, v4
	s_delay_alu instid0(VALU_DEP_1) | instskip(NEXT) | instid1(VALU_DEP_1)
	v_lshlrev_b64 v[4:5], 1, v[4:5]
	v_add_co_u32 v4, vcc_lo, s8, v4
	s_delay_alu instid0(VALU_DEP_2)
	v_add_co_ci_u32_e32 v5, vcc_lo, s9, v5, vcc_lo
	global_store_b16 v[4:5], v0, off
.LBB199_30:
	s_or_b32 exec_lo, exec_lo, s0
	v_add_nc_u32_e32 v0, 0x60, v3
	s_delay_alu instid0(VALU_DEP_1)
	v_cmp_gt_u32_e32 vcc_lo, s6, v0
	s_and_b32 exec_lo, exec_lo, vcc_lo
	s_cbranch_execz .LBB199_32
; %bb.31:
	v_dual_mov_b32 v1, 0 :: v_dual_add_nc_u32 v0, v1, v0
	s_delay_alu instid0(VALU_DEP_1) | instskip(NEXT) | instid1(VALU_DEP_1)
	v_lshlrev_b64 v[0:1], 1, v[0:1]
	v_add_co_u32 v0, vcc_lo, s8, v0
	s_delay_alu instid0(VALU_DEP_2)
	v_add_co_ci_u32_e32 v1, vcc_lo, s9, v1, vcc_lo
	global_store_b16 v[0:1], v2, off
.LBB199_32:
	s_nop 0
	s_sendmsg sendmsg(MSG_DEALLOC_VGPRS)
	s_endpgm
	.section	.rodata,"a",@progbits
	.p2align	6, 0x0
	.amdhsa_kernel _ZL8moe_q4_1IN3c104HalfELb0EEvPKvS3_PT_PKiS7_S7_iiiiiii
		.amdhsa_group_segment_fixed_size 22272
		.amdhsa_private_segment_fixed_size 0
		.amdhsa_kernarg_size 76
		.amdhsa_user_sgpr_count 14
		.amdhsa_user_sgpr_dispatch_ptr 0
		.amdhsa_user_sgpr_queue_ptr 0
		.amdhsa_user_sgpr_kernarg_segment_ptr 1
		.amdhsa_user_sgpr_dispatch_id 0
		.amdhsa_user_sgpr_private_segment_size 0
		.amdhsa_wavefront_size32 1
		.amdhsa_uses_dynamic_stack 0
		.amdhsa_enable_private_segment 0
		.amdhsa_system_sgpr_workgroup_id_x 1
		.amdhsa_system_sgpr_workgroup_id_y 1
		.amdhsa_system_sgpr_workgroup_id_z 0
		.amdhsa_system_sgpr_workgroup_info 0
		.amdhsa_system_vgpr_workitem_id 1
		.amdhsa_next_free_vgpr 241
		.amdhsa_next_free_sgpr 20
		.amdhsa_reserve_vcc 1
		.amdhsa_float_round_mode_32 0
		.amdhsa_float_round_mode_16_64 0
		.amdhsa_float_denorm_mode_32 3
		.amdhsa_float_denorm_mode_16_64 3
		.amdhsa_dx10_clamp 1
		.amdhsa_ieee_mode 1
		.amdhsa_fp16_overflow 0
		.amdhsa_workgroup_processor_mode 1
		.amdhsa_memory_ordered 1
		.amdhsa_forward_progress 0
		.amdhsa_shared_vgpr_count 0
		.amdhsa_exception_fp_ieee_invalid_op 0
		.amdhsa_exception_fp_denorm_src 0
		.amdhsa_exception_fp_ieee_div_zero 0
		.amdhsa_exception_fp_ieee_overflow 0
		.amdhsa_exception_fp_ieee_underflow 0
		.amdhsa_exception_fp_ieee_inexact 0
		.amdhsa_exception_int_div_zero 0
	.end_amdhsa_kernel
	.section	.text._ZL8moe_q4_1IN3c104HalfELb0EEvPKvS3_PT_PKiS7_S7_iiiiiii,"axG",@progbits,_ZL8moe_q4_1IN3c104HalfELb0EEvPKvS3_PT_PKiS7_S7_iiiiiii,comdat
.Lfunc_end199:
	.size	_ZL8moe_q4_1IN3c104HalfELb0EEvPKvS3_PT_PKiS7_S7_iiiiiii, .Lfunc_end199-_ZL8moe_q4_1IN3c104HalfELb0EEvPKvS3_PT_PKiS7_S7_iiiiiii
                                        ; -- End function
	.section	.AMDGPU.csdata,"",@progbits
; Kernel info:
; codeLenInByte = 7624
; NumSgprs: 22
; NumVgprs: 241
; ScratchSize: 0
; MemoryBound: 0
; FloatMode: 240
; IeeeMode: 1
; LDSByteSize: 22272 bytes/workgroup (compile time only)
; SGPRBlocks: 2
; VGPRBlocks: 30
; NumSGPRsForWavesPerEU: 22
; NumVGPRsForWavesPerEU: 241
; Occupancy: 5
; WaveLimiterHint : 1
; COMPUTE_PGM_RSRC2:SCRATCH_EN: 0
; COMPUTE_PGM_RSRC2:USER_SGPR: 14
; COMPUTE_PGM_RSRC2:TRAP_HANDLER: 0
; COMPUTE_PGM_RSRC2:TGID_X_EN: 1
; COMPUTE_PGM_RSRC2:TGID_Y_EN: 1
; COMPUTE_PGM_RSRC2:TGID_Z_EN: 0
; COMPUTE_PGM_RSRC2:TIDIG_COMP_CNT: 1
	.section	.text._ZL8moe_q4_1IN3c104HalfELb1EEvPKvS3_PT_PKiS7_S7_iiiiiii,"axG",@progbits,_ZL8moe_q4_1IN3c104HalfELb1EEvPKvS3_PT_PKiS7_S7_iiiiiii,comdat
	.globl	_ZL8moe_q4_1IN3c104HalfELb1EEvPKvS3_PT_PKiS7_S7_iiiiiii ; -- Begin function _ZL8moe_q4_1IN3c104HalfELb1EEvPKvS3_PT_PKiS7_S7_iiiiiii
	.p2align	8
	.type	_ZL8moe_q4_1IN3c104HalfELb1EEvPKvS3_PT_PKiS7_S7_iiiiiii,@function
_ZL8moe_q4_1IN3c104HalfELb1EEvPKvS3_PT_PKiS7_S7_iiiiiii: ; @_ZL8moe_q4_1IN3c104HalfELb1EEvPKvS3_PT_PKiS7_S7_iiiiiii
; %bb.0:
	s_load_b128 s[4:7], s[0:1], 0x18
	s_mov_b32 s2, s15
	s_mov_b32 s3, 0
	s_delay_alu instid0(SALU_CYCLE_1)
	s_lshl_b64 s[8:9], s[2:3], 2
	s_waitcnt lgkmcnt(0)
	s_add_u32 s6, s6, s8
	s_addc_u32 s7, s7, s9
	s_load_b32 s15, s[6:7], 0x0
	s_waitcnt lgkmcnt(0)
	s_cmpk_gt_u32 s15, 0xff
	s_cbranch_scc1 .LBB200_32
; %bb.1:
	s_load_b64 s[6:7], s[0:1], 0x28
	s_lshl_b32 s2, s2, 3
	s_waitcnt lgkmcnt(0)
	s_load_b32 s3, s[6:7], 0x0
	s_waitcnt lgkmcnt(0)
	s_cmp_gt_u32 s2, s3
	s_cbranch_scc1 .LBB200_32
; %bb.2:
	v_bfe_u32 v3, v0, 10, 10
	s_delay_alu instid0(VALU_DEP_1) | instskip(NEXT) | instid1(VALU_DEP_1)
	v_dual_mov_b32 v2, 0 :: v_dual_add_nc_u32 v1, s2, v3
	v_dual_mov_b32 v0, v2 :: v_dual_and_b32 v31, 0x3ff, v0
	s_delay_alu instid0(VALU_DEP_2) | instskip(NEXT) | instid1(VALU_DEP_1)
	v_lshlrev_b64 v[4:5], 2, v[1:2]
	v_add_co_u32 v4, vcc_lo, s4, v4
	s_delay_alu instid0(VALU_DEP_2)
	v_add_co_ci_u32_e32 v5, vcc_lo, s5, v5, vcc_lo
	global_load_b32 v30, v[4:5], off
	s_clause 0x1
	s_load_b256 s[4:11], s[0:1], 0x30
	s_load_b64 s[12:13], s[0:1], 0x10
	v_mov_b32_e32 v4, v2
	v_mov_b32_e32 v5, v2
	s_waitcnt lgkmcnt(0)
	s_lshl_b32 s11, s14, 7
	s_cmp_lt_i32 s5, 32
	s_cbranch_scc1 .LBB200_23
; %bb.3:
	s_load_b128 s[0:3], s[0:1], 0x0
	s_ashr_i32 s14, s5, 31
	s_mul_i32 s15, s15, s4
	s_lshr_b32 s4, s14, 27
	s_ashr_i32 s16, s8, 31
	s_add_i32 s4, s5, s4
	s_lshr_b32 s14, s16, 27
	s_ashr_i32 s4, s4, 5
	s_add_i32 s8, s8, s14
	s_mul_i32 s14, s4, s11
	s_ashr_i32 s16, s15, 31
	s_ashr_i32 s8, s8, 5
	s_mul_hi_i32 s17, s14, 20
	s_mul_i32 s14, s14, 20
	v_add_nc_u32_e32 v1, 8, v3
	v_dual_mov_b32 v33, 0 :: v_dual_lshlrev_b32 v0, 2, v31
	v_add_nc_u32_e32 v2, 16, v3
	v_dual_mov_b32 v78, 0 :: v_dual_add_nc_u32 v5, 24, v3
	s_waitcnt lgkmcnt(0)
	s_add_u32 s0, s0, s15
	s_addc_u32 s1, s1, s16
	s_add_u32 s16, s0, s14
	s_addc_u32 s17, s1, s17
	s_not_b32 s0, s11
	s_abs_i32 s1, s10
	s_add_i32 s0, s0, s6
	v_add_nc_u32_e32 v6, 0x70, v3
	v_min_i32_e32 v4, s0, v3
	v_min_i32_e32 v1, s0, v1
	;; [unrolled: 1-line block ×3, first 2 shown]
	v_add_nc_u32_e32 v23, 0x78, v3
	v_lshrrev_b32_e32 v48, 3, v31
	v_mul_lo_u32 v35, v4, s4
	v_mad_u64_u32 v[8:9], null, 0x84, v4, v[0:1]
	v_mul_lo_u32 v36, v1, s4
	v_mad_u64_u32 v[9:10], null, 0x84, v1, v[0:1]
	v_min_i32_e32 v1, s0, v5
	v_add_nc_u32_e32 v4, 32, v3
	v_mul_lo_u32 v37, v2, s4
	v_cvt_f32_u32_e32 v5, s1
	v_min_i32_e32 v25, s0, v23
	v_mad_u64_u32 v[10:11], null, 0x84, v2, v[0:1]
	v_mul_lo_u32 v38, v1, s4
	v_add_nc_u32_e32 v2, 40, v3
	v_min_i32_e32 v4, s0, v4
	v_mad_u64_u32 v[11:12], null, 0x84, v1, v[0:1]
	v_add_nc_u32_e32 v1, 48, v3
	s_delay_alu instid0(VALU_DEP_4) | instskip(NEXT) | instid1(VALU_DEP_4)
	v_min_i32_e32 v2, s0, v2
	v_mul_lo_u32 v39, v4, s4
	v_mov_b32_e32 v79, 0
	s_sub_i32 s6, 0, s1
	v_mad_u64_u32 v[12:13], null, 0x84, v4, v[0:1]
	v_min_i32_e32 v1, s0, v1
	v_add_nc_u32_e32 v4, 56, v3
	v_mul_lo_u32 v40, v2, s4
	v_mul_lo_u32 v51, v25, s4
	s_waitcnt vmcnt(0)
	v_sub_nc_u32_e32 v27, 0, v30
	v_mad_u64_u32 v[13:14], null, 0x84, v2, v[0:1]
	v_mul_lo_u32 v41, v1, s4
	v_add_nc_u32_e32 v2, 64, v3
	v_min_i32_e32 v4, s0, v4
	v_mad_u64_u32 v[14:15], null, 0x84, v1, v[0:1]
	v_add_nc_u32_e32 v1, 0x48, v3
	s_delay_alu instid0(VALU_DEP_4) | instskip(NEXT) | instid1(VALU_DEP_4)
	v_min_i32_e32 v2, s0, v2
	v_mul_lo_u32 v42, v4, s4
	v_max_i32_e32 v27, v30, v27
	v_and_b32_e32 v52, 7, v31
	v_mad_u64_u32 v[15:16], null, 0x84, v4, v[0:1]
	v_min_i32_e32 v1, s0, v1
	v_add_nc_u32_e32 v4, 0x50, v3
	v_mul_lo_u32 v43, v2, s4
	v_lshlrev_b32_e32 v28, 2, v52
	v_lshlrev_b32_e32 v67, 7, v3
	v_mad_u64_u32 v[16:17], null, 0x84, v2, v[0:1]
	v_mul_lo_u32 v44, v1, s4
	v_add_nc_u32_e32 v2, 0x58, v3
	v_min_i32_e32 v4, s0, v4
	v_mad_u64_u32 v[17:18], null, 0x84, v1, v[0:1]
	v_add_nc_u32_e32 v1, 0x60, v3
	s_delay_alu instid0(VALU_DEP_4) | instskip(NEXT) | instid1(VALU_DEP_4)
	v_min_i32_e32 v2, s0, v2
	v_mul_lo_u32 v45, v4, s4
	v_and_b32_e32 v62, 0xfc, v31
	v_lshrrev_b32_e32 v32, 2, v31
	v_mad_u64_u32 v[18:19], null, 0x84, v4, v[0:1]
	v_min_i32_e32 v1, s0, v1
	v_mul_lo_u32 v46, v2, s4
	v_lshlrev_b32_e32 v4, 2, v3
	v_lshl_add_u32 v68, v3, 4, 0x5680
	v_mad_u32_u24 v73, 0x84, v31, 64
	v_mad_u64_u32 v[19:20], null, 0x84, v2, v[0:1]
	v_add_nc_u32_e32 v2, 0x68, v3
	v_mul_lo_u32 v47, v1, s4
	v_mad_u64_u32 v[20:21], null, 0x84, v1, v[0:1]
	v_rcp_iflag_f32_e32 v1, v5
	s_delay_alu instid0(VALU_DEP_3)
	v_min_i32_e32 v2, s0, v2
	v_min_i32_e32 v5, s0, v6
	v_add_nc_u32_e32 v7, v48, v4
	v_or_b32_e32 v4, v4, v31
	s_add_u32 s14, s2, 0x90
	v_mul_lo_u32 v49, v2, s4
	v_mul_lo_u32 v50, v5, s4
	v_min_i32_e32 v6, s0, v7
	v_lshl_add_u32 v58, v4, 2, 0x5680
	v_mad_u64_u32 v[21:22], null, 0x84, v2, v[0:1]
	v_mul_f32_e32 v1, 0x4f7ffffe, v1
	s_delay_alu instid0(VALU_DEP_4)
	v_ashrrev_i32_e32 v2, 31, v6
	v_add_nc_u32_e32 v4, 64, v31
	v_mul_lo_u32 v53, v6, s4
	s_addc_u32 s15, s3, 0
	v_mad_u64_u32 v[22:23], null, 0x84, v5, v[0:1]
	v_cvt_u32_f32_e32 v1, v1
	v_add_nc_u32_e32 v5, 32, v7
	v_lshrrev_b32_e32 v2, 30, v2
	v_and_b32_e32 v4, 0x1fc, v4
	s_delay_alu instid0(VALU_DEP_4)
	v_mad_u64_u32 v[23:24], null, 0x84, v25, v[0:1]
	v_mul_lo_u32 v24, s6, v1
	v_add_nc_u32_e32 v25, 64, v7
	v_add_nc_u32_e32 v7, 0x60, v7
	v_min_i32_e32 v5, s0, v5
	v_add_nc_u32_e32 v2, v6, v2
	v_lshlrev_b32_e32 v6, 5, v6
	v_min_i32_e32 v25, s0, v25
	v_min_i32_e32 v7, s0, v7
	v_mul_hi_u32 v24, v1, v24
	v_ashrrev_i32_e32 v26, 31, v5
	v_and_b32_e32 v2, -4, v2
	v_ashrrev_i32_e32 v29, 31, v25
	v_mul_lo_u32 v55, v25, s4
	v_lshlrev_b32_e32 v77, 5, v25
	v_lshrrev_b32_e32 v26, 30, v26
	v_add3_u32 v2, v2, v28, 0x4200
	v_add_nc_u32_e32 v1, v1, v24
	v_lshrrev_b32_e32 v24, 30, v29
	v_ashrrev_i32_e32 v29, 31, v7
	v_add_nc_u32_e32 v26, v5, v26
	v_mul_lo_u32 v54, v5, s4
	v_mul_hi_u32 v1, v27, v1
	v_add_nc_u32_e32 v24, v25, v24
	v_lshrrev_b32_e32 v29, 30, v29
	v_and_b32_e32 v26, -4, v26
	v_lshlrev_b32_e32 v5, 5, v5
	v_mul_lo_u32 v56, v7, s4
	v_and_b32_e32 v24, -4, v24
	v_add_nc_u32_e32 v29, v7, v29
	v_mul_lo_u32 v57, v1, s1
	v_add_nc_u32_e32 v25, 1, v1
	v_add3_u32 v26, v26, v28, 0x4200
	v_add3_u32 v76, v24, v28, 0x4200
	v_and_b32_e32 v29, -4, v29
	v_lshlrev_b32_e32 v7, 5, v7
	v_add_nc_u32_e32 v74, v2, v6
	v_add_nc_u32_e32 v75, v26, v5
	v_sub_nc_u32_e32 v24, v27, v57
	v_add3_u32 v27, v29, v28, 0x4200
	v_and_b32_e32 v28, 31, v31
	v_dual_mov_b32 v77, 0 :: v_dual_add_nc_u32 v76, v76, v77
	s_delay_alu instid0(VALU_DEP_4)
	v_subrev_nc_u32_e32 v29, s1, v24
	v_cmp_le_u32_e32 vcc_lo, s1, v24
	v_and_b32_e32 v34, 12, v0
	v_and_b32_e32 v0, 28, v0
	v_lshl_or_b32 v28, v28, 2, v67
	v_add_nc_u32_e32 v67, 0x5280, v67
	v_cndmask_b32_e32 v1, v1, v25, vcc_lo
	v_cndmask_b32_e32 v24, v24, v29, vcc_lo
	v_xor_b32_e32 v25, s10, v30
	v_add_nc_u32_e32 v57, 0x5280, v28
	v_add_nc_u32_e32 v28, 0x60, v31
	;; [unrolled: 1-line block ×3, first 2 shown]
	v_cmp_le_u32_e32 vcc_lo, s1, v24
	v_ashrrev_i32_e32 v59, 31, v25
	v_add_co_u32 v24, s0, s2, v0
	s_delay_alu instid0(VALU_DEP_4) | instskip(SKIP_3) | instid1(VALU_DEP_4)
	v_dual_cndmask_b32 v1, v1, v29 :: v_dual_and_b32 v28, 0x1fc, v28
	v_lshlrev_b32_e32 v29, 5, v31
	v_add_co_ci_u32_e64 v25, null, s3, 0, s0
	v_cmp_gt_u32_e32 vcc_lo, 4, v31
	v_xor_b32_e32 v0, v1, v59
	v_add_nc_u32_e32 v1, 32, v31
	v_add_nc_u32_e32 v4, v29, v4
	v_add_nc_u32_e32 v80, v27, v7
	s_mov_b32 s6, 0
	v_sub_nc_u32_e32 v0, v0, v59
	v_lshrrev_b32_e32 v60, 3, v1
	v_and_b32_e32 v1, 0x1fc, v1
	v_mul_u32_u24_e32 v59, 0x84, v31
	v_add_nc_u32_e32 v64, 0x4a00, v4
	v_mul_lo_u32 v61, v0, s8
	v_cmp_gt_i32_e64 s0, s7, v0
	v_add_nc_u32_e32 v0, v29, v28
	v_add_nc_u32_e32 v1, v29, v1
	;; [unrolled: 1-line block ×4, first 2 shown]
	s_delay_alu instid0(VALU_DEP_4)
	v_add_nc_u32_e32 v63, 0x4e00, v0
	v_ashrrev_i32_e32 v62, 31, v61
	v_add_nc_u32_e32 v65, 0x4600, v1
	v_add_nc_u32_e32 v66, 0x4200, v28
	;; [unrolled: 1-line block ×5, first 2 shown]
	s_branch .LBB200_5
.LBB200_4:                              ;   in Loop: Header=BB200_5 Depth=1
	s_add_i32 s6, s6, 8
	s_delay_alu instid0(SALU_CYCLE_1)
	s_cmp_ge_i32 s6, s4
	s_cbranch_scc1 .LBB200_22
.LBB200_5:                              ; =>This Loop Header: Depth=1
                                        ;     Child Loop BB200_12 Depth 2
                                        ;     Child Loop BB200_20 Depth 2
	s_mul_i32 s1, s6, 20
	s_mul_hi_u32 s19, s6, 20
	s_add_u32 s18, s16, s1
	s_addc_u32 s19, s17, s19
	s_delay_alu instid0(SALU_CYCLE_1) | instskip(NEXT) | instid1(VALU_DEP_1)
	v_mad_u64_u32 v[0:1], null, v32, 20, s[18:19]
	v_add_co_u32 v0, s1, v0, v34
	s_delay_alu instid0(VALU_DEP_1) | instskip(NEXT) | instid1(VALU_DEP_2)
	v_add_co_ci_u32_e64 v1, s1, 0, v1, s1
	v_add_co_u32 v0, s1, v0, 4
	s_delay_alu instid0(VALU_DEP_1) | instskip(NEXT) | instid1(VALU_DEP_1)
	v_add_co_ci_u32_e64 v1, s1, 0, v1, s1
	v_mad_i64_i32 v[2:3], null, v35, 20, v[0:1]
	v_mad_i64_i32 v[4:5], null, v36, 20, v[0:1]
	;; [unrolled: 1-line block ×8, first 2 shown]
	s_clause 0x7
	global_load_b32 v95, v[2:3], off
	global_load_b32 v96, v[4:5], off
	;; [unrolled: 1-line block ×8, first 2 shown]
	v_mad_u64_u32 v[81:82], null, v52, 20, s[18:19]
	v_mad_i64_i32 v[2:3], null, v43, 20, v[0:1]
	v_mad_i64_i32 v[4:5], null, v44, 20, v[0:1]
	;; [unrolled: 1-line block ×12, first 2 shown]
	s_clause 0xb
	global_load_b32 v2, v[2:3], off
	global_load_b32 v3, v[4:5], off
	;; [unrolled: 1-line block ×12, first 2 shown]
	s_lshl_b32 s18, s6, 5
	s_waitcnt vmcnt(19)
	ds_store_b32 v8, v95
	s_waitcnt vmcnt(18)
	ds_store_b32 v9, v96
	;; [unrolled: 2-line block ×20, first 2 shown]
	s_cmp_lt_i32 s18, s5
	s_cbranch_scc0 .LBB200_4
; %bb.6:                                ;   in Loop: Header=BB200_5 Depth=1
	v_add_nc_u32_e32 v0, s6, v48
	s_delay_alu instid0(VALU_DEP_1) | instskip(NEXT) | instid1(VALU_DEP_1)
	v_cmp_gt_i32_e64 s1, s8, v0
	s_and_b32 s19, s0, s1
	s_delay_alu instid0(SALU_CYCLE_1)
	s_and_saveexec_b32 s1, s19
	s_cbranch_execz .LBB200_8
; %bb.7:                                ;   in Loop: Header=BB200_5 Depth=1
	v_add_nc_u32_e32 v2, v61, v0
	s_delay_alu instid0(VALU_DEP_1)
	v_mad_i64_i32 v[0:1], null, v2, 36, v[24:25]
	global_load_b32 v0, v[0:1], off offset:4
	s_waitcnt vmcnt(0)
	ds_store_b32 v57, v0
.LBB200_8:                              ;   in Loop: Header=BB200_5 Depth=1
	s_or_b32 exec_lo, exec_lo, s1
	s_and_saveexec_b32 s19, vcc_lo
	s_cbranch_execz .LBB200_11
; %bb.9:                                ;   in Loop: Header=BB200_5 Depth=1
	v_or_b32_e32 v0, s6, v31
	s_delay_alu instid0(VALU_DEP_1) | instskip(NEXT) | instid1(VALU_DEP_1)
	v_cmp_gt_i32_e64 s1, s8, v0
	s_and_b32 s1, s0, s1
	s_delay_alu instid0(SALU_CYCLE_1)
	s_and_b32 exec_lo, exec_lo, s1
	s_cbranch_execz .LBB200_11
; %bb.10:                               ;   in Loop: Header=BB200_5 Depth=1
	v_add_nc_u32_e32 v2, v61, v0
	s_delay_alu instid0(VALU_DEP_1)
	v_mad_i64_i32 v[0:1], null, v2, 36, s[2:3]
	global_load_b32 v0, v[0:1], off
	s_waitcnt vmcnt(0)
	ds_store_b32 v58, v0
.LBB200_11:                             ;   in Loop: Header=BB200_5 Depth=1
	s_or_b32 exec_lo, exec_lo, s19
	v_dual_mov_b32 v81, v68 :: v_dual_mov_b32 v82, v67
	v_dual_mov_b32 v83, v59 :: v_dual_mov_b32 v84, v66
	;; [unrolled: 1-line block ×3, first 2 shown]
	v_mov_b32_e32 v87, v63
	s_mov_b32 s1, -4
	s_waitcnt lgkmcnt(0)
	s_barrier
	buffer_gl0_inv
.LBB200_12:                             ;   Parent Loop BB200_5 Depth=1
                                        ; =>  This Inner Loop Header: Depth=2
	ds_load_b128 v[4:7], v82
	ds_load_b128 v[0:3], v82 offset:16
	ds_load_2addr_b32 v[26:27], v83 offset1:1
	ds_load_2addr_b32 v[28:29], v83 offset0:2 offset1:3
	v_add_nc_u32_e32 v88, 0x1080, v83
	v_add_nc_u32_e32 v90, 0x1088, v83
	;; [unrolled: 1-line block ×6, first 2 shown]
	ds_load_b32 v100, v85
	ds_load_b32 v101, v84
	;; [unrolled: 1-line block ×4, first 2 shown]
	ds_load_2addr_b32 v[88:89], v88 offset1:1
	ds_load_2addr_b32 v[90:91], v90 offset1:1
	;; [unrolled: 1-line block ×6, first 2 shown]
	ds_load_b32 v104, v81
	v_add_nc_u32_e32 v85, 4, v85
	v_add_nc_u32_e32 v84, 4, v84
	;; [unrolled: 1-line block ×5, first 2 shown]
	s_add_i32 s1, s1, 4
	s_delay_alu instid0(SALU_CYCLE_1)
	s_cmp_lt_u32 s1, 12
	s_waitcnt lgkmcnt(14)
	v_bfe_i32 v105, v4, 0, 8
	s_waitcnt lgkmcnt(13)
	v_bfe_i32 v108, v0, 0, 8
	s_waitcnt lgkmcnt(12)
	v_and_b32_e32 v130, 15, v26
	v_bfe_u32 v134, v26, 4, 4
	v_bfe_i32 v111, v5, 0, 8
	s_waitcnt lgkmcnt(6)
	v_and_b32_e32 v158, 15, v88
	v_bfe_i32 v114, v1, 0, 8
	v_mul_i32_i24_e32 v130, v130, v105
	s_waitcnt lgkmcnt(4)
	v_and_b32_e32 v186, 15, v92
	s_waitcnt lgkmcnt(2)
	v_and_b32_e32 v213, 15, v96
	v_and_b32_e32 v137, 15, v27
	v_bfe_u32 v141, v27, 4, 4
	v_bfe_u32 v162, v88, 4, 4
	v_and_b32_e32 v165, 15, v89
	v_bfe_u32 v169, v89, 4, 4
	v_bfe_u32 v190, v92, 4, 4
	;; [unrolled: 3-line block ×3, first 2 shown]
	v_and_b32_e32 v219, 15, v97
	v_bfe_u32 v220, v97, 4, 4
	v_mad_i32_i24 v130, v134, v108, v130
	v_mul_i32_i24_e32 v134, v158, v105
	v_mul_i32_i24_e32 v158, v186, v105
	;; [unrolled: 1-line block ×3, first 2 shown]
	v_bfe_i32 v106, v4, 8, 8
	v_bfe_i32 v115, v1, 8, 8
	;; [unrolled: 1-line block ×3, first 2 shown]
	v_ashrrev_i32_e32 v1, 24, v1
	v_bfe_i32 v117, v6, 0, 8
	v_bfe_u32 v131, v26, 8, 4
	v_bfe_u32 v136, v27, 20, 4
	;; [unrolled: 1-line block ×6, first 2 shown]
	v_lshrrev_b32_e32 v27, 28, v27
	v_and_b32_e32 v144, 15, v28
	v_mul_i32_i24_e32 v137, v137, v111
	v_mul_i32_i24_e32 v141, v141, v114
	v_bfe_u32 v159, v88, 8, 4
	v_bfe_u32 v164, v89, 20, 4
	v_bfe_u32 v166, v89, 8, 4
	v_bfe_u32 v167, v89, 16, 4
	v_bfe_u32 v168, v89, 24, 4
	v_bfe_u32 v170, v89, 12, 4
	v_lshrrev_b32_e32 v89, 28, v89
	v_and_b32_e32 v172, 15, v90
	v_bfe_u32 v187, v92, 8, 4
	v_bfe_u32 v192, v93, 20, 4
	;; [unrolled: 1-line block ×6, first 2 shown]
	v_lshrrev_b32_e32 v93, 28, v93
	v_and_b32_e32 v200, 15, v94
	v_bfe_u32 v216, v96, 8, 4
	v_bfe_u32 v222, v97, 20, 4
	;; [unrolled: 1-line block ×6, first 2 shown]
	v_lshrrev_b32_e32 v97, 28, v97
	s_waitcnt lgkmcnt(1)
	v_and_b32_e32 v228, 15, v98
	v_mul_i32_i24_e32 v165, v165, v111
	v_mul_i32_i24_e32 v169, v169, v114
	;; [unrolled: 1-line block ×6, first 2 shown]
	v_mad_i32_i24 v134, v162, v108, v134
	v_mad_i32_i24 v158, v190, v108, v158
	v_mad_i32_i24 v105, v214, v108, v105
	v_bfe_i32 v107, v4, 16, 8
	v_ashrrev_i32_e32 v4, 24, v4
	v_bfe_u32 v132, v26, 16, 4
	v_bfe_u32 v133, v26, 24, 4
	;; [unrolled: 1-line block ×6, first 2 shown]
	v_mul_i32_i24_e32 v131, v131, v106
	v_mul_i32_i24_e32 v144, v144, v117
	v_bfe_u32 v217, v96, 16, 4
	v_bfe_u32 v218, v96, 24, 4
	v_mul_i32_i24_e32 v27, v27, v1
	v_mul_i32_i24_e32 v159, v159, v106
	;; [unrolled: 1-line block ×10, first 2 shown]
	v_add3_u32 v130, v130, v137, v141
	v_add3_u32 v134, v134, v165, v169
	;; [unrolled: 1-line block ×4, first 2 shown]
	v_bfe_i32 v118, v6, 8, 8
	v_bfe_i32 v119, v6, 16, 8
	v_ashrrev_i32_e32 v6, 24, v6
	v_bfe_i32 v120, v2, 0, 8
	v_bfe_i32 v123, v7, 0, 8
	v_bfe_u32 v148, v28, 4, 4
	v_and_b32_e32 v151, 15, v29
	v_bfe_u32 v176, v90, 4, 4
	v_and_b32_e32 v179, 15, v91
	v_bfe_u32 v201, v94, 8, 4
	v_bfe_u32 v203, v94, 24, 4
	;; [unrolled: 1-line block ×3, first 2 shown]
	v_and_b32_e32 v207, 15, v95
	v_bfe_u32 v232, v98, 4, 4
	v_and_b32_e32 v235, 15, v99
	v_mul_i32_i24_e32 v132, v132, v107
	v_mul_i32_i24_e32 v133, v133, v4
	;; [unrolled: 1-line block ×8, first 2 shown]
	v_add3_u32 v111, v130, v144, v131
	v_add3_u32 v114, v134, v172, v159
	;; [unrolled: 1-line block ×4, first 2 shown]
	v_bfe_i32 v109, v0, 8, 8
	v_bfe_i32 v110, v0, 16, 8
	v_bfe_u32 v129, v26, 20, 4
	v_bfe_u32 v135, v26, 12, 4
	;; [unrolled: 1-line block ×8, first 2 shown]
	v_mul_i32_i24_e32 v148, v148, v120
	v_mul_i32_i24_e32 v151, v151, v123
	;; [unrolled: 1-line block ×10, first 2 shown]
	v_add3_u32 v111, v111, v132, v133
	v_add3_u32 v114, v114, v160, v161
	;; [unrolled: 1-line block ×4, first 2 shown]
	v_ashrrev_i32_e32 v0, 24, v0
	v_bfe_i32 v112, v5, 8, 8
	v_lshrrev_b32_e32 v26, 28, v26
	v_lshrrev_b32_e32 v88, 28, v88
	;; [unrolled: 1-line block ×4, first 2 shown]
	v_mul_i32_i24_e32 v135, v135, v109
	v_mul_i32_i24_e32 v129, v129, v110
	v_mul_i32_i24_e32 v163, v163, v109
	v_mul_i32_i24_e32 v191, v191, v109
	v_mul_i32_i24_e32 v109, v221, v109
	v_mul_i32_i24_e32 v157, v157, v110
	v_mul_i32_i24_e32 v185, v185, v110
	v_mul_i32_i24_e32 v110, v215, v110
	v_add3_u32 v105, v111, v148, v151
	v_add3_u32 v107, v114, v176, v179
	;; [unrolled: 1-line block ×4, first 2 shown]
	v_bfe_i32 v113, v5, 16, 8
	v_ashrrev_i32_e32 v5, 24, v5
	v_mul_i32_i24_e32 v26, v26, v0
	v_mul_i32_i24_e32 v138, v138, v112
	v_mul_i32_i24_e32 v88, v88, v0
	v_mul_i32_i24_e32 v92, v92, v0
	v_mul_i32_i24_e32 v0, v96, v0
	v_mul_i32_i24_e32 v96, v166, v112
	v_mul_i32_i24_e32 v166, v194, v112
	v_mul_i32_i24_e32 v112, v223, v112
	v_add3_u32 v105, v105, v135, v129
	v_add3_u32 v107, v107, v163, v157
	;; [unrolled: 1-line block ×4, first 2 shown]
	v_bfe_i32 v124, v7, 8, 8
	v_bfe_i32 v126, v3, 0, 8
	v_bfe_u32 v155, v29, 4, 4
	v_bfe_u32 v183, v91, 4, 4
	;; [unrolled: 1-line block ×5, first 2 shown]
	v_mul_i32_i24_e32 v139, v139, v113
	v_mul_i32_i24_e32 v140, v140, v5
	;; [unrolled: 1-line block ×8, first 2 shown]
	v_add3_u32 v26, v105, v26, v138
	v_add3_u32 v88, v107, v88, v96
	;; [unrolled: 1-line block ×4, first 2 shown]
	v_mul_i32_i24_e32 v142, v142, v115
	v_mul_i32_i24_e32 v155, v155, v126
	;; [unrolled: 1-line block ×9, first 2 shown]
	v_add3_u32 v26, v26, v139, v140
	v_add3_u32 v88, v88, v167, v168
	v_add3_u32 v92, v92, v194, v195
	v_add3_u32 v0, v0, v113, v5
	v_bfe_u32 v145, v28, 8, 4
	v_bfe_u32 v146, v28, 16, 4
	;; [unrolled: 1-line block ×7, first 2 shown]
	v_mul_i32_i24_e32 v136, v136, v116
	v_mul_i32_i24_e32 v164, v164, v116
	;; [unrolled: 1-line block ×4, first 2 shown]
	v_add3_u32 v5, v26, v155, v142
	v_add3_u32 v26, v88, v183, v170
	;; [unrolled: 1-line block ×4, first 2 shown]
	v_bfe_i32 v121, v2, 8, 8
	v_bfe_u32 v147, v28, 24, 4
	v_bfe_u32 v149, v28, 12, 4
	;; [unrolled: 1-line block ×7, first 2 shown]
	v_mul_i32_i24_e32 v145, v145, v118
	v_mul_i32_i24_e32 v146, v146, v119
	;; [unrolled: 1-line block ×7, first 2 shown]
	v_add3_u32 v5, v5, v136, v27
	v_add3_u32 v26, v26, v164, v89
	;; [unrolled: 1-line block ×4, first 2 shown]
	v_bfe_i32 v122, v2, 16, 8
	v_ashrrev_i32_e32 v2, 24, v2
	v_bfe_u32 v143, v28, 20, 4
	v_lshrrev_b32_e32 v28, 28, v28
	v_bfe_u32 v171, v90, 20, 4
	v_lshrrev_b32_e32 v90, 28, v90
	v_bfe_u32 v199, v94, 20, 4
	v_lshrrev_b32_e32 v94, 28, v94
	v_bfe_u32 v227, v98, 20, 4
	v_lshrrev_b32_e32 v98, 28, v98
	v_mul_i32_i24_e32 v147, v147, v6
	v_mul_i32_i24_e32 v149, v149, v121
	;; [unrolled: 1-line block ×7, first 2 shown]
	v_add3_u32 v5, v5, v145, v146
	v_add3_u32 v26, v26, v173, v174
	;; [unrolled: 1-line block ×4, first 2 shown]
	v_bfe_i32 v125, v7, 16, 8
	v_bfe_u32 v152, v29, 8, 4
	v_bfe_u32 v153, v29, 16, 4
	;; [unrolled: 1-line block ×7, first 2 shown]
	v_mul_i32_i24_e32 v143, v143, v122
	v_mul_i32_i24_e32 v28, v28, v2
	;; [unrolled: 1-line block ×8, first 2 shown]
	v_add3_u32 v5, v5, v147, v149
	v_add3_u32 v26, v26, v175, v177
	v_add3_u32 v27, v27, v201, v202
	v_add3_u32 v0, v0, v6, v106
	v_ashrrev_i32_e32 v7, 24, v7
	v_bfe_i32 v127, v3, 8, 8
	v_bfe_u32 v154, v29, 24, 4
	v_bfe_u32 v156, v29, 12, 4
	;; [unrolled: 1-line block ×8, first 2 shown]
	v_mul_i32_i24_e32 v152, v152, v124
	v_mul_i32_i24_e32 v153, v153, v125
	;; [unrolled: 1-line block ×7, first 2 shown]
	v_add3_u32 v5, v5, v143, v28
	v_add3_u32 v26, v26, v171, v90
	;; [unrolled: 1-line block ×4, first 2 shown]
	v_bfe_i32 v128, v3, 16, 8
	v_ashrrev_i32_e32 v3, 24, v3
	v_bfe_u32 v150, v29, 20, 4
	v_lshrrev_b32_e32 v29, 28, v29
	v_bfe_u32 v178, v91, 20, 4
	v_lshrrev_b32_e32 v91, 28, v91
	;; [unrolled: 2-line block ×4, first 2 shown]
	v_mul_i32_i24_e32 v154, v154, v7
	v_mul_i32_i24_e32 v156, v156, v127
	v_mul_i32_i24_e32 v182, v182, v7
	v_mul_i32_i24_e32 v184, v184, v127
	v_mul_i32_i24_e32 v207, v210, v7
	v_mul_i32_i24_e32 v209, v212, v127
	v_mul_i32_i24_e32 v7, v238, v7
	v_mul_i32_i24_e32 v6, v240, v127
	v_add3_u32 v5, v5, v152, v153
	v_add3_u32 v26, v26, v180, v181
	;; [unrolled: 1-line block ×4, first 2 shown]
	v_mul_i32_i24_e32 v150, v150, v128
	v_mul_i32_i24_e32 v29, v29, v3
	;; [unrolled: 1-line block ×8, first 2 shown]
	v_add3_u32 v3, v5, v154, v156
	v_add3_u32 v4, v26, v182, v184
	;; [unrolled: 1-line block ×4, first 2 shown]
	s_waitcnt lgkmcnt(0)
	v_pk_mul_f16 v101, v104, v101
	v_add3_u32 v3, v3, v150, v29
	v_add3_u32 v4, v4, v178, v91
	;; [unrolled: 1-line block ×4, first 2 shown]
	v_pk_mul_f16 v100, v104, v100
	v_pk_mul_f16 v6, v104, v102
	;; [unrolled: 1-line block ×3, first 2 shown]
	v_cvt_f32_i32_e32 v2, v3
	v_cvt_f32_i32_e32 v3, v4
	;; [unrolled: 1-line block ×4, first 2 shown]
	s_delay_alu instid0(VALU_DEP_4) | instskip(NEXT) | instid1(VALU_DEP_4)
	v_fma_mix_f32 v2, v101, v2, v101 op_sel:[0,0,1] op_sel_hi:[1,0,1]
	v_fma_mix_f32 v3, v100, v3, v100 op_sel:[0,0,1] op_sel_hi:[1,0,1]
	s_delay_alu instid0(VALU_DEP_4) | instskip(NEXT) | instid1(VALU_DEP_4)
	v_fma_mix_f32 v4, v6, v4, v6 op_sel:[0,0,1] op_sel_hi:[1,0,1]
	v_fma_mix_f32 v0, v1, v0, v1 op_sel:[0,0,1] op_sel_hi:[1,0,1]
	v_add_nc_u32_e32 v87, 4, v87
	s_delay_alu instid0(VALU_DEP_4) | instskip(NEXT) | instid1(VALU_DEP_4)
	v_dual_add_f32 v77, v77, v3 :: v_dual_add_nc_u32 v86, 4, v86
	v_dual_add_f32 v33, v33, v2 :: v_dual_add_f32 v78, v78, v4
	s_delay_alu instid0(VALU_DEP_4)
	v_add_f32_e32 v79, v79, v0
	s_cbranch_scc1 .LBB200_12
; %bb.13:                               ;   in Loop: Header=BB200_5 Depth=1
	s_bitset1_b32 s18, 7
	s_delay_alu instid0(SALU_CYCLE_1)
	s_cmp_ge_i32 s18, s5
	s_barrier
	buffer_gl0_inv
	s_cbranch_scc1 .LBB200_4
; %bb.14:                               ;   in Loop: Header=BB200_5 Depth=1
	v_add_nc_u32_e32 v0, s6, v60
	s_delay_alu instid0(VALU_DEP_1) | instskip(NEXT) | instid1(VALU_DEP_1)
	v_cmp_gt_i32_e64 s1, s8, v0
	s_and_b32 s18, s0, s1
	s_delay_alu instid0(SALU_CYCLE_1)
	s_and_saveexec_b32 s1, s18
	s_cbranch_execz .LBB200_16
; %bb.15:                               ;   in Loop: Header=BB200_5 Depth=1
	v_add_nc_u32_e32 v2, v61, v0
	s_delay_alu instid0(VALU_DEP_1)
	v_mad_i64_i32 v[0:1], null, v2, 36, v[24:25]
	global_load_b32 v0, v[0:1], off offset:4
	s_waitcnt vmcnt(0)
	ds_store_b32 v57, v0
.LBB200_16:                             ;   in Loop: Header=BB200_5 Depth=1
	s_or_b32 exec_lo, exec_lo, s1
	s_and_saveexec_b32 s18, vcc_lo
	s_cbranch_execz .LBB200_19
; %bb.17:                               ;   in Loop: Header=BB200_5 Depth=1
	v_or_b32_e32 v0, s6, v31
	s_delay_alu instid0(VALU_DEP_1) | instskip(NEXT) | instid1(VALU_DEP_1)
	v_or_b32_e32 v1, 4, v0
	v_cmp_gt_i32_e64 s1, s8, v1
	s_delay_alu instid0(VALU_DEP_1) | instskip(NEXT) | instid1(SALU_CYCLE_1)
	s_and_b32 s1, s0, s1
	s_and_b32 exec_lo, exec_lo, s1
	s_cbranch_execz .LBB200_19
; %bb.18:                               ;   in Loop: Header=BB200_5 Depth=1
	v_ashrrev_i32_e32 v1, 31, v0
	v_add_co_u32 v2, s1, v61, v0
	s_delay_alu instid0(VALU_DEP_1) | instskip(NEXT) | instid1(VALU_DEP_2)
	v_add_co_ci_u32_e64 v3, s1, v62, v1, s1
	v_mad_u64_u32 v[0:1], null, v2, 36, s[14:15]
	s_delay_alu instid0(VALU_DEP_1)
	v_mad_i32_i24 v1, v3, 36, v1
	global_load_b32 v0, v[0:1], off
	s_waitcnt vmcnt(0)
	ds_store_b32 v58, v0
.LBB200_19:                             ;   in Loop: Header=BB200_5 Depth=1
	s_or_b32 exec_lo, exec_lo, s18
	v_dual_mov_b32 v0, v68 :: v_dual_mov_b32 v1, v67
	v_dual_mov_b32 v2, v73 :: v_dual_mov_b32 v3, v72
	v_dual_mov_b32 v4, v71 :: v_dual_mov_b32 v5, v70
	v_mov_b32_e32 v6, v69
	s_mov_b32 s1, 12
	s_waitcnt lgkmcnt(0)
	s_barrier
	buffer_gl0_inv
.LBB200_20:                             ;   Parent Loop BB200_5 Depth=1
                                        ; =>  This Inner Loop Header: Depth=2
	s_delay_alu instid0(VALU_DEP_2)
	v_add_nc_u32_e32 v89, 0x1080, v2
	v_add_nc_u32_e32 v91, 0x1088, v2
	ds_load_b128 v[26:29], v1
	ds_load_b128 v[81:84], v1 offset:16
	ds_load_b32 v7, v0
	ds_load_2addr_b32 v[85:86], v2 offset1:1
	ds_load_b32 v101, v4
	ds_load_b32 v102, v3
	ds_load_2addr_b32 v[87:88], v2 offset0:2 offset1:3
	v_add_nc_u32_e32 v93, 0x2100, v2
	v_add_nc_u32_e32 v95, 0x2108, v2
	;; [unrolled: 1-line block ×4, first 2 shown]
	ds_load_b32 v103, v5
	ds_load_b32 v104, v6
	ds_load_2addr_b32 v[89:90], v89 offset1:1
	ds_load_2addr_b32 v[91:92], v91 offset1:1
	;; [unrolled: 1-line block ×6, first 2 shown]
	v_add_nc_u32_e32 v5, 4, v5
	v_add_nc_u32_e32 v3, 4, v3
	;; [unrolled: 1-line block ×4, first 2 shown]
	s_add_i32 s1, s1, 4
	s_delay_alu instid0(SALU_CYCLE_1)
	s_cmp_lt_u32 s1, 28
	s_waitcnt lgkmcnt(14)
	v_bfe_i32 v105, v26, 0, 8
	v_bfe_i32 v106, v26, 8, 8
	;; [unrolled: 1-line block ×3, first 2 shown]
	s_waitcnt lgkmcnt(11)
	v_and_b32_e32 v130, 15, v85
	v_ashrrev_i32_e32 v26, 24, v26
	v_bfe_i32 v108, v81, 0, 8
	v_bfe_i32 v109, v81, 8, 8
	v_bfe_i32 v111, v27, 0, 8
	v_bfe_i32 v112, v27, 8, 8
	v_bfe_i32 v113, v27, 16, 8
	v_ashrrev_i32_e32 v27, 24, v27
	v_bfe_i32 v114, v82, 0, 8
	v_bfe_i32 v115, v82, 8, 8
	v_bfe_i32 v117, v28, 0, 8
	v_bfe_i32 v118, v28, 8, 8
	v_bfe_i32 v119, v28, 16, 8
	;; [unrolled: 6-line block ×3, first 2 shown]
	v_ashrrev_i32_e32 v29, 24, v29
	v_bfe_i32 v126, v84, 0, 8
	v_bfe_i32 v127, v84, 8, 8
	v_bfe_u32 v134, v85, 4, 4
	v_mul_i32_i24_e32 v130, v130, v105
	s_waitcnt lgkmcnt(5)
	v_and_b32_e32 v158, 15, v89
	v_bfe_u32 v159, v89, 8, 4
	v_bfe_u32 v160, v89, 16, 4
	;; [unrolled: 1-line block ×4, first 2 shown]
	v_and_b32_e32 v165, 15, v90
	v_bfe_u32 v166, v90, 8, 4
	v_bfe_u32 v167, v90, 16, 4
	;; [unrolled: 1-line block ×5, first 2 shown]
	s_waitcnt lgkmcnt(4)
	v_and_b32_e32 v172, 15, v91
	v_bfe_u32 v173, v91, 8, 4
	v_bfe_u32 v174, v91, 16, 4
	;; [unrolled: 1-line block ×5, first 2 shown]
	v_and_b32_e32 v179, 15, v92
	v_bfe_u32 v180, v92, 8, 4
	v_bfe_u32 v181, v92, 16, 4
	;; [unrolled: 1-line block ×5, first 2 shown]
	s_waitcnt lgkmcnt(3)
	v_and_b32_e32 v186, 15, v93
	s_waitcnt lgkmcnt(1)
	v_and_b32_e32 v214, 15, v97
	v_bfe_i32 v110, v81, 16, 8
	v_ashrrev_i32_e32 v81, 24, v81
	v_bfe_i32 v116, v82, 16, 8
	v_ashrrev_i32_e32 v82, 24, v82
	v_bfe_u32 v129, v85, 20, 4
	v_bfe_u32 v131, v85, 8, 4
	;; [unrolled: 1-line block ×5, first 2 shown]
	v_lshrrev_b32_e32 v85, 28, v85
	v_bfe_u32 v136, v86, 20, 4
	v_and_b32_e32 v137, 15, v86
	v_bfe_u32 v138, v86, 8, 4
	v_bfe_u32 v139, v86, 16, 4
	;; [unrolled: 1-line block ×5, first 2 shown]
	v_lshrrev_b32_e32 v86, 28, v86
	v_and_b32_e32 v144, 15, v87
	v_bfe_u32 v145, v87, 8, 4
	v_bfe_u32 v157, v89, 20, 4
	;; [unrolled: 1-line block ×3, first 2 shown]
	v_lshrrev_b32_e32 v89, 28, v89
	v_bfe_u32 v164, v90, 20, 4
	v_lshrrev_b32_e32 v90, 28, v90
	v_bfe_u32 v185, v93, 20, 4
	v_bfe_u32 v187, v93, 8, 4
	;; [unrolled: 1-line block ×6, first 2 shown]
	v_lshrrev_b32_e32 v93, 28, v93
	v_bfe_u32 v192, v94, 20, 4
	v_and_b32_e32 v193, 15, v94
	v_bfe_u32 v194, v94, 8, 4
	v_bfe_u32 v195, v94, 16, 4
	;; [unrolled: 1-line block ×5, first 2 shown]
	v_lshrrev_b32_e32 v94, 28, v94
	v_and_b32_e32 v200, 15, v95
	v_bfe_u32 v201, v95, 8, 4
	v_bfe_u32 v213, v97, 20, 4
	;; [unrolled: 1-line block ×7, first 2 shown]
	v_lshrrev_b32_e32 v97, 28, v97
	v_bfe_u32 v220, v98, 20, 4
	v_and_b32_e32 v221, 15, v98
	v_bfe_u32 v222, v98, 8, 4
	v_bfe_u32 v223, v98, 16, 4
	;; [unrolled: 1-line block ×5, first 2 shown]
	v_lshrrev_b32_e32 v98, 28, v98
	s_waitcnt lgkmcnt(0)
	v_and_b32_e32 v228, 15, v99
	v_bfe_u32 v229, v99, 8, 4
	v_mad_i32_i24 v130, v134, v108, v130
	v_mul_i32_i24_e32 v134, v158, v105
	v_mul_i32_i24_e32 v158, v159, v106
	;; [unrolled: 1-line block ×25, first 2 shown]
	v_bfe_u32 v146, v87, 16, 4
	v_mul_i32_i24_e32 v85, v85, v81
	v_mul_i32_i24_e32 v137, v137, v111
	;; [unrolled: 1-line block ×10, first 2 shown]
	v_bfe_u32 v202, v95, 16, 4
	v_bfe_u32 v230, v99, 16, 4
	v_mul_i32_i24_e32 v89, v89, v81
	v_mul_i32_i24_e32 v164, v164, v116
	;; [unrolled: 1-line block ×28, first 2 shown]
	v_mad_i32_i24 v117, v162, v108, v134
	v_mad_i32_i24 v118, v190, v108, v184
	;; [unrolled: 1-line block ×3, first 2 shown]
	v_mul_i32_i24_e32 v131, v131, v106
	v_mul_i32_i24_e32 v146, v146, v119
	;; [unrolled: 1-line block ×5, first 2 shown]
	v_add3_u32 v119, v130, v137, v141
	v_add3_u32 v117, v117, v163, v168
	;; [unrolled: 1-line block ×4, first 2 shown]
	v_bfe_u32 v148, v87, 4, 4
	v_and_b32_e32 v151, 15, v88
	v_mul_i32_i24_e32 v132, v132, v107
	v_mul_i32_i24_e32 v133, v133, v26
	v_bfe_u32 v203, v95, 24, 4
	v_bfe_u32 v204, v95, 4, 4
	;; [unrolled: 1-line block ×3, first 2 shown]
	v_and_b32_e32 v207, 15, v96
	v_bfe_u32 v232, v99, 4, 4
	v_and_b32_e32 v235, 15, v100
	v_mul_i32_i24_e32 v107, v216, v107
	v_mul_i32_i24_e32 v26, v217, v26
	v_add3_u32 v113, v119, v144, v131
	v_add3_u32 v117, v117, v170, v158
	;; [unrolled: 1-line block ×4, first 2 shown]
	v_mul_i32_i24_e32 v148, v148, v120
	v_mul_i32_i24_e32 v151, v151, v123
	;; [unrolled: 1-line block ×8, first 2 shown]
	v_add3_u32 v106, v113, v132, v133
	v_add3_u32 v113, v117, v159, v160
	;; [unrolled: 1-line block ×4, first 2 shown]
	v_mul_i32_i24_e32 v135, v135, v109
	v_mul_i32_i24_e32 v129, v129, v110
	;; [unrolled: 1-line block ×6, first 2 shown]
	v_add3_u32 v97, v106, v148, v151
	v_add3_u32 v106, v113, v175, v177
	;; [unrolled: 1-line block ×4, first 2 shown]
	v_bfe_u32 v155, v88, 4, 4
	v_add3_u32 v97, v97, v135, v129
	v_add3_u32 v105, v106, v161, v157
	;; [unrolled: 1-line block ×4, first 2 shown]
	v_mul_i32_i24_e32 v140, v140, v27
	v_bfe_u32 v208, v96, 8, 4
	v_bfe_u32 v209, v96, 16, 4
	;; [unrolled: 1-line block ×5, first 2 shown]
	v_mul_i32_i24_e32 v27, v224, v27
	v_add3_u32 v85, v97, v85, v138
	v_add3_u32 v89, v105, v89, v165
	;; [unrolled: 1-line block ×4, first 2 shown]
	v_bfe_i32 v122, v83, 16, 8
	v_ashrrev_i32_e32 v83, 24, v83
	v_bfe_u32 v143, v87, 20, 4
	v_bfe_u32 v147, v87, 24, 4
	;; [unrolled: 1-line block ×3, first 2 shown]
	v_lshrrev_b32_e32 v87, 28, v87
	v_mul_i32_i24_e32 v155, v155, v126
	v_bfe_u32 v171, v91, 20, 4
	v_lshrrev_b32_e32 v91, 28, v91
	v_bfe_u32 v199, v95, 20, 4
	v_lshrrev_b32_e32 v95, 28, v95
	v_bfe_u32 v227, v99, 20, 4
	v_bfe_u32 v231, v99, 24, 4
	;; [unrolled: 1-line block ×3, first 2 shown]
	v_lshrrev_b32_e32 v99, 28, v99
	v_mul_i32_i24_e32 v207, v208, v124
	v_mul_i32_i24_e32 v208, v209, v125
	;; [unrolled: 1-line block ×5, first 2 shown]
	v_add3_u32 v85, v85, v139, v140
	v_add3_u32 v89, v89, v166, v167
	;; [unrolled: 1-line block ×4, first 2 shown]
	v_mul_i32_i24_e32 v87, v87, v83
	v_mul_i32_i24_e32 v91, v91, v83
	;; [unrolled: 1-line block ×4, first 2 shown]
	v_add3_u32 v83, v85, v155, v142
	v_add3_u32 v85, v89, v182, v169
	;; [unrolled: 1-line block ×4, first 2 shown]
	v_mul_i32_i24_e32 v147, v147, v28
	v_add3_u32 v83, v83, v136, v86
	v_add3_u32 v85, v85, v164, v90
	;; [unrolled: 1-line block ×4, first 2 shown]
	v_mul_i32_i24_e32 v149, v149, v121
	v_mul_i32_i24_e32 v28, v231, v28
	v_mul_i32_i24_e32 v98, v233, v121
	v_add3_u32 v83, v83, v145, v146
	v_add3_u32 v85, v85, v172, v173
	;; [unrolled: 1-line block ×4, first 2 shown]
	v_bfe_u32 v152, v88, 8, 4
	v_bfe_u32 v153, v88, 16, 4
	v_mul_i32_i24_e32 v143, v143, v122
	v_bfe_u32 v236, v100, 8, 4
	v_bfe_u32 v237, v100, 16, 4
	v_mul_i32_i24_e32 v171, v171, v122
	v_mul_i32_i24_e32 v199, v199, v122
	;; [unrolled: 1-line block ×3, first 2 shown]
	v_add3_u32 v83, v83, v147, v149
	v_add3_u32 v85, v85, v174, v176
	;; [unrolled: 1-line block ×4, first 2 shown]
	v_bfe_u32 v154, v88, 24, 4
	v_bfe_u32 v156, v88, 12, 4
	v_mul_i32_i24_e32 v152, v152, v124
	v_mul_i32_i24_e32 v153, v153, v125
	v_bfe_u32 v212, v96, 12, 4
	v_bfe_u32 v238, v100, 24, 4
	;; [unrolled: 1-line block ×3, first 2 shown]
	v_mul_i32_i24_e32 v81, v236, v124
	v_mul_i32_i24_e32 v82, v237, v125
	v_add3_u32 v83, v83, v143, v87
	v_add3_u32 v85, v85, v171, v91
	;; [unrolled: 1-line block ×4, first 2 shown]
	v_bfe_i32 v128, v84, 16, 8
	v_ashrrev_i32_e32 v84, 24, v84
	v_bfe_u32 v150, v88, 20, 4
	v_lshrrev_b32_e32 v88, 28, v88
	v_mul_i32_i24_e32 v154, v154, v29
	v_mul_i32_i24_e32 v156, v156, v127
	v_bfe_u32 v178, v92, 20, 4
	v_lshrrev_b32_e32 v92, 28, v92
	v_bfe_u32 v206, v96, 20, 4
	v_lshrrev_b32_e32 v96, 28, v96
	;; [unrolled: 2-line block ×3, first 2 shown]
	v_mul_i32_i24_e32 v211, v212, v127
	v_mul_i32_i24_e32 v29, v238, v29
	;; [unrolled: 1-line block ×3, first 2 shown]
	v_add3_u32 v83, v83, v152, v153
	v_add3_u32 v85, v85, v179, v180
	;; [unrolled: 1-line block ×4, first 2 shown]
	v_mul_i32_i24_e32 v150, v150, v128
	v_mul_i32_i24_e32 v88, v88, v84
	;; [unrolled: 1-line block ×8, first 2 shown]
	v_add3_u32 v82, v83, v154, v156
	v_add3_u32 v83, v85, v181, v183
	;; [unrolled: 1-line block ×4, first 2 shown]
	v_pk_mul_f16 v102, v7, v102
	v_add3_u32 v29, v82, v150, v88
	v_add3_u32 v82, v83, v178, v92
	;; [unrolled: 1-line block ×4, first 2 shown]
	v_pk_mul_f16 v101, v7, v101
	v_pk_mul_f16 v28, v7, v103
	v_pk_mul_f16 v7, v7, v104
	v_cvt_f32_i32_e32 v27, v29
	v_cvt_f32_i32_e32 v29, v82
	;; [unrolled: 1-line block ×4, first 2 shown]
	s_delay_alu instid0(VALU_DEP_4) | instskip(NEXT) | instid1(VALU_DEP_4)
	v_fma_mix_f32 v27, v102, v27, v102 op_sel:[0,0,1] op_sel_hi:[1,0,1]
	v_fma_mix_f32 v29, v101, v29, v101 op_sel:[0,0,1] op_sel_hi:[1,0,1]
	s_delay_alu instid0(VALU_DEP_4) | instskip(NEXT) | instid1(VALU_DEP_4)
	v_fma_mix_f32 v28, v28, v81, v28 op_sel:[0,0,1] op_sel_hi:[1,0,1]
	v_fma_mix_f32 v7, v7, v26, v7 op_sel:[0,0,1] op_sel_hi:[1,0,1]
	s_delay_alu instid0(VALU_DEP_4) | instskip(NEXT) | instid1(VALU_DEP_4)
	v_dual_add_f32 v33, v33, v27 :: v_dual_add_nc_u32 v6, 4, v6
	v_dual_add_f32 v77, v77, v29 :: v_dual_add_nc_u32 v4, 4, v4
	s_delay_alu instid0(VALU_DEP_3)
	v_dual_add_f32 v79, v79, v7 :: v_dual_add_nc_u32 v2, 16, v2
	v_add_f32_e32 v78, v78, v28
	s_cbranch_scc1 .LBB200_20
; %bb.21:                               ;   in Loop: Header=BB200_5 Depth=1
	s_barrier
	buffer_gl0_inv
	s_branch .LBB200_4
.LBB200_22:
	v_cvt_f16_f32_e32 v5, v33
	v_cvt_f16_f32_e32 v4, v77
	;; [unrolled: 1-line block ×4, first 2 shown]
.LBB200_23:
	s_mul_i32 s0, s10, s7
	s_waitcnt vmcnt(0)
	v_cmp_gt_i32_e32 vcc_lo, s0, v30
	s_and_saveexec_b32 s0, vcc_lo
	s_cbranch_execz .LBB200_32
; %bb.24:
	v_mul_lo_u32 v1, v30, s9
	v_add_nc_u32_e32 v3, s11, v31
	s_mov_b32 s0, exec_lo
	s_delay_alu instid0(VALU_DEP_1)
	v_cmpx_gt_u32_e64 s9, v3
	s_cbranch_execz .LBB200_26
; %bb.25:
	s_delay_alu instid0(VALU_DEP_3) | instskip(NEXT) | instid1(VALU_DEP_1)
	v_dual_mov_b32 v7, 0 :: v_dual_add_nc_u32 v6, v1, v3
	v_lshlrev_b64 v[6:7], 1, v[6:7]
	s_delay_alu instid0(VALU_DEP_1) | instskip(NEXT) | instid1(VALU_DEP_2)
	v_add_co_u32 v6, vcc_lo, s12, v6
	v_add_co_ci_u32_e32 v7, vcc_lo, s13, v7, vcc_lo
	global_store_b16 v[6:7], v5, off
.LBB200_26:
	s_or_b32 exec_lo, exec_lo, s0
	v_add_nc_u32_e32 v5, 32, v3
	s_mov_b32 s0, exec_lo
	s_delay_alu instid0(VALU_DEP_1)
	v_cmpx_gt_u32_e64 s9, v5
	s_cbranch_execz .LBB200_28
; %bb.27:
	v_dual_mov_b32 v6, 0 :: v_dual_add_nc_u32 v5, v1, v5
	s_delay_alu instid0(VALU_DEP_1) | instskip(NEXT) | instid1(VALU_DEP_1)
	v_lshlrev_b64 v[5:6], 1, v[5:6]
	v_add_co_u32 v5, vcc_lo, s12, v5
	s_delay_alu instid0(VALU_DEP_2)
	v_add_co_ci_u32_e32 v6, vcc_lo, s13, v6, vcc_lo
	global_store_b16 v[5:6], v4, off
.LBB200_28:
	s_or_b32 exec_lo, exec_lo, s0
	v_add_nc_u32_e32 v4, 64, v3
	s_mov_b32 s0, exec_lo
	s_delay_alu instid0(VALU_DEP_1)
	v_cmpx_gt_u32_e64 s9, v4
	s_cbranch_execz .LBB200_30
; %bb.29:
	v_dual_mov_b32 v5, 0 :: v_dual_add_nc_u32 v4, v1, v4
	s_delay_alu instid0(VALU_DEP_1) | instskip(NEXT) | instid1(VALU_DEP_1)
	v_lshlrev_b64 v[4:5], 1, v[4:5]
	v_add_co_u32 v4, vcc_lo, s12, v4
	s_delay_alu instid0(VALU_DEP_2)
	v_add_co_ci_u32_e32 v5, vcc_lo, s13, v5, vcc_lo
	global_store_b16 v[4:5], v0, off
.LBB200_30:
	s_or_b32 exec_lo, exec_lo, s0
	v_add_nc_u32_e32 v0, 0x60, v3
	s_delay_alu instid0(VALU_DEP_1)
	v_cmp_gt_u32_e32 vcc_lo, s9, v0
	s_and_b32 exec_lo, exec_lo, vcc_lo
	s_cbranch_execz .LBB200_32
; %bb.31:
	v_dual_mov_b32 v1, 0 :: v_dual_add_nc_u32 v0, v1, v0
	s_delay_alu instid0(VALU_DEP_1) | instskip(NEXT) | instid1(VALU_DEP_1)
	v_lshlrev_b64 v[0:1], 1, v[0:1]
	v_add_co_u32 v0, vcc_lo, s12, v0
	s_delay_alu instid0(VALU_DEP_2)
	v_add_co_ci_u32_e32 v1, vcc_lo, s13, v1, vcc_lo
	global_store_b16 v[0:1], v2, off
.LBB200_32:
	s_nop 0
	s_sendmsg sendmsg(MSG_DEALLOC_VGPRS)
	s_endpgm
	.section	.rodata,"a",@progbits
	.p2align	6, 0x0
	.amdhsa_kernel _ZL8moe_q4_1IN3c104HalfELb1EEvPKvS3_PT_PKiS7_S7_iiiiiii
		.amdhsa_group_segment_fixed_size 22272
		.amdhsa_private_segment_fixed_size 0
		.amdhsa_kernarg_size 76
		.amdhsa_user_sgpr_count 14
		.amdhsa_user_sgpr_dispatch_ptr 0
		.amdhsa_user_sgpr_queue_ptr 0
		.amdhsa_user_sgpr_kernarg_segment_ptr 1
		.amdhsa_user_sgpr_dispatch_id 0
		.amdhsa_user_sgpr_private_segment_size 0
		.amdhsa_wavefront_size32 1
		.amdhsa_uses_dynamic_stack 0
		.amdhsa_enable_private_segment 0
		.amdhsa_system_sgpr_workgroup_id_x 1
		.amdhsa_system_sgpr_workgroup_id_y 1
		.amdhsa_system_sgpr_workgroup_id_z 0
		.amdhsa_system_sgpr_workgroup_info 0
		.amdhsa_system_vgpr_workitem_id 1
		.amdhsa_next_free_vgpr 241
		.amdhsa_next_free_sgpr 20
		.amdhsa_reserve_vcc 1
		.amdhsa_float_round_mode_32 0
		.amdhsa_float_round_mode_16_64 0
		.amdhsa_float_denorm_mode_32 3
		.amdhsa_float_denorm_mode_16_64 3
		.amdhsa_dx10_clamp 1
		.amdhsa_ieee_mode 1
		.amdhsa_fp16_overflow 0
		.amdhsa_workgroup_processor_mode 1
		.amdhsa_memory_ordered 1
		.amdhsa_forward_progress 0
		.amdhsa_shared_vgpr_count 0
		.amdhsa_exception_fp_ieee_invalid_op 0
		.amdhsa_exception_fp_denorm_src 0
		.amdhsa_exception_fp_ieee_div_zero 0
		.amdhsa_exception_fp_ieee_overflow 0
		.amdhsa_exception_fp_ieee_underflow 0
		.amdhsa_exception_fp_ieee_inexact 0
		.amdhsa_exception_int_div_zero 0
	.end_amdhsa_kernel
	.section	.text._ZL8moe_q4_1IN3c104HalfELb1EEvPKvS3_PT_PKiS7_S7_iiiiiii,"axG",@progbits,_ZL8moe_q4_1IN3c104HalfELb1EEvPKvS3_PT_PKiS7_S7_iiiiiii,comdat
.Lfunc_end200:
	.size	_ZL8moe_q4_1IN3c104HalfELb1EEvPKvS3_PT_PKiS7_S7_iiiiiii, .Lfunc_end200-_ZL8moe_q4_1IN3c104HalfELb1EEvPKvS3_PT_PKiS7_S7_iiiiiii
                                        ; -- End function
	.section	.AMDGPU.csdata,"",@progbits
; Kernel info:
; codeLenInByte = 7920
; NumSgprs: 22
; NumVgprs: 241
; ScratchSize: 0
; MemoryBound: 0
; FloatMode: 240
; IeeeMode: 1
; LDSByteSize: 22272 bytes/workgroup (compile time only)
; SGPRBlocks: 2
; VGPRBlocks: 30
; NumSGPRsForWavesPerEU: 22
; NumVGPRsForWavesPerEU: 241
; Occupancy: 5
; WaveLimiterHint : 1
; COMPUTE_PGM_RSRC2:SCRATCH_EN: 0
; COMPUTE_PGM_RSRC2:USER_SGPR: 14
; COMPUTE_PGM_RSRC2:TRAP_HANDLER: 0
; COMPUTE_PGM_RSRC2:TGID_X_EN: 1
; COMPUTE_PGM_RSRC2:TGID_Y_EN: 1
; COMPUTE_PGM_RSRC2:TGID_Z_EN: 0
; COMPUTE_PGM_RSRC2:TIDIG_COMP_CNT: 1
	.section	.text._ZL8moe_q5_0IN3c104HalfELb0EEvPKvS3_PT_PKiS7_S7_iiiiiii,"axG",@progbits,_ZL8moe_q5_0IN3c104HalfELb0EEvPKvS3_PT_PKiS7_S7_iiiiiii,comdat
	.globl	_ZL8moe_q5_0IN3c104HalfELb0EEvPKvS3_PT_PKiS7_S7_iiiiiii ; -- Begin function _ZL8moe_q5_0IN3c104HalfELb0EEvPKvS3_PT_PKiS7_S7_iiiiiii
	.p2align	8
	.type	_ZL8moe_q5_0IN3c104HalfELb0EEvPKvS3_PT_PKiS7_S7_iiiiiii,@function
_ZL8moe_q5_0IN3c104HalfELb0EEvPKvS3_PT_PKiS7_S7_iiiiiii: ; @_ZL8moe_q5_0IN3c104HalfELb0EEvPKvS3_PT_PKiS7_S7_iiiiiii
; %bb.0:
	s_load_b128 s[4:7], s[0:1], 0x18
	s_mov_b32 s2, s15
	s_mov_b32 s3, 0
	s_delay_alu instid0(SALU_CYCLE_1)
	s_lshl_b64 s[8:9], s[2:3], 2
	s_waitcnt lgkmcnt(0)
	s_add_u32 s6, s6, s8
	s_addc_u32 s7, s7, s9
	s_load_b32 s12, s[6:7], 0x0
	s_waitcnt lgkmcnt(0)
	s_cmpk_gt_u32 s12, 0xff
	s_cbranch_scc1 .LBB201_32
; %bb.1:
	s_load_b64 s[6:7], s[0:1], 0x28
	s_lshl_b32 s2, s2, 3
	s_waitcnt lgkmcnt(0)
	s_load_b32 s3, s[6:7], 0x0
	s_waitcnt lgkmcnt(0)
	s_cmp_gt_u32 s2, s3
	s_cbranch_scc1 .LBB201_32
; %bb.2:
	v_bfe_u32 v3, v0, 10, 10
	v_mov_b32_e32 v2, 0
	s_lshl_b32 s16, s14, 7
	s_mov_b32 s17, 0
	s_delay_alu instid0(VALU_DEP_1) | instskip(SKIP_1) | instid1(VALU_DEP_2)
	v_dual_mov_b32 v6, v2 :: v_dual_add_nc_u32 v1, s2, v3
	v_mov_b32_e32 v7, v2
	v_lshlrev_b64 v[4:5], 2, v[1:2]
	s_delay_alu instid0(VALU_DEP_1) | instskip(NEXT) | instid1(VALU_DEP_2)
	v_add_co_u32 v4, vcc_lo, s4, v4
	v_add_co_ci_u32_e32 v5, vcc_lo, s5, v5, vcc_lo
	global_load_b32 v4, v[4:5], off
	s_clause 0x2
	s_load_b64 s[10:11], s[0:1], 0x30
	s_load_b64 s[8:9], s[0:1], 0x10
	s_load_b128 s[4:7], s[0:1], 0x3c
	v_dual_mov_b32 v0, v2 :: v_dual_and_b32 v5, 0x3ff, v0
	s_waitcnt lgkmcnt(0)
	s_cmp_lt_i32 s11, 32
	s_cbranch_scc1 .LBB201_23
; %bb.3:
	s_load_b128 s[0:3], s[0:1], 0x0
	s_ashr_i32 s13, s11, 31
	s_ashr_i32 s14, s5, 31
	s_mul_i32 s12, s12, s10
	s_lshr_b32 s10, s13, 27
	s_lshr_b32 s13, s14, 27
	s_add_i32 s15, s11, s10
	s_add_i32 s10, s5, s13
	s_ashr_i32 s5, s15, 5
	s_ashr_i32 s14, s12, 31
	s_mul_i32 s13, s5, s16
	s_ashr_i32 s10, s10, 5
	s_mul_hi_i32 s19, s13, 22
	s_mul_i32 s13, s13, 22
	v_dual_mov_b32 v6, 0 :: v_dual_lshlrev_b32 v1, 3, v5
	v_mul_lo_u32 v8, s5, v3
	v_lshlrev_b32_e32 v2, 2, v3
	v_lshrrev_b32_e32 v11, 3, v5
	v_and_b32_e32 v9, 7, v5
	s_waitcnt lgkmcnt(0)
	s_add_u32 s0, s0, s12
	s_addc_u32 s1, s1, s14
	s_add_u32 s18, s0, s13
	s_addc_u32 s19, s1, s19
	s_abs_i32 s1, s7
	v_mad_u32_u24 v14, 0x104, v3, v1
	v_cvt_f32_u32_e32 v15, s1
	s_lshl_b32 s0, s5, 3
	v_add_nc_u32_e32 v39, v11, v2
	s_sub_i32 s12, 0, s1
	v_lshlrev_b32_e32 v45, 2, v9
	v_rcp_iflag_f32_e32 v1, v15
	v_add_nc_u32_e32 v10, s0, v8
	v_add_nc_u32_e32 v42, 32, v39
	;; [unrolled: 1-line block ×3, first 2 shown]
	v_and_b32_e32 v41, 0x1ffc, v39
	s_waitcnt vmcnt(0)
	v_sub_nc_u32_e32 v16, 0, v4
	v_lshlrev_b32_e32 v64, 5, v39
	v_and_b32_e32 v47, 0x3ffc, v42
	v_and_b32_e32 v48, 0x3ffc, v43
	v_add3_u32 v65, v41, v45, 0x8200
	v_dual_mul_f32 v1, 0x4f7ffffe, v1 :: v_dual_add_nc_u32 v12, s0, v10
	v_lshlrev_b32_e32 v66, 5, v42
	v_lshlrev_b32_e32 v67, 5, v43
	v_add3_u32 v69, v47, v45, 0x8200
	s_delay_alu instid0(VALU_DEP_4)
	v_cvt_u32_f32_e32 v1, v1
	v_add3_u32 v70, v48, v45, 0x8200
	v_max_i32_e32 v46, v4, v16
	v_add_nc_u32_e32 v64, v65, v64
	v_add_nc_u32_e32 v65, v69, v66
	v_mul_lo_u32 v36, s12, v1
	v_dual_mov_b32 v67, 0 :: v_dual_add_nc_u32 v66, v70, v67
	v_add_nc_u32_e32 v15, s0, v12
	v_add_nc_u32_e32 v44, 0x60, v39
	v_lshlrev_b32_e32 v57, 7, v3
	v_add_nc_u32_e32 v52, 64, v5
	v_add_nc_u32_e32 v54, 0x60, v5
	v_mul_hi_u32 v40, v1, v36
	v_add_nc_u32_e32 v17, s0, v15
	v_and_b32_e32 v49, 0x3ffc, v44
	v_mul_lo_u32 v36, s5, v39
	s_and_not1_b32 s15, s15, 31
	v_lshlrev_b32_e32 v55, 5, v5
	v_add_nc_u32_e32 v21, s0, v17
	v_add3_u32 v71, v49, v45, 0x8200
	v_add_nc_u32_e32 v1, v1, v40
	v_and_b32_e32 v49, 31, v5
	v_and_b32_e32 v54, 0x1fc, v54
	v_add_nc_u32_e32 v25, s0, v21
	v_add_nc_u32_e32 v41, s15, v36
	v_mul_hi_u32 v1, v46, v1
	v_lshl_or_b32 v49, v49, 2, v57
	v_and_b32_e32 v52, 0x1fc, v52
	v_add_nc_u32_e32 v28, s0, v25
	v_and_b32_e32 v56, 0xfc, v5
	v_lshlrev_b32_e32 v68, 5, v44
	v_add_nc_u32_e32 v43, s15, v41
	v_add_nc_u32_e32 v59, v55, v54
	v_mul_lo_u32 v50, v1, s1
	v_add_nc_u32_e32 v48, 1, v1
	v_add_nc_u32_e32 v33, s0, v28
	;; [unrolled: 1-line block ×4, first 2 shown]
	v_lshrrev_b32_e32 v7, 2, v5
	v_dual_mov_b32 v69, 0 :: v_dual_add_nc_u32 v16, 0x820, v14
	v_sub_nc_u32_e32 v47, v46, v50
	v_add_nc_u32_e32 v37, s0, v33
	v_add_nc_u32_e32 v18, 0x1040, v14
	;; [unrolled: 1-line block ×4, first 2 shown]
	v_subrev_nc_u32_e32 v50, s1, v47
	v_cmp_le_u32_e32 vcc_lo, s1, v47
	v_lshlrev_b32_e32 v0, 2, v5
	v_add_nc_u32_e32 v38, s0, v37
	v_add_nc_u32_e32 v22, 0x28a0, v14
	;; [unrolled: 1-line block ×3, first 2 shown]
	v_cndmask_b32_e32 v1, v1, v48, vcc_lo
	v_cndmask_b32_e32 v47, v47, v50, vcc_lo
	v_xor_b32_e32 v48, s7, v4
	v_add_nc_u32_e32 v39, s0, v38
	v_or_b32_e32 v2, v2, v5
	v_add_nc_u32_e32 v50, 1, v1
	v_cmp_le_u32_e32 vcc_lo, s1, v47
	v_ashrrev_i32_e32 v51, 31, v48
	v_add_nc_u32_e32 v47, 0x9280, v49
	v_add_nc_u32_e32 v40, s0, v39
	v_dual_cndmask_b32 v48, v1, v50 :: v_dual_and_b32 v13, 12, v0
	v_and_b32_e32 v0, 28, v0
	s_movk_i32 s1, 0x80
	s_delay_alu instid0(VALU_DEP_3)
	v_add_nc_u32_e32 v42, s0, v40
	v_add_nc_u32_e32 v24, 0x38e0, v14
	v_xor_b32_e32 v49, v48, v51
	v_lshl_add_u32 v48, v2, 2, 0x9680
	v_add_nc_u32_e32 v2, 32, v5
	v_add_nc_u32_e32 v44, s0, v42
	;; [unrolled: 1-line block ×3, first 2 shown]
	v_sub_nc_u32_e32 v53, v49, v51
	v_add_nc_u32_e32 v27, 0x4920, v14
	v_lshrrev_b32_e32 v50, 3, v2
	v_and_b32_e32 v2, 0x1fc, v2
	v_add_nc_u32_e32 v46, s0, v44
	v_mul_lo_u32 v51, v53, s10
	v_add_co_u32 v0, s0, s2, v0
	s_delay_alu instid0(VALU_DEP_4)
	v_add_nc_u32_e32 v2, v55, v2
	v_add_nc_u32_e32 v29, 0x5140, v14
	;; [unrolled: 1-line block ×8, first 2 shown]
	v_add_co_ci_u32_e64 v1, null, s3, 0, s0
	v_cmp_gt_u32_e32 vcc_lo, 4, v5
	v_mul_u32_u24_e32 v49, 0x104, v5
	v_cmp_gt_i32_e64 s0, s4, v53
	v_ashrrev_i32_e32 v52, 31, v51
	v_add_nc_u32_e32 v53, 0x8e00, v59
	v_add_nc_u32_e32 v54, 0x8a00, v60
	;; [unrolled: 1-line block ×5, first 2 shown]
	v_lshl_add_u32 v58, v3, 4, 0x9680
	v_add_nc_u32_e32 v59, 0x8e10, v59
	v_add_nc_u32_e32 v60, 0x8a10, v60
	;; [unrolled: 1-line block ×4, first 2 shown]
	v_mad_u32_u24 v63, 0x104, v5, s1
	v_add_nc_u32_e32 v70, v71, v68
	v_mov_b32_e32 v68, 0
	s_add_u32 s12, s2, 0x90
	s_addc_u32 s13, s3, 0
	s_branch .LBB201_5
.LBB201_4:                              ;   in Loop: Header=BB201_5 Depth=1
	s_add_i32 s17, s17, 8
	s_delay_alu instid0(SALU_CYCLE_1)
	s_cmp_ge_i32 s17, s5
	s_cbranch_scc1 .LBB201_22
.LBB201_5:                              ; =>This Loop Header: Depth=1
                                        ;     Child Loop BB201_12 Depth 2
                                        ;     Child Loop BB201_20 Depth 2
	s_mul_i32 s1, s17, 22
	s_mul_hi_u32 s15, s17, 22
	s_add_u32 s14, s18, s1
	s_addc_u32 s15, s19, s15
	s_delay_alu instid0(SALU_CYCLE_1) | instskip(NEXT) | instid1(VALU_DEP_1)
	v_mad_u64_u32 v[2:3], null, v7, 22, s[14:15]
	v_mad_u64_u32 v[71:72], null, v8, 22, v[2:3]
	;; [unrolled: 1-line block ×7, first 2 shown]
	v_add_co_u32 v83, s1, v71, v13
	s_delay_alu instid0(VALU_DEP_1)
	v_add_co_ci_u32_e64 v84, s1, 0, v72, s1
	s_clause 0x5
	global_load_b32 v89, v[71:72], off offset:2
	global_load_b32 v90, v[73:74], off offset:2
	;; [unrolled: 1-line block ×7, first 2 shown]
	v_add_co_u32 v71, s1, v73, v13
	s_delay_alu instid0(VALU_DEP_1) | instskip(SKIP_3) | instid1(VALU_DEP_1)
	v_add_co_ci_u32_e64 v72, s1, 0, v74, s1
	v_mad_u64_u32 v[73:74], null, v28, 22, v[2:3]
	global_load_b32 v96, v[71:72], off offset:6
	v_add_co_u32 v71, s1, v75, v13
	v_add_co_ci_u32_e64 v72, s1, 0, v76, s1
	v_mad_u64_u32 v[75:76], null, v33, 22, v[2:3]
	global_load_b32 v102, v[73:74], off offset:2
	global_load_b32 v97, v[71:72], off offset:6
	v_add_co_u32 v71, s1, v77, v13
	s_delay_alu instid0(VALU_DEP_1) | instskip(SKIP_3) | instid1(VALU_DEP_1)
	v_add_co_ci_u32_e64 v72, s1, 0, v78, s1
	v_mad_u64_u32 v[77:78], null, v37, 22, v[2:3]
	global_load_b32 v98, v[71:72], off offset:6
	v_add_co_u32 v71, s1, v79, v13
	v_add_co_ci_u32_e64 v72, s1, 0, v80, s1
	v_mad_u64_u32 v[79:80], null, v38, 22, v[2:3]
	global_load_b32 v99, v[71:72], off offset:6
	v_add_co_u32 v71, s1, v81, v13
	s_delay_alu instid0(VALU_DEP_1) | instskip(SKIP_2) | instid1(VALU_DEP_1)
	v_add_co_ci_u32_e64 v72, s1, 0, v82, s1
	global_load_b32 v100, v[71:72], off offset:6
	v_mad_u64_u32 v[71:72], null, v25, 22, v[2:3]
	v_add_co_u32 v81, s1, v71, v13
	global_load_b32 v101, v[71:72], off offset:2
	v_add_co_ci_u32_e64 v82, s1, 0, v72, s1
	v_add_co_u32 v83, s1, v73, v13
	s_delay_alu instid0(VALU_DEP_1) | instskip(SKIP_1) | instid1(VALU_DEP_1)
	v_add_co_ci_u32_e64 v84, s1, 0, v74, s1
	v_add_co_u32 v85, s1, v75, v13
	v_add_co_ci_u32_e64 v86, s1, 0, v76, s1
	v_add_co_u32 v87, s1, v77, v13
	s_delay_alu instid0(VALU_DEP_1) | instskip(SKIP_4) | instid1(VALU_DEP_1)
	v_add_co_ci_u32_e64 v88, s1, 0, v78, s1
	s_clause 0x1
	global_load_b32 v76, v[75:76], off offset:2
	global_load_b32 v74, v[77:78], off offset:2
	v_add_co_u32 v77, s1, v79, v13
	v_add_co_ci_u32_e64 v78, s1, 0, v80, s1
	global_load_b32 v72, v[79:80], off offset:2
	s_clause 0x4
	global_load_b32 v82, v[81:82], off offset:6
	global_load_b32 v81, v[83:84], off offset:6
	;; [unrolled: 1-line block ×5, first 2 shown]
	s_waitcnt vmcnt(21)
	v_ashrrev_i32_e32 v77, v13, v89
	s_waitcnt vmcnt(20)
	v_ashrrev_i32_e32 v78, v13, v90
	s_waitcnt vmcnt(19)
	v_ashrrev_i32_e32 v79, v13, v91
	s_waitcnt vmcnt(18)
	v_ashrrev_i32_e32 v80, v13, v92
	s_waitcnt vmcnt(17)
	v_ashrrev_i32_e32 v83, v13, v93
	s_waitcnt vmcnt(16)
	v_ashrrev_i32_e32 v84, v13, v94
	s_waitcnt vmcnt(15)
	v_and_b32_e32 v85, 0xf0f0f0f, v95
	v_lshlrev_b32_e32 v86, 4, v77
	v_lshlrev_b32_e32 v87, 11, v77
	;; [unrolled: 1-line block ×4, first 2 shown]
	v_lshrrev_b32_e32 v90, 4, v95
	v_lshrrev_b32_e32 v91, 12, v77
	;; [unrolled: 1-line block ×3, first 2 shown]
	v_lshlrev_b32_e32 v93, 2, v77
	v_lshlrev_b32_e32 v95, 4, v78
	;; [unrolled: 1-line block ×5, first 2 shown]
	v_lshrrev_b32_e32 v106, 12, v78
	v_lshrrev_b32_e32 v107, 5, v78
	v_lshlrev_b32_e32 v108, 2, v78
	v_lshlrev_b32_e32 v77, 9, v77
	s_waitcnt vmcnt(14)
	v_and_b32_e32 v94, 0xf0f0f0f, v96
	v_lshrrev_b32_e32 v96, 4, v96
	v_lshlrev_b32_e32 v78, 9, v78
	v_lshlrev_b32_e32 v110, 4, v79
	;; [unrolled: 1-line block ×5, first 2 shown]
	v_lshrrev_b32_e32 v114, 12, v79
	v_lshrrev_b32_e32 v115, 5, v79
	v_lshlrev_b32_e32 v116, 2, v79
	v_lshrrev_b32_e32 v122, 12, v80
	v_lshrrev_b32_e32 v123, 5, v80
	v_lshlrev_b32_e32 v124, 2, v80
	v_lshlrev_b32_e32 v126, 4, v83
	;; [unrolled: 1-line block ×3, first 2 shown]
	v_lshrrev_b32_e32 v130, 12, v83
	v_lshrrev_b32_e32 v131, 5, v83
	v_lshlrev_b32_e32 v132, 2, v83
	v_lshlrev_b32_e32 v136, 18, v84
	v_lshlrev_b32_e32 v137, 25, v84
	v_and_b32_e32 v86, 16, v86
	v_and_b32_e32 v87, 0x1000, v87
	;; [unrolled: 1-line block ×14, first 2 shown]
	s_waitcnt vmcnt(12)
	v_and_b32_e32 v109, 0xf0f0f0f, v97
	v_lshrrev_b32_e32 v97, 4, v97
	v_lshlrev_b32_e32 v79, 9, v79
	s_waitcnt vmcnt(11)
	v_and_b32_e32 v117, 0xf0f0f0f, v98
	v_lshlrev_b32_e32 v118, 4, v80
	v_lshlrev_b32_e32 v119, 11, v80
	;; [unrolled: 1-line block ×4, first 2 shown]
	v_lshrrev_b32_e32 v98, 4, v98
	v_lshlrev_b32_e32 v80, 9, v80
	s_waitcnt vmcnt(10)
	v_and_b32_e32 v125, 0xf0f0f0f, v99
	v_lshlrev_b32_e32 v128, 18, v83
	v_lshlrev_b32_e32 v129, 25, v83
	v_lshrrev_b32_e32 v99, 4, v99
	v_lshlrev_b32_e32 v83, 9, v83
	s_waitcnt vmcnt(9)
	v_and_b32_e32 v133, 0xf0f0f0f, v100
	v_and_b32_e32 v90, 0xf0f0f0f, v90
	;; [unrolled: 1-line block ×22, first 2 shown]
	v_or3_b32 v86, v86, v85, v87
	v_or3_b32 v85, v85, v88, v89
	;; [unrolled: 1-line block ×6, first 2 shown]
	v_and_b32_e32 v97, 0xf0f0f0f, v97
	v_and_b32_e32 v79, 0x10000000, v79
	;; [unrolled: 1-line block ×10, first 2 shown]
	v_or3_b32 v92, v110, v109, v111
	v_or3_b32 v93, v109, v112, v113
	;; [unrolled: 1-line block ×8, first 2 shown]
	v_lshrrev_b32_e32 v87, 16, v89
	v_and_b32_e32 v89, 0x1f00, v88
	v_lshlrev_b16 v88, 8, v88
	v_or3_b32 v78, v91, v78, v96
	v_or3_b32 v103, v117, v120, v121
	;; [unrolled: 1-line block ×3, first 2 shown]
	v_lshrrev_b32_e32 v85, 16, v85
	v_lshrrev_b32_e32 v90, 16, v93
	v_and_b32_e32 v91, 0x1f00, v92
	v_lshlrev_b16 v92, 8, v92
	v_or3_b32 v79, v94, v79, v97
	v_or3_b32 v80, v104, v80, v98
	v_and_b32_e32 v97, 0x1f00, v105
	v_lshlrev_b16 v98, 8, v105
	v_or3_b32 v83, v107, v83, v99
	v_lshrrev_b32_e32 v99, 16, v109
	v_lshrrev_b32_e32 v104, 16, v77
	v_and_b32_e32 v105, 0x1f00, v77
	v_lshlrev_b16 v77, 8, v77
	v_add_nc_u16 v88, v88, 0xf000
	v_lshrrev_b32_e32 v107, 16, v78
	v_and_b32_e32 v109, 0x1f00, v78
	v_lshlrev_b16 v78, 8, v78
	v_and_b32_e32 v118, 16, v118
	v_and_b32_e32 v119, 0x1000, v119
	;; [unrolled: 1-line block ×3, first 2 shown]
	v_lshlrev_b16 v86, 8, v86
	v_lshrrev_b32_e32 v93, 16, v103
	v_lshrrev_b32_e32 v96, 16, v106
	v_and_b32_e32 v103, 0x1f00, v85
	v_lshlrev_b16 v85, 8, v85
	v_and_b32_e32 v106, 0x1f00, v87
	v_lshlrev_b16 v87, 8, v87
	v_add_nc_u16 v92, v92, 0xf000
	v_and_b32_e32 v111, 0x1f00, v90
	v_lshlrev_b16 v90, 8, v90
	v_lshrrev_b32_e32 v112, 16, v79
	v_and_b32_e32 v113, 0x1f00, v79
	v_lshlrev_b16 v79, 8, v79
	v_add_nc_i16 v77, v77, 0xf000 clamp
	v_lshrrev_b16 v88, 8, v88
	v_add_nc_i16 v78, v78, 0xf000 clamp
	v_and_b32_e32 v121, 0xffffff00, v107
	v_lshlrev_b16 v107, 8, v107
	v_or3_b32 v95, v118, v117, v119
	v_add_nc_u16 v86, v86, 0xf000
	v_add_nc_u16 v85, v85, 0xf000
	;; [unrolled: 1-line block ×3, first 2 shown]
	v_lshrrev_b16 v92, 8, v92
	v_add_nc_u16 v90, v90, 0xf000
	v_add_nc_i16 v79, v79, 0xf000 clamp
	v_and_b32_e32 v122, 0xffffff00, v112
	v_lshlrev_b16 v112, 8, v112
	v_lshrrev_b16 v77, 8, v77
	v_or_b32_e32 v88, v89, v88
	v_lshrrev_b16 v78, 8, v78
	v_add_nc_i16 v89, v121, 0xf000 clamp
	v_add_nc_i16 v107, v107, 0xf000 clamp
	v_and_b32_e32 v94, 0x1f00, v95
	v_lshlrev_b16 v95, 8, v95
	v_and_b32_e32 v114, 0x1f00, v93
	v_lshlrev_b16 v93, 8, v93
	v_lshrrev_b16 v86, 8, v86
	v_lshrrev_b16 v85, 8, v85
	;; [unrolled: 1-line block ×3, first 2 shown]
	v_or_b32_e32 v91, v91, v92
	v_lshrrev_b16 v90, 8, v90
	v_lshrrev_b16 v79, 8, v79
	v_add_nc_i16 v92, v122, 0xf000 clamp
	v_add_nc_i16 v112, v112, 0xf000 clamp
	v_or_b32_e32 v77, v105, v77
	v_or_b32_e32 v78, v109, v78
	v_and_b32_e32 v89, 0xffffff00, v89
	v_lshrrev_b16 v105, 8, v107
	v_add_nc_u16 v95, v95, 0xf000
	v_lshrrev_b32_e32 v115, 16, v80
	v_and_b32_e32 v116, 0x1f00, v80
	v_lshlrev_b16 v80, 8, v80
	v_lshlrev_b32_e32 v134, 4, v84
	v_lshlrev_b32_e32 v135, 11, v84
	v_add_nc_u16 v98, v98, 0xf000
	v_and_b32_e32 v117, 0x1f00, v96
	v_lshlrev_b16 v96, 8, v96
	v_lshrrev_b32_e32 v118, 16, v83
	v_and_b32_e32 v119, 0x1f00, v83
	v_lshlrev_b16 v83, 8, v83
	v_and_b32_e32 v120, 0xffffff00, v104
	v_lshlrev_b16 v104, 8, v104
	v_add_nc_u16 v93, v93, 0xf000
	v_or_b32_e32 v86, v110, v86
	v_or_b32_e32 v85, v103, v85
	v_or_b32_e32 v87, v106, v87
	v_or_b32_e32 v90, v111, v90
	v_or_b32_e32 v79, v113, v79
	v_and_b32_e32 v92, 0xffffff00, v92
	v_lshrrev_b16 v106, 8, v112
	v_add_nc_u16 v78, v78, 0xf000
	v_or_b32_e32 v89, v105, v89
	v_lshrrev_b16 v95, 8, v95
	v_add_nc_i16 v80, v80, 0xf000 clamp
	v_and_b32_e32 v123, 0xffffff00, v115
	v_lshlrev_b16 v115, 8, v115
	v_lshrrev_b32_e32 v138, 12, v84
	v_lshrrev_b32_e32 v139, 5, v84
	v_lshlrev_b32_e32 v140, 2, v84
	v_and_b32_e32 v134, 16, v134
	v_and_b32_e32 v135, 0x1000, v135
	v_lshrrev_b16 v98, 8, v98
	v_add_nc_u16 v96, v96, 0xf000
	v_add_nc_i16 v83, v83, 0xf000 clamp
	v_and_b32_e32 v124, 0xffffff00, v118
	v_lshlrev_b16 v118, 8, v118
	v_add_nc_i16 v110, v120, 0xf000 clamp
	v_add_nc_i16 v104, v104, 0xf000 clamp
	v_lshrrev_b16 v93, 8, v93
	v_add_nc_u16 v86, v86, 0xf000
	v_add_nc_u16 v88, v88, 0xf000
	;; [unrolled: 1-line block ×7, first 2 shown]
	v_or_b32_e32 v92, v106, v92
	v_and_b32_e32 v78, 0xffff, v78
	v_lshlrev_b32_e32 v89, 16, v89
	v_or_b32_e32 v94, v94, v95
	v_lshrrev_b16 v80, 8, v80
	v_add_nc_i16 v95, v123, 0xf000 clamp
	v_add_nc_i16 v115, v115, 0xf000 clamp
	v_lshrrev_b32_e32 v100, 4, v100
	v_lshlrev_b32_e32 v84, 9, v84
	v_and_b32_e32 v138, 16, v138
	v_and_b32_e32 v139, 0x1000, v139
	v_or3_b32 v108, v134, v133, v135
	v_or_b32_e32 v97, v97, v98
	v_lshrrev_b16 v96, 8, v96
	v_lshrrev_b16 v83, 8, v83
	v_add_nc_i16 v98, v124, 0xf000 clamp
	v_add_nc_i16 v118, v118, 0xf000 clamp
	v_and_b32_e32 v103, 0xffffff00, v110
	v_lshrrev_b16 v104, 8, v104
	v_or_b32_e32 v93, v114, v93
	v_and_b32_e32 v86, 0xffff, v86
	v_and_b32_e32 v88, 0xffff, v88
	;; [unrolled: 1-line block ×3, first 2 shown]
	v_lshlrev_b32_e32 v85, 16, v85
	v_lshlrev_b32_e32 v87, 16, v87
	;; [unrolled: 1-line block ×3, first 2 shown]
	v_and_b32_e32 v79, 0xffff, v79
	v_lshlrev_b32_e32 v92, 16, v92
	v_or_b32_e32 v78, v78, v89
	v_and_b32_e32 v89, 0x100000, v140
	v_or_b32_e32 v80, v116, v80
	v_and_b32_e32 v95, 0xffffff00, v95
	v_lshrrev_b16 v107, 8, v115
	v_add_nc_u16 v94, v94, 0xf000
	v_or_b32_e32 v96, v117, v96
	v_or_b32_e32 v83, v119, v83
	v_and_b32_e32 v98, 0xffffff00, v98
	v_lshrrev_b16 v109, 8, v118
	v_add_nc_u16 v77, v77, 0xf000
	v_or_b32_e32 v103, v104, v103
	v_add_nc_u16 v93, v93, 0xf000
	v_or_b32_e32 v85, v86, v85
	v_or_b32_e32 v86, v88, v87
	;; [unrolled: 1-line block ×4, first 2 shown]
	v_lshlrev_b16 v90, 8, v108
	v_and_b32_e32 v92, 0xf0f0f0f, v100
	v_and_b32_e32 v84, 0x10000000, v84
	v_or3_b32 v89, v139, v138, v89
	v_add_nc_u16 v80, v80, 0xf000
	v_or_b32_e32 v95, v107, v95
	v_lshlrev_b16 v91, 8, v99
	v_add_nc_u16 v97, v97, 0xf000
	v_and_b32_e32 v94, 0xffff, v94
	v_add_nc_u16 v96, v96, 0xf000
	v_add_nc_u16 v83, v83, 0xf000
	v_or_b32_e32 v98, v109, v98
	v_and_b32_e32 v77, 0xffff, v77
	v_lshlrev_b32_e32 v103, 16, v103
	v_lshlrev_b32_e32 v93, 16, v93
	v_add_nc_u16 v90, v90, 0xf000
	v_or3_b32 v84, v89, v84, v92
	v_and_b32_e32 v80, 0xffff, v80
	v_lshlrev_b32_e32 v95, 16, v95
	v_add_nc_u16 v91, v91, 0xf000
	v_and_b32_e32 v97, 0xffff, v97
	v_lshlrev_b32_e32 v96, 16, v96
	v_and_b32_e32 v83, 0xffff, v83
	v_lshlrev_b32_e32 v98, 16, v98
	v_or_b32_e32 v77, v77, v103
	v_or_b32_e32 v88, v94, v93
	v_and_b32_e32 v89, 0x1f00, v108
	v_lshrrev_b16 v90, 8, v90
	v_lshlrev_b16 v94, 8, v84
	v_or_b32_e32 v80, v80, v95
	v_and_b32_e32 v92, 0x1f00, v99
	v_lshrrev_b16 v91, 8, v91
	v_or_b32_e32 v93, v97, v96
	v_or_b32_e32 v83, v83, v98
	ds_store_2addr_b32 v14, v85, v77 offset1:1
	ds_store_2addr_b32 v16, v86, v78 offset1:1
	;; [unrolled: 1-line block ×4, first 2 shown]
	v_or_b32_e32 v77, v89, v90
	v_add_nc_i16 v79, v94, 0xf000 clamp
	v_lshrrev_b32_e32 v80, 16, v84
	v_or_b32_e32 v78, v92, v91
	ds_store_2addr_b32 v20, v93, v83 offset1:1
	v_add_nc_u16 v77, v77, 0xf000
	v_and_b32_e32 v83, 0x1f00, v84
	v_lshrrev_b16 v79, 8, v79
	v_and_b32_e32 v84, 0xffffff00, v80
	s_waitcnt vmcnt(8)
	v_ashrrev_i32_e32 v86, v13, v101
	v_add_nc_u16 v78, v78, 0xf000
	v_and_b32_e32 v85, 0xffff, v77
	v_or_b32_e32 v83, v83, v79
	v_add_nc_i16 v77, v84, 0xf000 clamp
	v_lshlrev_b16 v84, 8, v80
	v_mad_u64_u32 v[79:80], null, v39, 22, v[2:3]
	v_lshlrev_b32_e32 v89, 18, v86
	v_lshlrev_b32_e32 v90, 25, v86
	;; [unrolled: 1-line block ×5, first 2 shown]
	s_waitcnt vmcnt(4)
	v_and_b32_e32 v91, 0xf0f0f0f, v82
	v_and_b32_e32 v89, 0x100000, v89
	;; [unrolled: 1-line block ×4, first 2 shown]
	global_load_b32 v78, v[79:80], off offset:2
	v_add_co_u32 v79, s1, v79, v13
	v_and_b32_e32 v88, 0x1000, v88
	v_add_co_ci_u32_e64 v80, s1, 0, v80, s1
	v_or3_b32 v89, v91, v89, v90
	v_add_nc_i16 v84, v84, 0xf000 clamp
	s_delay_alu instid0(VALU_DEP_4)
	v_or3_b32 v88, v92, v91, v88
	v_and_b32_e32 v90, 0xffffff00, v77
	global_load_b32 v77, v[79:80], off offset:6
	v_lshrrev_b32_e32 v80, 16, v89
	v_lshrrev_b16 v79, 8, v84
	v_and_b32_e32 v84, 0x1f00, v88
	v_lshlrev_b16 v88, 8, v88
	v_lshrrev_b32_e32 v89, 12, v86
	v_lshrrev_b32_e32 v91, 5, v86
	v_lshlrev_b16 v92, 8, v80
	v_lshlrev_b32_e32 v93, 2, v86
	v_add_nc_u16 v88, v88, 0xf000
	v_and_b32_e32 v89, 16, v89
	v_and_b32_e32 v91, 0x1000, v91
	v_add_nc_u16 v92, v92, 0xf000
	v_and_b32_e32 v93, 0x100000, v93
	v_lshrrev_b32_e32 v82, 4, v82
	v_lshlrev_b32_e32 v86, 9, v86
	v_lshrrev_b16 v88, 8, v88
	v_and_b32_e32 v80, 0x1f00, v80
	v_or3_b32 v89, v91, v89, v93
	v_lshrrev_b16 v91, 8, v92
	v_and_b32_e32 v82, 0xf0f0f0f, v82
	v_and_b32_e32 v86, 0x10000000, v86
	v_add_nc_u16 v83, v83, 0xf000
	v_or_b32_e32 v79, v79, v90
	v_or_b32_e32 v84, v84, v88
	v_or_b32_e32 v80, v80, v91
	v_or3_b32 v82, v89, v86, v82
	v_and_b32_e32 v83, 0xffff, v83
	v_lshlrev_b32_e32 v79, 16, v79
	v_add_nc_u16 v84, v84, 0xf000
	v_add_nc_u16 v80, v80, 0xf000
	v_lshlrev_b16 v86, 8, v82
	v_or_b32_e32 v85, v85, v87
	v_or_b32_e32 v79, v83, v79
	v_and_b32_e32 v83, 0xffff, v84
	v_lshlrev_b32_e32 v80, 16, v80
	v_ashrrev_i32_e32 v88, v13, v102
	v_add_nc_i16 v86, v86, 0xf000 clamp
	v_and_b32_e32 v84, 0x1f00, v82
	v_lshrrev_b32_e32 v87, 16, v82
	ds_store_2addr_b32 v22, v85, v79 offset1:1
	v_or_b32_e32 v85, v83, v80
	v_mad_u64_u32 v[82:83], null, v40, 22, v[2:3]
	v_lshlrev_b32_e32 v80, 25, v88
	v_lshrrev_b16 v86, 8, v86
	v_lshlrev_b32_e32 v79, 18, v88
	v_lshlrev_b32_e32 v90, 4, v88
	;; [unrolled: 1-line block ×3, first 2 shown]
	v_and_b32_e32 v92, 0x10000000, v80
	global_load_b32 v80, v[82:83], off offset:2
	v_add_co_u32 v82, s1, v82, v13
	v_or_b32_e32 v84, v84, v86
	s_waitcnt vmcnt(6)
	v_and_b32_e32 v89, 0xf0f0f0f, v81
	v_and_b32_e32 v79, 0x100000, v79
	v_add_co_ci_u32_e64 v83, s1, 0, v83, s1
	v_and_b32_e32 v90, 16, v90
	v_and_b32_e32 v91, 0x1000, v91
	;; [unrolled: 1-line block ×3, first 2 shown]
	v_lshlrev_b16 v87, 8, v87
	v_or3_b32 v92, v89, v79, v92
	global_load_b32 v79, v[82:83], off offset:6
	v_add_nc_u16 v82, v84, 0xf000
	v_or3_b32 v84, v90, v89, v91
	v_add_nc_i16 v83, v86, 0xf000 clamp
	v_add_nc_i16 v86, v87, 0xf000 clamp
	v_lshrrev_b32_e32 v87, 16, v92
	v_lshrrev_b32_e32 v89, 12, v88
	;; [unrolled: 1-line block ×3, first 2 shown]
	v_lshlrev_b16 v91, 8, v84
	v_lshlrev_b32_e32 v92, 2, v88
	v_lshrrev_b32_e32 v81, 4, v81
	v_and_b32_e32 v89, 16, v89
	v_and_b32_e32 v90, 0x1000, v90
	v_lshlrev_b32_e32 v88, 9, v88
	v_and_b32_e32 v92, 0x100000, v92
	v_add_nc_u16 v91, v91, 0xf000
	v_and_b32_e32 v81, 0xf0f0f0f, v81
	v_and_b32_e32 v83, 0xffffff00, v83
	;; [unrolled: 1-line block ×3, first 2 shown]
	v_or3_b32 v89, v90, v89, v92
	v_lshrrev_b16 v90, 8, v91
	v_lshlrev_b16 v91, 8, v87
	v_lshrrev_b16 v86, 8, v86
	v_and_b32_e32 v84, 0x1f00, v84
	v_or3_b32 v81, v89, v88, v81
	v_and_b32_e32 v88, 0xffff, v82
	v_add_nc_u16 v82, v91, 0xf000
	v_or_b32_e32 v83, v86, v83
	v_and_b32_e32 v87, 0x1f00, v87
	v_lshlrev_b16 v86, 8, v81
	v_or_b32_e32 v84, v84, v90
	v_lshrrev_b16 v82, 8, v82
	v_lshrrev_b32_e32 v89, 16, v81
	v_and_b32_e32 v90, 0x1f00, v81
	v_add_nc_i16 v86, v86, 0xf000 clamp
	v_ashrrev_i32_e32 v92, v13, v76
	v_or_b32_e32 v87, v87, v82
	v_mad_u64_u32 v[81:82], null, v42, 22, v[2:3]
	s_delay_alu instid0(VALU_DEP_4)
	v_lshrrev_b16 v86, 8, v86
	v_and_b32_e32 v91, 0xffffff00, v89
	v_lshlrev_b32_e32 v76, 4, v92
	v_lshlrev_b32_e32 v93, 11, v92
	v_lshlrev_b16 v89, 8, v89
	v_or_b32_e32 v86, v90, v86
	global_load_b32 v94, v[81:82], off offset:2
	v_add_co_u32 v81, s1, v81, v13
	v_add_nc_i16 v90, v91, 0xf000 clamp
	s_waitcnt vmcnt(7)
	v_and_b32_e32 v91, 0xf0f0f0f, v75
	v_add_co_ci_u32_e64 v82, s1, 0, v82, s1
	v_and_b32_e32 v95, 16, v76
	v_and_b32_e32 v93, 0x1000, v93
	v_add_nc_i16 v89, v89, 0xf000 clamp
	v_lshlrev_b32_e32 v96, 18, v92
	v_lshlrev_b32_e32 v97, 25, v92
	global_load_b32 v76, v[81:82], off offset:6
	v_or3_b32 v82, v95, v91, v93
	v_and_b32_e32 v81, 0xffffff00, v90
	v_lshrrev_b16 v89, 8, v89
	v_and_b32_e32 v90, 0x100000, v96
	v_and_b32_e32 v93, 0x10000000, v97
	v_lshlrev_b16 v95, 8, v82
	v_add_nc_u16 v86, v86, 0xf000
	v_or_b32_e32 v81, v89, v81
	v_lshlrev_b32_e32 v83, 16, v83
	v_or3_b32 v89, v91, v90, v93
	v_add_nc_u16 v90, v95, 0xf000
	v_and_b32_e32 v86, 0xffff, v86
	v_lshlrev_b32_e32 v81, 16, v81
	v_and_b32_e32 v82, 0x1f00, v82
	v_or_b32_e32 v83, v88, v83
	v_lshrrev_b16 v90, 8, v90
	v_lshrrev_b32_e32 v88, 5, v92
	v_or_b32_e32 v86, v86, v81
	v_add_nc_u16 v84, v84, 0xf000
	v_add_nc_u16 v87, v87, 0xf000
	v_or_b32_e32 v81, v82, v90
	v_lshrrev_b32_e32 v82, 12, v92
	v_lshlrev_b32_e32 v90, 2, v92
	v_lshrrev_b32_e32 v75, 4, v75
	v_and_b32_e32 v88, 0x1000, v88
	v_lshlrev_b32_e32 v91, 9, v92
	v_and_b32_e32 v82, 16, v82
	v_and_b32_e32 v90, 0x100000, v90
	;; [unrolled: 1-line block ×3, first 2 shown]
	v_lshlrev_b32_e32 v87, 16, v87
	v_lshrrev_b32_e32 v89, 16, v89
	v_and_b32_e32 v75, 0xf0f0f0f, v75
	v_and_b32_e32 v91, 0x10000000, v91
	v_or3_b32 v88, v88, v82, v90
	v_or_b32_e32 v84, v84, v87
	v_lshlrev_b16 v87, 8, v89
	v_add_nc_u16 v90, v81, 0xf000
	v_mad_u64_u32 v[81:82], null, v44, 22, v[2:3]
	v_or3_b32 v75, v88, v91, v75
	s_delay_alu instid0(VALU_DEP_4)
	v_add_nc_u16 v87, v87, 0xf000
	ds_store_2addr_b32 v23, v85, v83 offset1:1
	ds_store_2addr_b32 v24, v84, v86 offset1:1
	v_and_b32_e32 v89, 0x1f00, v89
	v_ashrrev_i32_e32 v74, v13, v74
	v_lshlrev_b16 v85, 8, v75
	global_load_b32 v86, v[81:82], off offset:2
	v_add_co_u32 v81, s1, v81, v13
	v_lshrrev_b16 v87, 8, v87
	v_add_co_ci_u32_e64 v82, s1, 0, v82, s1
	v_add_nc_i16 v85, v85, 0xf000 clamp
	v_and_b32_e32 v83, 0xffff, v90
	s_delay_alu instid0(VALU_DEP_4)
	v_or_b32_e32 v87, v89, v87
	global_load_b32 v88, v[81:82], off offset:6
	v_lshlrev_b32_e32 v89, 11, v74
	v_lshrrev_b16 v81, 8, v85
	v_lshlrev_b32_e32 v85, 4, v74
	v_add_nc_u16 v84, v87, 0xf000
	v_lshrrev_b32_e32 v87, 16, v75
	v_and_b32_e32 v75, 0x1f00, v75
	s_waitcnt vmcnt(9)
	v_and_b32_e32 v90, 0xf0f0f0f, v73
	v_lshlrev_b32_e32 v91, 18, v74
	v_lshlrev_b32_e32 v92, 25, v74
	v_and_b32_e32 v85, 16, v85
	v_and_b32_e32 v89, 0x1000, v89
	;; [unrolled: 1-line block ×3, first 2 shown]
	v_lshlrev_b16 v87, 8, v87
	v_and_b32_e32 v91, 0x100000, v91
	v_and_b32_e32 v92, 0x10000000, v92
	v_or_b32_e32 v75, v75, v81
	v_or3_b32 v81, v85, v90, v89
	v_lshlrev_b32_e32 v84, 16, v84
	v_add_nc_i16 v82, v82, 0xf000 clamp
	v_add_nc_i16 v85, v87, 0xf000 clamp
	v_or3_b32 v87, v90, v91, v92
	v_lshlrev_b16 v89, 8, v81
	v_or_b32_e32 v83, v83, v84
	v_and_b32_e32 v82, 0xffffff00, v82
	v_lshrrev_b16 v85, 8, v85
	v_lshrrev_b32_e32 v87, 16, v87
	v_add_nc_u16 v84, v89, 0xf000
	v_lshrrev_b32_e32 v89, 12, v74
	v_lshrrev_b32_e32 v90, 5, v74
	v_lshlrev_b32_e32 v91, 2, v74
	v_lshrrev_b32_e32 v73, 4, v73
	v_or_b32_e32 v82, v85, v82
	v_lshlrev_b16 v85, 8, v87
	v_and_b32_e32 v89, 16, v89
	v_and_b32_e32 v90, 0x1000, v90
	v_lshlrev_b32_e32 v92, 9, v74
	v_and_b32_e32 v91, 0x100000, v91
	v_and_b32_e32 v93, 0xf0f0f0f, v73
	v_mad_u64_u32 v[73:74], null, v46, 22, v[2:3]
	v_add_nc_u16 v75, v75, 0xf000
	v_and_b32_e32 v81, 0x1f00, v81
	v_lshrrev_b16 v84, 8, v84
	v_add_nc_u16 v85, v85, 0xf000
	v_and_b32_e32 v2, 0x10000000, v92
	v_or3_b32 v3, v90, v89, v91
	v_and_b32_e32 v75, 0xffff, v75
	v_lshlrev_b32_e32 v82, 16, v82
	v_or_b32_e32 v81, v81, v84
	v_and_b32_e32 v84, 0x1f00, v87
	v_lshrrev_b16 v85, 8, v85
	v_or3_b32 v87, v3, v2, v93
	global_load_b32 v89, v[73:74], off offset:2
	v_add_co_u32 v2, s1, v73, v13
	s_delay_alu instid0(VALU_DEP_1)
	v_add_co_ci_u32_e64 v3, s1, 0, v74, s1
	v_or_b32_e32 v73, v75, v82
	v_add_nc_u16 v74, v81, 0xf000
	v_or_b32_e32 v75, v84, v85
	v_lshlrev_b16 v81, 8, v87
	v_ashrrev_i32_e32 v72, v13, v72
	global_load_b32 v85, v[2:3], off offset:6
	ds_store_2addr_b32 v26, v83, v73 offset1:1
	v_add_nc_u16 v3, v75, 0xf000
	v_add_nc_i16 v73, v81, 0xf000 clamp
	v_lshlrev_b32_e32 v75, 4, v72
	v_lshlrev_b32_e32 v81, 11, v72
	v_and_b32_e32 v2, 0xffff, v74
	v_lshrrev_b32_e32 v74, 16, v87
	s_waitcnt vmcnt(10)
	v_and_b32_e32 v83, 0xf0f0f0f, v71
	v_and_b32_e32 v75, 16, v75
	;; [unrolled: 1-line block ×4, first 2 shown]
	v_lshrrev_b16 v73, 8, v73
	v_lshlrev_b32_e32 v84, 18, v72
	v_lshlrev_b32_e32 v87, 25, v72
	v_and_b32_e32 v90, 0xffffff00, v74
	v_lshlrev_b16 v74, 8, v74
	v_or3_b32 v75, v75, v83, v81
	v_and_b32_e32 v81, 0x100000, v84
	v_and_b32_e32 v84, 0x10000000, v87
	v_add_nc_i16 v87, v90, 0xf000 clamp
	v_add_nc_i16 v74, v74, 0xf000 clamp
	v_or_b32_e32 v73, v82, v73
	v_lshlrev_b16 v82, 8, v75
	v_or3_b32 v81, v83, v81, v84
	v_and_b32_e32 v83, 0xffffff00, v87
	v_lshrrev_b16 v74, 8, v74
	v_lshlrev_b32_e32 v3, 16, v3
	v_add_nc_u16 v82, v82, 0xf000
	v_lshrrev_b32_e32 v87, 16, v81
	v_add_nc_u16 v73, v73, 0xf000
	v_or_b32_e32 v74, v74, v83
	v_and_b32_e32 v75, 0x1f00, v75
	v_lshrrev_b16 v81, 8, v82
	v_or_b32_e32 v90, v2, v3
	v_mad_u64_u32 v[2:3], null, v9, 22, s[14:15]
	v_and_b32_e32 v91, 0xffff, v73
	v_lshlrev_b32_e32 v92, 16, v74
	v_or_b32_e32 v75, v75, v81
	v_lshrrev_b32_e32 v71, 4, v71
	v_lshrrev_b32_e32 v73, 12, v72
	;; [unrolled: 1-line block ×3, first 2 shown]
	v_lshlrev_b32_e32 v81, 2, v72
	v_lshlrev_b32_e32 v72, 9, v72
	v_and_b32_e32 v95, 0xf0f0f0f, v71
	v_and_b32_e32 v73, 16, v73
	;; [unrolled: 1-line block ×5, first 2 shown]
	v_mad_u64_u32 v[71:72], null, v36, 22, v[2:3]
	v_lshlrev_b16 v82, 8, v87
	s_delay_alu instid0(VALU_DEP_4) | instskip(SKIP_2) | instid1(VALU_DEP_4)
	v_or3_b32 v97, v74, v73, v81
	v_mad_u64_u32 v[73:74], null, v41, 22, v[2:3]
	v_mad_u64_u32 v[83:84], null, v45, 22, v[2:3]
	v_add_nc_u16 v93, v82, 0xf000
	v_mad_u64_u32 v[81:82], null, v43, 22, v[2:3]
	s_clause 0x1
	global_load_u16 v2, v[71:72], off
	global_load_u16 v73, v[73:74], off
	v_add_nc_u16 v3, v75, 0xf000
	s_clause 0x1
	global_load_u16 v75, v[81:82], off
	global_load_u16 v81, v[83:84], off
	v_or3_b32 v72, v97, v96, v95
	v_and_b32_e32 v71, 0x1f00, v87
	v_lshrrev_b16 v74, 8, v93
	v_or_b32_e32 v83, v91, v92
	s_waitcnt vmcnt(13)
	v_ashrrev_i32_e32 v78, v13, v78
	v_lshlrev_b16 v82, 8, v72
	v_and_b32_e32 v3, 0xffff, v3
	v_or_b32_e32 v71, v71, v74
	ds_store_2addr_b32 v27, v90, v83 offset1:1
	v_lshlrev_b32_e32 v84, 4, v78
	v_lshlrev_b32_e32 v87, 11, v78
	v_add_nc_i16 v74, v82, 0xf000 clamp
	v_lshrrev_b32_e32 v82, 16, v72
	v_and_b32_e32 v72, 0x1f00, v72
	s_waitcnt vmcnt(12)
	v_and_b32_e32 v92, 0xf0f0f0f, v77
	v_and_b32_e32 v84, 16, v84
	;; [unrolled: 1-line block ×3, first 2 shown]
	v_lshrrev_b16 v74, 8, v74
	v_and_b32_e32 v91, 0xffffff00, v82
	v_lshlrev_b16 v82, 8, v82
	v_lshlrev_b32_e32 v93, 18, v78
	v_or3_b32 v84, v84, v92, v87
	v_or_b32_e32 v72, v72, v74
	v_lshlrev_b32_e32 v95, 25, v78
	v_add_nc_i16 v91, v91, 0xf000 clamp
	v_add_nc_i16 v82, v82, 0xf000 clamp
	v_lshlrev_b16 v74, 8, v84
	v_and_b32_e32 v87, 0x100000, v93
	v_and_b32_e32 v93, 0x10000000, v95
	;; [unrolled: 1-line block ×4, first 2 shown]
	v_add_nc_u16 v74, v74, 0xf000
	v_lshrrev_b16 v82, 8, v82
	v_or3_b32 v87, v92, v87, v93
	v_lshrrev_b32_e32 v92, 5, v78
	v_lshlrev_b32_e32 v93, 2, v78
	v_lshrrev_b16 v74, 8, v74
	v_add_nc_u16 v71, v71, 0xf000
	v_add_nc_u16 v72, v72, 0xf000
	v_or_b32_e32 v82, v82, v91
	v_lshrrev_b32_e32 v87, 16, v87
	v_or_b32_e32 v74, v84, v74
	v_lshrrev_b32_e32 v84, 12, v78
	v_lshrrev_b32_e32 v77, 4, v77
	v_and_b32_e32 v92, 0x1000, v92
	v_lshlrev_b32_e32 v78, 9, v78
	v_and_b32_e32 v93, 0x100000, v93
	v_and_b32_e32 v84, 16, v84
	v_lshlrev_b32_e32 v71, 16, v71
	v_and_b32_e32 v72, 0xffff, v72
	v_lshlrev_b16 v91, 8, v87
	v_lshlrev_b32_e32 v82, 16, v82
	v_and_b32_e32 v77, 0xf0f0f0f, v77
	v_and_b32_e32 v78, 0x10000000, v78
	v_or3_b32 v84, v92, v84, v93
	v_add_nc_u16 v91, v91, 0xf000
	v_or_b32_e32 v3, v3, v71
	v_or_b32_e32 v72, v72, v82
	v_add_nc_u16 v74, v74, 0xf000
	v_or3_b32 v77, v84, v78, v77
	v_and_b32_e32 v87, 0x1f00, v87
	v_lshrrev_b16 v91, 8, v91
	ds_store_2addr_b32 v29, v3, v72 offset1:1
	v_and_b32_e32 v3, 0xffff, v74
	s_waitcnt vmcnt(11)
	v_ashrrev_i32_e32 v78, v13, v80
	v_lshlrev_b16 v72, 8, v77
	v_lshrrev_b32_e32 v74, 16, v77
	v_or_b32_e32 v71, v87, v91
	v_and_b32_e32 v77, 0x1f00, v77
	v_lshlrev_b32_e32 v83, 18, v78
	v_lshlrev_b32_e32 v84, 25, v78
	v_add_nc_i16 v72, v72, 0xf000 clamp
	v_and_b32_e32 v80, 0xffffff00, v74
	v_lshlrev_b32_e32 v82, 4, v78
	v_lshlrev_b32_e32 v87, 11, v78
	v_and_b32_e32 v83, 0x100000, v83
	v_and_b32_e32 v84, 0x10000000, v84
	s_waitcnt vmcnt(10)
	v_and_b32_e32 v90, 0xf0f0f0f, v79
	v_and_b32_e32 v82, 16, v82
	;; [unrolled: 1-line block ×3, first 2 shown]
	v_lshrrev_b16 v72, 8, v72
	v_add_nc_i16 v80, v80, 0xf000 clamp
	v_or3_b32 v83, v90, v83, v84
	v_lshrrev_b32_e32 v84, 12, v78
	v_or3_b32 v82, v82, v90, v87
	v_or_b32_e32 v72, v77, v72
	v_and_b32_e32 v77, 0xffffff00, v80
	v_lshrrev_b32_e32 v80, 16, v83
	v_lshrrev_b32_e32 v87, 5, v78
	v_lshlrev_b32_e32 v91, 2, v78
	v_lshlrev_b16 v74, 8, v74
	v_and_b32_e32 v83, 0x1f00, v82
	v_lshlrev_b16 v82, 8, v82
	v_lshlrev_b16 v90, 8, v80
	v_lshrrev_b32_e32 v79, 4, v79
	v_and_b32_e32 v84, 16, v84
	v_and_b32_e32 v87, 0x1000, v87
	v_lshlrev_b32_e32 v78, 9, v78
	v_and_b32_e32 v91, 0x100000, v91
	v_add_nc_i16 v74, v74, 0xf000 clamp
	v_add_nc_u16 v82, v82, 0xf000
	v_add_nc_u16 v90, v90, 0xf000
	v_and_b32_e32 v79, 0xf0f0f0f, v79
	v_and_b32_e32 v78, 0x10000000, v78
	v_or3_b32 v84, v87, v84, v91
	v_add_nc_u16 v71, v71, 0xf000
	v_lshrrev_b16 v74, 8, v74
	v_lshrrev_b16 v82, 8, v82
	v_and_b32_e32 v80, 0x1f00, v80
	v_lshrrev_b16 v87, 8, v90
	v_or3_b32 v78, v84, v78, v79
	v_lshlrev_b32_e32 v71, 16, v71
	v_add_nc_u16 v72, v72, 0xf000
	v_or_b32_e32 v74, v74, v77
	v_or_b32_e32 v77, v83, v82
	;; [unrolled: 1-line block ×3, first 2 shown]
	v_lshlrev_b16 v80, 8, v78
	v_and_b32_e32 v72, 0xffff, v72
	v_lshlrev_b32_e32 v74, 16, v74
	v_add_nc_u16 v77, v77, 0xf000
	v_add_nc_u16 v79, v79, 0xf000
	v_or_b32_e32 v3, v3, v71
	v_add_nc_i16 v71, v80, 0xf000 clamp
	v_or_b32_e32 v72, v72, v74
	v_and_b32_e32 v74, 0xffff, v77
	v_lshlrev_b32_e32 v77, 16, v79
	v_and_b32_e32 v79, 0x1f00, v78
	v_lshrrev_b16 v71, 8, v71
	s_waitcnt vmcnt(9)
	v_ashrrev_i32_e32 v80, v13, v94
	ds_store_2addr_b32 v30, v3, v72 offset1:1
	v_or_b32_e32 v3, v74, v77
	v_lshrrev_b32_e32 v78, 16, v78
	v_or_b32_e32 v71, v79, v71
	v_lshlrev_b32_e32 v74, 18, v80
	v_lshlrev_b32_e32 v77, 25, v80
	;; [unrolled: 1-line block ×4, first 2 shown]
	s_waitcnt vmcnt(8)
	v_and_b32_e32 v83, 0xf0f0f0f, v76
	v_and_b32_e32 v74, 0x100000, v74
	;; [unrolled: 1-line block ×6, first 2 shown]
	v_lshrrev_b32_e32 v76, 4, v76
	v_or3_b32 v74, v83, v74, v77
	v_lshlrev_b16 v77, 8, v78
	v_or3_b32 v78, v79, v83, v82
	v_lshrrev_b32_e32 v79, 12, v80
	v_lshrrev_b32_e32 v82, 5, v80
	v_lshlrev_b32_e32 v83, 2, v80
	v_lshlrev_b32_e32 v80, 9, v80
	v_lshrrev_b32_e32 v74, 16, v74
	v_and_b32_e32 v79, 16, v79
	v_and_b32_e32 v82, 0x1000, v82
	;; [unrolled: 1-line block ×3, first 2 shown]
	v_lshlrev_b16 v84, 8, v78
	v_and_b32_e32 v76, 0xf0f0f0f, v76
	v_and_b32_e32 v80, 0x10000000, v80
	v_lshlrev_b16 v87, 8, v74
	v_or3_b32 v79, v82, v79, v83
	v_add_nc_u16 v82, v84, 0xf000
	v_add_nc_i16 v72, v72, 0xf000 clamp
	v_add_nc_i16 v77, v77, 0xf000 clamp
	v_add_nc_u16 v83, v87, 0xf000
	v_or3_b32 v76, v79, v80, v76
	v_and_b32_e32 v78, 0x1f00, v78
	v_lshrrev_b16 v79, 8, v82
	v_and_b32_e32 v74, 0x1f00, v74
	v_lshrrev_b16 v80, 8, v83
	v_lshlrev_b16 v82, 8, v76
	v_and_b32_e32 v72, 0xffffff00, v72
	v_lshrrev_b16 v77, 8, v77
	v_or_b32_e32 v78, v78, v79
	v_or_b32_e32 v74, v74, v80
	v_add_nc_i16 v79, v82, 0xf000 clamp
	v_add_nc_u16 v71, v71, 0xf000
	v_or_b32_e32 v72, v77, v72
	v_add_nc_u16 v77, v78, 0xf000
	v_and_b32_e32 v78, 0x1f00, v76
	v_lshrrev_b16 v79, 8, v79
	s_waitcnt vmcnt(7)
	v_ashrrev_i32_e32 v80, v13, v86
	v_add_nc_u16 v74, v74, 0xf000
	v_and_b32_e32 v71, 0xffff, v71
	v_lshlrev_b32_e32 v72, 16, v72
	v_or_b32_e32 v78, v78, v79
	v_lshlrev_b32_e32 v79, 18, v80
	v_lshlrev_b32_e32 v83, 25, v80
	v_and_b32_e32 v77, 0xffff, v77
	v_lshlrev_b32_e32 v74, 16, v74
	s_waitcnt vmcnt(6)
	v_and_b32_e32 v82, 0xf0f0f0f, v88
	v_and_b32_e32 v79, 0x100000, v79
	v_lshrrev_b32_e32 v86, 12, v80
	v_lshrrev_b32_e32 v87, 5, v80
	v_and_b32_e32 v83, 0x10000000, v83
	v_lshlrev_b32_e32 v90, 2, v80
	v_or_b32_e32 v71, v71, v72
	v_or_b32_e32 v72, v77, v74
	v_lshlrev_b32_e32 v74, 4, v80
	v_lshlrev_b32_e32 v84, 11, v80
	v_lshrrev_b32_e32 v88, 4, v88
	v_and_b32_e32 v86, 16, v86
	v_and_b32_e32 v87, 0x1000, v87
	v_lshlrev_b32_e32 v80, 9, v80
	v_and_b32_e32 v90, 0x100000, v90
	v_or3_b32 v79, v82, v79, v83
	v_lshrrev_b32_e32 v76, 16, v76
	v_and_b32_e32 v83, 0xf0f0f0f, v88
	v_and_b32_e32 v80, 0x10000000, v80
	v_or3_b32 v86, v87, v86, v90
	v_lshrrev_b32_e32 v79, 16, v79
	v_add_nc_u16 v77, v78, 0xf000
	v_and_b32_e32 v78, 0xffffff00, v76
	v_and_b32_e32 v74, 16, v74
	v_and_b32_e32 v84, 0x1000, v84
	v_lshlrev_b16 v76, 8, v76
	v_or3_b32 v80, v86, v80, v83
	v_lshlrev_b16 v83, 8, v79
	v_add_nc_i16 v78, v78, 0xf000 clamp
	v_or3_b32 v74, v74, v82, v84
	v_add_nc_i16 v76, v76, 0xf000 clamp
	v_lshlrev_b16 v84, 8, v80
	v_add_nc_u16 v83, v83, 0xf000
	v_and_b32_e32 v78, 0xffffff00, v78
	v_and_b32_e32 v79, 0x1f00, v79
	v_lshrrev_b16 v76, 8, v76
	v_add_nc_i16 v84, v84, 0xf000 clamp
	v_lshrrev_b16 v83, 8, v83
	v_and_b32_e32 v86, 0x1f00, v80
	v_lshlrev_b16 v82, 8, v74
	v_or_b32_e32 v76, v76, v78
	v_lshrrev_b16 v84, 8, v84
	v_or_b32_e32 v78, v79, v83
	v_and_b32_e32 v74, 0x1f00, v74
	v_add_nc_u16 v82, v82, 0xf000
	v_lshrrev_b32_e32 v80, 16, v80
	v_or_b32_e32 v79, v86, v84
	v_add_nc_u16 v78, v78, 0xf000
	v_and_b32_e32 v77, 0xffff, v77
	v_lshrrev_b16 v82, 8, v82
	v_lshlrev_b32_e32 v76, 16, v76
	v_add_nc_u16 v79, v79, 0xf000
	v_lshlrev_b32_e32 v78, 16, v78
	s_waitcnt vmcnt(5)
	v_ashrrev_i32_e32 v83, v13, v89
	v_or_b32_e32 v74, v74, v82
	v_and_b32_e32 v82, 0xffffff00, v80
	v_lshlrev_b16 v80, 8, v80
	v_and_b32_e32 v79, 0xffff, v79
	v_lshlrev_b32_e32 v84, 4, v83
	v_lshlrev_b32_e32 v86, 11, v83
	;; [unrolled: 1-line block ×4, first 2 shown]
	v_lshrrev_b32_e32 v90, 12, v83
	v_lshrrev_b32_e32 v91, 5, v83
	v_lshlrev_b32_e32 v92, 2, v83
	s_waitcnt vmcnt(4)
	v_and_b32_e32 v88, 0xf0f0f0f, v85
	v_and_b32_e32 v84, 16, v84
	;; [unrolled: 1-line block ×5, first 2 shown]
	v_lshrrev_b32_e32 v85, 4, v85
	v_and_b32_e32 v90, 16, v90
	v_and_b32_e32 v91, 0x1000, v91
	v_lshlrev_b32_e32 v83, 9, v83
	v_and_b32_e32 v92, 0x100000, v92
	v_or3_b32 v84, v84, v88, v86
	v_or3_b32 v86, v88, v87, v89
	v_and_b32_e32 v85, 0xf0f0f0f, v85
	v_and_b32_e32 v83, 0x10000000, v83
	v_or3_b32 v87, v91, v90, v92
	v_lshlrev_b16 v88, 8, v84
	v_lshrrev_b32_e32 v86, 16, v86
	v_add_nc_i16 v82, v82, 0xf000 clamp
	v_add_nc_i16 v80, v80, 0xf000 clamp
	v_or3_b32 v83, v87, v83, v85
	v_add_nc_u16 v85, v88, 0xf000
	v_lshlrev_b16 v87, 8, v86
	v_and_b32_e32 v84, 0x1f00, v84
	v_and_b32_e32 v86, 0x1f00, v86
	v_lshlrev_b16 v88, 8, v83
	v_lshrrev_b32_e32 v89, 16, v83
	v_add_nc_u16 v87, v87, 0xf000
	v_lshrrev_b16 v85, 8, v85
	v_and_b32_e32 v83, 0x1f00, v83
	v_add_nc_i16 v88, v88, 0xf000 clamp
	v_and_b32_e32 v90, 0xffffff00, v89
	v_lshlrev_b16 v89, 8, v89
	v_lshrrev_b16 v87, 8, v87
	v_and_b32_e32 v82, 0xffffff00, v82
	v_lshrrev_b16 v88, 8, v88
	v_add_nc_i16 v90, v90, 0xf000 clamp
	v_add_nc_i16 v89, v89, 0xf000 clamp
	v_lshrrev_b16 v80, 8, v80
	v_or_b32_e32 v84, v84, v85
	v_or_b32_e32 v85, v86, v87
	;; [unrolled: 1-line block ×3, first 2 shown]
	v_and_b32_e32 v86, 0xffffff00, v90
	v_lshrrev_b16 v87, 8, v89
	v_add_nc_u16 v74, v74, 0xf000
	v_or_b32_e32 v80, v80, v82
	v_add_nc_u16 v82, v84, 0xf000
	v_add_nc_u16 v84, v85, 0xf000
	v_add_nc_u16 v83, v83, 0xf000
	v_or_b32_e32 v85, v87, v86
	v_and_b32_e32 v74, 0xffff, v74
	v_lshlrev_b32_e32 v80, 16, v80
	v_and_b32_e32 v82, 0xffff, v82
	v_lshlrev_b32_e32 v84, 16, v84
	;; [unrolled: 2-line block ×3, first 2 shown]
	v_or_b32_e32 v76, v77, v76
	v_or_b32_e32 v74, v74, v78
	;; [unrolled: 1-line block ×4, first 2 shown]
	s_waitcnt vmcnt(3)
	v_cvt_f32_f16_e32 v2, v2
	v_or_b32_e32 v79, v83, v85
	ds_store_2addr_b32 v31, v3, v71 offset1:1
	ds_store_2addr_b32 v32, v72, v76 offset1:1
	;; [unrolled: 1-line block ×4, first 2 shown]
	s_waitcnt vmcnt(2)
	v_cvt_f32_f16_e32 v3, v73
	ds_store_b32 v64, v2
	s_waitcnt vmcnt(1)
	v_cvt_f32_f16_e32 v2, v75
	s_waitcnt vmcnt(0)
	v_cvt_f32_f16_e32 v71, v81
	s_lshl_b32 s14, s17, 5
	ds_store_b32 v65, v3
	s_cmp_lt_i32 s14, s11
	ds_store_b32 v66, v2
	ds_store_b32 v70, v71
	s_cbranch_scc0 .LBB201_4
; %bb.6:                                ;   in Loop: Header=BB201_5 Depth=1
	v_add_nc_u32_e32 v2, s17, v11
	s_delay_alu instid0(VALU_DEP_1) | instskip(NEXT) | instid1(VALU_DEP_1)
	v_cmp_gt_i32_e64 s1, s10, v2
	s_and_b32 s15, s0, s1
	s_delay_alu instid0(SALU_CYCLE_1)
	s_and_saveexec_b32 s1, s15
	s_cbranch_execz .LBB201_8
; %bb.7:                                ;   in Loop: Header=BB201_5 Depth=1
	v_add_nc_u32_e32 v71, v51, v2
	s_delay_alu instid0(VALU_DEP_1)
	v_mad_i64_i32 v[2:3], null, v71, 36, v[0:1]
	global_load_b32 v2, v[2:3], off offset:4
	s_waitcnt vmcnt(0)
	ds_store_b32 v47, v2
.LBB201_8:                              ;   in Loop: Header=BB201_5 Depth=1
	s_or_b32 exec_lo, exec_lo, s1
	s_and_saveexec_b32 s15, vcc_lo
	s_cbranch_execz .LBB201_11
; %bb.9:                                ;   in Loop: Header=BB201_5 Depth=1
	v_or_b32_e32 v2, s17, v5
	s_delay_alu instid0(VALU_DEP_1) | instskip(NEXT) | instid1(VALU_DEP_1)
	v_cmp_gt_i32_e64 s1, s10, v2
	s_and_b32 s1, s0, s1
	s_delay_alu instid0(SALU_CYCLE_1)
	s_and_b32 exec_lo, exec_lo, s1
	s_cbranch_execz .LBB201_11
; %bb.10:                               ;   in Loop: Header=BB201_5 Depth=1
	v_add_nc_u32_e32 v71, v51, v2
	s_delay_alu instid0(VALU_DEP_1)
	v_mad_i64_i32 v[2:3], null, v71, 36, s[2:3]
	global_load_b32 v2, v[2:3], off
	s_waitcnt vmcnt(0)
	v_cvt_f32_f16_e32 v2, v2
	ds_store_b32 v48, v2
.LBB201_11:                             ;   in Loop: Header=BB201_5 Depth=1
	s_or_b32 exec_lo, exec_lo, s15
	v_dual_mov_b32 v2, v58 :: v_dual_mov_b32 v3, v57
	v_dual_mov_b32 v71, v49 :: v_dual_mov_b32 v72, v56
	;; [unrolled: 1-line block ×3, first 2 shown]
	v_mov_b32_e32 v75, v53
	s_mov_b32 s1, -4
	s_waitcnt lgkmcnt(0)
	s_barrier
	buffer_gl0_inv
.LBB201_12:                             ;   Parent Loop BB201_5 Depth=1
                                        ; =>  This Inner Loop Header: Depth=2
	ds_load_b128 v[76:79], v3
	ds_load_b32 v116, v2
	ds_load_b128 v[80:83], v3 offset:16
	ds_load_2addr_b32 v[84:85], v71 offset1:1
	ds_load_2addr_b32 v[86:87], v71 offset0:2 offset1:3
	ds_load_2addr_b32 v[88:89], v71 offset0:4 offset1:5
	ds_load_b32 v117, v72
	ds_load_2addr_b32 v[90:91], v71 offset0:6 offset1:7
	v_add_nc_u32_e32 v92, 0x2080, v71
	v_add_nc_u32_e32 v94, 0x4100, v71
	;; [unrolled: 1-line block ×3, first 2 shown]
	ds_load_b32 v118, v73
	ds_load_b32 v119, v74
	ds_load_2addr_b32 v[92:93], v92 offset1:1
	ds_load_2addr_b32 v[94:95], v94 offset1:1
	;; [unrolled: 1-line block ×3, first 2 shown]
	ds_load_b32 v120, v75
	v_add_nc_u32_e32 v98, 0x2088, v71
	v_add_nc_u32_e32 v100, 0x4108, v71
	;; [unrolled: 1-line block ×9, first 2 shown]
	ds_load_2addr_b32 v[98:99], v98 offset1:1
	ds_load_2addr_b32 v[100:101], v100 offset1:1
	;; [unrolled: 1-line block ×9, first 2 shown]
	v_add_nc_u32_e32 v75, 4, v75
	s_waitcnt lgkmcnt(19)
	v_dot4_i32_iu8 v84, v84, v76, 0 neg_lo:[1,1,0]
	v_add_nc_u32_e32 v74, 4, v74
	v_add_nc_u32_e32 v73, 4, v73
	v_add_nc_u32_e32 v72, 4, v72
	v_add_nc_u32_e32 v2, 4, v2
	s_waitcnt lgkmcnt(12)
	v_dot4_i32_iu8 v92, v92, v76, 0 neg_lo:[1,1,0]
	s_waitcnt lgkmcnt(11)
	v_dot4_i32_iu8 v94, v94, v76, 0 neg_lo:[1,1,0]
	;; [unrolled: 2-line block ×3, first 2 shown]
	v_dot4_i32_iu8 v84, v85, v80, v84 neg_lo:[1,1,0]
	s_add_i32 s1, s1, 4
	v_dot4_i32_iu8 v85, v93, v80, v92 neg_lo:[1,1,0]
	v_dot4_i32_iu8 v92, v95, v80, v94 neg_lo:[1,1,0]
	;; [unrolled: 1-line block ×4, first 2 shown]
	s_cmp_lt_u32 s1, 12
	s_waitcnt lgkmcnt(8)
	v_dot4_i32_iu8 v84, v98, v77, v85 neg_lo:[1,1,0]
	s_waitcnt lgkmcnt(7)
	v_dot4_i32_iu8 v85, v100, v77, v92 neg_lo:[1,1,0]
	;; [unrolled: 2-line block ×3, first 2 shown]
	v_dot4_i32_iu8 v77, v87, v81, v80 neg_lo:[1,1,0]
	v_dot4_i32_iu8 v80, v99, v81, v84 neg_lo:[1,1,0]
	;; [unrolled: 1-line block ×3, first 2 shown]
	s_delay_alu instid0(VALU_DEP_4) | instskip(NEXT) | instid1(VALU_DEP_4)
	v_dot4_i32_iu8 v76, v103, v81, v76 neg_lo:[1,1,0]
	v_dot4_i32_iu8 v77, v88, v78, v77 neg_lo:[1,1,0]
	s_waitcnt lgkmcnt(5)
	v_dot4_i32_iu8 v80, v104, v78, v80 neg_lo:[1,1,0]
	s_waitcnt lgkmcnt(3)
	;; [unrolled: 2-line block ×3, first 2 shown]
	v_dot4_i32_iu8 v76, v112, v78, v76 neg_lo:[1,1,0]
	v_dot4_i32_iu8 v77, v89, v82, v77 neg_lo:[1,1,0]
	v_mul_f32_e32 v78, v116, v117
	v_dot4_i32_iu8 v80, v105, v82, v80 neg_lo:[1,1,0]
	v_dot4_i32_iu8 v81, v109, v82, v81 neg_lo:[1,1,0]
	;; [unrolled: 1-line block ×3, first 2 shown]
	v_mul_f32_e32 v82, v116, v118
	v_dot4_i32_iu8 v77, v90, v79, v77 neg_lo:[1,1,0]
	v_dot4_i32_iu8 v80, v106, v79, v80 neg_lo:[1,1,0]
	;; [unrolled: 1-line block ×3, first 2 shown]
	s_waitcnt lgkmcnt(0)
	v_dot4_i32_iu8 v76, v114, v79, v76 neg_lo:[1,1,0]
	v_mul_f32_e32 v79, v116, v119
	v_dot4_i32_iu8 v77, v91, v83, v77 neg_lo:[1,1,0]
	v_dot4_i32_iu8 v80, v107, v83, v80 neg_lo:[1,1,0]
	;; [unrolled: 1-line block ×4, first 2 shown]
	v_mul_f32_e32 v83, v116, v120
	v_cvt_f32_i32_e32 v77, v77
	v_cvt_f32_i32_e32 v80, v80
	;; [unrolled: 1-line block ×4, first 2 shown]
	s_delay_alu instid0(VALU_DEP_4) | instskip(NEXT) | instid1(VALU_DEP_3)
	v_dual_fmac_f32 v6, v78, v77 :: v_dual_add_nc_u32 v71, 32, v71
	v_dual_fmac_f32 v68, v79, v81 :: v_dual_add_nc_u32 v3, 32, v3
	v_fmac_f32_e32 v67, v82, v80
	s_delay_alu instid0(VALU_DEP_4)
	v_fmac_f32_e32 v69, v83, v76
	s_cbranch_scc1 .LBB201_12
; %bb.13:                               ;   in Loop: Header=BB201_5 Depth=1
	s_bitset1_b32 s14, 7
	s_delay_alu instid0(SALU_CYCLE_1)
	s_cmp_ge_i32 s14, s11
	s_barrier
	buffer_gl0_inv
	s_cbranch_scc1 .LBB201_4
; %bb.14:                               ;   in Loop: Header=BB201_5 Depth=1
	v_add_nc_u32_e32 v2, s17, v50
	s_delay_alu instid0(VALU_DEP_1) | instskip(NEXT) | instid1(VALU_DEP_1)
	v_cmp_gt_i32_e64 s1, s10, v2
	s_and_b32 s14, s0, s1
	s_delay_alu instid0(SALU_CYCLE_1)
	s_and_saveexec_b32 s1, s14
	s_cbranch_execz .LBB201_16
; %bb.15:                               ;   in Loop: Header=BB201_5 Depth=1
	v_add_nc_u32_e32 v71, v51, v2
	s_delay_alu instid0(VALU_DEP_1)
	v_mad_i64_i32 v[2:3], null, v71, 36, v[0:1]
	global_load_b32 v2, v[2:3], off offset:4
	s_waitcnt vmcnt(0)
	ds_store_b32 v47, v2
.LBB201_16:                             ;   in Loop: Header=BB201_5 Depth=1
	s_or_b32 exec_lo, exec_lo, s1
	s_and_saveexec_b32 s14, vcc_lo
	s_cbranch_execz .LBB201_19
; %bb.17:                               ;   in Loop: Header=BB201_5 Depth=1
	v_or_b32_e32 v2, s17, v5
	s_delay_alu instid0(VALU_DEP_1) | instskip(NEXT) | instid1(VALU_DEP_1)
	v_or_b32_e32 v3, 4, v2
	v_cmp_gt_i32_e64 s1, s10, v3
	s_delay_alu instid0(VALU_DEP_1) | instskip(NEXT) | instid1(SALU_CYCLE_1)
	s_and_b32 s1, s0, s1
	s_and_b32 exec_lo, exec_lo, s1
	s_cbranch_execz .LBB201_19
; %bb.18:                               ;   in Loop: Header=BB201_5 Depth=1
	v_ashrrev_i32_e32 v3, 31, v2
	v_add_co_u32 v71, s1, v51, v2
	s_delay_alu instid0(VALU_DEP_1) | instskip(NEXT) | instid1(VALU_DEP_2)
	v_add_co_ci_u32_e64 v72, s1, v52, v3, s1
	v_mad_u64_u32 v[2:3], null, v71, 36, s[12:13]
	s_delay_alu instid0(VALU_DEP_1)
	v_mad_i32_i24 v3, v72, 36, v3
	global_load_b32 v2, v[2:3], off
	s_waitcnt vmcnt(0)
	v_cvt_f32_f16_e32 v2, v2
	ds_store_b32 v48, v2
.LBB201_19:                             ;   in Loop: Header=BB201_5 Depth=1
	s_or_b32 exec_lo, exec_lo, s14
	v_dual_mov_b32 v2, v58 :: v_dual_mov_b32 v3, v57
	v_dual_mov_b32 v71, v63 :: v_dual_mov_b32 v72, v62
	;; [unrolled: 1-line block ×3, first 2 shown]
	v_mov_b32_e32 v75, v59
	s_mov_b32 s1, 12
	s_waitcnt lgkmcnt(0)
	s_barrier
	buffer_gl0_inv
.LBB201_20:                             ;   Parent Loop BB201_5 Depth=1
                                        ; =>  This Inner Loop Header: Depth=2
	ds_load_b128 v[76:79], v3
	ds_load_b32 v116, v2
	ds_load_b128 v[80:83], v3 offset:16
	ds_load_2addr_b32 v[84:85], v71 offset1:1
	ds_load_2addr_b32 v[86:87], v71 offset0:2 offset1:3
	ds_load_2addr_b32 v[88:89], v71 offset0:4 offset1:5
	ds_load_b32 v117, v72
	ds_load_2addr_b32 v[90:91], v71 offset0:6 offset1:7
	v_add_nc_u32_e32 v92, 0x2080, v71
	v_add_nc_u32_e32 v94, 0x4100, v71
	;; [unrolled: 1-line block ×3, first 2 shown]
	ds_load_b32 v118, v73
	ds_load_b32 v119, v74
	ds_load_2addr_b32 v[92:93], v92 offset1:1
	ds_load_2addr_b32 v[94:95], v94 offset1:1
	;; [unrolled: 1-line block ×3, first 2 shown]
	ds_load_b32 v120, v75
	v_add_nc_u32_e32 v98, 0x2088, v71
	v_add_nc_u32_e32 v100, 0x4108, v71
	;; [unrolled: 1-line block ×9, first 2 shown]
	ds_load_2addr_b32 v[98:99], v98 offset1:1
	ds_load_2addr_b32 v[100:101], v100 offset1:1
	;; [unrolled: 1-line block ×9, first 2 shown]
	v_add_nc_u32_e32 v75, 4, v75
	s_waitcnt lgkmcnt(19)
	v_dot4_i32_iu8 v84, v84, v76, 0 neg_lo:[1,1,0]
	v_add_nc_u32_e32 v74, 4, v74
	v_add_nc_u32_e32 v73, 4, v73
	;; [unrolled: 1-line block ×4, first 2 shown]
	s_waitcnt lgkmcnt(12)
	v_dot4_i32_iu8 v92, v92, v76, 0 neg_lo:[1,1,0]
	s_waitcnt lgkmcnt(11)
	v_dot4_i32_iu8 v94, v94, v76, 0 neg_lo:[1,1,0]
	;; [unrolled: 2-line block ×3, first 2 shown]
	v_dot4_i32_iu8 v84, v85, v80, v84 neg_lo:[1,1,0]
	s_add_i32 s1, s1, 4
	v_dot4_i32_iu8 v85, v93, v80, v92 neg_lo:[1,1,0]
	v_dot4_i32_iu8 v92, v95, v80, v94 neg_lo:[1,1,0]
	;; [unrolled: 1-line block ×4, first 2 shown]
	s_cmp_lt_u32 s1, 28
	s_waitcnt lgkmcnt(8)
	v_dot4_i32_iu8 v84, v98, v77, v85 neg_lo:[1,1,0]
	s_waitcnt lgkmcnt(7)
	v_dot4_i32_iu8 v85, v100, v77, v92 neg_lo:[1,1,0]
	;; [unrolled: 2-line block ×3, first 2 shown]
	v_dot4_i32_iu8 v77, v87, v81, v80 neg_lo:[1,1,0]
	v_dot4_i32_iu8 v80, v99, v81, v84 neg_lo:[1,1,0]
	;; [unrolled: 1-line block ×3, first 2 shown]
	s_delay_alu instid0(VALU_DEP_4) | instskip(NEXT) | instid1(VALU_DEP_4)
	v_dot4_i32_iu8 v76, v103, v81, v76 neg_lo:[1,1,0]
	v_dot4_i32_iu8 v77, v88, v78, v77 neg_lo:[1,1,0]
	s_waitcnt lgkmcnt(5)
	v_dot4_i32_iu8 v80, v104, v78, v80 neg_lo:[1,1,0]
	s_waitcnt lgkmcnt(3)
	;; [unrolled: 2-line block ×3, first 2 shown]
	v_dot4_i32_iu8 v76, v112, v78, v76 neg_lo:[1,1,0]
	v_dot4_i32_iu8 v77, v89, v82, v77 neg_lo:[1,1,0]
	v_mul_f32_e32 v78, v116, v117
	v_dot4_i32_iu8 v80, v105, v82, v80 neg_lo:[1,1,0]
	v_dot4_i32_iu8 v81, v109, v82, v81 neg_lo:[1,1,0]
	;; [unrolled: 1-line block ×3, first 2 shown]
	v_mul_f32_e32 v82, v116, v118
	v_dot4_i32_iu8 v77, v90, v79, v77 neg_lo:[1,1,0]
	v_dot4_i32_iu8 v80, v106, v79, v80 neg_lo:[1,1,0]
	;; [unrolled: 1-line block ×3, first 2 shown]
	s_waitcnt lgkmcnt(0)
	v_dot4_i32_iu8 v76, v114, v79, v76 neg_lo:[1,1,0]
	v_mul_f32_e32 v79, v116, v119
	v_dot4_i32_iu8 v77, v91, v83, v77 neg_lo:[1,1,0]
	v_dot4_i32_iu8 v80, v107, v83, v80 neg_lo:[1,1,0]
	;; [unrolled: 1-line block ×4, first 2 shown]
	v_mul_f32_e32 v83, v116, v120
	v_cvt_f32_i32_e32 v77, v77
	v_cvt_f32_i32_e32 v80, v80
	;; [unrolled: 1-line block ×4, first 2 shown]
	s_delay_alu instid0(VALU_DEP_4) | instskip(NEXT) | instid1(VALU_DEP_3)
	v_dual_fmac_f32 v6, v78, v77 :: v_dual_add_nc_u32 v71, 32, v71
	v_dual_fmac_f32 v68, v79, v81 :: v_dual_add_nc_u32 v3, 32, v3
	v_fmac_f32_e32 v67, v82, v80
	s_delay_alu instid0(VALU_DEP_4)
	v_fmac_f32_e32 v69, v83, v76
	s_cbranch_scc1 .LBB201_20
; %bb.21:                               ;   in Loop: Header=BB201_5 Depth=1
	s_barrier
	buffer_gl0_inv
	s_branch .LBB201_4
.LBB201_22:
	v_cvt_f16_f32_e32 v7, v6
	v_cvt_f16_f32_e32 v6, v67
	v_cvt_f16_f32_e32 v0, v68
	v_cvt_f16_f32_e32 v2, v69
.LBB201_23:
	s_mul_i32 s0, s7, s4
	s_waitcnt vmcnt(0)
	v_cmp_gt_i32_e32 vcc_lo, s0, v4
	s_and_saveexec_b32 s0, vcc_lo
	s_cbranch_execz .LBB201_32
; %bb.24:
	v_mul_lo_u32 v1, v4, s6
	v_add_nc_u32_e32 v3, s16, v5
	s_mov_b32 s0, exec_lo
	s_delay_alu instid0(VALU_DEP_1)
	v_cmpx_gt_u32_e64 s6, v3
	s_cbranch_execz .LBB201_26
; %bb.25:
	s_delay_alu instid0(VALU_DEP_3) | instskip(NEXT) | instid1(VALU_DEP_1)
	v_dual_mov_b32 v5, 0 :: v_dual_add_nc_u32 v4, v1, v3
	v_lshlrev_b64 v[4:5], 1, v[4:5]
	s_delay_alu instid0(VALU_DEP_1) | instskip(NEXT) | instid1(VALU_DEP_2)
	v_add_co_u32 v4, vcc_lo, s8, v4
	v_add_co_ci_u32_e32 v5, vcc_lo, s9, v5, vcc_lo
	global_store_b16 v[4:5], v7, off
.LBB201_26:
	s_or_b32 exec_lo, exec_lo, s0
	v_add_nc_u32_e32 v4, 32, v3
	s_mov_b32 s0, exec_lo
	s_delay_alu instid0(VALU_DEP_1)
	v_cmpx_gt_u32_e64 s6, v4
	s_cbranch_execz .LBB201_28
; %bb.27:
	v_dual_mov_b32 v5, 0 :: v_dual_add_nc_u32 v4, v1, v4
	s_delay_alu instid0(VALU_DEP_1) | instskip(NEXT) | instid1(VALU_DEP_1)
	v_lshlrev_b64 v[4:5], 1, v[4:5]
	v_add_co_u32 v4, vcc_lo, s8, v4
	s_delay_alu instid0(VALU_DEP_2)
	v_add_co_ci_u32_e32 v5, vcc_lo, s9, v5, vcc_lo
	global_store_b16 v[4:5], v6, off
.LBB201_28:
	s_or_b32 exec_lo, exec_lo, s0
	v_add_nc_u32_e32 v4, 64, v3
	s_mov_b32 s0, exec_lo
	s_delay_alu instid0(VALU_DEP_1)
	v_cmpx_gt_u32_e64 s6, v4
	s_cbranch_execz .LBB201_30
; %bb.29:
	v_dual_mov_b32 v5, 0 :: v_dual_add_nc_u32 v4, v1, v4
	s_delay_alu instid0(VALU_DEP_1) | instskip(NEXT) | instid1(VALU_DEP_1)
	v_lshlrev_b64 v[4:5], 1, v[4:5]
	v_add_co_u32 v4, vcc_lo, s8, v4
	s_delay_alu instid0(VALU_DEP_2)
	v_add_co_ci_u32_e32 v5, vcc_lo, s9, v5, vcc_lo
	global_store_b16 v[4:5], v0, off
.LBB201_30:
	s_or_b32 exec_lo, exec_lo, s0
	v_add_nc_u32_e32 v0, 0x60, v3
	s_delay_alu instid0(VALU_DEP_1)
	v_cmp_gt_u32_e32 vcc_lo, s6, v0
	s_and_b32 exec_lo, exec_lo, vcc_lo
	s_cbranch_execz .LBB201_32
; %bb.31:
	v_dual_mov_b32 v1, 0 :: v_dual_add_nc_u32 v0, v1, v0
	s_delay_alu instid0(VALU_DEP_1) | instskip(NEXT) | instid1(VALU_DEP_1)
	v_lshlrev_b64 v[0:1], 1, v[0:1]
	v_add_co_u32 v0, vcc_lo, s8, v0
	s_delay_alu instid0(VALU_DEP_2)
	v_add_co_ci_u32_e32 v1, vcc_lo, s9, v1, vcc_lo
	global_store_b16 v[0:1], v2, off
.LBB201_32:
	s_nop 0
	s_sendmsg sendmsg(MSG_DEALLOC_VGPRS)
	s_endpgm
	.section	.rodata,"a",@progbits
	.p2align	6, 0x0
	.amdhsa_kernel _ZL8moe_q5_0IN3c104HalfELb0EEvPKvS3_PT_PKiS7_S7_iiiiiii
		.amdhsa_group_segment_fixed_size 38656
		.amdhsa_private_segment_fixed_size 0
		.amdhsa_kernarg_size 76
		.amdhsa_user_sgpr_count 14
		.amdhsa_user_sgpr_dispatch_ptr 0
		.amdhsa_user_sgpr_queue_ptr 0
		.amdhsa_user_sgpr_kernarg_segment_ptr 1
		.amdhsa_user_sgpr_dispatch_id 0
		.amdhsa_user_sgpr_private_segment_size 0
		.amdhsa_wavefront_size32 1
		.amdhsa_uses_dynamic_stack 0
		.amdhsa_enable_private_segment 0
		.amdhsa_system_sgpr_workgroup_id_x 1
		.amdhsa_system_sgpr_workgroup_id_y 1
		.amdhsa_system_sgpr_workgroup_id_z 0
		.amdhsa_system_sgpr_workgroup_info 0
		.amdhsa_system_vgpr_workitem_id 1
		.amdhsa_next_free_vgpr 141
		.amdhsa_next_free_sgpr 20
		.amdhsa_reserve_vcc 1
		.amdhsa_float_round_mode_32 0
		.amdhsa_float_round_mode_16_64 0
		.amdhsa_float_denorm_mode_32 3
		.amdhsa_float_denorm_mode_16_64 3
		.amdhsa_dx10_clamp 1
		.amdhsa_ieee_mode 1
		.amdhsa_fp16_overflow 0
		.amdhsa_workgroup_processor_mode 1
		.amdhsa_memory_ordered 1
		.amdhsa_forward_progress 0
		.amdhsa_shared_vgpr_count 0
		.amdhsa_exception_fp_ieee_invalid_op 0
		.amdhsa_exception_fp_denorm_src 0
		.amdhsa_exception_fp_ieee_div_zero 0
		.amdhsa_exception_fp_ieee_overflow 0
		.amdhsa_exception_fp_ieee_underflow 0
		.amdhsa_exception_fp_ieee_inexact 0
		.amdhsa_exception_int_div_zero 0
	.end_amdhsa_kernel
	.section	.text._ZL8moe_q5_0IN3c104HalfELb0EEvPKvS3_PT_PKiS7_S7_iiiiiii,"axG",@progbits,_ZL8moe_q5_0IN3c104HalfELb0EEvPKvS3_PT_PKiS7_S7_iiiiiii,comdat
.Lfunc_end201:
	.size	_ZL8moe_q5_0IN3c104HalfELb0EEvPKvS3_PT_PKiS7_S7_iiiiiii, .Lfunc_end201-_ZL8moe_q5_0IN3c104HalfELb0EEvPKvS3_PT_PKiS7_S7_iiiiiii
                                        ; -- End function
	.section	.AMDGPU.csdata,"",@progbits
; Kernel info:
; codeLenInByte = 10844
; NumSgprs: 22
; NumVgprs: 141
; ScratchSize: 0
; MemoryBound: 0
; FloatMode: 240
; IeeeMode: 1
; LDSByteSize: 38656 bytes/workgroup (compile time only)
; SGPRBlocks: 2
; VGPRBlocks: 17
; NumSGPRsForWavesPerEU: 22
; NumVGPRsForWavesPerEU: 141
; Occupancy: 6
; WaveLimiterHint : 1
; COMPUTE_PGM_RSRC2:SCRATCH_EN: 0
; COMPUTE_PGM_RSRC2:USER_SGPR: 14
; COMPUTE_PGM_RSRC2:TRAP_HANDLER: 0
; COMPUTE_PGM_RSRC2:TGID_X_EN: 1
; COMPUTE_PGM_RSRC2:TGID_Y_EN: 1
; COMPUTE_PGM_RSRC2:TGID_Z_EN: 0
; COMPUTE_PGM_RSRC2:TIDIG_COMP_CNT: 1
	.section	.text._ZL8moe_q5_0IN3c104HalfELb1EEvPKvS3_PT_PKiS7_S7_iiiiiii,"axG",@progbits,_ZL8moe_q5_0IN3c104HalfELb1EEvPKvS3_PT_PKiS7_S7_iiiiiii,comdat
	.globl	_ZL8moe_q5_0IN3c104HalfELb1EEvPKvS3_PT_PKiS7_S7_iiiiiii ; -- Begin function _ZL8moe_q5_0IN3c104HalfELb1EEvPKvS3_PT_PKiS7_S7_iiiiiii
	.p2align	8
	.type	_ZL8moe_q5_0IN3c104HalfELb1EEvPKvS3_PT_PKiS7_S7_iiiiiii,@function
_ZL8moe_q5_0IN3c104HalfELb1EEvPKvS3_PT_PKiS7_S7_iiiiiii: ; @_ZL8moe_q5_0IN3c104HalfELb1EEvPKvS3_PT_PKiS7_S7_iiiiiii
; %bb.0:
	s_load_b128 s[4:7], s[0:1], 0x18
	s_mov_b32 s2, s15
	s_mov_b32 s3, 0
	s_delay_alu instid0(SALU_CYCLE_1)
	s_lshl_b64 s[8:9], s[2:3], 2
	s_waitcnt lgkmcnt(0)
	s_add_u32 s6, s6, s8
	s_addc_u32 s7, s7, s9
	s_load_b32 s15, s[6:7], 0x0
	s_waitcnt lgkmcnt(0)
	s_cmpk_gt_u32 s15, 0xff
	s_cbranch_scc1 .LBB202_32
; %bb.1:
	s_load_b64 s[6:7], s[0:1], 0x28
	s_lshl_b32 s2, s2, 3
	s_waitcnt lgkmcnt(0)
	s_load_b32 s3, s[6:7], 0x0
	s_waitcnt lgkmcnt(0)
	s_cmp_gt_u32 s2, s3
	s_cbranch_scc1 .LBB202_32
; %bb.2:
	v_bfe_u32 v18, v0, 10, 10
	v_mov_b32_e32 v2, 0
	s_mov_b32 s18, 0
	s_delay_alu instid0(VALU_DEP_2) | instskip(NEXT) | instid1(VALU_DEP_2)
	v_add_nc_u32_e32 v1, s2, v18
	v_dual_mov_b32 v0, v2 :: v_dual_and_b32 v21, 0x3ff, v0
	v_mov_b32_e32 v5, v2
	s_delay_alu instid0(VALU_DEP_3) | instskip(NEXT) | instid1(VALU_DEP_1)
	v_lshlrev_b64 v[3:4], 2, v[1:2]
	v_add_co_u32 v3, vcc_lo, s4, v3
	s_delay_alu instid0(VALU_DEP_2)
	v_add_co_ci_u32_e32 v4, vcc_lo, s5, v4, vcc_lo
	global_load_b32 v20, v[3:4], off
	s_clause 0x1
	s_load_b256 s[4:11], s[0:1], 0x30
	s_load_b64 s[12:13], s[0:1], 0x10
	v_mov_b32_e32 v3, v2
	s_waitcnt lgkmcnt(0)
	s_lshl_b32 s11, s14, 7
	s_cmp_lt_i32 s5, 32
	s_cbranch_scc1 .LBB202_23
; %bb.3:
	s_load_b128 s[0:3], s[0:1], 0x0
	s_ashr_i32 s14, s5, 31
	s_mul_i32 s15, s15, s4
	s_lshr_b32 s4, s14, 27
	s_ashr_i32 s16, s8, 31
	s_add_i32 s4, s5, s4
	s_lshr_b32 s14, s16, 27
	s_ashr_i32 s4, s4, 5
	s_add_i32 s8, s8, s14
	s_mul_i32 s14, s4, s11
	s_ashr_i32 s16, s15, 31
	s_ashr_i32 s8, s8, 5
	s_mul_hi_i32 s17, s14, 22
	s_mul_i32 s14, s14, 22
	v_add_nc_u32_e32 v0, 8, v18
	v_add_nc_u32_e32 v3, 16, v18
	;; [unrolled: 1-line block ×6, first 2 shown]
	s_waitcnt lgkmcnt(0)
	s_add_u32 s0, s0, s15
	s_addc_u32 s1, s1, s16
	s_add_u32 s19, s0, s14
	s_addc_u32 s20, s1, s17
	s_abs_i32 s1, s10
	s_not_b32 s0, s11
	v_cvt_f32_u32_e32 v16, s1
	s_add_i32 s0, s0, s6
	v_add_nc_u32_e32 v40, 0x70, v18
	v_min_i32_e32 v2, s0, v18
	v_min_i32_e32 v5, s0, v0
	v_rcp_iflag_f32_e32 v16, v16
	v_lshlrev_b32_e32 v17, 3, v21
	v_min_i32_e32 v6, s0, v3
	v_mul_lo_u32 v25, v2, s4
	v_mul_lo_u32 v26, v5, s4
	v_min_i32_e32 v8, s0, v8
	v_min_i32_e32 v11, s0, v11
	v_mul_lo_u32 v27, v6, s4
	v_lshlrev_b32_e32 v47, 2, v18
	v_lshrrev_b32_e32 v38, 3, v21
	v_mul_f32_e32 v16, 0x4f7ffffe, v16
	v_mad_u64_u32 v[0:1], null, 0x104, v2, v[17:18]
	v_mad_u64_u32 v[1:2], null, 0x104, v5, v[17:18]
	v_min_i32_e32 v5, s0, v4
	v_add_nc_u32_e32 v4, 32, v18
	v_mad_u64_u32 v[2:3], null, 0x104, v6, v[17:18]
	v_add_nc_u32_e32 v6, 40, v18
	s_delay_alu instid0(VALU_DEP_4) | instskip(NEXT) | instid1(VALU_DEP_4)
	v_mul_lo_u32 v28, v5, s4
	v_min_i32_e32 v7, s0, v4
	v_mad_u64_u32 v[3:4], null, 0x104, v5, v[17:18]
	s_delay_alu instid0(VALU_DEP_4) | instskip(SKIP_1) | instid1(VALU_DEP_4)
	v_min_i32_e32 v9, s0, v6
	v_mul_lo_u32 v31, v8, s4
	v_mul_lo_u32 v29, v7, s4
	v_mad_u64_u32 v[4:5], null, 0x104, v7, v[17:18]
	v_add_nc_u32_e32 v7, 56, v18
	v_mul_lo_u32 v30, v9, s4
	v_mad_u64_u32 v[5:6], null, 0x104, v9, v[17:18]
	v_add_nc_u32_e32 v9, 64, v18
	s_delay_alu instid0(VALU_DEP_4) | instskip(SKIP_2) | instid1(VALU_DEP_4)
	v_min_i32_e32 v10, s0, v7
	v_mad_u64_u32 v[6:7], null, 0x104, v8, v[17:18]
	v_mul_lo_u32 v34, v11, s4
	v_min_i32_e32 v12, s0, v9
	s_delay_alu instid0(VALU_DEP_4) | instskip(SKIP_2) | instid1(VALU_DEP_4)
	v_mul_lo_u32 v32, v10, s4
	v_mad_u64_u32 v[7:8], null, 0x104, v10, v[17:18]
	v_add_nc_u32_e32 v10, 0x50, v18
	v_mul_lo_u32 v33, v12, s4
	v_mad_u64_u32 v[8:9], null, 0x104, v12, v[17:18]
	v_add_nc_u32_e32 v12, 0x58, v18
	s_delay_alu instid0(VALU_DEP_4) | instskip(SKIP_2) | instid1(VALU_DEP_4)
	v_min_i32_e32 v13, s0, v10
	v_mad_u64_u32 v[9:10], null, 0x104, v11, v[17:18]
	v_add_nc_u32_e32 v42, 0x78, v18
	v_min_i32_e32 v15, s0, v12
	s_delay_alu instid0(VALU_DEP_4) | instskip(SKIP_2) | instid1(VALU_DEP_4)
	v_mad_u64_u32 v[10:11], null, 0x104, v13, v[17:18]
	v_min_i32_e32 v14, s0, v14
	v_min_i32_e32 v41, s0, v40
	v_mad_u64_u32 v[11:12], null, 0x104, v15, v[17:18]
	v_add_nc_u32_e32 v12, 0x68, v18
	v_mul_lo_u32 v36, v15, s4
	v_cvt_u32_f32_e32 v46, v16
	v_add_nc_u32_e32 v44, v38, v47
	v_min_i32_e32 v42, s0, v42
	v_min_i32_e32 v15, s0, v12
	v_mul_lo_u32 v35, v13, s4
	v_mad_u64_u32 v[12:13], null, 0x104, v14, v[17:18]
	s_sub_i32 s6, 0, s1
	v_mul_lo_u32 v37, v14, s4
	v_mad_u64_u32 v[13:14], null, 0x104, v15, v[17:18]
	v_mul_lo_u32 v39, v15, s4
	v_mad_u64_u32 v[14:15], null, 0x104, v41, v[17:18]
	;; [unrolled: 2-line block ×3, first 2 shown]
	v_add_nc_u32_e32 v17, 32, v44
	v_min_i32_e32 v45, s0, v44
	v_add_nc_u32_e32 v49, 64, v44
	v_add_nc_u32_e32 v44, 0x60, v44
	s_waitcnt vmcnt(0)
	v_sub_nc_u32_e32 v51, 0, v20
	v_min_i32_e32 v17, s0, v17
	v_ashrrev_i32_e32 v43, 31, v45
	v_mul_hi_u32 v48, v46, v48
	v_min_i32_e32 v49, s0, v49
	v_min_i32_e32 v54, s0, v44
	v_ashrrev_i32_e32 v50, 31, v17
	v_lshrrev_b32_e32 v43, 30, v43
	v_mul_lo_u32 v40, v41, s4
	v_ashrrev_i32_e32 v53, 31, v49
	v_mul_lo_u32 v41, v42, s4
	v_lshrrev_b32_e32 v44, 30, v50
	v_max_i32_e32 v50, v20, v51
	v_add_nc_u32_e32 v46, v46, v48
	v_add_nc_u32_e32 v16, v45, v43
	v_and_b32_e32 v42, 7, v21
	v_lshrrev_b32_e32 v48, 30, v53
	v_ashrrev_i32_e32 v51, 31, v54
	v_mul_hi_u32 v53, v50, v46
	v_and_b32_e32 v16, -4, v16
	v_lshlrev_b32_e32 v52, 2, v42
	v_add_nc_u32_e32 v46, v49, v48
	v_lshrrev_b32_e32 v48, 30, v51
	v_lshlrev_b32_e32 v67, 5, v17
	v_mul_lo_u32 v43, v45, s4
	v_add3_u32 v64, v16, v52, 0x8200
	v_add_nc_u32_e32 v16, v17, v44
	v_mul_lo_u32 v51, v53, s1
	v_add_nc_u32_e32 v48, v54, v48
	v_mul_lo_u32 v44, v17, s4
	v_lshlrev_b32_e32 v65, 5, v45
	v_and_b32_e32 v16, -4, v16
	v_mul_lo_u32 v45, v49, s4
	v_dual_mov_b32 v22, 0 :: v_dual_lshlrev_b32 v69, 5, v49
	v_lshlrev_b32_e32 v19, 2, v21
	s_delay_alu instid0(VALU_DEP_4)
	v_add3_u32 v66, v16, v52, 0x8200
	v_and_b32_e32 v16, -4, v48
	v_sub_nc_u32_e32 v17, v50, v51
	v_xor_b32_e32 v50, s10, v20
	v_and_b32_e32 v24, 12, v19
	v_and_b32_e32 v19, 28, v19
	v_add3_u32 v70, v16, v52, 0x8200
	v_add_nc_u32_e32 v16, 1, v53
	v_subrev_nc_u32_e32 v49, s1, v17
	v_cmp_le_u32_e32 vcc_lo, s1, v17
	v_ashrrev_i32_e32 v50, 31, v50
	v_and_b32_e32 v46, -4, v46
	v_and_b32_e32 v48, 31, v21
	v_dual_cndmask_b32 v16, v53, v16 :: v_dual_lshlrev_b32 v57, 7, v18
	v_cndmask_b32_e32 v17, v17, v49, vcc_lo
	s_delay_alu instid0(VALU_DEP_4)
	v_add3_u32 v68, v46, v52, 0x8200
	v_mul_lo_u32 v46, v54, s4
	v_lshlrev_b32_e32 v71, 5, v54
	v_add_nc_u32_e32 v49, 1, v16
	v_cmp_le_u32_e32 vcc_lo, s1, v17
	v_add_nc_u32_e32 v52, 32, v21
	v_add_nc_u32_e32 v53, 64, v21
	;; [unrolled: 1-line block ×3, first 2 shown]
	v_lshl_or_b32 v48, v48, 2, v57
	v_cndmask_b32_e32 v49, v16, v49, vcc_lo
	v_add_co_u32 v16, s0, s2, v19
	v_or_b32_e32 v51, v47, v21
	v_lshlrev_b32_e32 v55, 5, v21
	s_delay_alu instid0(VALU_DEP_4)
	v_xor_b32_e32 v19, v49, v50
	v_and_b32_e32 v54, 0x1fc, v54
	v_and_b32_e32 v53, 0x1fc, v53
	v_and_b32_e32 v56, 0xfc, v21
	v_add_nc_u32_e32 v47, 0x9280, v48
	v_sub_nc_u32_e32 v19, v19, v50
	v_lshrrev_b32_e32 v50, 3, v52
	v_and_b32_e32 v52, 0x1fc, v52
	v_lshl_add_u32 v48, v51, 2, 0x9680
	v_add_co_ci_u32_e64 v17, null, s3, 0, s0
	v_mul_lo_u32 v51, v19, s8
	v_cmp_gt_i32_e64 s0, s7, v19
	v_add_nc_u32_e32 v19, v55, v54
	v_add_nc_u32_e32 v60, v55, v53
	v_add_nc_u32_e32 v61, v55, v52
	v_add_nc_u32_e32 v62, v55, v56
	s_movk_i32 s1, 0x80
	v_lshrrev_b32_e32 v23, 2, v21
	v_cmp_gt_u32_e32 vcc_lo, 4, v21
	v_mul_u32_u24_e32 v49, 0x104, v21
	v_ashrrev_i32_e32 v52, 31, v51
	v_add_nc_u32_e32 v53, 0x8e00, v19
	v_add_nc_u32_e32 v54, 0x8a00, v60
	;; [unrolled: 1-line block ×5, first 2 shown]
	v_lshl_add_u32 v58, v18, 4, 0x9680
	v_add_nc_u32_e32 v59, 0x8e10, v19
	v_add_nc_u32_e32 v60, 0x8a10, v60
	;; [unrolled: 1-line block ×4, first 2 shown]
	v_mad_u32_u24 v63, 0x104, v21, s1
	v_add_nc_u32_e32 v64, v64, v65
	v_add_nc_u32_e32 v65, v66, v67
	v_dual_mov_b32 v67, 0 :: v_dual_add_nc_u32 v66, v68, v69
	v_add_nc_u32_e32 v70, v70, v71
	v_dual_mov_b32 v68, 0 :: v_dual_mov_b32 v69, 0
	s_add_u32 s14, s2, 0x90
	s_addc_u32 s15, s3, 0
	s_branch .LBB202_5
.LBB202_4:                              ;   in Loop: Header=BB202_5 Depth=1
	s_add_i32 s18, s18, 8
	s_delay_alu instid0(SALU_CYCLE_1)
	s_cmp_ge_i32 s18, s4
	s_cbranch_scc1 .LBB202_22
.LBB202_5:                              ; =>This Loop Header: Depth=1
                                        ;     Child Loop BB202_12 Depth 2
                                        ;     Child Loop BB202_20 Depth 2
	s_mul_i32 s1, s18, 22
	s_mul_hi_u32 s6, s18, 22
	s_add_u32 s16, s19, s1
	s_addc_u32 s17, s20, s6
	s_lshl_b32 s6, s18, 5
	v_mad_u64_u32 v[18:19], null, v23, 22, s[16:17]
	s_cmp_lt_i32 s6, s5
	s_delay_alu instid0(VALU_DEP_1)
	v_mad_i64_i32 v[71:72], null, v25, 22, v[18:19]
	v_mad_i64_i32 v[73:74], null, v26, 22, v[18:19]
	;; [unrolled: 1-line block ×6, first 2 shown]
	v_add_co_u32 v75, s1, v71, v24
	s_delay_alu instid0(VALU_DEP_1)
	v_add_co_ci_u32_e64 v76, s1, 0, v72, s1
	s_clause 0x5
	global_load_b32 v77, v[71:72], off offset:2
	global_load_b32 v78, v[73:74], off offset:2
	;; [unrolled: 1-line block ×7, first 2 shown]
	v_add_co_u32 v71, s1, v73, v24
	s_delay_alu instid0(VALU_DEP_1) | instskip(SKIP_4) | instid1(VALU_DEP_1)
	v_add_co_ci_u32_e64 v72, s1, 0, v74, s1
	v_mad_i64_i32 v[91:92], null, v34, 22, v[18:19]
	v_mad_i64_i32 v[93:94], null, v35, 22, v[18:19]
	global_load_b32 v75, v[71:72], off offset:6
	v_add_co_u32 v71, s1, v83, v24
	v_add_co_ci_u32_e64 v72, s1, 0, v84, s1
	global_load_b32 v74, v[71:72], off offset:6
	v_add_co_u32 v71, s1, v85, v24
	s_delay_alu instid0(VALU_DEP_1) | instskip(SKIP_3) | instid1(VALU_DEP_1)
	v_add_co_ci_u32_e64 v72, s1, 0, v86, s1
	v_mad_i64_i32 v[85:86], null, v31, 22, v[18:19]
	global_load_b32 v73, v[71:72], off offset:6
	v_add_co_u32 v71, s1, v87, v24
	v_add_co_ci_u32_e64 v72, s1, 0, v88, s1
	v_add_co_u32 v83, s1, v89, v24
	s_delay_alu instid0(VALU_DEP_1)
	v_add_co_ci_u32_e64 v84, s1, 0, v90, s1
	global_load_b32 v72, v[71:72], off offset:6
	v_mad_i64_i32 v[87:88], null, v32, 22, v[18:19]
	global_load_b32 v71, v[83:84], off offset:6
	v_mad_i64_i32 v[89:90], null, v33, 22, v[18:19]
	v_mad_u64_u32 v[83:84], null, v42, 22, s[16:17]
	v_add_co_u32 v103, s1, v85, v24
	s_delay_alu instid0(VALU_DEP_1)
	v_add_co_ci_u32_e64 v104, s1, 0, v86, s1
	s_clause 0x2
	global_load_b32 v105, v[85:86], off offset:2
	global_load_b32 v106, v[87:88], off offset:2
	global_load_b32 v107, v[89:90], off offset:2
	v_add_co_u32 v85, s1, v87, v24
	v_mad_i64_i32 v[95:96], null, v43, 22, v[83:84]
	v_mad_i64_i32 v[97:98], null, v44, 22, v[83:84]
	v_add_co_ci_u32_e64 v86, s1, 0, v88, s1
	v_mad_i64_i32 v[99:100], null, v45, 22, v[83:84]
	v_add_co_u32 v87, s1, v89, v24
	v_mad_i64_i32 v[101:102], null, v46, 22, v[83:84]
	v_add_co_ci_u32_e64 v88, s1, 0, v90, s1
	v_add_co_u32 v89, s1, v91, v24
	s_delay_alu instid0(VALU_DEP_1)
	v_add_co_ci_u32_e64 v90, s1, 0, v92, s1
	s_clause 0x4
	global_load_b32 v84, v[91:92], off offset:2
	global_load_u16 v91, v[95:96], off
	global_load_u16 v92, v[97:98], off
	;; [unrolled: 1-line block ×4, first 2 shown]
	s_clause 0x3
	global_load_b32 v97, v[103:104], off offset:6
	global_load_b32 v85, v[85:86], off offset:6
	;; [unrolled: 1-line block ×4, first 2 shown]
	s_waitcnt vmcnt(23)
	v_ashrrev_i32_e32 v77, v24, v77
	s_waitcnt vmcnt(22)
	v_ashrrev_i32_e32 v78, v24, v78
	;; [unrolled: 2-line block ×5, first 2 shown]
	v_lshlrev_b32_e32 v88, 4, v77
	v_lshlrev_b32_e32 v89, 11, v77
	;; [unrolled: 1-line block ×4, first 2 shown]
	v_lshrrev_b32_e32 v99, 12, v77
	v_lshrrev_b32_e32 v100, 5, v77
	v_lshlrev_b32_e32 v101, 2, v77
	s_waitcnt vmcnt(17)
	v_and_b32_e32 v87, 0xf0f0f0f, v76
	v_lshrrev_b32_e32 v76, 4, v76
	v_lshlrev_b32_e32 v77, 9, v77
	v_lshlrev_b32_e32 v103, 4, v78
	v_lshlrev_b32_e32 v104, 11, v78
	v_lshlrev_b32_e32 v108, 18, v78
	v_lshlrev_b32_e32 v109, 25, v78
	v_lshrrev_b32_e32 v110, 12, v78
	v_lshrrev_b32_e32 v111, 5, v78
	v_lshlrev_b32_e32 v112, 2, v78
	v_lshlrev_b32_e32 v114, 4, v79
	v_lshlrev_b32_e32 v115, 11, v79
	v_lshlrev_b32_e32 v116, 18, v79
	v_lshlrev_b32_e32 v117, 25, v79
	v_lshrrev_b32_e32 v118, 12, v79
	;; [unrolled: 7-line block ×3, first 2 shown]
	v_lshrrev_b32_e32 v127, 5, v80
	v_lshlrev_b32_e32 v128, 2, v80
	v_lshrrev_b32_e32 v134, 12, v81
	v_lshrrev_b32_e32 v135, 5, v81
	v_lshlrev_b32_e32 v136, 2, v81
	v_and_b32_e32 v88, 16, v88
	v_and_b32_e32 v89, 0x1000, v89
	;; [unrolled: 1-line block ×7, first 2 shown]
	s_waitcnt vmcnt(16)
	v_and_b32_e32 v102, 0xf0f0f0f, v75
	v_lshrrev_b32_e32 v75, 4, v75
	v_lshlrev_b32_e32 v78, 9, v78
	s_waitcnt vmcnt(15)
	v_and_b32_e32 v113, 0xf0f0f0f, v74
	v_lshrrev_b32_e32 v74, 4, v74
	v_lshlrev_b32_e32 v79, 9, v79
	;; [unrolled: 4-line block ×3, first 2 shown]
	s_waitcnt vmcnt(13)
	v_and_b32_e32 v129, 0xf0f0f0f, v72
	v_lshlrev_b32_e32 v130, 4, v81
	v_lshlrev_b32_e32 v131, 11, v81
	;; [unrolled: 1-line block ×4, first 2 shown]
	v_lshrrev_b32_e32 v72, 4, v72
	v_lshlrev_b32_e32 v81, 9, v81
	v_and_b32_e32 v76, 0xf0f0f0f, v76
	v_and_b32_e32 v77, 0x10000000, v77
	;; [unrolled: 1-line block ×26, first 2 shown]
	v_or3_b32 v88, v88, v87, v89
	v_or3_b32 v87, v87, v90, v98
	;; [unrolled: 1-line block ×3, first 2 shown]
	v_and_b32_e32 v75, 0xf0f0f0f, v75
	v_and_b32_e32 v78, 0x10000000, v78
	;; [unrolled: 1-line block ×10, first 2 shown]
	v_or3_b32 v90, v103, v102, v104
	v_or3_b32 v98, v102, v108, v109
	;; [unrolled: 1-line block ×10, first 2 shown]
	v_lshrrev_b32_e32 v87, 16, v87
	v_and_b32_e32 v114, 0x1f00, v88
	v_lshlrev_b16 v88, 8, v88
	v_or3_b32 v76, v89, v77, v76
	v_or3_b32 v110, v129, v132, v133
	v_or3_b32 v75, v99, v78, v75
	v_lshrrev_b32_e32 v78, 16, v101
	v_or3_b32 v74, v102, v79, v74
	v_lshrrev_b32_e32 v79, 16, v104
	v_lshlrev_b16 v101, 8, v103
	v_or3_b32 v73, v108, v80, v73
	v_or3_b32 v72, v111, v81, v72
	v_add_nc_u16 v81, v88, 0xf000
	v_and_b32_e32 v88, 0x1f00, v87
	v_lshlrev_b16 v87, 8, v87
	v_lshrrev_b32_e32 v104, 16, v76
	v_and_b32_e32 v108, 0x1f00, v76
	v_lshlrev_b16 v76, 8, v76
	v_and_b32_e32 v130, 16, v130
	v_and_b32_e32 v131, 0x1000, v131
	v_lshrrev_b32_e32 v80, 16, v110
	v_lshrrev_b32_e32 v110, 16, v75
	v_add_nc_u16 v101, v101, 0xf000
	v_lshrrev_b32_e32 v119, 16, v73
	v_and_b32_e32 v120, 0x1f00, v73
	v_lshlrev_b16 v73, 8, v73
	v_lshrrev_b16 v81, 8, v81
	v_add_nc_u16 v87, v87, 0xf000
	v_add_nc_i16 v76, v76, 0xf000 clamp
	v_and_b32_e32 v124, 0xffffff00, v104
	v_lshlrev_b16 v104, 8, v104
	v_lshrrev_b32_e32 v122, 16, v72
	v_and_b32_e32 v123, 0x1f00, v72
	v_lshlrev_b16 v72, 8, v72
	v_or3_b32 v109, v130, v129, v131
	v_lshrrev_b32_e32 v77, 16, v98
	v_and_b32_e32 v98, 0x1f00, v100
	v_lshlrev_b16 v99, 8, v100
	v_and_b32_e32 v100, 0x1f00, v103
	v_and_b32_e32 v125, 0xffffff00, v110
	v_lshlrev_b16 v110, 8, v110
	v_lshrrev_b16 v101, 8, v101
	v_add_nc_i16 v73, v73, 0xf000 clamp
	v_and_b32_e32 v127, 0xffffff00, v119
	v_lshlrev_b16 v119, 8, v119
	v_or_b32_e32 v81, v114, v81
	v_lshrrev_b16 v87, 8, v87
	v_lshrrev_b16 v76, 8, v76
	v_add_nc_i16 v114, v124, 0xf000 clamp
	v_add_nc_i16 v104, v104, 0xf000 clamp
	;; [unrolled: 1-line block ×3, first 2 shown]
	v_and_b32_e32 v89, 0x1f00, v90
	v_lshlrev_b16 v90, 8, v90
	v_and_b32_e32 v102, 0x1f00, v109
	v_lshlrev_b16 v103, 8, v109
	;; [unrolled: 2-line block ×3, first 2 shown]
	v_add_nc_i16 v110, v110, 0xf000 clamp
	v_or_b32_e32 v100, v100, v101
	v_lshrrev_b16 v73, 8, v73
	v_add_nc_i16 v101, v127, 0xf000 clamp
	v_add_nc_i16 v119, v119, 0xf000 clamp
	v_or_b32_e32 v87, v88, v87
	v_or_b32_e32 v76, v108, v76
	v_and_b32_e32 v88, 0xffffff00, v114
	v_lshrrev_b16 v104, 8, v104
	v_lshrrev_b16 v72, 8, v72
	v_add_nc_u16 v90, v90, 0xf000
	v_and_b32_e32 v115, 0x1f00, v78
	v_lshlrev_b16 v78, 8, v78
	v_and_b32_e32 v118, 0x1f00, v79
	v_lshlrev_b16 v79, 8, v79
	v_add_nc_u16 v77, v77, 0xf000
	v_lshrrev_b16 v108, 8, v110
	v_or_b32_e32 v73, v120, v73
	v_and_b32_e32 v101, 0xffffff00, v101
	v_lshrrev_b16 v110, 8, v119
	v_add_nc_u16 v76, v76, 0xf000
	v_or_b32_e32 v88, v104, v88
	v_add_nc_u16 v99, v99, 0xf000
	v_lshrrev_b32_e32 v116, 16, v74
	v_and_b32_e32 v117, 0x1f00, v74
	v_lshlrev_b16 v74, 8, v74
	v_or_b32_e32 v72, v123, v72
	v_ashrrev_i32_e32 v82, v24, v82
	v_lshrrev_b16 v90, 8, v90
	v_add_nc_u16 v78, v78, 0xf000
	v_add_nc_u16 v79, v79, 0xf000
	v_lshrrev_b16 v77, 8, v77
	v_add_nc_u16 v81, v81, 0xf000
	v_add_nc_u16 v87, v87, 0xf000
	;; [unrolled: 1-line block ×3, first 2 shown]
	v_or_b32_e32 v101, v110, v101
	v_and_b32_e32 v76, 0xffff, v76
	v_lshlrev_b32_e32 v88, 16, v88
	v_lshrrev_b16 v99, 8, v99
	v_add_nc_i16 v74, v74, 0xf000 clamp
	v_and_b32_e32 v126, 0xffffff00, v116
	v_lshlrev_b16 v116, 8, v116
	v_add_nc_u16 v72, v72, 0xf000
	v_lshlrev_b32_e32 v138, 4, v82
	v_lshlrev_b32_e32 v139, 11, v82
	v_or_b32_e32 v89, v89, v90
	v_lshrrev_b16 v78, 8, v78
	v_lshrrev_b16 v79, 8, v79
	v_or_b32_e32 v77, v109, v77
	v_and_b32_e32 v81, 0xffff, v81
	v_lshlrev_b32_e32 v87, 16, v87
	v_and_b32_e32 v73, 0xffff, v73
	v_lshlrev_b32_e32 v101, 16, v101
	v_or_b32_e32 v76, v76, v88
	global_load_b32 v88, v[93:94], off offset:2
	v_lshlrev_b32_e32 v140, 18, v82
	v_lshlrev_b32_e32 v141, 25, v82
	v_or_b32_e32 v98, v98, v99
	v_lshrrev_b16 v74, 8, v74
	v_add_nc_i16 v99, v126, 0xf000 clamp
	v_add_nc_i16 v116, v116, 0xf000 clamp
	v_and_b32_e32 v104, 0xffff, v72
	v_add_co_u32 v72, s1, v93, v24
	v_and_b32_e32 v111, 0x1f00, v75
	v_lshlrev_b16 v75, 8, v75
	s_waitcnt vmcnt(13)
	v_and_b32_e32 v137, 0xf0f0f0f, v71
	v_and_b32_e32 v138, 16, v138
	;; [unrolled: 1-line block ×3, first 2 shown]
	v_add_nc_u16 v89, v89, 0xf000
	v_or_b32_e32 v78, v115, v78
	v_or_b32_e32 v79, v118, v79
	v_add_nc_u16 v77, v77, 0xf000
	v_or_b32_e32 v81, v81, v87
	v_or_b32_e32 v87, v73, v101
	v_add_co_ci_u32_e64 v73, s1, 0, v94, s1
	v_and_b32_e32 v140, 0x100000, v140
	v_and_b32_e32 v141, 0x10000000, v141
	v_or_b32_e32 v74, v117, v74
	v_and_b32_e32 v99, 0xffffff00, v99
	v_lshrrev_b16 v109, 8, v116
	v_add_nc_i16 v75, v75, 0xf000 clamp
	v_or3_b32 v112, v138, v137, v139
	v_add_nc_u16 v103, v103, 0xf000
	v_and_b32_e32 v121, 0x1f00, v80
	v_lshlrev_b16 v80, 8, v80
	v_add_nc_u16 v98, v98, 0xf000
	v_add_nc_u16 v100, v100, 0xf000
	v_and_b32_e32 v89, 0xffff, v89
	v_add_nc_u16 v78, v78, 0xf000
	v_add_nc_u16 v79, v79, 0xf000
	v_lshlrev_b32_e32 v77, 16, v77
	global_load_b32 v94, v[72:73], off offset:6
	v_or3_b32 v113, v137, v140, v141
	v_add_nc_u16 v74, v74, 0xf000
	v_or_b32_e32 v99, v109, v99
	v_lshrrev_b16 v75, 8, v75
	v_add_nc_i16 v90, v125, 0xf000 clamp
	v_lshrrev_b16 v103, 8, v103
	v_add_nc_u16 v80, v80, 0xf000
	v_and_b32_e32 v128, 0xffffff00, v122
	v_lshlrev_b16 v122, 8, v122
	v_and_b32_e32 v98, 0xffff, v98
	v_and_b32_e32 v100, 0xffff, v100
	v_lshlrev_b32_e32 v78, 16, v78
	v_lshlrev_b32_e32 v79, 16, v79
	v_or_b32_e32 v77, v89, v77
	v_lshlrev_b16 v89, 8, v112
	v_and_b32_e32 v74, 0xffff, v74
	v_lshlrev_b32_e32 v99, 16, v99
	v_lshrrev_b32_e32 v93, 16, v113
	v_or_b32_e32 v75, v111, v75
	v_and_b32_e32 v90, 0xffffff00, v90
	v_or_b32_e32 v102, v102, v103
	v_lshrrev_b16 v80, 8, v80
	v_add_nc_i16 v103, v128, 0xf000 clamp
	v_add_nc_i16 v122, v122, 0xf000 clamp
	v_or_b32_e32 v78, v98, v78
	v_or_b32_e32 v79, v100, v79
	v_add_nc_u16 v73, v89, 0xf000
	v_lshrrev_b32_e32 v89, 12, v82
	v_lshrrev_b32_e32 v98, 5, v82
	v_lshlrev_b32_e32 v100, 2, v82
	v_or_b32_e32 v74, v74, v99
	v_lshlrev_b16 v99, 8, v93
	v_add_nc_u16 v75, v75, 0xf000
	v_or_b32_e32 v90, v108, v90
	v_or_b32_e32 v80, v121, v80
	v_and_b32_e32 v103, 0xffffff00, v103
	v_lshrrev_b16 v111, 8, v122
	v_lshrrev_b32_e32 v71, 4, v71
	v_and_b32_e32 v89, 16, v89
	v_and_b32_e32 v98, 0x1000, v98
	v_lshlrev_b32_e32 v82, 9, v82
	v_and_b32_e32 v100, 0x100000, v100
	v_and_b32_e32 v72, 0x1f00, v112
	v_lshrrev_b16 v73, 8, v73
	v_add_nc_u16 v99, v99, 0xf000
	v_and_b32_e32 v75, 0xffff, v75
	v_lshlrev_b32_e32 v90, 16, v90
	v_add_nc_u16 v102, v102, 0xf000
	v_add_nc_u16 v80, v80, 0xf000
	v_or_b32_e32 v103, v111, v103
	v_and_b32_e32 v71, 0xf0f0f0f, v71
	v_and_b32_e32 v82, 0x10000000, v82
	v_or3_b32 v89, v98, v89, v100
	v_or_b32_e32 v72, v72, v73
	v_and_b32_e32 v73, 0x1f00, v93
	v_lshrrev_b16 v93, 8, v99
	s_waitcnt vmcnt(9)
	v_cvt_f32_f16_e32 v91, v91
	v_or_b32_e32 v75, v75, v90
	v_and_b32_e32 v102, 0xffff, v102
	v_lshlrev_b32_e32 v80, 16, v80
	v_lshlrev_b32_e32 v103, 16, v103
	v_or3_b32 v82, v89, v82, v71
	s_waitcnt vmcnt(8)
	v_cvt_f32_f16_e32 v71, v92
	s_waitcnt vmcnt(7)
	v_cvt_f32_f16_e32 v89, v95
	ds_store_2addr_b32 v0, v81, v76 offset1:1
	ds_store_b32 v64, v91
	ds_store_2addr_b32 v1, v77, v75 offset1:1
	ds_store_b32 v65, v71
	ds_store_2addr_b32 v2, v78, v74 offset1:1
	ds_store_b32 v66, v89
	v_add_nc_u16 v74, v72, 0xf000
	v_or_b32_e32 v75, v73, v93
	v_mad_i64_i32 v[72:73], null, v36, 22, v[18:19]
	v_or_b32_e32 v80, v102, v80
	v_or_b32_e32 v90, v104, v103
	ds_store_2addr_b32 v3, v79, v87 offset1:1
	ds_store_2addr_b32 v4, v80, v90 offset1:1
	global_load_b32 v80, v[72:73], off offset:2
	v_lshlrev_b16 v76, 8, v82
	v_lshrrev_b32_e32 v77, 16, v82
	v_add_co_u32 v72, s1, v72, v24
	s_delay_alu instid0(VALU_DEP_1) | instskip(NEXT) | instid1(VALU_DEP_4)
	v_add_co_ci_u32_e64 v73, s1, 0, v73, s1
	v_add_nc_i16 v76, v76, 0xf000 clamp
	s_delay_alu instid0(VALU_DEP_4)
	v_and_b32_e32 v79, 0xffffff00, v77
	v_lshlrev_b16 v77, 8, v77
	v_and_b32_e32 v78, 0x1f00, v82
	global_load_b32 v82, v[72:73], off offset:6
	v_lshrrev_b16 v76, 8, v76
	v_ashrrev_i32_e32 v81, v24, v105
	v_add_nc_i16 v77, v77, 0xf000 clamp
	v_add_nc_u16 v75, v75, 0xf000
	v_add_nc_i16 v79, v79, 0xf000 clamp
	v_or_b32_e32 v73, v78, v76
	v_lshlrev_b32_e32 v78, 25, v81
	v_lshrrev_b16 v76, 8, v77
	v_lshlrev_b32_e32 v77, 18, v81
	v_lshlrev_b32_e32 v87, 4, v81
	;; [unrolled: 1-line block ×3, first 2 shown]
	v_and_b32_e32 v74, 0xffff, v74
	v_lshlrev_b32_e32 v72, 16, v75
	v_and_b32_e32 v75, 0xffffff00, v79
	s_waitcnt vmcnt(7)
	v_and_b32_e32 v79, 0xf0f0f0f, v97
	v_and_b32_e32 v77, 0x100000, v77
	;; [unrolled: 1-line block ×3, first 2 shown]
	v_add_nc_u16 v73, v73, 0xf000
	v_and_b32_e32 v87, 16, v87
	v_and_b32_e32 v89, 0x1000, v89
	v_or_b32_e32 v75, v76, v75
	v_or3_b32 v76, v79, v77, v78
	v_or_b32_e32 v74, v74, v72
	v_and_b32_e32 v77, 0xffff, v73
	v_or3_b32 v72, v87, v79, v89
	v_lshrrev_b32_e32 v73, 12, v81
	v_lshrrev_b32_e32 v78, 5, v81
	v_lshlrev_b32_e32 v87, 2, v81
	v_lshrrev_b32_e32 v89, 4, v97
	v_lshlrev_b16 v79, 8, v72
	v_and_b32_e32 v73, 16, v73
	v_and_b32_e32 v78, 0x1000, v78
	v_lshlrev_b32_e32 v81, 9, v81
	v_and_b32_e32 v87, 0x100000, v87
	v_lshrrev_b32_e32 v76, 16, v76
	v_add_nc_u16 v79, v79, 0xf000
	v_and_b32_e32 v90, 0x1f00, v72
	v_and_b32_e32 v89, 0xf0f0f0f, v89
	;; [unrolled: 1-line block ×3, first 2 shown]
	v_or3_b32 v78, v78, v73, v87
	v_mad_i64_i32 v[72:73], null, v37, 22, v[18:19]
	v_lshlrev_b32_e32 v75, 16, v75
	v_lshrrev_b16 v79, 8, v79
	v_lshlrev_b16 v87, 8, v76
	v_or3_b32 v78, v78, v81, v89
	v_and_b32_e32 v76, 0x1f00, v76
	v_or_b32_e32 v75, v77, v75
	global_load_b32 v89, v[72:73], off offset:2
	v_or_b32_e32 v77, v90, v79
	v_add_nc_u16 v79, v87, 0xf000
	v_lshrrev_b32_e32 v81, 16, v78
	v_lshlrev_b16 v87, 8, v78
	v_add_co_u32 v72, s1, v72, v24
	s_delay_alu instid0(VALU_DEP_1) | instskip(NEXT) | instid1(VALU_DEP_3)
	v_add_co_ci_u32_e64 v73, s1, 0, v73, s1
	v_add_nc_i16 v87, v87, 0xf000 clamp
	v_and_b32_e32 v90, 0xffffff00, v81
	v_lshlrev_b16 v81, 8, v81
	global_load_b32 v91, v[72:73], off offset:6
	v_lshrrev_b16 v79, 8, v79
	v_and_b32_e32 v72, 0x1f00, v78
	v_lshrrev_b16 v73, 8, v87
	v_add_nc_i16 v78, v90, 0xf000 clamp
	v_add_nc_i16 v81, v81, 0xf000 clamp
	v_or_b32_e32 v76, v76, v79
	v_ashrrev_i32_e32 v79, v24, v106
	v_or_b32_e32 v72, v72, v73
	v_and_b32_e32 v73, 0xffffff00, v78
	v_lshrrev_b16 v78, 8, v81
	s_waitcnt vmcnt(8)
	v_and_b32_e32 v92, 0xf0f0f0f, v85
	v_lshlrev_b32_e32 v81, 11, v79
	v_add_nc_u16 v72, v72, 0xf000
	v_lshlrev_b32_e32 v87, 18, v79
	v_or_b32_e32 v73, v78, v73
	v_lshlrev_b32_e32 v78, 4, v79
	v_lshlrev_b32_e32 v90, 25, v79
	v_and_b32_e32 v81, 0x1000, v81
	v_add_nc_u16 v77, v77, 0xf000
	v_add_nc_u16 v76, v76, 0xf000
	v_and_b32_e32 v78, 16, v78
	v_and_b32_e32 v87, 0x100000, v87
	;; [unrolled: 1-line block ×4, first 2 shown]
	v_lshlrev_b32_e32 v73, 16, v73
	v_or3_b32 v78, v78, v92, v81
	v_and_b32_e32 v77, 0xffff, v77
	v_lshlrev_b32_e32 v76, 16, v76
	v_or3_b32 v81, v92, v87, v90
	ds_store_2addr_b32 v5, v74, v75 offset1:1
	v_or_b32_e32 v75, v72, v73
	v_lshlrev_b16 v72, 8, v78
	v_or_b32_e32 v74, v77, v76
	v_lshrrev_b32_e32 v76, 16, v81
	v_and_b32_e32 v73, 0x1f00, v78
	v_lshrrev_b32_e32 v77, 12, v79
	v_lshrrev_b32_e32 v78, 5, v79
	v_add_nc_u16 v72, v72, 0xf000
	v_lshlrev_b32_e32 v81, 2, v79
	v_lshrrev_b32_e32 v85, 4, v85
	v_and_b32_e32 v77, 16, v77
	v_and_b32_e32 v78, 0x1000, v78
	v_lshrrev_b16 v72, 8, v72
	v_and_b32_e32 v81, 0x100000, v81
	v_lshlrev_b32_e32 v79, 9, v79
	v_and_b32_e32 v85, 0xf0f0f0f, v85
	v_lshlrev_b16 v87, 8, v76
	ds_store_2addr_b32 v6, v74, v75 offset1:1
	v_or3_b32 v77, v78, v77, v81
	v_or_b32_e32 v78, v73, v72
	v_mad_i64_i32 v[72:73], null, v39, 22, v[18:19]
	v_and_b32_e32 v79, 0x10000000, v79
	v_add_nc_u16 v81, v87, 0xf000
	v_and_b32_e32 v75, 0x1f00, v76
	v_add_nc_u16 v74, v78, 0xf000
	s_waitcnt vmcnt(7)
	v_and_b32_e32 v93, 0xf0f0f0f, v86
	v_or3_b32 v77, v77, v79, v85
	global_load_b32 v79, v[72:73], off offset:2
	v_add_co_u32 v72, s1, v72, v24
	s_delay_alu instid0(VALU_DEP_1)
	v_add_co_ci_u32_e64 v73, s1, 0, v73, s1
	v_lshrrev_b16 v76, 8, v81
	v_lshlrev_b16 v78, 8, v77
	v_ashrrev_i32_e32 v85, v24, v107
	global_load_b32 v81, v[72:73], off offset:6
	v_and_b32_e32 v72, 0x1f00, v77
	v_or_b32_e32 v75, v75, v76
	v_add_nc_i16 v76, v78, 0xf000 clamp
	v_lshrrev_b32_e32 v78, 16, v77
	v_lshlrev_b32_e32 v87, 11, v85
	v_lshlrev_b32_e32 v90, 18, v85
	;; [unrolled: 1-line block ×3, first 2 shown]
	v_lshrrev_b16 v73, 8, v76
	v_and_b32_e32 v76, 0xffffff00, v78
	v_lshlrev_b16 v77, 8, v78
	v_lshlrev_b32_e32 v78, 4, v85
	v_and_b32_e32 v87, 0x1000, v87
	v_and_b32_e32 v90, 0x100000, v90
	;; [unrolled: 1-line block ×3, first 2 shown]
	v_or_b32_e32 v72, v72, v73
	v_and_b32_e32 v78, 16, v78
	v_add_nc_i16 v76, v76, 0xf000 clamp
	v_add_nc_i16 v77, v77, 0xf000 clamp
	v_cvt_f32_f16_e32 v71, v96
	v_add_nc_u16 v72, v72, 0xf000
	v_or3_b32 v73, v78, v93, v87
	v_or3_b32 v78, v93, v90, v92
	v_and_b32_e32 v76, 0xffffff00, v76
	v_lshrrev_b16 v77, 8, v77
	v_and_b32_e32 v90, 0xffff, v72
	v_lshlrev_b16 v87, 8, v73
	v_lshrrev_b32_e32 v78, 16, v78
	v_and_b32_e32 v92, 0x1f00, v73
	v_lshrrev_b32_e32 v93, 12, v85
	v_lshrrev_b32_e32 v95, 5, v85
	v_mad_i64_i32 v[72:73], null, v40, 22, v[18:19]
	v_lshlrev_b32_e32 v96, 2, v85
	v_or_b32_e32 v76, v77, v76
	v_add_nc_u16 v77, v87, 0xf000
	v_lshlrev_b16 v87, 8, v78
	v_lshrrev_b32_e32 v86, 4, v86
	v_lshlrev_b32_e32 v85, 9, v85
	v_and_b32_e32 v93, 16, v93
	v_and_b32_e32 v95, 0x1000, v95
	;; [unrolled: 1-line block ×3, first 2 shown]
	global_load_b32 v97, v[72:73], off offset:2
	v_add_co_u32 v72, s1, v72, v24
	v_add_nc_u16 v75, v75, 0xf000
	v_lshrrev_b16 v77, 8, v77
	v_add_nc_u16 v87, v87, 0xf000
	v_and_b32_e32 v86, 0xf0f0f0f, v86
	v_and_b32_e32 v85, 0x10000000, v85
	v_add_co_ci_u32_e64 v73, s1, 0, v73, s1
	v_or3_b32 v93, v95, v93, v96
	v_and_b32_e32 v74, 0xffff, v74
	v_lshlrev_b32_e32 v75, 16, v75
	v_lshlrev_b32_e32 v76, 16, v76
	v_or_b32_e32 v77, v92, v77
	v_and_b32_e32 v78, 0x1f00, v78
	v_lshrrev_b16 v87, 8, v87
	global_load_b32 v92, v[72:73], off offset:6
	v_or3_b32 v72, v93, v85, v86
	v_or_b32_e32 v73, v74, v75
	v_or_b32_e32 v74, v90, v76
	v_add_nc_u16 v75, v77, 0xf000
	v_or_b32_e32 v76, v78, v87
	v_lshlrev_b16 v77, 8, v72
	v_lshrrev_b32_e32 v78, 16, v72
	ds_store_2addr_b32 v7, v73, v74 offset1:1
	v_and_b32_e32 v74, 0xffff, v75
	v_add_nc_u16 v73, v76, 0xf000
	v_add_nc_i16 v75, v77, 0xf000 clamp
	v_and_b32_e32 v76, 0xffffff00, v78
	v_lshlrev_b16 v77, 8, v78
	v_ashrrev_i32_e32 v78, v24, v84
	v_and_b32_e32 v72, 0x1f00, v72
	v_lshrrev_b16 v75, 8, v75
	v_add_nc_i16 v76, v76, 0xf000 clamp
	v_add_nc_i16 v77, v77, 0xf000 clamp
	v_lshlrev_b32_e32 v85, 18, v78
	v_lshlrev_b32_e32 v86, 25, v78
	s_waitcnt vmcnt(10)
	v_and_b32_e32 v90, 0xf0f0f0f, v83
	v_or_b32_e32 v72, v72, v75
	v_and_b32_e32 v75, 0xffffff00, v76
	v_and_b32_e32 v85, 0x100000, v85
	;; [unrolled: 1-line block ×3, first 2 shown]
	v_lshrrev_b16 v76, 8, v77
	v_lshlrev_b32_e32 v84, 4, v78
	v_lshlrev_b32_e32 v87, 11, v78
	v_lshrrev_b32_e32 v83, 4, v83
	v_or3_b32 v77, v90, v85, v86
	v_lshlrev_b32_e32 v85, 16, v73
	v_add_nc_u16 v86, v72, 0xf000
	v_mad_i64_i32 v[72:73], null, v41, 22, v[18:19]
	v_lshlrev_b32_e32 v18, 2, v78
	v_and_b32_e32 v84, 16, v84
	v_and_b32_e32 v87, 0x1000, v87
	v_or_b32_e32 v75, v76, v75
	v_lshrrev_b32_e32 v76, 16, v77
	v_and_b32_e32 v93, 0x100000, v18
	global_load_b32 v95, v[72:73], off offset:2
	v_add_co_u32 v18, s1, v72, v24
	s_delay_alu instid0(VALU_DEP_1)
	v_add_co_ci_u32_e64 v19, s1, 0, v73, s1
	v_or3_b32 v84, v84, v90, v87
	v_lshrrev_b32_e32 v87, 12, v78
	v_lshrrev_b32_e32 v90, 5, v78
	global_load_b32 v18, v[18:19], off offset:6
	v_lshlrev_b32_e32 v78, 9, v78
	v_and_b32_e32 v77, 0x1f00, v84
	v_lshlrev_b16 v84, 8, v84
	v_and_b32_e32 v87, 16, v87
	v_and_b32_e32 v90, 0x1000, v90
	;; [unrolled: 1-line block ×4, first 2 shown]
	v_add_nc_u16 v84, v84, 0xf000
	v_and_b32_e32 v19, 0xffff, v86
	v_or3_b32 v83, v90, v87, v93
	v_lshlrev_b32_e32 v75, 16, v75
	v_or_b32_e32 v74, v74, v85
	v_lshrrev_b16 v72, 8, v84
	v_lshlrev_b16 v84, 8, v76
	v_or3_b32 v73, v83, v78, v73
	v_or_b32_e32 v19, v19, v75
	v_and_b32_e32 v76, 0x1f00, v76
	v_or_b32_e32 v72, v77, v72
	v_add_nc_u16 v77, v84, 0xf000
	v_lshlrev_b16 v75, 8, v73
	ds_store_2addr_b32 v8, v74, v19 offset1:1
	v_lshrrev_b32_e32 v74, 16, v73
	v_add_nc_u16 v72, v72, 0xf000
	v_lshrrev_b16 v77, 8, v77
	v_and_b32_e32 v73, 0x1f00, v73
	s_waitcnt vmcnt(10)
	v_and_b32_e32 v86, 0xf0f0f0f, v94
	v_lshrrev_b32_e32 v87, 4, v94
	v_and_b32_e32 v19, 0xffff, v72
	v_add_nc_i16 v72, v75, 0xf000 clamp
	v_or_b32_e32 v75, v76, v77
	v_ashrrev_i32_e32 v76, v24, v88
	v_and_b32_e32 v77, 0xffffff00, v74
	v_lshlrev_b16 v74, 8, v74
	v_lshrrev_b16 v72, 8, v72
	v_add_nc_u16 v75, v75, 0xf000
	v_lshlrev_b32_e32 v83, 18, v76
	v_lshlrev_b32_e32 v84, 25, v76
	;; [unrolled: 1-line block ×4, first 2 shown]
	v_add_nc_i16 v77, v77, 0xf000 clamp
	v_and_b32_e32 v83, 0x100000, v83
	v_and_b32_e32 v84, 0x10000000, v84
	;; [unrolled: 1-line block ×4, first 2 shown]
	v_add_nc_i16 v74, v74, 0xf000 clamp
	v_or_b32_e32 v72, v73, v72
	v_or3_b32 v73, v86, v83, v84
	v_and_b32_e32 v77, 0xffffff00, v77
	v_or3_b32 v78, v78, v86, v85
	v_lshrrev_b16 v74, 8, v74
	v_lshrrev_b32_e32 v84, 12, v76
	v_lshrrev_b32_e32 v73, 16, v73
	;; [unrolled: 1-line block ×3, first 2 shown]
	v_lshlrev_b16 v83, 8, v78
	v_or_b32_e32 v74, v74, v77
	v_lshlrev_b32_e32 v86, 2, v76
	v_lshlrev_b16 v77, 8, v73
	v_add_nc_u16 v72, v72, 0xf000
	v_add_nc_u16 v83, v83, 0xf000
	v_and_b32_e32 v78, 0x1f00, v78
	v_and_b32_e32 v73, 0x1f00, v73
	v_add_nc_u16 v77, v77, 0xf000
	v_and_b32_e32 v84, 16, v84
	v_lshrrev_b16 v83, 8, v83
	v_and_b32_e32 v85, 0x1000, v85
	v_lshlrev_b32_e32 v76, 9, v76
	v_lshrrev_b16 v77, 8, v77
	v_and_b32_e32 v86, 0x100000, v86
	v_lshlrev_b32_e32 v75, 16, v75
	v_and_b32_e32 v72, 0xffff, v72
	v_lshlrev_b32_e32 v74, 16, v74
	v_or_b32_e32 v78, v78, v83
	v_or_b32_e32 v73, v73, v77
	v_and_b32_e32 v77, 0xf0f0f0f, v87
	v_and_b32_e32 v76, 0x10000000, v76
	v_or3_b32 v83, v85, v84, v86
	v_or_b32_e32 v19, v19, v75
	v_or_b32_e32 v72, v72, v74
	v_add_nc_u16 v74, v78, 0xf000
	v_add_nc_u16 v73, v73, 0xf000
	v_or3_b32 v75, v83, v76, v77
	s_waitcnt vmcnt(9)
	v_ashrrev_i32_e32 v76, v24, v80
	ds_store_2addr_b32 v9, v19, v72 offset1:1
	v_and_b32_e32 v19, 0xffff, v74
	s_waitcnt vmcnt(8)
	v_and_b32_e32 v80, 0xf0f0f0f, v82
	v_lshlrev_b16 v78, 8, v75
	v_lshlrev_b32_e32 v74, 4, v76
	v_lshlrev_b32_e32 v77, 11, v76
	;; [unrolled: 1-line block ×5, first 2 shown]
	v_and_b32_e32 v74, 16, v74
	v_and_b32_e32 v77, 0x1000, v77
	v_lshrrev_b32_e32 v73, 16, v75
	v_add_nc_i16 v78, v78, 0xf000 clamp
	v_and_b32_e32 v75, 0x1f00, v75
	v_or_b32_e32 v19, v19, v72
	v_or3_b32 v74, v74, v80, v77
	v_and_b32_e32 v77, 0x100000, v83
	v_and_b32_e32 v83, 0x10000000, v84
	;; [unrolled: 1-line block ×3, first 2 shown]
	v_lshlrev_b16 v73, 8, v73
	v_lshrrev_b16 v78, 8, v78
	v_lshlrev_b16 v84, 8, v74
	v_or3_b32 v77, v80, v77, v83
	v_add_nc_i16 v85, v85, 0xf000 clamp
	v_add_nc_i16 v73, v73, 0xf000 clamp
	v_or_b32_e32 v75, v75, v78
	v_add_nc_u16 v78, v84, 0xf000
	v_lshrrev_b32_e32 v77, 16, v77
	v_and_b32_e32 v80, 0xffffff00, v85
	v_lshrrev_b16 v73, 8, v73
	v_and_b32_e32 v74, 0x1f00, v74
	v_lshrrev_b16 v78, 8, v78
	v_add_nc_u16 v72, v75, 0xf000
	v_lshlrev_b16 v75, 8, v77
	v_or_b32_e32 v73, v73, v80
	v_lshrrev_b32_e32 v80, 5, v76
	v_or_b32_e32 v74, v74, v78
	v_lshrrev_b32_e32 v78, 12, v76
	v_add_nc_u16 v75, v75, 0xf000
	v_lshlrev_b32_e32 v83, 2, v76
	v_lshrrev_b32_e32 v82, 4, v82
	v_and_b32_e32 v80, 0x1000, v80
	v_and_b32_e32 v78, 16, v78
	v_lshlrev_b32_e32 v76, 9, v76
	v_and_b32_e32 v83, 0x100000, v83
	v_and_b32_e32 v77, 0x1f00, v77
	v_lshrrev_b16 v75, 8, v75
	v_and_b32_e32 v82, 0xf0f0f0f, v82
	v_and_b32_e32 v76, 0x10000000, v76
	v_or3_b32 v78, v80, v78, v83
	v_and_b32_e32 v72, 0xffff, v72
	v_or_b32_e32 v75, v77, v75
	s_waitcnt vmcnt(7)
	v_ashrrev_i32_e32 v77, v24, v89
	v_lshlrev_b32_e32 v73, 16, v73
	v_or3_b32 v76, v78, v76, v82
	v_add_nc_u16 v74, v74, 0xf000
	s_delay_alu instid0(VALU_DEP_4)
	v_lshlrev_b32_e32 v78, 4, v77
	v_lshlrev_b32_e32 v80, 11, v77
	;; [unrolled: 1-line block ×4, first 2 shown]
	v_lshlrev_b16 v82, 8, v76
	s_waitcnt vmcnt(6)
	v_and_b32_e32 v83, 0xf0f0f0f, v91
	v_and_b32_e32 v78, 16, v78
	;; [unrolled: 1-line block ×3, first 2 shown]
	v_or_b32_e32 v72, v72, v73
	v_and_b32_e32 v73, 0xffff, v74
	v_add_nc_u16 v74, v75, 0xf000
	v_lshrrev_b32_e32 v75, 16, v76
	v_or3_b32 v78, v78, v83, v80
	v_and_b32_e32 v80, 0x100000, v84
	v_and_b32_e32 v84, 0x10000000, v85
	v_add_nc_i16 v82, v82, 0xf000 clamp
	v_and_b32_e32 v76, 0x1f00, v76
	v_and_b32_e32 v86, 0xffffff00, v75
	v_lshlrev_b16 v75, 8, v75
	v_or3_b32 v80, v83, v80, v84
	v_lshrrev_b16 v82, 8, v82
	v_lshlrev_b16 v85, 8, v78
	v_add_nc_i16 v86, v86, 0xf000 clamp
	v_add_nc_i16 v75, v75, 0xf000 clamp
	v_lshrrev_b32_e32 v80, 16, v80
	v_or_b32_e32 v76, v76, v82
	v_add_nc_u16 v82, v85, 0xf000
	v_and_b32_e32 v83, 0xffffff00, v86
	v_lshrrev_b16 v75, 8, v75
	v_lshlrev_b16 v84, 8, v80
	v_and_b32_e32 v78, 0x1f00, v78
	v_lshrrev_b16 v82, 8, v82
	v_lshlrev_b32_e32 v85, 2, v77
	v_or_b32_e32 v75, v75, v83
	v_add_nc_u16 v84, v84, 0xf000
	v_lshrrev_b32_e32 v83, 5, v77
	v_or_b32_e32 v78, v78, v82
	v_lshrrev_b32_e32 v82, 12, v77
	v_and_b32_e32 v80, 0x1f00, v80
	v_lshrrev_b16 v84, 8, v84
	v_lshlrev_b32_e32 v74, 16, v74
	v_add_nc_u16 v76, v76, 0xf000
	v_lshrrev_b32_e32 v86, 4, v91
	v_and_b32_e32 v82, 16, v82
	v_and_b32_e32 v83, 0x1000, v83
	v_lshlrev_b32_e32 v77, 9, v77
	v_and_b32_e32 v85, 0x100000, v85
	v_or_b32_e32 v80, v80, v84
	v_and_b32_e32 v86, 0xf0f0f0f, v86
	v_and_b32_e32 v76, 0xffff, v76
	;; [unrolled: 1-line block ×3, first 2 shown]
	v_or3_b32 v82, v83, v82, v85
	v_lshlrev_b32_e32 v75, 16, v75
	v_add_nc_u16 v78, v78, 0xf000
	v_or_b32_e32 v73, v73, v74
	v_add_nc_u16 v74, v80, 0xf000
	v_or3_b32 v77, v82, v77, v86
	v_or_b32_e32 v75, v76, v75
	v_and_b32_e32 v76, 0xffff, v78
	ds_store_2addr_b32 v10, v19, v72 offset1:1
	ds_store_2addr_b32 v11, v73, v75 offset1:1
	v_lshlrev_b32_e32 v74, 16, v74
	v_lshlrev_b16 v78, 8, v77
	v_lshrrev_b32_e32 v80, 16, v77
	v_and_b32_e32 v75, 0x1f00, v77
	s_delay_alu instid0(VALU_DEP_4)
	v_or_b32_e32 v73, v76, v74
	s_waitcnt vmcnt(5)
	v_ashrrev_i32_e32 v74, v24, v79
	v_add_nc_i16 v19, v78, 0xf000 clamp
	v_and_b32_e32 v72, 0xffffff00, v80
	v_lshlrev_b16 v76, 8, v80
	s_waitcnt vmcnt(4)
	v_and_b32_e32 v82, 0xf0f0f0f, v81
	v_lshlrev_b32_e32 v77, 18, v74
	v_lshlrev_b32_e32 v78, 25, v74
	;; [unrolled: 1-line block ×4, first 2 shown]
	v_lshrrev_b16 v19, 8, v19
	v_and_b32_e32 v77, 0x100000, v77
	v_and_b32_e32 v78, 0x10000000, v78
	;; [unrolled: 1-line block ×4, first 2 shown]
	v_or_b32_e32 v19, v75, v19
	v_lshrrev_b32_e32 v81, 4, v81
	v_or3_b32 v75, v82, v77, v78
	v_lshrrev_b32_e32 v78, 12, v74
	v_or3_b32 v77, v79, v82, v80
	v_lshrrev_b32_e32 v79, 5, v74
	v_lshlrev_b32_e32 v80, 2, v74
	v_lshrrev_b32_e32 v75, 16, v75
	v_and_b32_e32 v78, 16, v78
	v_lshlrev_b32_e32 v74, 9, v74
	v_and_b32_e32 v79, 0x1000, v79
	v_and_b32_e32 v80, 0x100000, v80
	v_lshlrev_b16 v82, 8, v77
	v_lshlrev_b16 v83, 8, v75
	v_and_b32_e32 v81, 0xf0f0f0f, v81
	v_and_b32_e32 v74, 0x10000000, v74
	v_or3_b32 v78, v79, v78, v80
	v_add_nc_i16 v72, v72, 0xf000 clamp
	v_add_nc_i16 v76, v76, 0xf000 clamp
	v_add_nc_u16 v79, v82, 0xf000
	v_add_nc_u16 v80, v83, 0xf000
	v_or3_b32 v74, v78, v74, v81
	v_and_b32_e32 v72, 0xffffff00, v72
	v_lshrrev_b16 v76, 8, v76
	v_and_b32_e32 v77, 0x1f00, v77
	v_lshrrev_b16 v78, 8, v79
	v_lshrrev_b16 v79, 8, v80
	v_lshlrev_b16 v80, 8, v74
	v_add_nc_u16 v19, v19, 0xf000
	v_or_b32_e32 v72, v76, v72
	v_or_b32_e32 v76, v77, v78
	v_and_b32_e32 v75, 0x1f00, v75
	v_add_nc_i16 v77, v80, 0xf000 clamp
	v_and_b32_e32 v19, 0xffff, v19
	v_lshlrev_b32_e32 v72, 16, v72
	v_add_nc_u16 v76, v76, 0xf000
	v_and_b32_e32 v78, 0x1f00, v74
	v_lshrrev_b16 v77, 8, v77
	v_or_b32_e32 v75, v75, v79
	v_or_b32_e32 v19, v19, v72
	v_and_b32_e32 v72, 0xffff, v76
	s_waitcnt vmcnt(3)
	v_ashrrev_i32_e32 v76, v24, v97
	v_or_b32_e32 v77, v78, v77
	v_add_nc_u16 v75, v75, 0xf000
	ds_store_2addr_b32 v12, v73, v19 offset1:1
	v_lshrrev_b32_e32 v74, 16, v74
	v_lshlrev_b32_e32 v79, 25, v76
	v_add_nc_u16 v73, v77, 0xf000
	v_lshlrev_b32_e32 v77, 18, v76
	v_lshlrev_b32_e32 v75, 16, v75
	s_waitcnt vmcnt(2)
	v_and_b32_e32 v78, 0xf0f0f0f, v92
	v_lshrrev_b32_e32 v81, 12, v76
	v_lshrrev_b32_e32 v82, 5, v76
	v_and_b32_e32 v77, 0x100000, v77
	v_and_b32_e32 v79, 0x10000000, v79
	v_lshlrev_b32_e32 v83, 2, v76
	v_or_b32_e32 v19, v72, v75
	v_lshlrev_b32_e32 v72, 4, v76
	v_lshlrev_b32_e32 v80, 11, v76
	v_lshrrev_b32_e32 v84, 4, v92
	v_and_b32_e32 v81, 16, v81
	v_and_b32_e32 v82, 0x1000, v82
	v_lshlrev_b32_e32 v76, 9, v76
	v_and_b32_e32 v83, 0x100000, v83
	v_or3_b32 v77, v78, v77, v79
	v_and_b32_e32 v79, 0xf0f0f0f, v84
	v_and_b32_e32 v75, 0xffffff00, v74
	;; [unrolled: 1-line block ×3, first 2 shown]
	v_or3_b32 v81, v82, v81, v83
	v_lshrrev_b32_e32 v77, 16, v77
	v_and_b32_e32 v72, 16, v72
	v_and_b32_e32 v80, 0x1000, v80
	v_lshlrev_b16 v74, 8, v74
	v_or3_b32 v76, v81, v76, v79
	v_lshlrev_b16 v79, 8, v77
	v_add_nc_i16 v75, v75, 0xf000 clamp
	v_or3_b32 v72, v72, v78, v80
	v_add_nc_i16 v74, v74, 0xf000 clamp
	v_lshlrev_b16 v80, 8, v76
	v_add_nc_u16 v79, v79, 0xf000
	v_and_b32_e32 v75, 0xffffff00, v75
	v_and_b32_e32 v77, 0x1f00, v77
	v_lshrrev_b16 v74, 8, v74
	v_add_nc_i16 v80, v80, 0xf000 clamp
	v_lshrrev_b16 v79, 8, v79
	v_and_b32_e32 v81, 0x1f00, v76
	v_lshlrev_b16 v78, 8, v72
	v_or_b32_e32 v74, v74, v75
	v_lshrrev_b16 v80, 8, v80
	v_or_b32_e32 v75, v77, v79
	s_waitcnt vmcnt(1)
	v_ashrrev_i32_e32 v79, v24, v95
	v_add_nc_u16 v78, v78, 0xf000
	v_and_b32_e32 v72, 0x1f00, v72
	v_or_b32_e32 v77, v81, v80
	v_lshrrev_b32_e32 v76, 16, v76
	v_lshlrev_b32_e32 v80, 4, v79
	v_lshlrev_b32_e32 v81, 11, v79
	;; [unrolled: 1-line block ×4, first 2 shown]
	v_lshrrev_b32_e32 v85, 12, v79
	v_lshrrev_b32_e32 v86, 5, v79
	v_lshlrev_b32_e32 v87, 2, v79
	s_waitcnt vmcnt(0)
	v_and_b32_e32 v83, 0xf0f0f0f, v18
	v_and_b32_e32 v80, 16, v80
	;; [unrolled: 1-line block ×5, first 2 shown]
	v_lshrrev_b32_e32 v18, 4, v18
	v_and_b32_e32 v85, 16, v85
	v_and_b32_e32 v86, 0x1000, v86
	v_lshlrev_b32_e32 v79, 9, v79
	v_and_b32_e32 v87, 0x100000, v87
	v_or3_b32 v80, v80, v83, v81
	v_or3_b32 v81, v83, v82, v84
	v_and_b32_e32 v18, 0xf0f0f0f, v18
	v_and_b32_e32 v79, 0x10000000, v79
	v_or3_b32 v82, v86, v85, v87
	v_lshlrev_b16 v83, 8, v80
	v_lshrrev_b32_e32 v81, 16, v81
	v_lshrrev_b16 v78, 8, v78
	v_and_b32_e32 v80, 0x1f00, v80
	v_or3_b32 v18, v82, v79, v18
	v_add_nc_u16 v79, v83, 0xf000
	v_lshlrev_b16 v82, 8, v81
	v_or_b32_e32 v72, v72, v78
	v_and_b32_e32 v78, 0xffffff00, v76
	v_lshlrev_b16 v83, 8, v18
	v_lshrrev_b32_e32 v84, 16, v18
	v_lshlrev_b16 v76, 8, v76
	v_add_nc_u16 v82, v82, 0xf000
	v_add_nc_i16 v78, v78, 0xf000 clamp
	v_add_nc_i16 v83, v83, 0xf000 clamp
	v_and_b32_e32 v85, 0xffffff00, v84
	v_lshlrev_b16 v84, 8, v84
	v_add_nc_i16 v76, v76, 0xf000 clamp
	v_lshrrev_b16 v79, 8, v79
	v_and_b32_e32 v81, 0x1f00, v81
	v_lshrrev_b16 v82, 8, v82
	v_and_b32_e32 v18, 0x1f00, v18
	v_lshrrev_b16 v83, 8, v83
	v_add_nc_i16 v85, v85, 0xf000 clamp
	v_add_nc_i16 v84, v84, 0xf000 clamp
	v_and_b32_e32 v78, 0xffffff00, v78
	v_lshrrev_b16 v76, 8, v76
	v_or_b32_e32 v79, v80, v79
	v_or_b32_e32 v80, v81, v82
	;; [unrolled: 1-line block ×3, first 2 shown]
	v_and_b32_e32 v81, 0xffffff00, v85
	v_lshrrev_b16 v82, 8, v84
	v_add_nc_u16 v72, v72, 0xf000
	v_add_nc_u16 v75, v75, 0xf000
	;; [unrolled: 1-line block ×3, first 2 shown]
	v_or_b32_e32 v76, v76, v78
	v_add_nc_u16 v78, v79, 0xf000
	v_add_nc_u16 v79, v80, 0xf000
	;; [unrolled: 1-line block ×3, first 2 shown]
	v_or_b32_e32 v80, v82, v81
	v_and_b32_e32 v73, 0xffff, v73
	v_lshlrev_b32_e32 v74, 16, v74
	v_and_b32_e32 v72, 0xffff, v72
	v_lshlrev_b32_e32 v75, 16, v75
	;; [unrolled: 2-line block ×5, first 2 shown]
	v_or_b32_e32 v73, v73, v74
	v_or_b32_e32 v72, v72, v75
	v_or_b32_e32 v74, v77, v76
	v_or_b32_e32 v75, v78, v79
	v_or_b32_e32 v18, v18, v80
	ds_store_2addr_b32 v13, v19, v73 offset1:1
	ds_store_2addr_b32 v14, v72, v74 offset1:1
	;; [unrolled: 1-line block ×3, first 2 shown]
	ds_store_b32 v70, v71
	s_cbranch_scc0 .LBB202_4
; %bb.6:                                ;   in Loop: Header=BB202_5 Depth=1
	v_add_nc_u32_e32 v18, s18, v38
	s_delay_alu instid0(VALU_DEP_1) | instskip(NEXT) | instid1(VALU_DEP_1)
	v_cmp_gt_i32_e64 s1, s8, v18
	s_and_b32 s16, s0, s1
	s_delay_alu instid0(SALU_CYCLE_1)
	s_and_saveexec_b32 s1, s16
	s_cbranch_execz .LBB202_8
; %bb.7:                                ;   in Loop: Header=BB202_5 Depth=1
	v_add_nc_u32_e32 v71, v51, v18
	s_delay_alu instid0(VALU_DEP_1)
	v_mad_i64_i32 v[18:19], null, v71, 36, v[16:17]
	global_load_b32 v18, v[18:19], off offset:4
	s_waitcnt vmcnt(0)
	ds_store_b32 v47, v18
.LBB202_8:                              ;   in Loop: Header=BB202_5 Depth=1
	s_or_b32 exec_lo, exec_lo, s1
	s_and_saveexec_b32 s16, vcc_lo
	s_cbranch_execz .LBB202_11
; %bb.9:                                ;   in Loop: Header=BB202_5 Depth=1
	v_or_b32_e32 v18, s18, v21
	s_delay_alu instid0(VALU_DEP_1) | instskip(NEXT) | instid1(VALU_DEP_1)
	v_cmp_gt_i32_e64 s1, s8, v18
	s_and_b32 s1, s0, s1
	s_delay_alu instid0(SALU_CYCLE_1)
	s_and_b32 exec_lo, exec_lo, s1
	s_cbranch_execz .LBB202_11
; %bb.10:                               ;   in Loop: Header=BB202_5 Depth=1
	v_add_nc_u32_e32 v71, v51, v18
	s_delay_alu instid0(VALU_DEP_1)
	v_mad_i64_i32 v[18:19], null, v71, 36, s[2:3]
	global_load_b32 v18, v[18:19], off
	s_waitcnt vmcnt(0)
	v_cvt_f32_f16_e32 v18, v18
	ds_store_b32 v48, v18
.LBB202_11:                             ;   in Loop: Header=BB202_5 Depth=1
	s_or_b32 exec_lo, exec_lo, s16
	v_dual_mov_b32 v18, v58 :: v_dual_mov_b32 v19, v57
	v_dual_mov_b32 v71, v49 :: v_dual_mov_b32 v72, v56
	;; [unrolled: 1-line block ×3, first 2 shown]
	v_mov_b32_e32 v75, v53
	s_mov_b32 s1, -4
	s_waitcnt lgkmcnt(0)
	s_barrier
	buffer_gl0_inv
.LBB202_12:                             ;   Parent Loop BB202_5 Depth=1
                                        ; =>  This Inner Loop Header: Depth=2
	ds_load_b128 v[76:79], v19
	ds_load_b32 v116, v18
	ds_load_b128 v[80:83], v19 offset:16
	ds_load_2addr_b32 v[84:85], v71 offset1:1
	ds_load_2addr_b32 v[86:87], v71 offset0:2 offset1:3
	ds_load_2addr_b32 v[88:89], v71 offset0:4 offset1:5
	ds_load_b32 v117, v72
	ds_load_2addr_b32 v[90:91], v71 offset0:6 offset1:7
	v_add_nc_u32_e32 v92, 0x2080, v71
	v_add_nc_u32_e32 v94, 0x4100, v71
	;; [unrolled: 1-line block ×3, first 2 shown]
	ds_load_b32 v118, v73
	ds_load_b32 v119, v74
	ds_load_2addr_b32 v[92:93], v92 offset1:1
	ds_load_2addr_b32 v[94:95], v94 offset1:1
	ds_load_2addr_b32 v[96:97], v96 offset1:1
	ds_load_b32 v120, v75
	v_add_nc_u32_e32 v98, 0x2088, v71
	v_add_nc_u32_e32 v100, 0x4108, v71
	v_add_nc_u32_e32 v102, 0x6188, v71
	v_add_nc_u32_e32 v104, 0x2090, v71
	v_add_nc_u32_e32 v106, 0x2098, v71
	v_add_nc_u32_e32 v108, 0x4110, v71
	v_add_nc_u32_e32 v110, 0x4118, v71
	v_add_nc_u32_e32 v112, 0x6190, v71
	v_add_nc_u32_e32 v114, 0x6198, v71
	ds_load_2addr_b32 v[98:99], v98 offset1:1
	ds_load_2addr_b32 v[100:101], v100 offset1:1
	;; [unrolled: 1-line block ×9, first 2 shown]
	v_add_nc_u32_e32 v75, 4, v75
	s_waitcnt lgkmcnt(19)
	v_dot4_i32_iu8 v84, v84, v76, 0 neg_lo:[1,1,0]
	v_add_nc_u32_e32 v74, 4, v74
	v_add_nc_u32_e32 v73, 4, v73
	;; [unrolled: 1-line block ×4, first 2 shown]
	s_waitcnt lgkmcnt(12)
	v_dot4_i32_iu8 v92, v92, v76, 0 neg_lo:[1,1,0]
	s_waitcnt lgkmcnt(11)
	v_dot4_i32_iu8 v94, v94, v76, 0 neg_lo:[1,1,0]
	;; [unrolled: 2-line block ×3, first 2 shown]
	v_dot4_i32_iu8 v84, v85, v80, v84 neg_lo:[1,1,0]
	s_add_i32 s1, s1, 4
	v_dot4_i32_iu8 v85, v93, v80, v92 neg_lo:[1,1,0]
	v_dot4_i32_iu8 v92, v95, v80, v94 neg_lo:[1,1,0]
	;; [unrolled: 1-line block ×4, first 2 shown]
	s_cmp_lt_u32 s1, 12
	s_waitcnt lgkmcnt(8)
	v_dot4_i32_iu8 v84, v98, v77, v85 neg_lo:[1,1,0]
	s_waitcnt lgkmcnt(7)
	v_dot4_i32_iu8 v85, v100, v77, v92 neg_lo:[1,1,0]
	;; [unrolled: 2-line block ×3, first 2 shown]
	v_dot4_i32_iu8 v77, v87, v81, v80 neg_lo:[1,1,0]
	v_dot4_i32_iu8 v80, v99, v81, v84 neg_lo:[1,1,0]
	v_dot4_i32_iu8 v84, v101, v81, v85 neg_lo:[1,1,0]
	s_delay_alu instid0(VALU_DEP_4) | instskip(NEXT) | instid1(VALU_DEP_4)
	v_dot4_i32_iu8 v76, v103, v81, v76 neg_lo:[1,1,0]
	v_dot4_i32_iu8 v77, v88, v78, v77 neg_lo:[1,1,0]
	s_waitcnt lgkmcnt(5)
	v_dot4_i32_iu8 v80, v104, v78, v80 neg_lo:[1,1,0]
	s_waitcnt lgkmcnt(3)
	;; [unrolled: 2-line block ×3, first 2 shown]
	v_dot4_i32_iu8 v76, v112, v78, v76 neg_lo:[1,1,0]
	v_dot4_i32_iu8 v77, v89, v82, v77 neg_lo:[1,1,0]
	v_mul_f32_e32 v78, v116, v117
	v_dot4_i32_iu8 v80, v105, v82, v80 neg_lo:[1,1,0]
	v_dot4_i32_iu8 v81, v109, v82, v81 neg_lo:[1,1,0]
	;; [unrolled: 1-line block ×3, first 2 shown]
	v_mul_f32_e32 v82, v116, v118
	v_dot4_i32_iu8 v77, v90, v79, v77 neg_lo:[1,1,0]
	v_dot4_i32_iu8 v80, v106, v79, v80 neg_lo:[1,1,0]
	v_dot4_i32_iu8 v81, v110, v79, v81 neg_lo:[1,1,0]
	s_waitcnt lgkmcnt(0)
	v_dot4_i32_iu8 v76, v114, v79, v76 neg_lo:[1,1,0]
	v_mul_f32_e32 v79, v116, v119
	v_dot4_i32_iu8 v77, v91, v83, v77 neg_lo:[1,1,0]
	v_dot4_i32_iu8 v80, v107, v83, v80 neg_lo:[1,1,0]
	;; [unrolled: 1-line block ×4, first 2 shown]
	v_mul_f32_e32 v83, v116, v120
	v_cvt_f32_i32_e32 v77, v77
	v_cvt_f32_i32_e32 v80, v80
	;; [unrolled: 1-line block ×4, first 2 shown]
	s_delay_alu instid0(VALU_DEP_4) | instskip(NEXT) | instid1(VALU_DEP_3)
	v_dual_fmac_f32 v22, v78, v77 :: v_dual_add_nc_u32 v71, 32, v71
	v_dual_fmac_f32 v68, v79, v81 :: v_dual_add_nc_u32 v19, 32, v19
	v_fmac_f32_e32 v67, v82, v80
	s_delay_alu instid0(VALU_DEP_4)
	v_fmac_f32_e32 v69, v83, v76
	s_cbranch_scc1 .LBB202_12
; %bb.13:                               ;   in Loop: Header=BB202_5 Depth=1
	s_bitset1_b32 s6, 7
	s_delay_alu instid0(SALU_CYCLE_1)
	s_cmp_ge_i32 s6, s5
	s_barrier
	buffer_gl0_inv
	s_cbranch_scc1 .LBB202_4
; %bb.14:                               ;   in Loop: Header=BB202_5 Depth=1
	v_add_nc_u32_e32 v18, s18, v50
	s_delay_alu instid0(VALU_DEP_1) | instskip(NEXT) | instid1(VALU_DEP_1)
	v_cmp_gt_i32_e64 s1, s8, v18
	s_and_b32 s6, s0, s1
	s_delay_alu instid0(SALU_CYCLE_1)
	s_and_saveexec_b32 s1, s6
	s_cbranch_execz .LBB202_16
; %bb.15:                               ;   in Loop: Header=BB202_5 Depth=1
	v_add_nc_u32_e32 v71, v51, v18
	s_delay_alu instid0(VALU_DEP_1)
	v_mad_i64_i32 v[18:19], null, v71, 36, v[16:17]
	global_load_b32 v18, v[18:19], off offset:4
	s_waitcnt vmcnt(0)
	ds_store_b32 v47, v18
.LBB202_16:                             ;   in Loop: Header=BB202_5 Depth=1
	s_or_b32 exec_lo, exec_lo, s1
	s_and_saveexec_b32 s6, vcc_lo
	s_cbranch_execz .LBB202_19
; %bb.17:                               ;   in Loop: Header=BB202_5 Depth=1
	v_or_b32_e32 v18, s18, v21
	s_delay_alu instid0(VALU_DEP_1) | instskip(NEXT) | instid1(VALU_DEP_1)
	v_or_b32_e32 v19, 4, v18
	v_cmp_gt_i32_e64 s1, s8, v19
	s_delay_alu instid0(VALU_DEP_1) | instskip(NEXT) | instid1(SALU_CYCLE_1)
	s_and_b32 s1, s0, s1
	s_and_b32 exec_lo, exec_lo, s1
	s_cbranch_execz .LBB202_19
; %bb.18:                               ;   in Loop: Header=BB202_5 Depth=1
	v_ashrrev_i32_e32 v19, 31, v18
	v_add_co_u32 v71, s1, v51, v18
	s_delay_alu instid0(VALU_DEP_1) | instskip(NEXT) | instid1(VALU_DEP_2)
	v_add_co_ci_u32_e64 v72, s1, v52, v19, s1
	v_mad_u64_u32 v[18:19], null, v71, 36, s[14:15]
	s_delay_alu instid0(VALU_DEP_1)
	v_mad_i32_i24 v19, v72, 36, v19
	global_load_b32 v18, v[18:19], off
	s_waitcnt vmcnt(0)
	v_cvt_f32_f16_e32 v18, v18
	ds_store_b32 v48, v18
.LBB202_19:                             ;   in Loop: Header=BB202_5 Depth=1
	s_or_b32 exec_lo, exec_lo, s6
	v_dual_mov_b32 v18, v58 :: v_dual_mov_b32 v19, v57
	v_dual_mov_b32 v71, v63 :: v_dual_mov_b32 v72, v62
	;; [unrolled: 1-line block ×3, first 2 shown]
	v_mov_b32_e32 v75, v59
	s_mov_b32 s1, 12
	s_waitcnt lgkmcnt(0)
	s_barrier
	buffer_gl0_inv
.LBB202_20:                             ;   Parent Loop BB202_5 Depth=1
                                        ; =>  This Inner Loop Header: Depth=2
	ds_load_b128 v[76:79], v19
	ds_load_b32 v116, v18
	ds_load_b128 v[80:83], v19 offset:16
	ds_load_2addr_b32 v[84:85], v71 offset1:1
	ds_load_2addr_b32 v[86:87], v71 offset0:2 offset1:3
	ds_load_2addr_b32 v[88:89], v71 offset0:4 offset1:5
	ds_load_b32 v117, v72
	ds_load_2addr_b32 v[90:91], v71 offset0:6 offset1:7
	v_add_nc_u32_e32 v92, 0x2080, v71
	v_add_nc_u32_e32 v94, 0x4100, v71
	;; [unrolled: 1-line block ×3, first 2 shown]
	ds_load_b32 v118, v73
	ds_load_b32 v119, v74
	ds_load_2addr_b32 v[92:93], v92 offset1:1
	ds_load_2addr_b32 v[94:95], v94 offset1:1
	;; [unrolled: 1-line block ×3, first 2 shown]
	ds_load_b32 v120, v75
	v_add_nc_u32_e32 v98, 0x2088, v71
	v_add_nc_u32_e32 v100, 0x4108, v71
	;; [unrolled: 1-line block ×9, first 2 shown]
	ds_load_2addr_b32 v[98:99], v98 offset1:1
	ds_load_2addr_b32 v[100:101], v100 offset1:1
	;; [unrolled: 1-line block ×9, first 2 shown]
	v_add_nc_u32_e32 v75, 4, v75
	s_waitcnt lgkmcnt(19)
	v_dot4_i32_iu8 v84, v84, v76, 0 neg_lo:[1,1,0]
	v_add_nc_u32_e32 v74, 4, v74
	v_add_nc_u32_e32 v73, 4, v73
	;; [unrolled: 1-line block ×4, first 2 shown]
	s_waitcnt lgkmcnt(12)
	v_dot4_i32_iu8 v92, v92, v76, 0 neg_lo:[1,1,0]
	s_waitcnt lgkmcnt(11)
	v_dot4_i32_iu8 v94, v94, v76, 0 neg_lo:[1,1,0]
	;; [unrolled: 2-line block ×3, first 2 shown]
	v_dot4_i32_iu8 v84, v85, v80, v84 neg_lo:[1,1,0]
	s_add_i32 s1, s1, 4
	v_dot4_i32_iu8 v85, v93, v80, v92 neg_lo:[1,1,0]
	v_dot4_i32_iu8 v92, v95, v80, v94 neg_lo:[1,1,0]
	;; [unrolled: 1-line block ×4, first 2 shown]
	s_cmp_lt_u32 s1, 28
	s_waitcnt lgkmcnt(8)
	v_dot4_i32_iu8 v84, v98, v77, v85 neg_lo:[1,1,0]
	s_waitcnt lgkmcnt(7)
	v_dot4_i32_iu8 v85, v100, v77, v92 neg_lo:[1,1,0]
	;; [unrolled: 2-line block ×3, first 2 shown]
	v_dot4_i32_iu8 v77, v87, v81, v80 neg_lo:[1,1,0]
	v_dot4_i32_iu8 v80, v99, v81, v84 neg_lo:[1,1,0]
	;; [unrolled: 1-line block ×3, first 2 shown]
	s_delay_alu instid0(VALU_DEP_4) | instskip(NEXT) | instid1(VALU_DEP_4)
	v_dot4_i32_iu8 v76, v103, v81, v76 neg_lo:[1,1,0]
	v_dot4_i32_iu8 v77, v88, v78, v77 neg_lo:[1,1,0]
	s_waitcnt lgkmcnt(5)
	v_dot4_i32_iu8 v80, v104, v78, v80 neg_lo:[1,1,0]
	s_waitcnt lgkmcnt(3)
	;; [unrolled: 2-line block ×3, first 2 shown]
	v_dot4_i32_iu8 v76, v112, v78, v76 neg_lo:[1,1,0]
	v_dot4_i32_iu8 v77, v89, v82, v77 neg_lo:[1,1,0]
	v_mul_f32_e32 v78, v116, v117
	v_dot4_i32_iu8 v80, v105, v82, v80 neg_lo:[1,1,0]
	v_dot4_i32_iu8 v81, v109, v82, v81 neg_lo:[1,1,0]
	;; [unrolled: 1-line block ×3, first 2 shown]
	v_mul_f32_e32 v82, v116, v118
	v_dot4_i32_iu8 v77, v90, v79, v77 neg_lo:[1,1,0]
	v_dot4_i32_iu8 v80, v106, v79, v80 neg_lo:[1,1,0]
	;; [unrolled: 1-line block ×3, first 2 shown]
	s_waitcnt lgkmcnt(0)
	v_dot4_i32_iu8 v76, v114, v79, v76 neg_lo:[1,1,0]
	v_mul_f32_e32 v79, v116, v119
	v_dot4_i32_iu8 v77, v91, v83, v77 neg_lo:[1,1,0]
	v_dot4_i32_iu8 v80, v107, v83, v80 neg_lo:[1,1,0]
	;; [unrolled: 1-line block ×4, first 2 shown]
	v_mul_f32_e32 v83, v116, v120
	v_cvt_f32_i32_e32 v77, v77
	v_cvt_f32_i32_e32 v80, v80
	;; [unrolled: 1-line block ×4, first 2 shown]
	s_delay_alu instid0(VALU_DEP_4) | instskip(NEXT) | instid1(VALU_DEP_3)
	v_dual_fmac_f32 v22, v78, v77 :: v_dual_add_nc_u32 v71, 32, v71
	v_dual_fmac_f32 v68, v79, v81 :: v_dual_add_nc_u32 v19, 32, v19
	v_fmac_f32_e32 v67, v82, v80
	s_delay_alu instid0(VALU_DEP_4)
	v_fmac_f32_e32 v69, v83, v76
	s_cbranch_scc1 .LBB202_20
; %bb.21:                               ;   in Loop: Header=BB202_5 Depth=1
	s_barrier
	buffer_gl0_inv
	s_branch .LBB202_4
.LBB202_22:
	v_cvt_f16_f32_e32 v5, v22
	v_cvt_f16_f32_e32 v3, v67
	;; [unrolled: 1-line block ×4, first 2 shown]
.LBB202_23:
	s_mul_i32 s0, s10, s7
	s_waitcnt vmcnt(0)
	v_cmp_gt_i32_e32 vcc_lo, s0, v20
	s_and_saveexec_b32 s0, vcc_lo
	s_cbranch_execz .LBB202_32
; %bb.24:
	v_mul_lo_u32 v1, v20, s9
	v_add_nc_u32_e32 v4, s11, v21
	s_mov_b32 s0, exec_lo
	s_delay_alu instid0(VALU_DEP_1)
	v_cmpx_gt_u32_e64 s9, v4
	s_cbranch_execz .LBB202_26
; %bb.25:
	s_delay_alu instid0(VALU_DEP_3) | instskip(NEXT) | instid1(VALU_DEP_1)
	v_dual_mov_b32 v7, 0 :: v_dual_add_nc_u32 v6, v1, v4
	v_lshlrev_b64 v[6:7], 1, v[6:7]
	s_delay_alu instid0(VALU_DEP_1) | instskip(NEXT) | instid1(VALU_DEP_2)
	v_add_co_u32 v6, vcc_lo, s12, v6
	v_add_co_ci_u32_e32 v7, vcc_lo, s13, v7, vcc_lo
	global_store_b16 v[6:7], v5, off
.LBB202_26:
	s_or_b32 exec_lo, exec_lo, s0
	v_add_nc_u32_e32 v5, 32, v4
	s_mov_b32 s0, exec_lo
	s_delay_alu instid0(VALU_DEP_1)
	v_cmpx_gt_u32_e64 s9, v5
	s_cbranch_execz .LBB202_28
; %bb.27:
	v_dual_mov_b32 v6, 0 :: v_dual_add_nc_u32 v5, v1, v5
	s_delay_alu instid0(VALU_DEP_1) | instskip(NEXT) | instid1(VALU_DEP_1)
	v_lshlrev_b64 v[5:6], 1, v[5:6]
	v_add_co_u32 v5, vcc_lo, s12, v5
	s_delay_alu instid0(VALU_DEP_2)
	v_add_co_ci_u32_e32 v6, vcc_lo, s13, v6, vcc_lo
	global_store_b16 v[5:6], v3, off
.LBB202_28:
	s_or_b32 exec_lo, exec_lo, s0
	v_add_nc_u32_e32 v3, 64, v4
	s_mov_b32 s0, exec_lo
	s_delay_alu instid0(VALU_DEP_1)
	v_cmpx_gt_u32_e64 s9, v3
	s_cbranch_execz .LBB202_30
; %bb.29:
	v_dual_mov_b32 v6, 0 :: v_dual_add_nc_u32 v5, v1, v3
	s_delay_alu instid0(VALU_DEP_1) | instskip(NEXT) | instid1(VALU_DEP_1)
	v_lshlrev_b64 v[5:6], 1, v[5:6]
	v_add_co_u32 v5, vcc_lo, s12, v5
	s_delay_alu instid0(VALU_DEP_2)
	v_add_co_ci_u32_e32 v6, vcc_lo, s13, v6, vcc_lo
	global_store_b16 v[5:6], v0, off
.LBB202_30:
	s_or_b32 exec_lo, exec_lo, s0
	v_add_nc_u32_e32 v0, 0x60, v4
	s_delay_alu instid0(VALU_DEP_1)
	v_cmp_gt_u32_e32 vcc_lo, s9, v0
	s_and_b32 exec_lo, exec_lo, vcc_lo
	s_cbranch_execz .LBB202_32
; %bb.31:
	v_dual_mov_b32 v1, 0 :: v_dual_add_nc_u32 v0, v1, v0
	s_delay_alu instid0(VALU_DEP_1) | instskip(NEXT) | instid1(VALU_DEP_1)
	v_lshlrev_b64 v[0:1], 1, v[0:1]
	v_add_co_u32 v0, vcc_lo, s12, v0
	s_delay_alu instid0(VALU_DEP_2)
	v_add_co_ci_u32_e32 v1, vcc_lo, s13, v1, vcc_lo
	global_store_b16 v[0:1], v2, off
.LBB202_32:
	s_nop 0
	s_sendmsg sendmsg(MSG_DEALLOC_VGPRS)
	s_endpgm
	.section	.rodata,"a",@progbits
	.p2align	6, 0x0
	.amdhsa_kernel _ZL8moe_q5_0IN3c104HalfELb1EEvPKvS3_PT_PKiS7_S7_iiiiiii
		.amdhsa_group_segment_fixed_size 38656
		.amdhsa_private_segment_fixed_size 0
		.amdhsa_kernarg_size 76
		.amdhsa_user_sgpr_count 14
		.amdhsa_user_sgpr_dispatch_ptr 0
		.amdhsa_user_sgpr_queue_ptr 0
		.amdhsa_user_sgpr_kernarg_segment_ptr 1
		.amdhsa_user_sgpr_dispatch_id 0
		.amdhsa_user_sgpr_private_segment_size 0
		.amdhsa_wavefront_size32 1
		.amdhsa_uses_dynamic_stack 0
		.amdhsa_enable_private_segment 0
		.amdhsa_system_sgpr_workgroup_id_x 1
		.amdhsa_system_sgpr_workgroup_id_y 1
		.amdhsa_system_sgpr_workgroup_id_z 0
		.amdhsa_system_sgpr_workgroup_info 0
		.amdhsa_system_vgpr_workitem_id 1
		.amdhsa_next_free_vgpr 142
		.amdhsa_next_free_sgpr 21
		.amdhsa_reserve_vcc 1
		.amdhsa_float_round_mode_32 0
		.amdhsa_float_round_mode_16_64 0
		.amdhsa_float_denorm_mode_32 3
		.amdhsa_float_denorm_mode_16_64 3
		.amdhsa_dx10_clamp 1
		.amdhsa_ieee_mode 1
		.amdhsa_fp16_overflow 0
		.amdhsa_workgroup_processor_mode 1
		.amdhsa_memory_ordered 1
		.amdhsa_forward_progress 0
		.amdhsa_shared_vgpr_count 0
		.amdhsa_exception_fp_ieee_invalid_op 0
		.amdhsa_exception_fp_denorm_src 0
		.amdhsa_exception_fp_ieee_div_zero 0
		.amdhsa_exception_fp_ieee_overflow 0
		.amdhsa_exception_fp_ieee_underflow 0
		.amdhsa_exception_fp_ieee_inexact 0
		.amdhsa_exception_int_div_zero 0
	.end_amdhsa_kernel
	.section	.text._ZL8moe_q5_0IN3c104HalfELb1EEvPKvS3_PT_PKiS7_S7_iiiiiii,"axG",@progbits,_ZL8moe_q5_0IN3c104HalfELb1EEvPKvS3_PT_PKiS7_S7_iiiiiii,comdat
.Lfunc_end202:
	.size	_ZL8moe_q5_0IN3c104HalfELb1EEvPKvS3_PT_PKiS7_S7_iiiiiii, .Lfunc_end202-_ZL8moe_q5_0IN3c104HalfELb1EEvPKvS3_PT_PKiS7_S7_iiiiiii
                                        ; -- End function
	.section	.AMDGPU.csdata,"",@progbits
; Kernel info:
; codeLenInByte = 11184
; NumSgprs: 23
; NumVgprs: 142
; ScratchSize: 0
; MemoryBound: 0
; FloatMode: 240
; IeeeMode: 1
; LDSByteSize: 38656 bytes/workgroup (compile time only)
; SGPRBlocks: 2
; VGPRBlocks: 17
; NumSGPRsForWavesPerEU: 23
; NumVGPRsForWavesPerEU: 142
; Occupancy: 6
; WaveLimiterHint : 1
; COMPUTE_PGM_RSRC2:SCRATCH_EN: 0
; COMPUTE_PGM_RSRC2:USER_SGPR: 14
; COMPUTE_PGM_RSRC2:TRAP_HANDLER: 0
; COMPUTE_PGM_RSRC2:TGID_X_EN: 1
; COMPUTE_PGM_RSRC2:TGID_Y_EN: 1
; COMPUTE_PGM_RSRC2:TGID_Z_EN: 0
; COMPUTE_PGM_RSRC2:TIDIG_COMP_CNT: 1
	.section	.text._ZL8moe_q5_1IN3c104HalfELb0EEvPKvS3_PT_PKiS7_S7_iiiiiii,"axG",@progbits,_ZL8moe_q5_1IN3c104HalfELb0EEvPKvS3_PT_PKiS7_S7_iiiiiii,comdat
	.globl	_ZL8moe_q5_1IN3c104HalfELb0EEvPKvS3_PT_PKiS7_S7_iiiiiii ; -- Begin function _ZL8moe_q5_1IN3c104HalfELb0EEvPKvS3_PT_PKiS7_S7_iiiiiii
	.p2align	8
	.type	_ZL8moe_q5_1IN3c104HalfELb0EEvPKvS3_PT_PKiS7_S7_iiiiiii,@function
_ZL8moe_q5_1IN3c104HalfELb0EEvPKvS3_PT_PKiS7_S7_iiiiiii: ; @_ZL8moe_q5_1IN3c104HalfELb0EEvPKvS3_PT_PKiS7_S7_iiiiiii
; %bb.0:
	s_load_b128 s[4:7], s[0:1], 0x18
	s_mov_b32 s2, s15
	s_mov_b32 s3, 0
	s_delay_alu instid0(SALU_CYCLE_1)
	s_lshl_b64 s[8:9], s[2:3], 2
	s_waitcnt lgkmcnt(0)
	s_add_u32 s6, s6, s8
	s_addc_u32 s7, s7, s9
	s_load_b32 s12, s[6:7], 0x0
	s_waitcnt lgkmcnt(0)
	s_cmpk_gt_u32 s12, 0xff
	s_cbranch_scc1 .LBB203_32
; %bb.1:
	s_load_b64 s[6:7], s[0:1], 0x28
	s_lshl_b32 s2, s2, 3
	s_waitcnt lgkmcnt(0)
	s_load_b32 s3, s[6:7], 0x0
	s_waitcnt lgkmcnt(0)
	s_cmp_gt_u32 s2, s3
	s_cbranch_scc1 .LBB203_32
; %bb.2:
	v_bfe_u32 v3, v0, 10, 10
	v_mov_b32_e32 v2, 0
	s_lshl_b32 s16, s14, 7
	s_mov_b32 s17, 0
	s_delay_alu instid0(VALU_DEP_1) | instskip(SKIP_1) | instid1(VALU_DEP_2)
	v_dual_mov_b32 v6, v2 :: v_dual_add_nc_u32 v1, s2, v3
	v_mov_b32_e32 v7, v2
	v_lshlrev_b64 v[4:5], 2, v[1:2]
	s_delay_alu instid0(VALU_DEP_1) | instskip(NEXT) | instid1(VALU_DEP_2)
	v_add_co_u32 v4, vcc_lo, s4, v4
	v_add_co_ci_u32_e32 v5, vcc_lo, s5, v5, vcc_lo
	global_load_b32 v4, v[4:5], off
	s_clause 0x2
	s_load_b64 s[10:11], s[0:1], 0x30
	s_load_b64 s[8:9], s[0:1], 0x10
	s_load_b128 s[4:7], s[0:1], 0x3c
	v_dual_mov_b32 v0, v2 :: v_dual_and_b32 v5, 0x3ff, v0
	s_waitcnt lgkmcnt(0)
	s_cmp_lt_i32 s11, 32
	s_cbranch_scc1 .LBB203_23
; %bb.3:
	s_load_b128 s[0:3], s[0:1], 0x0
	s_ashr_i32 s13, s11, 31
	s_ashr_i32 s14, s5, 31
	s_mul_i32 s12, s12, s10
	s_lshr_b32 s10, s13, 27
	s_lshr_b32 s13, s14, 27
	s_add_i32 s15, s11, s10
	s_add_i32 s10, s5, s13
	s_ashr_i32 s5, s15, 5
	s_ashr_i32 s14, s12, 31
	s_mul_i32 s13, s5, s16
	s_ashr_i32 s10, s10, 5
	s_mul_hi_i32 s19, s13, 24
	s_mul_i32 s13, s13, 24
	v_dual_mov_b32 v6, 0 :: v_dual_lshlrev_b32 v1, 3, v5
	v_mul_lo_u32 v8, s5, v3
	v_lshlrev_b32_e32 v2, 2, v3
	v_lshrrev_b32_e32 v11, 3, v5
	v_and_b32_e32 v9, 7, v5
	s_waitcnt lgkmcnt(0)
	s_add_u32 s0, s0, s12
	s_addc_u32 s1, s1, s14
	s_add_u32 s18, s0, s13
	s_addc_u32 s19, s1, s19
	s_abs_i32 s1, s7
	v_mad_u32_u24 v14, 0x104, v3, v1
	v_cvt_f32_u32_e32 v15, s1
	s_lshl_b32 s0, s5, 3
	v_add_nc_u32_e32 v39, v11, v2
	s_sub_i32 s12, 0, s1
	v_lshlrev_b32_e32 v45, 2, v9
	v_rcp_iflag_f32_e32 v1, v15
	v_add_nc_u32_e32 v10, s0, v8
	v_add_nc_u32_e32 v42, 32, v39
	;; [unrolled: 1-line block ×3, first 2 shown]
	v_and_b32_e32 v41, 0x1ffc, v39
	s_waitcnt vmcnt(0)
	v_sub_nc_u32_e32 v16, 0, v4
	v_lshlrev_b32_e32 v64, 5, v39
	v_and_b32_e32 v47, 0x3ffc, v42
	v_and_b32_e32 v48, 0x3ffc, v43
	v_add3_u32 v65, v41, v45, 0x8200
	v_dual_mul_f32 v1, 0x4f7ffffe, v1 :: v_dual_add_nc_u32 v12, s0, v10
	v_lshlrev_b32_e32 v66, 5, v42
	v_lshlrev_b32_e32 v67, 5, v43
	v_add3_u32 v69, v47, v45, 0x8200
	s_delay_alu instid0(VALU_DEP_4)
	v_cvt_u32_f32_e32 v1, v1
	v_add3_u32 v70, v48, v45, 0x8200
	v_max_i32_e32 v46, v4, v16
	v_add_nc_u32_e32 v64, v65, v64
	v_add_nc_u32_e32 v65, v69, v66
	v_mul_lo_u32 v36, s12, v1
	v_dual_mov_b32 v67, 0 :: v_dual_add_nc_u32 v66, v70, v67
	v_add_nc_u32_e32 v15, s0, v12
	v_add_nc_u32_e32 v44, 0x60, v39
	v_lshlrev_b32_e32 v57, 7, v3
	v_add_nc_u32_e32 v52, 64, v5
	v_add_nc_u32_e32 v54, 0x60, v5
	v_mul_hi_u32 v40, v1, v36
	v_add_nc_u32_e32 v17, s0, v15
	v_and_b32_e32 v49, 0x3ffc, v44
	v_mul_lo_u32 v36, s5, v39
	s_and_not1_b32 s15, s15, 31
	v_lshlrev_b32_e32 v55, 5, v5
	v_add_nc_u32_e32 v21, s0, v17
	v_add3_u32 v71, v49, v45, 0x8200
	v_add_nc_u32_e32 v1, v1, v40
	v_and_b32_e32 v49, 31, v5
	v_and_b32_e32 v54, 0x1fc, v54
	v_add_nc_u32_e32 v25, s0, v21
	v_add_nc_u32_e32 v41, s15, v36
	v_mul_hi_u32 v1, v46, v1
	v_lshl_or_b32 v49, v49, 2, v57
	v_and_b32_e32 v52, 0x1fc, v52
	v_add_nc_u32_e32 v28, s0, v25
	v_and_b32_e32 v56, 0xfc, v5
	v_lshlrev_b32_e32 v68, 5, v44
	v_add_nc_u32_e32 v43, s15, v41
	v_add_nc_u32_e32 v59, v55, v54
	v_mul_lo_u32 v50, v1, s1
	v_add_nc_u32_e32 v48, 1, v1
	v_add_nc_u32_e32 v33, s0, v28
	;; [unrolled: 1-line block ×4, first 2 shown]
	v_lshrrev_b32_e32 v7, 2, v5
	v_dual_mov_b32 v69, 0 :: v_dual_add_nc_u32 v16, 0x820, v14
	v_sub_nc_u32_e32 v47, v46, v50
	v_add_nc_u32_e32 v37, s0, v33
	v_add_nc_u32_e32 v18, 0x1040, v14
	;; [unrolled: 1-line block ×4, first 2 shown]
	v_subrev_nc_u32_e32 v50, s1, v47
	v_cmp_le_u32_e32 vcc_lo, s1, v47
	v_lshlrev_b32_e32 v0, 2, v5
	v_add_nc_u32_e32 v38, s0, v37
	v_add_nc_u32_e32 v22, 0x28a0, v14
	;; [unrolled: 1-line block ×3, first 2 shown]
	v_cndmask_b32_e32 v1, v1, v48, vcc_lo
	v_cndmask_b32_e32 v47, v47, v50, vcc_lo
	v_xor_b32_e32 v48, s7, v4
	v_add_nc_u32_e32 v39, s0, v38
	v_or_b32_e32 v2, v2, v5
	v_add_nc_u32_e32 v50, 1, v1
	v_cmp_le_u32_e32 vcc_lo, s1, v47
	v_ashrrev_i32_e32 v51, 31, v48
	v_add_nc_u32_e32 v47, 0x9280, v49
	v_add_nc_u32_e32 v40, s0, v39
	v_dual_cndmask_b32 v48, v1, v50 :: v_dual_and_b32 v13, 12, v0
	v_and_b32_e32 v0, 28, v0
	s_movk_i32 s1, 0x80
	s_delay_alu instid0(VALU_DEP_3)
	v_add_nc_u32_e32 v42, s0, v40
	v_add_nc_u32_e32 v24, 0x38e0, v14
	v_xor_b32_e32 v49, v48, v51
	v_lshl_add_u32 v48, v2, 2, 0x9680
	v_add_nc_u32_e32 v2, 32, v5
	v_add_nc_u32_e32 v44, s0, v42
	v_add_nc_u32_e32 v26, 0x4100, v14
	v_sub_nc_u32_e32 v53, v49, v51
	v_add_nc_u32_e32 v27, 0x4920, v14
	v_lshrrev_b32_e32 v50, 3, v2
	v_and_b32_e32 v2, 0x1fc, v2
	v_add_nc_u32_e32 v46, s0, v44
	v_mul_lo_u32 v51, v53, s10
	v_add_co_u32 v0, s0, s2, v0
	s_delay_alu instid0(VALU_DEP_4)
	v_add_nc_u32_e32 v2, v55, v2
	v_add_nc_u32_e32 v29, 0x5140, v14
	;; [unrolled: 1-line block ×8, first 2 shown]
	v_add_co_ci_u32_e64 v1, null, s3, 0, s0
	v_cmp_gt_u32_e32 vcc_lo, 4, v5
	v_mul_u32_u24_e32 v49, 0x104, v5
	v_cmp_gt_i32_e64 s0, s4, v53
	v_ashrrev_i32_e32 v52, 31, v51
	v_add_nc_u32_e32 v53, 0x8e00, v59
	v_add_nc_u32_e32 v54, 0x8a00, v60
	;; [unrolled: 1-line block ×5, first 2 shown]
	v_lshl_add_u32 v58, v3, 4, 0x9680
	v_add_nc_u32_e32 v59, 0x8e10, v59
	v_add_nc_u32_e32 v60, 0x8a10, v60
	;; [unrolled: 1-line block ×4, first 2 shown]
	v_mad_u32_u24 v63, 0x104, v5, s1
	v_add_nc_u32_e32 v70, v71, v68
	v_mov_b32_e32 v68, 0
	s_add_u32 s12, s2, 0x90
	s_addc_u32 s13, s3, 0
	s_branch .LBB203_5
.LBB203_4:                              ;   in Loop: Header=BB203_5 Depth=1
	s_add_i32 s17, s17, 8
	s_delay_alu instid0(SALU_CYCLE_1)
	s_cmp_ge_i32 s17, s5
	s_cbranch_scc1 .LBB203_22
.LBB203_5:                              ; =>This Loop Header: Depth=1
                                        ;     Child Loop BB203_12 Depth 2
                                        ;     Child Loop BB203_20 Depth 2
	s_mul_i32 s1, s17, 24
	s_mul_hi_u32 s15, s17, 24
	s_add_u32 s14, s18, s1
	s_addc_u32 s15, s19, s15
	s_delay_alu instid0(SALU_CYCLE_1) | instskip(NEXT) | instid1(VALU_DEP_1)
	v_mad_u64_u32 v[2:3], null, v7, 24, s[14:15]
	v_mad_u64_u32 v[71:72], null, v8, 24, v[2:3]
	;; [unrolled: 1-line block ×5, first 2 shown]
	s_delay_alu instid0(VALU_DEP_4) | instskip(NEXT) | instid1(VALU_DEP_1)
	v_add_co_u32 v81, s1, v71, v13
	v_add_co_ci_u32_e64 v82, s1, 0, v72, s1
	s_clause 0x1
	global_load_b32 v91, v[71:72], off offset:4
	global_load_b32 v92, v[73:74], off offset:4
	v_add_co_u32 v73, s1, v73, v13
	v_mad_u64_u32 v[79:80], null, v17, 24, v[2:3]
	v_mad_u64_u32 v[71:72], null, v21, 24, v[2:3]
	v_add_co_ci_u32_e64 v74, s1, 0, v74, s1
	v_mad_u64_u32 v[83:84], null, v25, 24, v[2:3]
	v_mad_u64_u32 v[85:86], null, v28, 24, v[2:3]
	;; [unrolled: 1-line block ×4, first 2 shown]
	s_clause 0x7
	global_load_b32 v93, v[75:76], off offset:4
	global_load_b32 v94, v[77:78], off offset:4
	;; [unrolled: 1-line block ×8, first 2 shown]
	s_clause 0x1
	global_load_b32 v101, v[81:82], off offset:8
	global_load_b32 v102, v[73:74], off offset:8
	v_add_co_u32 v73, s1, v75, v13
	s_delay_alu instid0(VALU_DEP_1) | instskip(SKIP_3) | instid1(VALU_DEP_1)
	v_add_co_ci_u32_e64 v74, s1, 0, v76, s1
	v_mad_u64_u32 v[75:76], null, v42, 24, v[2:3]
	global_load_b32 v103, v[73:74], off offset:8
	v_add_co_u32 v73, s1, v77, v13
	v_add_co_ci_u32_e64 v74, s1, 0, v78, s1
	v_mad_u64_u32 v[77:78], null, v44, 24, v[2:3]
	global_load_b32 v113, v[75:76], off offset:4
	global_load_b32 v104, v[73:74], off offset:8
	v_add_co_u32 v73, s1, v79, v13
	s_delay_alu instid0(VALU_DEP_1) | instskip(SKIP_1) | instid1(VALU_DEP_1)
	v_add_co_ci_u32_e64 v74, s1, 0, v80, s1
	v_add_co_u32 v71, s1, v71, v13
	v_add_co_ci_u32_e64 v72, s1, 0, v72, s1
	global_load_b32 v105, v[73:74], off offset:8
	v_mad_u64_u32 v[79:80], null, v46, 24, v[2:3]
	global_load_b32 v106, v[71:72], off offset:8
	v_add_co_u32 v71, s1, v83, v13
	s_delay_alu instid0(VALU_DEP_1) | instskip(SKIP_3) | instid1(VALU_DEP_1)
	v_add_co_ci_u32_e64 v72, s1, 0, v84, s1
	v_mad_u64_u32 v[73:74], null, v40, 24, v[2:3]
	global_load_b32 v107, v[71:72], off offset:8
	v_add_co_u32 v71, s1, v85, v13
	v_add_co_ci_u32_e64 v72, s1, 0, v86, s1
	global_load_b32 v111, v[73:74], off offset:4
	global_load_b32 v108, v[71:72], off offset:8
	v_add_co_u32 v71, s1, v87, v13
	s_delay_alu instid0(VALU_DEP_1) | instskip(SKIP_2) | instid1(VALU_DEP_1)
	v_add_co_ci_u32_e64 v72, s1, 0, v88, s1
	global_load_b32 v87, v[71:72], off offset:8
	v_add_co_u32 v71, s1, v89, v13
	v_add_co_ci_u32_e64 v72, s1, 0, v90, s1
	global_load_b32 v88, v[71:72], off offset:8
	v_mad_u64_u32 v[71:72], null, v38, 24, v[2:3]
	global_load_b32 v89, v[71:72], off offset:4
	v_add_co_u32 v71, s1, v71, v13
	s_delay_alu instid0(VALU_DEP_1) | instskip(SKIP_4) | instid1(VALU_DEP_1)
	v_add_co_ci_u32_e64 v72, s1, 0, v72, s1
	global_load_b32 v90, v[71:72], off offset:8
	v_mad_u64_u32 v[71:72], null, v39, 24, v[2:3]
	global_load_b32 v109, v[71:72], off offset:4
	v_add_co_u32 v71, s1, v71, v13
	v_add_co_ci_u32_e64 v72, s1, 0, v72, s1
	v_add_co_u32 v73, s1, v73, v13
	s_delay_alu instid0(VALU_DEP_1)
	v_add_co_ci_u32_e64 v74, s1, 0, v74, s1
	s_clause 0x1
	global_load_b32 v110, v[71:72], off offset:8
	global_load_b32 v112, v[73:74], off offset:8
	v_mad_u64_u32 v[71:72], null, v9, 24, s[14:15]
	s_lshl_b32 s14, s17, 5
	s_delay_alu instid0(SALU_CYCLE_1) | instskip(NEXT) | instid1(VALU_DEP_1)
	s_cmp_lt_i32 s14, s11
	v_mad_u64_u32 v[2:3], null, v36, 24, v[71:72]
	v_mad_u64_u32 v[81:82], null, v41, 24, v[71:72]
	;; [unrolled: 1-line block ×4, first 2 shown]
	v_add_co_u32 v71, s1, v75, v13
	s_delay_alu instid0(VALU_DEP_1) | instskip(SKIP_1) | instid1(VALU_DEP_1)
	v_add_co_ci_u32_e64 v72, s1, 0, v76, s1
	v_add_co_u32 v73, s1, v77, v13
	v_add_co_ci_u32_e64 v74, s1, 0, v78, s1
	v_add_co_u32 v75, s1, v79, v13
	global_load_b32 v77, v[77:78], off offset:4
	v_add_co_ci_u32_e64 v76, s1, 0, v80, s1
	s_clause 0x4
	global_load_b32 v78, v[79:80], off offset:4
	global_load_b32 v2, v[2:3], off
	global_load_b32 v3, v[81:82], off
	;; [unrolled: 1-line block ×4, first 2 shown]
	s_clause 0x2
	global_load_b32 v71, v[71:72], off offset:8
	global_load_b32 v72, v[73:74], off offset:8
	;; [unrolled: 1-line block ×3, first 2 shown]
	s_waitcnt vmcnt(35)
	v_ashrrev_i32_e32 v74, v13, v91
	s_waitcnt vmcnt(34)
	v_ashrrev_i32_e32 v75, v13, v92
	s_delay_alu instid0(VALU_DEP_1)
	v_lshlrev_b32_e32 v114, 4, v75
	v_lshlrev_b32_e32 v115, 11, v75
	v_lshrrev_b32_e32 v118, 12, v75
	v_lshrrev_b32_e32 v119, 5, v75
	s_waitcnt vmcnt(33)
	v_ashrrev_i32_e32 v76, v13, v93
	s_waitcnt vmcnt(32)
	v_ashrrev_i32_e32 v81, v13, v94
	;; [unrolled: 2-line block ×7, first 2 shown]
	v_lshlrev_b32_e32 v93, 4, v74
	v_lshlrev_b32_e32 v94, 11, v74
	s_waitcnt vmcnt(25)
	v_lshrrev_b32_e32 v97, 4, v101
	v_lshrrev_b32_e32 v98, 12, v74
	;; [unrolled: 1-line block ×3, first 2 shown]
	v_and_b32_e32 v92, 0xf0f0f0f, v101
	s_waitcnt vmcnt(24)
	v_and_b32_e32 v101, 0xf0f0f0f, v102
	v_lshrrev_b32_e32 v102, 4, v102
	v_lshlrev_b32_e32 v122, 4, v76
	v_lshlrev_b32_e32 v123, 11, v76
	s_waitcnt vmcnt(23)
	v_and_b32_e32 v121, 0xf0f0f0f, v103
	v_lshrrev_b32_e32 v103, 4, v103
	v_lshrrev_b32_e32 v126, 12, v76
	;; [unrolled: 1-line block ×3, first 2 shown]
	v_lshlrev_b32_e32 v130, 4, v81
	v_lshlrev_b32_e32 v131, 11, v81
	v_lshrrev_b32_e32 v134, 12, v81
	v_lshrrev_b32_e32 v135, 5, v81
	s_waitcnt vmcnt(21)
	v_and_b32_e32 v129, 0xf0f0f0f, v104
	v_lshrrev_b32_e32 v104, 4, v104
	v_lshlrev_b32_e32 v138, 4, v82
	v_lshlrev_b32_e32 v139, 11, v82
	v_lshrrev_b32_e32 v142, 12, v82
	v_lshrrev_b32_e32 v143, 5, v82
	v_ashrrev_i32_e32 v91, v13, v100
	v_lshlrev_b32_e32 v95, 18, v74
	v_lshlrev_b32_e32 v96, 25, v74
	s_waitcnt vmcnt(20)
	v_and_b32_e32 v137, 0xf0f0f0f, v105
	v_lshrrev_b32_e32 v105, 4, v105
	v_lshlrev_b32_e32 v100, 2, v74
	v_lshlrev_b32_e32 v74, 9, v74
	s_waitcnt vmcnt(19)
	v_and_b32_e32 v145, 0xf0f0f0f, v106
	v_lshlrev_b32_e32 v146, 4, v83
	v_lshlrev_b32_e32 v147, 11, v83
	v_lshrrev_b32_e32 v106, 4, v106
	v_lshrrev_b32_e32 v150, 12, v83
	;; [unrolled: 1-line block ×3, first 2 shown]
	v_lshlrev_b32_e32 v154, 4, v84
	s_waitcnt vmcnt(18)
	v_and_b32_e32 v153, 0xf0f0f0f, v107
	v_lshlrev_b32_e32 v155, 11, v84
	v_lshrrev_b32_e32 v107, 4, v107
	v_lshrrev_b32_e32 v158, 12, v84
	;; [unrolled: 1-line block ×3, first 2 shown]
	v_and_b32_e32 v93, 16, v93
	v_and_b32_e32 v94, 0x1000, v94
	v_and_b32_e32 v97, 0xf0f0f0f, v97
	v_and_b32_e32 v98, 16, v98
	v_and_b32_e32 v99, 0x1000, v99
	v_lshlrev_b32_e32 v116, 18, v75
	v_lshlrev_b32_e32 v117, 25, v75
	v_lshlrev_b32_e32 v120, 2, v75
	v_lshlrev_b32_e32 v75, 9, v75
	v_and_b32_e32 v114, 16, v114
	v_and_b32_e32 v115, 0x1000, v115
	v_and_b32_e32 v102, 0xf0f0f0f, v102
	v_and_b32_e32 v118, 16, v118
	v_and_b32_e32 v119, 0x1000, v119
	v_lshlrev_b32_e32 v124, 18, v76
	v_lshlrev_b32_e32 v125, 25, v76
	v_lshlrev_b32_e32 v128, 2, v76
	v_lshlrev_b32_e32 v76, 9, v76
	;; [unrolled: 9-line block ×5, first 2 shown]
	v_lshlrev_b32_e32 v156, 18, v84
	v_lshlrev_b32_e32 v157, 25, v84
	;; [unrolled: 1-line block ×4, first 2 shown]
	v_and_b32_e32 v95, 0x100000, v95
	v_and_b32_e32 v96, 0x10000000, v96
	;; [unrolled: 1-line block ×14, first 2 shown]
	v_or3_b32 v92, v93, v92, v94
	v_or3_b32 v93, v98, v97, v99
	v_and_b32_e32 v116, 0x100000, v116
	v_and_b32_e32 v117, 0x10000000, v117
	v_and_b32_e32 v120, 0x100000, v120
	v_and_b32_e32 v75, 0x10000000, v75
	v_or3_b32 v94, v114, v101, v115
	v_or3_b32 v97, v118, v102, v119
	v_and_b32_e32 v124, 0x100000, v124
	v_and_b32_e32 v125, 0x10000000, v125
	v_and_b32_e32 v128, 0x100000, v128
	v_and_b32_e32 v76, 0x10000000, v76
	v_or3_b32 v98, v122, v121, v123
	v_or3_b32 v99, v126, v103, v127
	v_and_b32_e32 v132, 0x100000, v132
	v_and_b32_e32 v133, 0x10000000, v133
	v_and_b32_e32 v136, 0x100000, v136
	v_and_b32_e32 v81, 0x10000000, v81
	v_or3_b32 v101, v130, v129, v131
	v_or3_b32 v102, v134, v104, v135
	v_and_b32_e32 v140, 0x100000, v140
	v_and_b32_e32 v141, 0x10000000, v141
	v_and_b32_e32 v144, 0x100000, v144
	v_and_b32_e32 v82, 0x10000000, v82
	v_or3_b32 v103, v138, v137, v139
	v_or3_b32 v104, v142, v105, v143
	s_waitcnt vmcnt(15)
	v_and_b32_e32 v169, 0xf0f0f0f, v87
	v_lshrrev_b32_e32 v87, 4, v87
	v_lshrrev_b32_e32 v174, 12, v86
	;; [unrolled: 1-line block ×3, first 2 shown]
	v_and_b32_e32 v148, 0x100000, v148
	v_and_b32_e32 v149, 0x10000000, v149
	;; [unrolled: 1-line block ×8, first 2 shown]
	v_or3_b32 v105, v146, v145, v147
	v_or3_b32 v106, v150, v106, v151
	;; [unrolled: 1-line block ×14, first 2 shown]
	v_and_b32_e32 v161, 0xf0f0f0f, v108
	v_lshlrev_b32_e32 v162, 4, v85
	v_lshlrev_b32_e32 v163, 11, v85
	v_lshrrev_b32_e32 v108, 4, v108
	v_lshrrev_b32_e32 v166, 12, v85
	;; [unrolled: 1-line block ×3, first 2 shown]
	v_lshlrev_b32_e32 v170, 4, v86
	v_lshlrev_b32_e32 v171, 11, v86
	;; [unrolled: 1-line block ×6, first 2 shown]
	v_and_b32_e32 v87, 0xf0f0f0f, v87
	v_and_b32_e32 v174, 16, v174
	;; [unrolled: 1-line block ×3, first 2 shown]
	v_or3_b32 v97, v105, v148, v149
	v_or3_b32 v83, v106, v152, v83
	v_or3_b32 v98, v114, v156, v157
	v_or3_b32 v84, v107, v160, v84
	ds_store_2addr_b32 v14, v92, v74 offset1:1
	ds_store_2addr_b32 v16, v93, v75 offset1:1
	ds_store_2addr_b32 v18, v94, v76 offset1:1
	ds_store_2addr_b32 v19, v95, v81 offset1:1
	ds_store_2addr_b32 v20, v96, v82 offset1:1
	ds_store_2addr_b32 v22, v97, v83 offset1:1
	ds_store_2addr_b32 v23, v98, v84 offset1:1
	v_lshlrev_b32_e32 v75, 4, v91
	v_lshlrev_b32_e32 v76, 11, v91
	;; [unrolled: 1-line block ×6, first 2 shown]
	v_and_b32_e32 v162, 16, v162
	v_and_b32_e32 v163, 0x1000, v163
	;; [unrolled: 1-line block ×5, first 2 shown]
	v_or3_b32 v74, v174, v87, v175
	v_and_b32_e32 v81, 0x100000, v176
	v_and_b32_e32 v82, 0x10000000, v86
	s_waitcnt vmcnt(14)
	v_and_b32_e32 v83, 0xf0f0f0f, v88
	v_and_b32_e32 v75, 16, v75
	;; [unrolled: 1-line block ×7, first 2 shown]
	v_or3_b32 v115, v162, v161, v163
	v_or3_b32 v108, v166, v108, v167
	;; [unrolled: 1-line block ×4, first 2 shown]
	v_lshrrev_b32_e32 v76, 4, v88
	v_lshrrev_b32_e32 v82, 12, v91
	;; [unrolled: 1-line block ×3, first 2 shown]
	v_and_b32_e32 v170, 16, v170
	v_and_b32_e32 v171, 0x1000, v171
	v_or3_b32 v99, v115, v164, v165
	v_or3_b32 v85, v108, v168, v85
	v_and_b32_e32 v76, 0xf0f0f0f, v76
	v_and_b32_e32 v82, 16, v82
	;; [unrolled: 1-line block ×3, first 2 shown]
	s_waitcnt vmcnt(13)
	v_ashrrev_i32_e32 v86, v13, v89
	v_and_b32_e32 v172, 0x100000, v172
	v_and_b32_e32 v173, 0x10000000, v173
	v_or3_b32 v118, v170, v169, v171
	ds_store_2addr_b32 v24, v99, v85 offset1:1
	v_lshlrev_b32_e32 v81, 18, v91
	v_lshlrev_b32_e32 v85, 25, v91
	v_or3_b32 v76, v82, v76, v83
	v_lshlrev_b32_e32 v82, 4, v86
	v_lshlrev_b32_e32 v83, 11, v86
	v_or3_b32 v84, v118, v172, v173
	v_and_b32_e32 v81, 0x100000, v81
	v_and_b32_e32 v85, 0x10000000, v85
	v_lshlrev_b32_e32 v87, 2, v91
	v_lshlrev_b32_e32 v88, 9, v91
	s_waitcnt vmcnt(12)
	v_and_b32_e32 v89, 0xf0f0f0f, v90
	v_and_b32_e32 v82, 16, v82
	;; [unrolled: 1-line block ×5, first 2 shown]
	ds_store_2addr_b32 v26, v84, v74 offset1:1
	v_or3_b32 v74, v75, v81, v85
	v_or3_b32 v81, v82, v89, v83
	v_lshrrev_b32_e32 v82, 4, v90
	v_lshrrev_b32_e32 v83, 12, v86
	v_lshrrev_b32_e32 v84, 5, v86
	v_or3_b32 v75, v76, v87, v88
	s_waitcnt vmcnt(11)
	v_ashrrev_i32_e32 v87, v13, v109
	v_and_b32_e32 v82, 0xf0f0f0f, v82
	v_and_b32_e32 v83, 16, v83
	v_and_b32_e32 v84, 0x1000, v84
	v_lshlrev_b32_e32 v76, 18, v86
	v_lshlrev_b32_e32 v85, 25, v86
	v_lshlrev_b32_e32 v88, 2, v86
	v_lshlrev_b32_e32 v86, 9, v86
	v_or3_b32 v82, v83, v82, v84
	v_lshlrev_b32_e32 v83, 4, v87
	v_lshlrev_b32_e32 v84, 11, v87
	v_and_b32_e32 v76, 0x100000, v76
	v_and_b32_e32 v85, 0x10000000, v85
	;; [unrolled: 1-line block ×4, first 2 shown]
	s_waitcnt vmcnt(10)
	v_and_b32_e32 v89, 0xf0f0f0f, v110
	v_and_b32_e32 v83, 16, v83
	;; [unrolled: 1-line block ×3, first 2 shown]
	ds_store_2addr_b32 v27, v74, v75 offset1:1
	v_or3_b32 v74, v81, v76, v85
	v_or3_b32 v75, v82, v88, v86
	v_lshrrev_b32_e32 v82, 4, v110
	v_or3_b32 v81, v83, v89, v84
	v_lshrrev_b32_e32 v83, 12, v87
	v_lshrrev_b32_e32 v84, 5, v87
	v_ashrrev_i32_e32 v86, v13, v111
	v_and_b32_e32 v82, 0xf0f0f0f, v82
	v_lshlrev_b32_e32 v76, 18, v87
	v_and_b32_e32 v83, 16, v83
	v_and_b32_e32 v84, 0x1000, v84
	v_lshlrev_b32_e32 v85, 25, v87
	v_lshlrev_b32_e32 v88, 2, v87
	;; [unrolled: 1-line block ×3, first 2 shown]
	v_and_b32_e32 v76, 0x100000, v76
	v_or3_b32 v82, v83, v82, v84
	v_lshlrev_b32_e32 v83, 4, v86
	v_lshlrev_b32_e32 v84, 11, v86
	v_and_b32_e32 v85, 0x10000000, v85
	v_and_b32_e32 v88, 0x100000, v88
	;; [unrolled: 1-line block ×3, first 2 shown]
	s_waitcnt vmcnt(9)
	v_and_b32_e32 v89, 0xf0f0f0f, v112
	v_and_b32_e32 v83, 16, v83
	;; [unrolled: 1-line block ×3, first 2 shown]
	ds_store_2addr_b32 v29, v74, v75 offset1:1
	v_or3_b32 v74, v81, v76, v85
	v_or3_b32 v75, v82, v88, v87
	v_lshrrev_b32_e32 v82, 4, v112
	v_or3_b32 v81, v83, v89, v84
	v_lshrrev_b32_e32 v83, 12, v86
	v_lshrrev_b32_e32 v84, 5, v86
	v_ashrrev_i32_e32 v87, v13, v113
	v_and_b32_e32 v82, 0xf0f0f0f, v82
	v_lshlrev_b32_e32 v76, 18, v86
	v_and_b32_e32 v83, 16, v83
	v_and_b32_e32 v84, 0x1000, v84
	v_lshlrev_b32_e32 v85, 25, v86
	v_lshlrev_b32_e32 v88, 2, v86
	;; [unrolled: 1-line block ×3, first 2 shown]
	v_and_b32_e32 v76, 0x100000, v76
	v_or3_b32 v82, v83, v82, v84
	v_lshlrev_b32_e32 v83, 4, v87
	v_lshlrev_b32_e32 v84, 11, v87
	v_and_b32_e32 v85, 0x10000000, v85
	v_and_b32_e32 v88, 0x100000, v88
	;; [unrolled: 1-line block ×3, first 2 shown]
	s_waitcnt vmcnt(2)
	v_and_b32_e32 v89, 0xf0f0f0f, v71
	v_and_b32_e32 v83, 16, v83
	;; [unrolled: 1-line block ×3, first 2 shown]
	v_lshlrev_b32_e32 v90, 18, v87
	v_lshlrev_b32_e32 v91, 25, v87
	v_or3_b32 v76, v81, v76, v85
	v_or3_b32 v81, v82, v88, v86
	;; [unrolled: 1-line block ×3, first 2 shown]
	v_and_b32_e32 v83, 0x100000, v90
	v_and_b32_e32 v84, 0x10000000, v91
	v_lshrrev_b32_e32 v85, 12, v87
	v_lshrrev_b32_e32 v86, 5, v87
	v_ashrrev_i32_e32 v77, v13, v77
	v_lshrrev_b32_e32 v71, 4, v71
	v_or3_b32 v82, v82, v83, v84
	v_and_b32_e32 v83, 16, v85
	v_and_b32_e32 v84, 0x1000, v86
	v_lshlrev_b32_e32 v85, 4, v77
	v_lshlrev_b32_e32 v86, 11, v77
	v_and_b32_e32 v71, 0xf0f0f0f, v71
	v_lshlrev_b32_e32 v88, 2, v87
	v_lshlrev_b32_e32 v87, 9, v87
	s_waitcnt vmcnt(1)
	v_and_b32_e32 v89, 0xf0f0f0f, v72
	v_and_b32_e32 v85, 16, v85
	;; [unrolled: 1-line block ×3, first 2 shown]
	v_lshlrev_b32_e32 v90, 18, v77
	v_ashrrev_i32_e32 v78, v13, v78
	v_or3_b32 v71, v83, v71, v84
	v_and_b32_e32 v83, 0x100000, v88
	v_and_b32_e32 v84, 0x10000000, v87
	v_or3_b32 v85, v85, v89, v86
	v_and_b32_e32 v86, 0x100000, v90
	v_lshrrev_b32_e32 v72, 4, v72
	v_lshrrev_b32_e32 v87, 12, v77
	;; [unrolled: 1-line block ×3, first 2 shown]
	v_lshlrev_b32_e32 v90, 4, v78
	v_lshlrev_b32_e32 v91, 11, v78
	v_and_b32_e32 v72, 0xf0f0f0f, v72
	v_and_b32_e32 v87, 16, v87
	;; [unrolled: 1-line block ×3, first 2 shown]
	s_waitcnt vmcnt(0)
	v_and_b32_e32 v93, 0xf0f0f0f, v73
	v_and_b32_e32 v90, 16, v90
	v_and_b32_e32 v91, 0x1000, v91
	v_lshlrev_b32_e32 v92, 2, v77
	v_or3_b32 v72, v87, v72, v88
	v_lshrrev_b32_e32 v73, 4, v73
	v_lshlrev_b32_e32 v89, 25, v77
	v_or3_b32 v88, v90, v93, v91
	v_lshrrev_b32_e32 v90, 12, v78
	v_lshrrev_b32_e32 v91, 5, v78
	v_lshlrev_b32_e32 v77, 9, v77
	v_and_b32_e32 v87, 0x100000, v92
	v_lshlrev_b32_e32 v92, 18, v78
	v_lshlrev_b32_e32 v93, 25, v78
	v_and_b32_e32 v73, 0xf0f0f0f, v73
	v_and_b32_e32 v90, 16, v90
	;; [unrolled: 1-line block ×3, first 2 shown]
	v_lshlrev_b32_e32 v94, 2, v78
	v_lshlrev_b32_e32 v78, 9, v78
	v_and_b32_e32 v89, 0x10000000, v89
	v_and_b32_e32 v77, 0x10000000, v77
	;; [unrolled: 1-line block ×4, first 2 shown]
	v_or3_b32 v73, v90, v73, v91
	v_and_b32_e32 v90, 0x100000, v94
	v_and_b32_e32 v78, 0x10000000, v78
	v_or3_b32 v71, v71, v83, v84
	v_or3_b32 v83, v85, v86, v89
	;; [unrolled: 1-line block ×5, first 2 shown]
	ds_store_2addr_b32 v30, v74, v75 offset1:1
	ds_store_2addr_b32 v31, v76, v81 offset1:1
	;; [unrolled: 1-line block ×5, first 2 shown]
	ds_store_b32 v64, v2
	ds_store_b32 v65, v3
	;; [unrolled: 1-line block ×4, first 2 shown]
	s_cbranch_scc0 .LBB203_4
; %bb.6:                                ;   in Loop: Header=BB203_5 Depth=1
	v_add_nc_u32_e32 v2, s17, v11
	s_delay_alu instid0(VALU_DEP_1) | instskip(NEXT) | instid1(VALU_DEP_1)
	v_cmp_gt_i32_e64 s1, s10, v2
	s_and_b32 s15, s0, s1
	s_delay_alu instid0(SALU_CYCLE_1)
	s_and_saveexec_b32 s1, s15
	s_cbranch_execz .LBB203_8
; %bb.7:                                ;   in Loop: Header=BB203_5 Depth=1
	v_add_nc_u32_e32 v71, v51, v2
	s_delay_alu instid0(VALU_DEP_1)
	v_mad_i64_i32 v[2:3], null, v71, 36, v[0:1]
	global_load_b32 v2, v[2:3], off offset:4
	s_waitcnt vmcnt(0)
	ds_store_b32 v47, v2
.LBB203_8:                              ;   in Loop: Header=BB203_5 Depth=1
	s_or_b32 exec_lo, exec_lo, s1
	s_and_saveexec_b32 s15, vcc_lo
	s_cbranch_execz .LBB203_11
; %bb.9:                                ;   in Loop: Header=BB203_5 Depth=1
	v_or_b32_e32 v2, s17, v5
	s_delay_alu instid0(VALU_DEP_1) | instskip(NEXT) | instid1(VALU_DEP_1)
	v_cmp_gt_i32_e64 s1, s10, v2
	s_and_b32 s1, s0, s1
	s_delay_alu instid0(SALU_CYCLE_1)
	s_and_b32 exec_lo, exec_lo, s1
	s_cbranch_execz .LBB203_11
; %bb.10:                               ;   in Loop: Header=BB203_5 Depth=1
	v_add_nc_u32_e32 v71, v51, v2
	s_delay_alu instid0(VALU_DEP_1)
	v_mad_i64_i32 v[2:3], null, v71, 36, s[2:3]
	global_load_b32 v2, v[2:3], off
	s_waitcnt vmcnt(0)
	ds_store_b32 v48, v2
.LBB203_11:                             ;   in Loop: Header=BB203_5 Depth=1
	s_or_b32 exec_lo, exec_lo, s15
	v_dual_mov_b32 v2, v58 :: v_dual_mov_b32 v3, v57
	v_dual_mov_b32 v71, v49 :: v_dual_mov_b32 v72, v56
	;; [unrolled: 1-line block ×3, first 2 shown]
	v_mov_b32_e32 v75, v53
	s_mov_b32 s1, -4
	s_waitcnt lgkmcnt(0)
	s_barrier
	buffer_gl0_inv
.LBB203_12:                             ;   Parent Loop BB203_5 Depth=1
                                        ; =>  This Inner Loop Header: Depth=2
	v_add_nc_u32_e32 v92, 0x2080, v71
	v_add_nc_u32_e32 v94, 0x4100, v71
	;; [unrolled: 1-line block ×3, first 2 shown]
	ds_load_b128 v[76:79], v3
	ds_load_b32 v116, v2
	ds_load_b128 v[80:83], v3 offset:16
	ds_load_2addr_b32 v[84:85], v71 offset1:1
	ds_load_2addr_b32 v[86:87], v71 offset0:2 offset1:3
	ds_load_2addr_b32 v[88:89], v71 offset0:4 offset1:5
	ds_load_b32 v117, v72
	ds_load_2addr_b32 v[90:91], v71 offset0:6 offset1:7
	ds_load_b32 v118, v73
	ds_load_2addr_b32 v[92:93], v92 offset1:1
	ds_load_2addr_b32 v[94:95], v94 offset1:1
	;; [unrolled: 1-line block ×3, first 2 shown]
	ds_load_b32 v119, v74
	ds_load_b32 v120, v75
	v_add_nc_u32_e32 v98, 0x2088, v71
	v_add_nc_u32_e32 v100, 0x4108, v71
	v_add_nc_u32_e32 v102, 0x6188, v71
	v_add_nc_u32_e32 v104, 0x2090, v71
	v_add_nc_u32_e32 v106, 0x2098, v71
	v_add_nc_u32_e32 v108, 0x4110, v71
	v_add_nc_u32_e32 v110, 0x4118, v71
	v_add_nc_u32_e32 v112, 0x6190, v71
	v_add_nc_u32_e32 v114, 0x6198, v71
	ds_load_2addr_b32 v[98:99], v98 offset1:1
	ds_load_2addr_b32 v[100:101], v100 offset1:1
	;; [unrolled: 1-line block ×9, first 2 shown]
	v_add_nc_u32_e32 v74, 4, v74
	v_add_nc_u32_e32 v72, 4, v72
	v_add_nc_u32_e32 v71, 32, v71
	v_add_nc_u32_e32 v3, 32, v3
	s_waitcnt lgkmcnt(19)
	v_dot4_i32_iu8 v84, v84, v76, 0 neg_lo:[1,1,0]
	s_waitcnt lgkmcnt(13)
	v_dot4_i32_iu8 v92, v92, v76, 0 neg_lo:[1,1,0]
	;; [unrolled: 2-line block ×4, first 2 shown]
	v_add_nc_u32_e32 v2, 4, v2
	v_dot4_i32_iu8 v84, v85, v80, v84 neg_lo:[1,1,0]
	v_dot4_i32_iu8 v85, v93, v80, v92 neg_lo:[1,1,0]
	;; [unrolled: 1-line block ×4, first 2 shown]
	s_add_i32 s1, s1, 4
	v_dot4_i32_iu8 v80, v86, v77, v84 neg_lo:[1,1,0]
	s_waitcnt lgkmcnt(8)
	v_dot4_i32_iu8 v84, v98, v77, v85 neg_lo:[1,1,0]
	s_waitcnt lgkmcnt(7)
	;; [unrolled: 2-line block ×3, first 2 shown]
	v_dot4_i32_iu8 v76, v102, v77, v76 neg_lo:[1,1,0]
	s_cmp_lt_u32 s1, 12
	v_dot4_i32_iu8 v77, v87, v81, v80 neg_lo:[1,1,0]
	v_dot4_i32_iu8 v80, v99, v81, v84 neg_lo:[1,1,0]
	;; [unrolled: 1-line block ×4, first 2 shown]
	s_delay_alu instid0(VALU_DEP_4)
	v_dot4_i32_iu8 v77, v88, v78, v77 neg_lo:[1,1,0]
	s_waitcnt lgkmcnt(5)
	v_dot4_i32_iu8 v80, v104, v78, v80 neg_lo:[1,1,0]
	s_waitcnt lgkmcnt(3)
	;; [unrolled: 2-line block ×3, first 2 shown]
	v_dot4_i32_iu8 v76, v112, v78, v76 neg_lo:[1,1,0]
	v_pk_mul_f16 v78, v116, v117
	v_dot4_i32_iu8 v77, v89, v82, v77 neg_lo:[1,1,0]
	v_dot4_i32_iu8 v80, v105, v82, v80 neg_lo:[1,1,0]
	;; [unrolled: 1-line block ×4, first 2 shown]
	v_pk_mul_f16 v82, v116, v118
	v_dot4_i32_iu8 v77, v90, v79, v77 neg_lo:[1,1,0]
	v_dot4_i32_iu8 v80, v106, v79, v80 neg_lo:[1,1,0]
	;; [unrolled: 1-line block ×3, first 2 shown]
	s_waitcnt lgkmcnt(0)
	v_dot4_i32_iu8 v76, v114, v79, v76 neg_lo:[1,1,0]
	v_pk_mul_f16 v79, v116, v119
	v_dot4_i32_iu8 v77, v91, v83, v77 neg_lo:[1,1,0]
	v_dot4_i32_iu8 v80, v107, v83, v80 neg_lo:[1,1,0]
	;; [unrolled: 1-line block ×4, first 2 shown]
	v_pk_mul_f16 v83, v116, v120
	v_cvt_f32_i32_e32 v77, v77
	v_cvt_f32_i32_e32 v80, v80
	v_cvt_f32_i32_e32 v81, v81
	v_cvt_f32_i32_e32 v76, v76
	s_delay_alu instid0(VALU_DEP_4) | instskip(NEXT) | instid1(VALU_DEP_4)
	v_fma_mix_f32 v77, v78, v77, v78 op_sel:[0,0,1] op_sel_hi:[1,0,1]
	v_fma_mix_f32 v78, v82, v80, v82 op_sel:[0,0,1] op_sel_hi:[1,0,1]
	s_delay_alu instid0(VALU_DEP_4) | instskip(NEXT) | instid1(VALU_DEP_4)
	v_fma_mix_f32 v79, v79, v81, v79 op_sel:[0,0,1] op_sel_hi:[1,0,1]
	v_fma_mix_f32 v76, v83, v76, v83 op_sel:[0,0,1] op_sel_hi:[1,0,1]
	s_delay_alu instid0(VALU_DEP_4) | instskip(NEXT) | instid1(VALU_DEP_3)
	v_dual_add_f32 v6, v6, v77 :: v_dual_add_nc_u32 v75, 4, v75
	v_dual_add_f32 v68, v68, v79 :: v_dual_add_nc_u32 v73, 4, v73
	v_add_f32_e32 v67, v67, v78
	s_delay_alu instid0(VALU_DEP_4)
	v_add_f32_e32 v69, v69, v76
	s_cbranch_scc1 .LBB203_12
; %bb.13:                               ;   in Loop: Header=BB203_5 Depth=1
	s_bitset1_b32 s14, 7
	s_delay_alu instid0(SALU_CYCLE_1)
	s_cmp_ge_i32 s14, s11
	s_barrier
	buffer_gl0_inv
	s_cbranch_scc1 .LBB203_4
; %bb.14:                               ;   in Loop: Header=BB203_5 Depth=1
	v_add_nc_u32_e32 v2, s17, v50
	s_delay_alu instid0(VALU_DEP_1) | instskip(NEXT) | instid1(VALU_DEP_1)
	v_cmp_gt_i32_e64 s1, s10, v2
	s_and_b32 s14, s0, s1
	s_delay_alu instid0(SALU_CYCLE_1)
	s_and_saveexec_b32 s1, s14
	s_cbranch_execz .LBB203_16
; %bb.15:                               ;   in Loop: Header=BB203_5 Depth=1
	v_add_nc_u32_e32 v71, v51, v2
	s_delay_alu instid0(VALU_DEP_1)
	v_mad_i64_i32 v[2:3], null, v71, 36, v[0:1]
	global_load_b32 v2, v[2:3], off offset:4
	s_waitcnt vmcnt(0)
	ds_store_b32 v47, v2
.LBB203_16:                             ;   in Loop: Header=BB203_5 Depth=1
	s_or_b32 exec_lo, exec_lo, s1
	s_and_saveexec_b32 s14, vcc_lo
	s_cbranch_execz .LBB203_19
; %bb.17:                               ;   in Loop: Header=BB203_5 Depth=1
	v_or_b32_e32 v2, s17, v5
	s_delay_alu instid0(VALU_DEP_1) | instskip(NEXT) | instid1(VALU_DEP_1)
	v_or_b32_e32 v3, 4, v2
	v_cmp_gt_i32_e64 s1, s10, v3
	s_delay_alu instid0(VALU_DEP_1) | instskip(NEXT) | instid1(SALU_CYCLE_1)
	s_and_b32 s1, s0, s1
	s_and_b32 exec_lo, exec_lo, s1
	s_cbranch_execz .LBB203_19
; %bb.18:                               ;   in Loop: Header=BB203_5 Depth=1
	v_ashrrev_i32_e32 v3, 31, v2
	v_add_co_u32 v71, s1, v51, v2
	s_delay_alu instid0(VALU_DEP_1) | instskip(NEXT) | instid1(VALU_DEP_2)
	v_add_co_ci_u32_e64 v72, s1, v52, v3, s1
	v_mad_u64_u32 v[2:3], null, v71, 36, s[12:13]
	s_delay_alu instid0(VALU_DEP_1)
	v_mad_i32_i24 v3, v72, 36, v3
	global_load_b32 v2, v[2:3], off
	s_waitcnt vmcnt(0)
	ds_store_b32 v48, v2
.LBB203_19:                             ;   in Loop: Header=BB203_5 Depth=1
	s_or_b32 exec_lo, exec_lo, s14
	v_dual_mov_b32 v2, v58 :: v_dual_mov_b32 v3, v57
	v_dual_mov_b32 v71, v63 :: v_dual_mov_b32 v72, v62
	;; [unrolled: 1-line block ×3, first 2 shown]
	v_mov_b32_e32 v75, v59
	s_mov_b32 s1, 12
	s_waitcnt lgkmcnt(0)
	s_barrier
	buffer_gl0_inv
.LBB203_20:                             ;   Parent Loop BB203_5 Depth=1
                                        ; =>  This Inner Loop Header: Depth=2
	v_add_nc_u32_e32 v92, 0x2080, v71
	v_add_nc_u32_e32 v94, 0x4100, v71
	;; [unrolled: 1-line block ×3, first 2 shown]
	ds_load_b128 v[76:79], v3
	ds_load_b32 v116, v2
	ds_load_b128 v[80:83], v3 offset:16
	ds_load_2addr_b32 v[84:85], v71 offset1:1
	ds_load_2addr_b32 v[86:87], v71 offset0:2 offset1:3
	ds_load_2addr_b32 v[88:89], v71 offset0:4 offset1:5
	ds_load_b32 v117, v72
	ds_load_2addr_b32 v[90:91], v71 offset0:6 offset1:7
	ds_load_b32 v118, v73
	ds_load_2addr_b32 v[92:93], v92 offset1:1
	ds_load_2addr_b32 v[94:95], v94 offset1:1
	;; [unrolled: 1-line block ×3, first 2 shown]
	ds_load_b32 v119, v74
	ds_load_b32 v120, v75
	v_add_nc_u32_e32 v98, 0x2088, v71
	v_add_nc_u32_e32 v100, 0x4108, v71
	;; [unrolled: 1-line block ×9, first 2 shown]
	ds_load_2addr_b32 v[98:99], v98 offset1:1
	ds_load_2addr_b32 v[100:101], v100 offset1:1
	;; [unrolled: 1-line block ×9, first 2 shown]
	v_add_nc_u32_e32 v74, 4, v74
	v_add_nc_u32_e32 v72, 4, v72
	;; [unrolled: 1-line block ×4, first 2 shown]
	s_waitcnt lgkmcnt(19)
	v_dot4_i32_iu8 v84, v84, v76, 0 neg_lo:[1,1,0]
	s_waitcnt lgkmcnt(13)
	v_dot4_i32_iu8 v92, v92, v76, 0 neg_lo:[1,1,0]
	;; [unrolled: 2-line block ×4, first 2 shown]
	v_add_nc_u32_e32 v2, 4, v2
	v_dot4_i32_iu8 v84, v85, v80, v84 neg_lo:[1,1,0]
	v_dot4_i32_iu8 v85, v93, v80, v92 neg_lo:[1,1,0]
	;; [unrolled: 1-line block ×4, first 2 shown]
	s_add_i32 s1, s1, 4
	v_dot4_i32_iu8 v80, v86, v77, v84 neg_lo:[1,1,0]
	s_waitcnt lgkmcnt(8)
	v_dot4_i32_iu8 v84, v98, v77, v85 neg_lo:[1,1,0]
	s_waitcnt lgkmcnt(7)
	;; [unrolled: 2-line block ×3, first 2 shown]
	v_dot4_i32_iu8 v76, v102, v77, v76 neg_lo:[1,1,0]
	s_cmp_lt_u32 s1, 28
	v_dot4_i32_iu8 v77, v87, v81, v80 neg_lo:[1,1,0]
	v_dot4_i32_iu8 v80, v99, v81, v84 neg_lo:[1,1,0]
	;; [unrolled: 1-line block ×4, first 2 shown]
	s_delay_alu instid0(VALU_DEP_4)
	v_dot4_i32_iu8 v77, v88, v78, v77 neg_lo:[1,1,0]
	s_waitcnt lgkmcnt(5)
	v_dot4_i32_iu8 v80, v104, v78, v80 neg_lo:[1,1,0]
	s_waitcnt lgkmcnt(3)
	;; [unrolled: 2-line block ×3, first 2 shown]
	v_dot4_i32_iu8 v76, v112, v78, v76 neg_lo:[1,1,0]
	v_pk_mul_f16 v78, v116, v117
	v_dot4_i32_iu8 v77, v89, v82, v77 neg_lo:[1,1,0]
	v_dot4_i32_iu8 v80, v105, v82, v80 neg_lo:[1,1,0]
	;; [unrolled: 1-line block ×4, first 2 shown]
	v_pk_mul_f16 v82, v116, v118
	v_dot4_i32_iu8 v77, v90, v79, v77 neg_lo:[1,1,0]
	v_dot4_i32_iu8 v80, v106, v79, v80 neg_lo:[1,1,0]
	v_dot4_i32_iu8 v81, v110, v79, v81 neg_lo:[1,1,0]
	s_waitcnt lgkmcnt(0)
	v_dot4_i32_iu8 v76, v114, v79, v76 neg_lo:[1,1,0]
	v_pk_mul_f16 v79, v116, v119
	v_dot4_i32_iu8 v77, v91, v83, v77 neg_lo:[1,1,0]
	v_dot4_i32_iu8 v80, v107, v83, v80 neg_lo:[1,1,0]
	;; [unrolled: 1-line block ×4, first 2 shown]
	v_pk_mul_f16 v83, v116, v120
	v_cvt_f32_i32_e32 v77, v77
	v_cvt_f32_i32_e32 v80, v80
	;; [unrolled: 1-line block ×4, first 2 shown]
	s_delay_alu instid0(VALU_DEP_4) | instskip(NEXT) | instid1(VALU_DEP_4)
	v_fma_mix_f32 v77, v78, v77, v78 op_sel:[0,0,1] op_sel_hi:[1,0,1]
	v_fma_mix_f32 v78, v82, v80, v82 op_sel:[0,0,1] op_sel_hi:[1,0,1]
	s_delay_alu instid0(VALU_DEP_4) | instskip(NEXT) | instid1(VALU_DEP_4)
	v_fma_mix_f32 v79, v79, v81, v79 op_sel:[0,0,1] op_sel_hi:[1,0,1]
	v_fma_mix_f32 v76, v83, v76, v83 op_sel:[0,0,1] op_sel_hi:[1,0,1]
	s_delay_alu instid0(VALU_DEP_4) | instskip(NEXT) | instid1(VALU_DEP_3)
	v_dual_add_f32 v6, v6, v77 :: v_dual_add_nc_u32 v75, 4, v75
	v_dual_add_f32 v68, v68, v79 :: v_dual_add_nc_u32 v73, 4, v73
	v_add_f32_e32 v67, v67, v78
	s_delay_alu instid0(VALU_DEP_4)
	v_add_f32_e32 v69, v69, v76
	s_cbranch_scc1 .LBB203_20
; %bb.21:                               ;   in Loop: Header=BB203_5 Depth=1
	s_barrier
	buffer_gl0_inv
	s_branch .LBB203_4
.LBB203_22:
	v_cvt_f16_f32_e32 v7, v6
	v_cvt_f16_f32_e32 v6, v67
	;; [unrolled: 1-line block ×4, first 2 shown]
.LBB203_23:
	s_mul_i32 s0, s7, s4
	s_waitcnt vmcnt(0)
	v_cmp_gt_i32_e32 vcc_lo, s0, v4
	s_and_saveexec_b32 s0, vcc_lo
	s_cbranch_execz .LBB203_32
; %bb.24:
	v_mul_lo_u32 v1, v4, s6
	v_add_nc_u32_e32 v3, s16, v5
	s_mov_b32 s0, exec_lo
	s_delay_alu instid0(VALU_DEP_1)
	v_cmpx_gt_u32_e64 s6, v3
	s_cbranch_execz .LBB203_26
; %bb.25:
	s_delay_alu instid0(VALU_DEP_3) | instskip(NEXT) | instid1(VALU_DEP_1)
	v_dual_mov_b32 v5, 0 :: v_dual_add_nc_u32 v4, v1, v3
	v_lshlrev_b64 v[4:5], 1, v[4:5]
	s_delay_alu instid0(VALU_DEP_1) | instskip(NEXT) | instid1(VALU_DEP_2)
	v_add_co_u32 v4, vcc_lo, s8, v4
	v_add_co_ci_u32_e32 v5, vcc_lo, s9, v5, vcc_lo
	global_store_b16 v[4:5], v7, off
.LBB203_26:
	s_or_b32 exec_lo, exec_lo, s0
	v_add_nc_u32_e32 v4, 32, v3
	s_mov_b32 s0, exec_lo
	s_delay_alu instid0(VALU_DEP_1)
	v_cmpx_gt_u32_e64 s6, v4
	s_cbranch_execz .LBB203_28
; %bb.27:
	v_dual_mov_b32 v5, 0 :: v_dual_add_nc_u32 v4, v1, v4
	s_delay_alu instid0(VALU_DEP_1) | instskip(NEXT) | instid1(VALU_DEP_1)
	v_lshlrev_b64 v[4:5], 1, v[4:5]
	v_add_co_u32 v4, vcc_lo, s8, v4
	s_delay_alu instid0(VALU_DEP_2)
	v_add_co_ci_u32_e32 v5, vcc_lo, s9, v5, vcc_lo
	global_store_b16 v[4:5], v6, off
.LBB203_28:
	s_or_b32 exec_lo, exec_lo, s0
	v_add_nc_u32_e32 v4, 64, v3
	s_mov_b32 s0, exec_lo
	s_delay_alu instid0(VALU_DEP_1)
	v_cmpx_gt_u32_e64 s6, v4
	s_cbranch_execz .LBB203_30
; %bb.29:
	v_dual_mov_b32 v5, 0 :: v_dual_add_nc_u32 v4, v1, v4
	s_delay_alu instid0(VALU_DEP_1) | instskip(NEXT) | instid1(VALU_DEP_1)
	v_lshlrev_b64 v[4:5], 1, v[4:5]
	v_add_co_u32 v4, vcc_lo, s8, v4
	s_delay_alu instid0(VALU_DEP_2)
	v_add_co_ci_u32_e32 v5, vcc_lo, s9, v5, vcc_lo
	global_store_b16 v[4:5], v0, off
.LBB203_30:
	s_or_b32 exec_lo, exec_lo, s0
	v_add_nc_u32_e32 v0, 0x60, v3
	s_delay_alu instid0(VALU_DEP_1)
	v_cmp_gt_u32_e32 vcc_lo, s6, v0
	s_and_b32 exec_lo, exec_lo, vcc_lo
	s_cbranch_execz .LBB203_32
; %bb.31:
	v_dual_mov_b32 v1, 0 :: v_dual_add_nc_u32 v0, v1, v0
	s_delay_alu instid0(VALU_DEP_1) | instskip(NEXT) | instid1(VALU_DEP_1)
	v_lshlrev_b64 v[0:1], 1, v[0:1]
	v_add_co_u32 v0, vcc_lo, s8, v0
	s_delay_alu instid0(VALU_DEP_2)
	v_add_co_ci_u32_e32 v1, vcc_lo, s9, v1, vcc_lo
	global_store_b16 v[0:1], v2, off
.LBB203_32:
	s_nop 0
	s_sendmsg sendmsg(MSG_DEALLOC_VGPRS)
	s_endpgm
	.section	.rodata,"a",@progbits
	.p2align	6, 0x0
	.amdhsa_kernel _ZL8moe_q5_1IN3c104HalfELb0EEvPKvS3_PT_PKiS7_S7_iiiiiii
		.amdhsa_group_segment_fixed_size 38656
		.amdhsa_private_segment_fixed_size 0
		.amdhsa_kernarg_size 76
		.amdhsa_user_sgpr_count 14
		.amdhsa_user_sgpr_dispatch_ptr 0
		.amdhsa_user_sgpr_queue_ptr 0
		.amdhsa_user_sgpr_kernarg_segment_ptr 1
		.amdhsa_user_sgpr_dispatch_id 0
		.amdhsa_user_sgpr_private_segment_size 0
		.amdhsa_wavefront_size32 1
		.amdhsa_uses_dynamic_stack 0
		.amdhsa_enable_private_segment 0
		.amdhsa_system_sgpr_workgroup_id_x 1
		.amdhsa_system_sgpr_workgroup_id_y 1
		.amdhsa_system_sgpr_workgroup_id_z 0
		.amdhsa_system_sgpr_workgroup_info 0
		.amdhsa_system_vgpr_workitem_id 1
		.amdhsa_next_free_vgpr 177
		.amdhsa_next_free_sgpr 20
		.amdhsa_reserve_vcc 1
		.amdhsa_float_round_mode_32 0
		.amdhsa_float_round_mode_16_64 0
		.amdhsa_float_denorm_mode_32 3
		.amdhsa_float_denorm_mode_16_64 3
		.amdhsa_dx10_clamp 1
		.amdhsa_ieee_mode 1
		.amdhsa_fp16_overflow 0
		.amdhsa_workgroup_processor_mode 1
		.amdhsa_memory_ordered 1
		.amdhsa_forward_progress 0
		.amdhsa_shared_vgpr_count 0
		.amdhsa_exception_fp_ieee_invalid_op 0
		.amdhsa_exception_fp_denorm_src 0
		.amdhsa_exception_fp_ieee_div_zero 0
		.amdhsa_exception_fp_ieee_overflow 0
		.amdhsa_exception_fp_ieee_underflow 0
		.amdhsa_exception_fp_ieee_inexact 0
		.amdhsa_exception_int_div_zero 0
	.end_amdhsa_kernel
	.section	.text._ZL8moe_q5_1IN3c104HalfELb0EEvPKvS3_PT_PKiS7_S7_iiiiiii,"axG",@progbits,_ZL8moe_q5_1IN3c104HalfELb0EEvPKvS3_PT_PKiS7_S7_iiiiiii,comdat
.Lfunc_end203:
	.size	_ZL8moe_q5_1IN3c104HalfELb0EEvPKvS3_PT_PKiS7_S7_iiiiiii, .Lfunc_end203-_ZL8moe_q5_1IN3c104HalfELb0EEvPKvS3_PT_PKiS7_S7_iiiiiii
                                        ; -- End function
	.section	.AMDGPU.csdata,"",@progbits
; Kernel info:
; codeLenInByte = 6808
; NumSgprs: 22
; NumVgprs: 177
; ScratchSize: 0
; MemoryBound: 0
; FloatMode: 240
; IeeeMode: 1
; LDSByteSize: 38656 bytes/workgroup (compile time only)
; SGPRBlocks: 2
; VGPRBlocks: 22
; NumSGPRsForWavesPerEU: 22
; NumVGPRsForWavesPerEU: 177
; Occupancy: 6
; WaveLimiterHint : 1
; COMPUTE_PGM_RSRC2:SCRATCH_EN: 0
; COMPUTE_PGM_RSRC2:USER_SGPR: 14
; COMPUTE_PGM_RSRC2:TRAP_HANDLER: 0
; COMPUTE_PGM_RSRC2:TGID_X_EN: 1
; COMPUTE_PGM_RSRC2:TGID_Y_EN: 1
; COMPUTE_PGM_RSRC2:TGID_Z_EN: 0
; COMPUTE_PGM_RSRC2:TIDIG_COMP_CNT: 1
	.section	.text._ZL8moe_q5_1IN3c104HalfELb1EEvPKvS3_PT_PKiS7_S7_iiiiiii,"axG",@progbits,_ZL8moe_q5_1IN3c104HalfELb1EEvPKvS3_PT_PKiS7_S7_iiiiiii,comdat
	.globl	_ZL8moe_q5_1IN3c104HalfELb1EEvPKvS3_PT_PKiS7_S7_iiiiiii ; -- Begin function _ZL8moe_q5_1IN3c104HalfELb1EEvPKvS3_PT_PKiS7_S7_iiiiiii
	.p2align	8
	.type	_ZL8moe_q5_1IN3c104HalfELb1EEvPKvS3_PT_PKiS7_S7_iiiiiii,@function
_ZL8moe_q5_1IN3c104HalfELb1EEvPKvS3_PT_PKiS7_S7_iiiiiii: ; @_ZL8moe_q5_1IN3c104HalfELb1EEvPKvS3_PT_PKiS7_S7_iiiiiii
; %bb.0:
	s_load_b128 s[4:7], s[0:1], 0x18
	s_mov_b32 s2, s15
	s_mov_b32 s3, 0
	s_delay_alu instid0(SALU_CYCLE_1)
	s_lshl_b64 s[8:9], s[2:3], 2
	s_waitcnt lgkmcnt(0)
	s_add_u32 s6, s6, s8
	s_addc_u32 s7, s7, s9
	s_load_b32 s15, s[6:7], 0x0
	s_waitcnt lgkmcnt(0)
	s_cmpk_gt_u32 s15, 0xff
	s_cbranch_scc1 .LBB204_32
; %bb.1:
	s_load_b64 s[6:7], s[0:1], 0x28
	s_lshl_b32 s2, s2, 3
	s_waitcnt lgkmcnt(0)
	s_load_b32 s3, s[6:7], 0x0
	s_waitcnt lgkmcnt(0)
	s_cmp_gt_u32 s2, s3
	s_cbranch_scc1 .LBB204_32
; %bb.2:
	v_bfe_u32 v18, v0, 10, 10
	v_mov_b32_e32 v2, 0
	s_mov_b32 s18, 0
	s_delay_alu instid0(VALU_DEP_2) | instskip(NEXT) | instid1(VALU_DEP_2)
	v_add_nc_u32_e32 v1, s2, v18
	v_dual_mov_b32 v0, v2 :: v_dual_and_b32 v21, 0x3ff, v0
	v_mov_b32_e32 v5, v2
	s_delay_alu instid0(VALU_DEP_3) | instskip(NEXT) | instid1(VALU_DEP_1)
	v_lshlrev_b64 v[3:4], 2, v[1:2]
	v_add_co_u32 v3, vcc_lo, s4, v3
	s_delay_alu instid0(VALU_DEP_2)
	v_add_co_ci_u32_e32 v4, vcc_lo, s5, v4, vcc_lo
	global_load_b32 v20, v[3:4], off
	s_clause 0x1
	s_load_b256 s[4:11], s[0:1], 0x30
	s_load_b64 s[12:13], s[0:1], 0x10
	v_mov_b32_e32 v3, v2
	s_waitcnt lgkmcnt(0)
	s_lshl_b32 s11, s14, 7
	s_cmp_lt_i32 s5, 32
	s_cbranch_scc1 .LBB204_23
; %bb.3:
	s_load_b128 s[0:3], s[0:1], 0x0
	s_ashr_i32 s14, s5, 31
	s_mul_i32 s15, s15, s4
	s_lshr_b32 s4, s14, 27
	s_ashr_i32 s16, s8, 31
	s_add_i32 s4, s5, s4
	s_lshr_b32 s14, s16, 27
	s_ashr_i32 s4, s4, 5
	s_add_i32 s8, s8, s14
	s_mul_i32 s14, s4, s11
	s_ashr_i32 s16, s15, 31
	s_ashr_i32 s8, s8, 5
	s_mul_hi_i32 s17, s14, 24
	s_mul_i32 s14, s14, 24
	v_add_nc_u32_e32 v0, 8, v18
	v_add_nc_u32_e32 v3, 16, v18
	;; [unrolled: 1-line block ×6, first 2 shown]
	s_waitcnt lgkmcnt(0)
	s_add_u32 s0, s0, s15
	s_addc_u32 s1, s1, s16
	s_add_u32 s19, s0, s14
	s_addc_u32 s20, s1, s17
	s_abs_i32 s1, s10
	s_not_b32 s0, s11
	v_cvt_f32_u32_e32 v16, s1
	s_add_i32 s0, s0, s6
	v_add_nc_u32_e32 v40, 0x70, v18
	v_min_i32_e32 v2, s0, v18
	v_min_i32_e32 v5, s0, v0
	v_rcp_iflag_f32_e32 v16, v16
	v_lshlrev_b32_e32 v17, 3, v21
	v_min_i32_e32 v6, s0, v3
	v_mul_lo_u32 v25, v2, s4
	v_mul_lo_u32 v26, v5, s4
	v_min_i32_e32 v8, s0, v8
	v_min_i32_e32 v11, s0, v11
	v_mul_lo_u32 v27, v6, s4
	v_lshlrev_b32_e32 v47, 2, v18
	v_lshrrev_b32_e32 v38, 3, v21
	v_mul_f32_e32 v16, 0x4f7ffffe, v16
	v_mad_u64_u32 v[0:1], null, 0x104, v2, v[17:18]
	v_mad_u64_u32 v[1:2], null, 0x104, v5, v[17:18]
	v_min_i32_e32 v5, s0, v4
	v_add_nc_u32_e32 v4, 32, v18
	v_mad_u64_u32 v[2:3], null, 0x104, v6, v[17:18]
	v_add_nc_u32_e32 v6, 40, v18
	s_delay_alu instid0(VALU_DEP_4) | instskip(NEXT) | instid1(VALU_DEP_4)
	v_mul_lo_u32 v28, v5, s4
	v_min_i32_e32 v7, s0, v4
	v_mad_u64_u32 v[3:4], null, 0x104, v5, v[17:18]
	s_delay_alu instid0(VALU_DEP_4) | instskip(SKIP_1) | instid1(VALU_DEP_4)
	v_min_i32_e32 v9, s0, v6
	v_mul_lo_u32 v31, v8, s4
	v_mul_lo_u32 v29, v7, s4
	v_mad_u64_u32 v[4:5], null, 0x104, v7, v[17:18]
	v_add_nc_u32_e32 v7, 56, v18
	v_mul_lo_u32 v30, v9, s4
	v_mad_u64_u32 v[5:6], null, 0x104, v9, v[17:18]
	v_add_nc_u32_e32 v9, 64, v18
	s_delay_alu instid0(VALU_DEP_4) | instskip(SKIP_2) | instid1(VALU_DEP_4)
	v_min_i32_e32 v10, s0, v7
	v_mad_u64_u32 v[6:7], null, 0x104, v8, v[17:18]
	v_mul_lo_u32 v34, v11, s4
	v_min_i32_e32 v12, s0, v9
	s_delay_alu instid0(VALU_DEP_4) | instskip(SKIP_2) | instid1(VALU_DEP_4)
	v_mul_lo_u32 v32, v10, s4
	v_mad_u64_u32 v[7:8], null, 0x104, v10, v[17:18]
	v_add_nc_u32_e32 v10, 0x50, v18
	v_mul_lo_u32 v33, v12, s4
	v_mad_u64_u32 v[8:9], null, 0x104, v12, v[17:18]
	v_add_nc_u32_e32 v12, 0x58, v18
	s_delay_alu instid0(VALU_DEP_4) | instskip(SKIP_2) | instid1(VALU_DEP_4)
	v_min_i32_e32 v13, s0, v10
	v_mad_u64_u32 v[9:10], null, 0x104, v11, v[17:18]
	v_add_nc_u32_e32 v42, 0x78, v18
	v_min_i32_e32 v15, s0, v12
	s_delay_alu instid0(VALU_DEP_4) | instskip(SKIP_2) | instid1(VALU_DEP_4)
	v_mad_u64_u32 v[10:11], null, 0x104, v13, v[17:18]
	v_min_i32_e32 v14, s0, v14
	v_min_i32_e32 v41, s0, v40
	v_mad_u64_u32 v[11:12], null, 0x104, v15, v[17:18]
	v_add_nc_u32_e32 v12, 0x68, v18
	v_mul_lo_u32 v36, v15, s4
	v_cvt_u32_f32_e32 v46, v16
	v_add_nc_u32_e32 v44, v38, v47
	v_min_i32_e32 v42, s0, v42
	v_min_i32_e32 v15, s0, v12
	v_mul_lo_u32 v35, v13, s4
	v_mad_u64_u32 v[12:13], null, 0x104, v14, v[17:18]
	s_sub_i32 s6, 0, s1
	v_mul_lo_u32 v37, v14, s4
	v_mad_u64_u32 v[13:14], null, 0x104, v15, v[17:18]
	v_mul_lo_u32 v39, v15, s4
	v_mad_u64_u32 v[14:15], null, 0x104, v41, v[17:18]
	;; [unrolled: 2-line block ×3, first 2 shown]
	v_add_nc_u32_e32 v17, 32, v44
	v_min_i32_e32 v45, s0, v44
	v_add_nc_u32_e32 v49, 64, v44
	v_add_nc_u32_e32 v44, 0x60, v44
	s_waitcnt vmcnt(0)
	v_sub_nc_u32_e32 v51, 0, v20
	v_min_i32_e32 v17, s0, v17
	v_ashrrev_i32_e32 v43, 31, v45
	v_mul_hi_u32 v48, v46, v48
	v_min_i32_e32 v49, s0, v49
	v_min_i32_e32 v54, s0, v44
	v_ashrrev_i32_e32 v50, 31, v17
	v_lshrrev_b32_e32 v43, 30, v43
	v_mul_lo_u32 v40, v41, s4
	v_ashrrev_i32_e32 v53, 31, v49
	v_mul_lo_u32 v41, v42, s4
	v_lshrrev_b32_e32 v44, 30, v50
	v_max_i32_e32 v50, v20, v51
	v_add_nc_u32_e32 v46, v46, v48
	v_add_nc_u32_e32 v16, v45, v43
	v_and_b32_e32 v42, 7, v21
	v_lshrrev_b32_e32 v48, 30, v53
	v_ashrrev_i32_e32 v51, 31, v54
	v_mul_hi_u32 v53, v50, v46
	v_and_b32_e32 v16, -4, v16
	v_lshlrev_b32_e32 v52, 2, v42
	v_add_nc_u32_e32 v46, v49, v48
	v_lshrrev_b32_e32 v48, 30, v51
	v_lshlrev_b32_e32 v67, 5, v17
	v_mul_lo_u32 v43, v45, s4
	v_add3_u32 v64, v16, v52, 0x8200
	v_add_nc_u32_e32 v16, v17, v44
	v_mul_lo_u32 v51, v53, s1
	v_add_nc_u32_e32 v48, v54, v48
	v_mul_lo_u32 v44, v17, s4
	v_lshlrev_b32_e32 v65, 5, v45
	v_and_b32_e32 v16, -4, v16
	v_mul_lo_u32 v45, v49, s4
	v_dual_mov_b32 v22, 0 :: v_dual_lshlrev_b32 v69, 5, v49
	v_lshlrev_b32_e32 v19, 2, v21
	s_delay_alu instid0(VALU_DEP_4)
	v_add3_u32 v66, v16, v52, 0x8200
	v_and_b32_e32 v16, -4, v48
	v_sub_nc_u32_e32 v17, v50, v51
	v_xor_b32_e32 v50, s10, v20
	v_and_b32_e32 v24, 12, v19
	v_and_b32_e32 v19, 28, v19
	v_add3_u32 v70, v16, v52, 0x8200
	v_add_nc_u32_e32 v16, 1, v53
	v_subrev_nc_u32_e32 v49, s1, v17
	v_cmp_le_u32_e32 vcc_lo, s1, v17
	v_ashrrev_i32_e32 v50, 31, v50
	v_and_b32_e32 v46, -4, v46
	v_and_b32_e32 v48, 31, v21
	v_dual_cndmask_b32 v16, v53, v16 :: v_dual_lshlrev_b32 v57, 7, v18
	v_cndmask_b32_e32 v17, v17, v49, vcc_lo
	s_delay_alu instid0(VALU_DEP_4)
	v_add3_u32 v68, v46, v52, 0x8200
	v_mul_lo_u32 v46, v54, s4
	v_lshlrev_b32_e32 v71, 5, v54
	v_add_nc_u32_e32 v49, 1, v16
	v_cmp_le_u32_e32 vcc_lo, s1, v17
	v_add_nc_u32_e32 v52, 32, v21
	v_add_nc_u32_e32 v53, 64, v21
	;; [unrolled: 1-line block ×3, first 2 shown]
	v_lshl_or_b32 v48, v48, 2, v57
	v_cndmask_b32_e32 v49, v16, v49, vcc_lo
	v_add_co_u32 v16, s0, s2, v19
	v_or_b32_e32 v51, v47, v21
	v_lshlrev_b32_e32 v55, 5, v21
	s_delay_alu instid0(VALU_DEP_4)
	v_xor_b32_e32 v19, v49, v50
	v_and_b32_e32 v54, 0x1fc, v54
	v_and_b32_e32 v53, 0x1fc, v53
	;; [unrolled: 1-line block ×3, first 2 shown]
	v_add_nc_u32_e32 v47, 0x9280, v48
	v_sub_nc_u32_e32 v19, v19, v50
	v_lshrrev_b32_e32 v50, 3, v52
	v_and_b32_e32 v52, 0x1fc, v52
	v_lshl_add_u32 v48, v51, 2, 0x9680
	v_add_co_ci_u32_e64 v17, null, s3, 0, s0
	v_mul_lo_u32 v51, v19, s8
	v_cmp_gt_i32_e64 s0, s7, v19
	v_add_nc_u32_e32 v19, v55, v54
	v_add_nc_u32_e32 v60, v55, v53
	;; [unrolled: 1-line block ×4, first 2 shown]
	s_movk_i32 s1, 0x80
	v_lshrrev_b32_e32 v23, 2, v21
	v_cmp_gt_u32_e32 vcc_lo, 4, v21
	v_mul_u32_u24_e32 v49, 0x104, v21
	v_ashrrev_i32_e32 v52, 31, v51
	v_add_nc_u32_e32 v53, 0x8e00, v19
	v_add_nc_u32_e32 v54, 0x8a00, v60
	;; [unrolled: 1-line block ×5, first 2 shown]
	v_lshl_add_u32 v58, v18, 4, 0x9680
	v_add_nc_u32_e32 v59, 0x8e10, v19
	v_add_nc_u32_e32 v60, 0x8a10, v60
	;; [unrolled: 1-line block ×4, first 2 shown]
	v_mad_u32_u24 v63, 0x104, v21, s1
	v_add_nc_u32_e32 v64, v64, v65
	v_add_nc_u32_e32 v65, v66, v67
	v_dual_mov_b32 v67, 0 :: v_dual_add_nc_u32 v66, v68, v69
	v_add_nc_u32_e32 v70, v70, v71
	v_dual_mov_b32 v68, 0 :: v_dual_mov_b32 v69, 0
	s_add_u32 s14, s2, 0x90
	s_addc_u32 s15, s3, 0
	s_branch .LBB204_5
.LBB204_4:                              ;   in Loop: Header=BB204_5 Depth=1
	s_add_i32 s18, s18, 8
	s_delay_alu instid0(SALU_CYCLE_1)
	s_cmp_ge_i32 s18, s4
	s_cbranch_scc1 .LBB204_22
.LBB204_5:                              ; =>This Loop Header: Depth=1
                                        ;     Child Loop BB204_12 Depth 2
                                        ;     Child Loop BB204_20 Depth 2
	s_mul_i32 s1, s18, 24
	s_mul_hi_u32 s6, s18, 24
	s_add_u32 s16, s19, s1
	s_addc_u32 s17, s20, s6
	s_lshl_b32 s6, s18, 5
	v_mad_u64_u32 v[18:19], null, v23, 24, s[16:17]
	s_cmp_lt_i32 s6, s5
	s_delay_alu instid0(VALU_DEP_1) | instskip(SKIP_3) | instid1(VALU_DEP_4)
	v_mad_i64_i32 v[71:72], null, v25, 24, v[18:19]
	v_mad_i64_i32 v[73:74], null, v26, 24, v[18:19]
	;; [unrolled: 1-line block ×4, first 2 shown]
	v_add_co_u32 v81, s1, v71, v24
	s_delay_alu instid0(VALU_DEP_1)
	v_add_co_ci_u32_e64 v82, s1, 0, v72, s1
	s_clause 0x1
	global_load_b32 v91, v[71:72], off offset:4
	global_load_b32 v92, v[73:74], off offset:4
	v_add_co_u32 v73, s1, v73, v24
	v_mad_i64_i32 v[79:80], null, v29, 24, v[18:19]
	v_mad_i64_i32 v[71:72], null, v30, 24, v[18:19]
	v_add_co_ci_u32_e64 v74, s1, 0, v74, s1
	v_mad_i64_i32 v[83:84], null, v31, 24, v[18:19]
	v_mad_i64_i32 v[85:86], null, v32, 24, v[18:19]
	;; [unrolled: 1-line block ×4, first 2 shown]
	s_clause 0x7
	global_load_b32 v93, v[75:76], off offset:4
	global_load_b32 v94, v[77:78], off offset:4
	;; [unrolled: 1-line block ×8, first 2 shown]
	s_clause 0x1
	global_load_b32 v101, v[81:82], off offset:8
	global_load_b32 v102, v[73:74], off offset:8
	v_add_co_u32 v73, s1, v75, v24
	s_delay_alu instid0(VALU_DEP_1) | instskip(SKIP_3) | instid1(VALU_DEP_1)
	v_add_co_ci_u32_e64 v74, s1, 0, v76, s1
	v_mad_i64_i32 v[75:76], null, v39, 24, v[18:19]
	global_load_b32 v103, v[73:74], off offset:8
	v_add_co_u32 v73, s1, v77, v24
	v_add_co_ci_u32_e64 v74, s1, 0, v78, s1
	v_mad_i64_i32 v[77:78], null, v40, 24, v[18:19]
	global_load_b32 v113, v[75:76], off offset:4
	global_load_b32 v104, v[73:74], off offset:8
	v_add_co_u32 v73, s1, v79, v24
	s_delay_alu instid0(VALU_DEP_1) | instskip(SKIP_1) | instid1(VALU_DEP_1)
	v_add_co_ci_u32_e64 v74, s1, 0, v80, s1
	v_add_co_u32 v71, s1, v71, v24
	v_add_co_ci_u32_e64 v72, s1, 0, v72, s1
	global_load_b32 v105, v[73:74], off offset:8
	v_mad_i64_i32 v[79:80], null, v41, 24, v[18:19]
	global_load_b32 v106, v[71:72], off offset:8
	v_add_co_u32 v71, s1, v83, v24
	s_delay_alu instid0(VALU_DEP_1) | instskip(SKIP_3) | instid1(VALU_DEP_1)
	v_add_co_ci_u32_e64 v72, s1, 0, v84, s1
	v_mad_i64_i32 v[73:74], null, v37, 24, v[18:19]
	global_load_b32 v107, v[71:72], off offset:8
	v_add_co_u32 v71, s1, v85, v24
	v_add_co_ci_u32_e64 v72, s1, 0, v86, s1
	global_load_b32 v111, v[73:74], off offset:4
	global_load_b32 v108, v[71:72], off offset:8
	v_add_co_u32 v71, s1, v87, v24
	s_delay_alu instid0(VALU_DEP_1) | instskip(SKIP_2) | instid1(VALU_DEP_1)
	v_add_co_ci_u32_e64 v72, s1, 0, v88, s1
	global_load_b32 v87, v[71:72], off offset:8
	v_add_co_u32 v71, s1, v89, v24
	v_add_co_ci_u32_e64 v72, s1, 0, v90, s1
	global_load_b32 v88, v[71:72], off offset:8
	v_mad_i64_i32 v[71:72], null, v35, 24, v[18:19]
	global_load_b32 v89, v[71:72], off offset:4
	v_add_co_u32 v71, s1, v71, v24
	s_delay_alu instid0(VALU_DEP_1) | instskip(SKIP_4) | instid1(VALU_DEP_1)
	v_add_co_ci_u32_e64 v72, s1, 0, v72, s1
	global_load_b32 v90, v[71:72], off offset:8
	v_mad_i64_i32 v[71:72], null, v36, 24, v[18:19]
	global_load_b32 v109, v[71:72], off offset:4
	v_add_co_u32 v71, s1, v71, v24
	v_add_co_ci_u32_e64 v72, s1, 0, v72, s1
	v_add_co_u32 v73, s1, v73, v24
	s_delay_alu instid0(VALU_DEP_1) | instskip(SKIP_4) | instid1(VALU_DEP_1)
	v_add_co_ci_u32_e64 v74, s1, 0, v74, s1
	s_clause 0x1
	global_load_b32 v110, v[71:72], off offset:8
	global_load_b32 v112, v[73:74], off offset:8
	v_mad_u64_u32 v[71:72], null, v42, 24, s[16:17]
	v_mad_i64_i32 v[18:19], null, v43, 24, v[71:72]
	v_mad_i64_i32 v[81:82], null, v44, 24, v[71:72]
	v_mad_i64_i32 v[83:84], null, v45, 24, v[71:72]
	v_mad_i64_i32 v[85:86], null, v46, 24, v[71:72]
	v_add_co_u32 v71, s1, v75, v24
	s_delay_alu instid0(VALU_DEP_1) | instskip(SKIP_1) | instid1(VALU_DEP_1)
	v_add_co_ci_u32_e64 v72, s1, 0, v76, s1
	v_add_co_u32 v73, s1, v77, v24
	v_add_co_ci_u32_e64 v74, s1, 0, v78, s1
	v_add_co_u32 v75, s1, v79, v24
	global_load_b32 v77, v[77:78], off offset:4
	v_add_co_ci_u32_e64 v76, s1, 0, v80, s1
	s_clause 0x4
	global_load_b32 v78, v[79:80], off offset:4
	global_load_b32 v18, v[18:19], off
	global_load_b32 v19, v[81:82], off
	global_load_b32 v79, v[83:84], off
	global_load_b32 v80, v[85:86], off
	s_clause 0x2
	global_load_b32 v71, v[71:72], off offset:8
	global_load_b32 v72, v[73:74], off offset:8
	;; [unrolled: 1-line block ×3, first 2 shown]
	s_waitcnt vmcnt(35)
	v_ashrrev_i32_e32 v74, v24, v91
	s_waitcnt vmcnt(34)
	v_ashrrev_i32_e32 v75, v24, v92
	s_delay_alu instid0(VALU_DEP_1)
	v_lshlrev_b32_e32 v114, 4, v75
	v_lshlrev_b32_e32 v115, 11, v75
	v_lshrrev_b32_e32 v118, 12, v75
	v_lshrrev_b32_e32 v119, 5, v75
	s_waitcnt vmcnt(33)
	v_ashrrev_i32_e32 v76, v24, v93
	s_waitcnt vmcnt(32)
	v_ashrrev_i32_e32 v81, v24, v94
	;; [unrolled: 2-line block ×7, first 2 shown]
	v_lshlrev_b32_e32 v93, 4, v74
	v_lshlrev_b32_e32 v94, 11, v74
	s_waitcnt vmcnt(25)
	v_lshrrev_b32_e32 v97, 4, v101
	v_lshrrev_b32_e32 v98, 12, v74
	;; [unrolled: 1-line block ×3, first 2 shown]
	v_and_b32_e32 v92, 0xf0f0f0f, v101
	s_waitcnt vmcnt(24)
	v_and_b32_e32 v101, 0xf0f0f0f, v102
	v_lshrrev_b32_e32 v102, 4, v102
	v_lshlrev_b32_e32 v122, 4, v76
	v_lshlrev_b32_e32 v123, 11, v76
	s_waitcnt vmcnt(23)
	v_and_b32_e32 v121, 0xf0f0f0f, v103
	v_lshrrev_b32_e32 v103, 4, v103
	v_lshrrev_b32_e32 v126, 12, v76
	;; [unrolled: 1-line block ×3, first 2 shown]
	v_lshlrev_b32_e32 v130, 4, v81
	v_lshlrev_b32_e32 v131, 11, v81
	v_lshrrev_b32_e32 v134, 12, v81
	v_lshrrev_b32_e32 v135, 5, v81
	s_waitcnt vmcnt(21)
	v_and_b32_e32 v129, 0xf0f0f0f, v104
	v_lshrrev_b32_e32 v104, 4, v104
	v_lshlrev_b32_e32 v138, 4, v82
	v_lshlrev_b32_e32 v139, 11, v82
	v_lshrrev_b32_e32 v142, 12, v82
	v_lshrrev_b32_e32 v143, 5, v82
	v_ashrrev_i32_e32 v91, v24, v100
	v_lshlrev_b32_e32 v95, 18, v74
	v_lshlrev_b32_e32 v96, 25, v74
	s_waitcnt vmcnt(20)
	v_and_b32_e32 v137, 0xf0f0f0f, v105
	v_lshrrev_b32_e32 v105, 4, v105
	v_lshlrev_b32_e32 v100, 2, v74
	v_lshlrev_b32_e32 v74, 9, v74
	s_waitcnt vmcnt(19)
	v_and_b32_e32 v145, 0xf0f0f0f, v106
	v_lshlrev_b32_e32 v146, 4, v83
	v_lshlrev_b32_e32 v147, 11, v83
	v_lshrrev_b32_e32 v106, 4, v106
	v_lshrrev_b32_e32 v150, 12, v83
	;; [unrolled: 1-line block ×3, first 2 shown]
	v_lshlrev_b32_e32 v154, 4, v84
	s_waitcnt vmcnt(18)
	v_and_b32_e32 v153, 0xf0f0f0f, v107
	v_lshlrev_b32_e32 v155, 11, v84
	v_lshrrev_b32_e32 v107, 4, v107
	v_lshrrev_b32_e32 v158, 12, v84
	;; [unrolled: 1-line block ×3, first 2 shown]
	v_and_b32_e32 v93, 16, v93
	v_and_b32_e32 v94, 0x1000, v94
	v_and_b32_e32 v97, 0xf0f0f0f, v97
	v_and_b32_e32 v98, 16, v98
	v_and_b32_e32 v99, 0x1000, v99
	v_lshlrev_b32_e32 v116, 18, v75
	v_lshlrev_b32_e32 v117, 25, v75
	v_lshlrev_b32_e32 v120, 2, v75
	v_lshlrev_b32_e32 v75, 9, v75
	v_and_b32_e32 v114, 16, v114
	v_and_b32_e32 v115, 0x1000, v115
	v_and_b32_e32 v102, 0xf0f0f0f, v102
	v_and_b32_e32 v118, 16, v118
	v_and_b32_e32 v119, 0x1000, v119
	v_lshlrev_b32_e32 v124, 18, v76
	v_lshlrev_b32_e32 v125, 25, v76
	v_lshlrev_b32_e32 v128, 2, v76
	v_lshlrev_b32_e32 v76, 9, v76
	;; [unrolled: 9-line block ×5, first 2 shown]
	v_lshlrev_b32_e32 v156, 18, v84
	v_lshlrev_b32_e32 v157, 25, v84
	;; [unrolled: 1-line block ×4, first 2 shown]
	v_and_b32_e32 v95, 0x100000, v95
	v_and_b32_e32 v96, 0x10000000, v96
	;; [unrolled: 1-line block ×14, first 2 shown]
	v_or3_b32 v92, v93, v92, v94
	v_or3_b32 v93, v98, v97, v99
	v_and_b32_e32 v116, 0x100000, v116
	v_and_b32_e32 v117, 0x10000000, v117
	v_and_b32_e32 v120, 0x100000, v120
	v_and_b32_e32 v75, 0x10000000, v75
	v_or3_b32 v94, v114, v101, v115
	v_or3_b32 v97, v118, v102, v119
	v_and_b32_e32 v124, 0x100000, v124
	v_and_b32_e32 v125, 0x10000000, v125
	v_and_b32_e32 v128, 0x100000, v128
	v_and_b32_e32 v76, 0x10000000, v76
	;; [unrolled: 6-line block ×4, first 2 shown]
	v_or3_b32 v103, v138, v137, v139
	v_or3_b32 v104, v142, v105, v143
	s_waitcnt vmcnt(15)
	v_and_b32_e32 v169, 0xf0f0f0f, v87
	v_lshrrev_b32_e32 v87, 4, v87
	v_lshrrev_b32_e32 v174, 12, v86
	;; [unrolled: 1-line block ×3, first 2 shown]
	v_and_b32_e32 v148, 0x100000, v148
	v_and_b32_e32 v149, 0x10000000, v149
	;; [unrolled: 1-line block ×8, first 2 shown]
	v_or3_b32 v105, v146, v145, v147
	v_or3_b32 v106, v150, v106, v151
	;; [unrolled: 1-line block ×14, first 2 shown]
	v_and_b32_e32 v161, 0xf0f0f0f, v108
	v_lshlrev_b32_e32 v162, 4, v85
	v_lshlrev_b32_e32 v163, 11, v85
	v_lshrrev_b32_e32 v108, 4, v108
	v_lshrrev_b32_e32 v166, 12, v85
	;; [unrolled: 1-line block ×3, first 2 shown]
	v_lshlrev_b32_e32 v170, 4, v86
	v_lshlrev_b32_e32 v171, 11, v86
	;; [unrolled: 1-line block ×6, first 2 shown]
	v_and_b32_e32 v87, 0xf0f0f0f, v87
	v_and_b32_e32 v174, 16, v174
	;; [unrolled: 1-line block ×3, first 2 shown]
	v_or3_b32 v97, v105, v148, v149
	v_or3_b32 v83, v106, v152, v83
	;; [unrolled: 1-line block ×4, first 2 shown]
	ds_store_2addr_b32 v0, v92, v74 offset1:1
	ds_store_2addr_b32 v1, v93, v75 offset1:1
	;; [unrolled: 1-line block ×7, first 2 shown]
	v_lshlrev_b32_e32 v75, 4, v91
	v_lshlrev_b32_e32 v76, 11, v91
	;; [unrolled: 1-line block ×6, first 2 shown]
	v_and_b32_e32 v162, 16, v162
	v_and_b32_e32 v163, 0x1000, v163
	;; [unrolled: 1-line block ×5, first 2 shown]
	v_or3_b32 v74, v174, v87, v175
	v_and_b32_e32 v81, 0x100000, v176
	v_and_b32_e32 v82, 0x10000000, v86
	s_waitcnt vmcnt(14)
	v_and_b32_e32 v83, 0xf0f0f0f, v88
	v_and_b32_e32 v75, 16, v75
	;; [unrolled: 1-line block ×7, first 2 shown]
	v_or3_b32 v115, v162, v161, v163
	v_or3_b32 v108, v166, v108, v167
	;; [unrolled: 1-line block ×4, first 2 shown]
	v_lshrrev_b32_e32 v76, 4, v88
	v_lshrrev_b32_e32 v82, 12, v91
	;; [unrolled: 1-line block ×3, first 2 shown]
	v_and_b32_e32 v170, 16, v170
	v_and_b32_e32 v171, 0x1000, v171
	v_or3_b32 v99, v115, v164, v165
	v_or3_b32 v85, v108, v168, v85
	v_and_b32_e32 v76, 0xf0f0f0f, v76
	v_and_b32_e32 v82, 16, v82
	;; [unrolled: 1-line block ×3, first 2 shown]
	s_waitcnt vmcnt(13)
	v_ashrrev_i32_e32 v86, v24, v89
	v_and_b32_e32 v172, 0x100000, v172
	v_and_b32_e32 v173, 0x10000000, v173
	v_or3_b32 v118, v170, v169, v171
	ds_store_2addr_b32 v7, v99, v85 offset1:1
	v_lshlrev_b32_e32 v81, 18, v91
	v_lshlrev_b32_e32 v85, 25, v91
	v_or3_b32 v76, v82, v76, v83
	v_lshlrev_b32_e32 v82, 4, v86
	v_lshlrev_b32_e32 v83, 11, v86
	v_or3_b32 v84, v118, v172, v173
	v_and_b32_e32 v81, 0x100000, v81
	v_and_b32_e32 v85, 0x10000000, v85
	v_lshlrev_b32_e32 v87, 2, v91
	v_lshlrev_b32_e32 v88, 9, v91
	s_waitcnt vmcnt(12)
	v_and_b32_e32 v89, 0xf0f0f0f, v90
	v_and_b32_e32 v82, 16, v82
	v_and_b32_e32 v83, 0x1000, v83
	v_and_b32_e32 v87, 0x100000, v87
	v_and_b32_e32 v88, 0x10000000, v88
	ds_store_2addr_b32 v8, v84, v74 offset1:1
	v_or3_b32 v74, v75, v81, v85
	v_or3_b32 v81, v82, v89, v83
	v_lshrrev_b32_e32 v82, 4, v90
	v_lshrrev_b32_e32 v83, 12, v86
	;; [unrolled: 1-line block ×3, first 2 shown]
	v_or3_b32 v75, v76, v87, v88
	s_waitcnt vmcnt(11)
	v_ashrrev_i32_e32 v87, v24, v109
	v_and_b32_e32 v82, 0xf0f0f0f, v82
	v_and_b32_e32 v83, 16, v83
	;; [unrolled: 1-line block ×3, first 2 shown]
	v_lshlrev_b32_e32 v76, 18, v86
	v_lshlrev_b32_e32 v85, 25, v86
	;; [unrolled: 1-line block ×4, first 2 shown]
	v_or3_b32 v82, v83, v82, v84
	v_lshlrev_b32_e32 v83, 4, v87
	v_lshlrev_b32_e32 v84, 11, v87
	v_and_b32_e32 v76, 0x100000, v76
	v_and_b32_e32 v85, 0x10000000, v85
	;; [unrolled: 1-line block ×4, first 2 shown]
	s_waitcnt vmcnt(10)
	v_and_b32_e32 v89, 0xf0f0f0f, v110
	v_and_b32_e32 v83, 16, v83
	;; [unrolled: 1-line block ×3, first 2 shown]
	ds_store_2addr_b32 v9, v74, v75 offset1:1
	v_or3_b32 v74, v81, v76, v85
	v_or3_b32 v75, v82, v88, v86
	v_lshrrev_b32_e32 v82, 4, v110
	v_or3_b32 v81, v83, v89, v84
	v_lshrrev_b32_e32 v83, 12, v87
	v_lshrrev_b32_e32 v84, 5, v87
	v_ashrrev_i32_e32 v86, v24, v111
	v_and_b32_e32 v82, 0xf0f0f0f, v82
	v_lshlrev_b32_e32 v76, 18, v87
	v_and_b32_e32 v83, 16, v83
	v_and_b32_e32 v84, 0x1000, v84
	v_lshlrev_b32_e32 v85, 25, v87
	v_lshlrev_b32_e32 v88, 2, v87
	;; [unrolled: 1-line block ×3, first 2 shown]
	v_and_b32_e32 v76, 0x100000, v76
	v_or3_b32 v82, v83, v82, v84
	v_lshlrev_b32_e32 v83, 4, v86
	v_lshlrev_b32_e32 v84, 11, v86
	v_and_b32_e32 v85, 0x10000000, v85
	v_and_b32_e32 v88, 0x100000, v88
	;; [unrolled: 1-line block ×3, first 2 shown]
	s_waitcnt vmcnt(9)
	v_and_b32_e32 v89, 0xf0f0f0f, v112
	v_and_b32_e32 v83, 16, v83
	;; [unrolled: 1-line block ×3, first 2 shown]
	ds_store_2addr_b32 v10, v74, v75 offset1:1
	v_or3_b32 v74, v81, v76, v85
	v_or3_b32 v75, v82, v88, v87
	v_lshrrev_b32_e32 v82, 4, v112
	v_or3_b32 v81, v83, v89, v84
	v_lshrrev_b32_e32 v83, 12, v86
	v_lshrrev_b32_e32 v84, 5, v86
	v_ashrrev_i32_e32 v87, v24, v113
	v_and_b32_e32 v82, 0xf0f0f0f, v82
	v_lshlrev_b32_e32 v76, 18, v86
	v_and_b32_e32 v83, 16, v83
	v_and_b32_e32 v84, 0x1000, v84
	v_lshlrev_b32_e32 v85, 25, v86
	v_lshlrev_b32_e32 v88, 2, v86
	;; [unrolled: 1-line block ×3, first 2 shown]
	v_and_b32_e32 v76, 0x100000, v76
	v_or3_b32 v82, v83, v82, v84
	v_lshlrev_b32_e32 v83, 4, v87
	v_lshlrev_b32_e32 v84, 11, v87
	v_and_b32_e32 v85, 0x10000000, v85
	v_and_b32_e32 v88, 0x100000, v88
	v_and_b32_e32 v86, 0x10000000, v86
	s_waitcnt vmcnt(2)
	v_and_b32_e32 v89, 0xf0f0f0f, v71
	v_and_b32_e32 v83, 16, v83
	;; [unrolled: 1-line block ×3, first 2 shown]
	v_lshlrev_b32_e32 v90, 18, v87
	v_lshlrev_b32_e32 v91, 25, v87
	v_or3_b32 v76, v81, v76, v85
	v_or3_b32 v81, v82, v88, v86
	;; [unrolled: 1-line block ×3, first 2 shown]
	v_and_b32_e32 v83, 0x100000, v90
	v_and_b32_e32 v84, 0x10000000, v91
	v_lshrrev_b32_e32 v85, 12, v87
	v_lshrrev_b32_e32 v86, 5, v87
	v_ashrrev_i32_e32 v77, v24, v77
	v_lshrrev_b32_e32 v71, 4, v71
	v_or3_b32 v82, v82, v83, v84
	v_and_b32_e32 v83, 16, v85
	v_and_b32_e32 v84, 0x1000, v86
	v_lshlrev_b32_e32 v85, 4, v77
	v_lshlrev_b32_e32 v86, 11, v77
	v_and_b32_e32 v71, 0xf0f0f0f, v71
	v_lshlrev_b32_e32 v88, 2, v87
	v_lshlrev_b32_e32 v87, 9, v87
	s_waitcnt vmcnt(1)
	v_and_b32_e32 v89, 0xf0f0f0f, v72
	v_and_b32_e32 v85, 16, v85
	;; [unrolled: 1-line block ×3, first 2 shown]
	v_lshlrev_b32_e32 v90, 18, v77
	v_ashrrev_i32_e32 v78, v24, v78
	v_or3_b32 v71, v83, v71, v84
	v_and_b32_e32 v83, 0x100000, v88
	v_and_b32_e32 v84, 0x10000000, v87
	v_or3_b32 v85, v85, v89, v86
	v_and_b32_e32 v86, 0x100000, v90
	v_lshrrev_b32_e32 v72, 4, v72
	v_lshrrev_b32_e32 v87, 12, v77
	;; [unrolled: 1-line block ×3, first 2 shown]
	v_lshlrev_b32_e32 v90, 4, v78
	v_lshlrev_b32_e32 v91, 11, v78
	v_and_b32_e32 v72, 0xf0f0f0f, v72
	v_and_b32_e32 v87, 16, v87
	;; [unrolled: 1-line block ×3, first 2 shown]
	s_waitcnt vmcnt(0)
	v_and_b32_e32 v93, 0xf0f0f0f, v73
	v_and_b32_e32 v90, 16, v90
	;; [unrolled: 1-line block ×3, first 2 shown]
	v_lshlrev_b32_e32 v92, 2, v77
	v_or3_b32 v72, v87, v72, v88
	v_lshrrev_b32_e32 v73, 4, v73
	v_lshlrev_b32_e32 v89, 25, v77
	v_or3_b32 v88, v90, v93, v91
	v_lshrrev_b32_e32 v90, 12, v78
	v_lshrrev_b32_e32 v91, 5, v78
	v_lshlrev_b32_e32 v77, 9, v77
	v_and_b32_e32 v87, 0x100000, v92
	v_lshlrev_b32_e32 v92, 18, v78
	v_lshlrev_b32_e32 v93, 25, v78
	v_and_b32_e32 v73, 0xf0f0f0f, v73
	v_and_b32_e32 v90, 16, v90
	;; [unrolled: 1-line block ×3, first 2 shown]
	v_lshlrev_b32_e32 v94, 2, v78
	v_lshlrev_b32_e32 v78, 9, v78
	v_and_b32_e32 v89, 0x10000000, v89
	v_and_b32_e32 v77, 0x10000000, v77
	;; [unrolled: 1-line block ×4, first 2 shown]
	v_or3_b32 v73, v90, v73, v91
	v_and_b32_e32 v90, 0x100000, v94
	v_and_b32_e32 v78, 0x10000000, v78
	v_or3_b32 v71, v71, v83, v84
	v_or3_b32 v83, v85, v86, v89
	;; [unrolled: 1-line block ×5, first 2 shown]
	ds_store_2addr_b32 v11, v74, v75 offset1:1
	ds_store_2addr_b32 v12, v76, v81 offset1:1
	;; [unrolled: 1-line block ×5, first 2 shown]
	ds_store_b32 v64, v18
	ds_store_b32 v65, v19
	;; [unrolled: 1-line block ×4, first 2 shown]
	s_cbranch_scc0 .LBB204_4
; %bb.6:                                ;   in Loop: Header=BB204_5 Depth=1
	v_add_nc_u32_e32 v18, s18, v38
	s_delay_alu instid0(VALU_DEP_1) | instskip(NEXT) | instid1(VALU_DEP_1)
	v_cmp_gt_i32_e64 s1, s8, v18
	s_and_b32 s16, s0, s1
	s_delay_alu instid0(SALU_CYCLE_1)
	s_and_saveexec_b32 s1, s16
	s_cbranch_execz .LBB204_8
; %bb.7:                                ;   in Loop: Header=BB204_5 Depth=1
	v_add_nc_u32_e32 v71, v51, v18
	s_delay_alu instid0(VALU_DEP_1)
	v_mad_i64_i32 v[18:19], null, v71, 36, v[16:17]
	global_load_b32 v18, v[18:19], off offset:4
	s_waitcnt vmcnt(0)
	ds_store_b32 v47, v18
.LBB204_8:                              ;   in Loop: Header=BB204_5 Depth=1
	s_or_b32 exec_lo, exec_lo, s1
	s_and_saveexec_b32 s16, vcc_lo
	s_cbranch_execz .LBB204_11
; %bb.9:                                ;   in Loop: Header=BB204_5 Depth=1
	v_or_b32_e32 v18, s18, v21
	s_delay_alu instid0(VALU_DEP_1) | instskip(NEXT) | instid1(VALU_DEP_1)
	v_cmp_gt_i32_e64 s1, s8, v18
	s_and_b32 s1, s0, s1
	s_delay_alu instid0(SALU_CYCLE_1)
	s_and_b32 exec_lo, exec_lo, s1
	s_cbranch_execz .LBB204_11
; %bb.10:                               ;   in Loop: Header=BB204_5 Depth=1
	v_add_nc_u32_e32 v71, v51, v18
	s_delay_alu instid0(VALU_DEP_1)
	v_mad_i64_i32 v[18:19], null, v71, 36, s[2:3]
	global_load_b32 v18, v[18:19], off
	s_waitcnt vmcnt(0)
	ds_store_b32 v48, v18
.LBB204_11:                             ;   in Loop: Header=BB204_5 Depth=1
	s_or_b32 exec_lo, exec_lo, s16
	v_dual_mov_b32 v18, v58 :: v_dual_mov_b32 v19, v57
	v_dual_mov_b32 v71, v49 :: v_dual_mov_b32 v72, v56
	;; [unrolled: 1-line block ×3, first 2 shown]
	v_mov_b32_e32 v75, v53
	s_mov_b32 s1, -4
	s_waitcnt lgkmcnt(0)
	s_barrier
	buffer_gl0_inv
.LBB204_12:                             ;   Parent Loop BB204_5 Depth=1
                                        ; =>  This Inner Loop Header: Depth=2
	v_add_nc_u32_e32 v92, 0x2080, v71
	v_add_nc_u32_e32 v94, 0x4100, v71
	;; [unrolled: 1-line block ×3, first 2 shown]
	ds_load_b128 v[76:79], v19
	ds_load_b32 v116, v18
	ds_load_b128 v[80:83], v19 offset:16
	ds_load_2addr_b32 v[84:85], v71 offset1:1
	ds_load_2addr_b32 v[86:87], v71 offset0:2 offset1:3
	ds_load_2addr_b32 v[88:89], v71 offset0:4 offset1:5
	ds_load_b32 v117, v72
	ds_load_2addr_b32 v[90:91], v71 offset0:6 offset1:7
	ds_load_b32 v118, v73
	ds_load_2addr_b32 v[92:93], v92 offset1:1
	ds_load_2addr_b32 v[94:95], v94 offset1:1
	ds_load_2addr_b32 v[96:97], v96 offset1:1
	ds_load_b32 v119, v74
	ds_load_b32 v120, v75
	v_add_nc_u32_e32 v98, 0x2088, v71
	v_add_nc_u32_e32 v100, 0x4108, v71
	;; [unrolled: 1-line block ×9, first 2 shown]
	ds_load_2addr_b32 v[98:99], v98 offset1:1
	ds_load_2addr_b32 v[100:101], v100 offset1:1
	;; [unrolled: 1-line block ×9, first 2 shown]
	v_add_nc_u32_e32 v74, 4, v74
	v_add_nc_u32_e32 v72, 4, v72
	;; [unrolled: 1-line block ×4, first 2 shown]
	s_waitcnt lgkmcnt(19)
	v_dot4_i32_iu8 v84, v84, v76, 0 neg_lo:[1,1,0]
	s_waitcnt lgkmcnt(13)
	v_dot4_i32_iu8 v92, v92, v76, 0 neg_lo:[1,1,0]
	;; [unrolled: 2-line block ×4, first 2 shown]
	v_add_nc_u32_e32 v18, 4, v18
	v_dot4_i32_iu8 v84, v85, v80, v84 neg_lo:[1,1,0]
	v_dot4_i32_iu8 v85, v93, v80, v92 neg_lo:[1,1,0]
	;; [unrolled: 1-line block ×4, first 2 shown]
	s_add_i32 s1, s1, 4
	v_dot4_i32_iu8 v80, v86, v77, v84 neg_lo:[1,1,0]
	s_waitcnt lgkmcnt(8)
	v_dot4_i32_iu8 v84, v98, v77, v85 neg_lo:[1,1,0]
	s_waitcnt lgkmcnt(7)
	;; [unrolled: 2-line block ×3, first 2 shown]
	v_dot4_i32_iu8 v76, v102, v77, v76 neg_lo:[1,1,0]
	s_cmp_lt_u32 s1, 12
	v_dot4_i32_iu8 v77, v87, v81, v80 neg_lo:[1,1,0]
	v_dot4_i32_iu8 v80, v99, v81, v84 neg_lo:[1,1,0]
	;; [unrolled: 1-line block ×4, first 2 shown]
	s_delay_alu instid0(VALU_DEP_4)
	v_dot4_i32_iu8 v77, v88, v78, v77 neg_lo:[1,1,0]
	s_waitcnt lgkmcnt(5)
	v_dot4_i32_iu8 v80, v104, v78, v80 neg_lo:[1,1,0]
	s_waitcnt lgkmcnt(3)
	;; [unrolled: 2-line block ×3, first 2 shown]
	v_dot4_i32_iu8 v76, v112, v78, v76 neg_lo:[1,1,0]
	v_pk_mul_f16 v78, v116, v117
	v_dot4_i32_iu8 v77, v89, v82, v77 neg_lo:[1,1,0]
	v_dot4_i32_iu8 v80, v105, v82, v80 neg_lo:[1,1,0]
	v_dot4_i32_iu8 v81, v109, v82, v81 neg_lo:[1,1,0]
	v_dot4_i32_iu8 v76, v113, v82, v76 neg_lo:[1,1,0]
	v_pk_mul_f16 v82, v116, v118
	v_dot4_i32_iu8 v77, v90, v79, v77 neg_lo:[1,1,0]
	v_dot4_i32_iu8 v80, v106, v79, v80 neg_lo:[1,1,0]
	;; [unrolled: 1-line block ×3, first 2 shown]
	s_waitcnt lgkmcnt(0)
	v_dot4_i32_iu8 v76, v114, v79, v76 neg_lo:[1,1,0]
	v_pk_mul_f16 v79, v116, v119
	v_dot4_i32_iu8 v77, v91, v83, v77 neg_lo:[1,1,0]
	v_dot4_i32_iu8 v80, v107, v83, v80 neg_lo:[1,1,0]
	;; [unrolled: 1-line block ×4, first 2 shown]
	v_pk_mul_f16 v83, v116, v120
	v_cvt_f32_i32_e32 v77, v77
	v_cvt_f32_i32_e32 v80, v80
	;; [unrolled: 1-line block ×4, first 2 shown]
	s_delay_alu instid0(VALU_DEP_4) | instskip(NEXT) | instid1(VALU_DEP_4)
	v_fma_mix_f32 v77, v78, v77, v78 op_sel:[0,0,1] op_sel_hi:[1,0,1]
	v_fma_mix_f32 v78, v82, v80, v82 op_sel:[0,0,1] op_sel_hi:[1,0,1]
	s_delay_alu instid0(VALU_DEP_4) | instskip(NEXT) | instid1(VALU_DEP_4)
	v_fma_mix_f32 v79, v79, v81, v79 op_sel:[0,0,1] op_sel_hi:[1,0,1]
	v_fma_mix_f32 v76, v83, v76, v83 op_sel:[0,0,1] op_sel_hi:[1,0,1]
	s_delay_alu instid0(VALU_DEP_4) | instskip(NEXT) | instid1(VALU_DEP_3)
	v_dual_add_f32 v22, v22, v77 :: v_dual_add_nc_u32 v75, 4, v75
	v_dual_add_f32 v68, v68, v79 :: v_dual_add_nc_u32 v73, 4, v73
	v_add_f32_e32 v67, v67, v78
	s_delay_alu instid0(VALU_DEP_4)
	v_add_f32_e32 v69, v69, v76
	s_cbranch_scc1 .LBB204_12
; %bb.13:                               ;   in Loop: Header=BB204_5 Depth=1
	s_bitset1_b32 s6, 7
	s_delay_alu instid0(SALU_CYCLE_1)
	s_cmp_ge_i32 s6, s5
	s_barrier
	buffer_gl0_inv
	s_cbranch_scc1 .LBB204_4
; %bb.14:                               ;   in Loop: Header=BB204_5 Depth=1
	v_add_nc_u32_e32 v18, s18, v50
	s_delay_alu instid0(VALU_DEP_1) | instskip(NEXT) | instid1(VALU_DEP_1)
	v_cmp_gt_i32_e64 s1, s8, v18
	s_and_b32 s6, s0, s1
	s_delay_alu instid0(SALU_CYCLE_1)
	s_and_saveexec_b32 s1, s6
	s_cbranch_execz .LBB204_16
; %bb.15:                               ;   in Loop: Header=BB204_5 Depth=1
	v_add_nc_u32_e32 v71, v51, v18
	s_delay_alu instid0(VALU_DEP_1)
	v_mad_i64_i32 v[18:19], null, v71, 36, v[16:17]
	global_load_b32 v18, v[18:19], off offset:4
	s_waitcnt vmcnt(0)
	ds_store_b32 v47, v18
.LBB204_16:                             ;   in Loop: Header=BB204_5 Depth=1
	s_or_b32 exec_lo, exec_lo, s1
	s_and_saveexec_b32 s6, vcc_lo
	s_cbranch_execz .LBB204_19
; %bb.17:                               ;   in Loop: Header=BB204_5 Depth=1
	v_or_b32_e32 v18, s18, v21
	s_delay_alu instid0(VALU_DEP_1) | instskip(NEXT) | instid1(VALU_DEP_1)
	v_or_b32_e32 v19, 4, v18
	v_cmp_gt_i32_e64 s1, s8, v19
	s_delay_alu instid0(VALU_DEP_1) | instskip(NEXT) | instid1(SALU_CYCLE_1)
	s_and_b32 s1, s0, s1
	s_and_b32 exec_lo, exec_lo, s1
	s_cbranch_execz .LBB204_19
; %bb.18:                               ;   in Loop: Header=BB204_5 Depth=1
	v_ashrrev_i32_e32 v19, 31, v18
	v_add_co_u32 v71, s1, v51, v18
	s_delay_alu instid0(VALU_DEP_1) | instskip(NEXT) | instid1(VALU_DEP_2)
	v_add_co_ci_u32_e64 v72, s1, v52, v19, s1
	v_mad_u64_u32 v[18:19], null, v71, 36, s[14:15]
	s_delay_alu instid0(VALU_DEP_1)
	v_mad_i32_i24 v19, v72, 36, v19
	global_load_b32 v18, v[18:19], off
	s_waitcnt vmcnt(0)
	ds_store_b32 v48, v18
.LBB204_19:                             ;   in Loop: Header=BB204_5 Depth=1
	s_or_b32 exec_lo, exec_lo, s6
	v_dual_mov_b32 v18, v58 :: v_dual_mov_b32 v19, v57
	v_dual_mov_b32 v71, v63 :: v_dual_mov_b32 v72, v62
	;; [unrolled: 1-line block ×3, first 2 shown]
	v_mov_b32_e32 v75, v59
	s_mov_b32 s1, 12
	s_waitcnt lgkmcnt(0)
	s_barrier
	buffer_gl0_inv
.LBB204_20:                             ;   Parent Loop BB204_5 Depth=1
                                        ; =>  This Inner Loop Header: Depth=2
	v_add_nc_u32_e32 v92, 0x2080, v71
	v_add_nc_u32_e32 v94, 0x4100, v71
	;; [unrolled: 1-line block ×3, first 2 shown]
	ds_load_b128 v[76:79], v19
	ds_load_b32 v116, v18
	ds_load_b128 v[80:83], v19 offset:16
	ds_load_2addr_b32 v[84:85], v71 offset1:1
	ds_load_2addr_b32 v[86:87], v71 offset0:2 offset1:3
	ds_load_2addr_b32 v[88:89], v71 offset0:4 offset1:5
	ds_load_b32 v117, v72
	ds_load_2addr_b32 v[90:91], v71 offset0:6 offset1:7
	ds_load_b32 v118, v73
	ds_load_2addr_b32 v[92:93], v92 offset1:1
	ds_load_2addr_b32 v[94:95], v94 offset1:1
	;; [unrolled: 1-line block ×3, first 2 shown]
	ds_load_b32 v119, v74
	ds_load_b32 v120, v75
	v_add_nc_u32_e32 v98, 0x2088, v71
	v_add_nc_u32_e32 v100, 0x4108, v71
	;; [unrolled: 1-line block ×9, first 2 shown]
	ds_load_2addr_b32 v[98:99], v98 offset1:1
	ds_load_2addr_b32 v[100:101], v100 offset1:1
	;; [unrolled: 1-line block ×9, first 2 shown]
	v_add_nc_u32_e32 v74, 4, v74
	v_add_nc_u32_e32 v72, 4, v72
	;; [unrolled: 1-line block ×4, first 2 shown]
	s_waitcnt lgkmcnt(19)
	v_dot4_i32_iu8 v84, v84, v76, 0 neg_lo:[1,1,0]
	s_waitcnt lgkmcnt(13)
	v_dot4_i32_iu8 v92, v92, v76, 0 neg_lo:[1,1,0]
	;; [unrolled: 2-line block ×4, first 2 shown]
	v_add_nc_u32_e32 v18, 4, v18
	v_dot4_i32_iu8 v84, v85, v80, v84 neg_lo:[1,1,0]
	v_dot4_i32_iu8 v85, v93, v80, v92 neg_lo:[1,1,0]
	;; [unrolled: 1-line block ×4, first 2 shown]
	s_add_i32 s1, s1, 4
	v_dot4_i32_iu8 v80, v86, v77, v84 neg_lo:[1,1,0]
	s_waitcnt lgkmcnt(8)
	v_dot4_i32_iu8 v84, v98, v77, v85 neg_lo:[1,1,0]
	s_waitcnt lgkmcnt(7)
	;; [unrolled: 2-line block ×3, first 2 shown]
	v_dot4_i32_iu8 v76, v102, v77, v76 neg_lo:[1,1,0]
	s_cmp_lt_u32 s1, 28
	v_dot4_i32_iu8 v77, v87, v81, v80 neg_lo:[1,1,0]
	v_dot4_i32_iu8 v80, v99, v81, v84 neg_lo:[1,1,0]
	;; [unrolled: 1-line block ×4, first 2 shown]
	s_delay_alu instid0(VALU_DEP_4)
	v_dot4_i32_iu8 v77, v88, v78, v77 neg_lo:[1,1,0]
	s_waitcnt lgkmcnt(5)
	v_dot4_i32_iu8 v80, v104, v78, v80 neg_lo:[1,1,0]
	s_waitcnt lgkmcnt(3)
	;; [unrolled: 2-line block ×3, first 2 shown]
	v_dot4_i32_iu8 v76, v112, v78, v76 neg_lo:[1,1,0]
	v_pk_mul_f16 v78, v116, v117
	v_dot4_i32_iu8 v77, v89, v82, v77 neg_lo:[1,1,0]
	v_dot4_i32_iu8 v80, v105, v82, v80 neg_lo:[1,1,0]
	;; [unrolled: 1-line block ×4, first 2 shown]
	v_pk_mul_f16 v82, v116, v118
	v_dot4_i32_iu8 v77, v90, v79, v77 neg_lo:[1,1,0]
	v_dot4_i32_iu8 v80, v106, v79, v80 neg_lo:[1,1,0]
	;; [unrolled: 1-line block ×3, first 2 shown]
	s_waitcnt lgkmcnt(0)
	v_dot4_i32_iu8 v76, v114, v79, v76 neg_lo:[1,1,0]
	v_pk_mul_f16 v79, v116, v119
	v_dot4_i32_iu8 v77, v91, v83, v77 neg_lo:[1,1,0]
	v_dot4_i32_iu8 v80, v107, v83, v80 neg_lo:[1,1,0]
	;; [unrolled: 1-line block ×4, first 2 shown]
	v_pk_mul_f16 v83, v116, v120
	v_cvt_f32_i32_e32 v77, v77
	v_cvt_f32_i32_e32 v80, v80
	;; [unrolled: 1-line block ×4, first 2 shown]
	s_delay_alu instid0(VALU_DEP_4) | instskip(NEXT) | instid1(VALU_DEP_4)
	v_fma_mix_f32 v77, v78, v77, v78 op_sel:[0,0,1] op_sel_hi:[1,0,1]
	v_fma_mix_f32 v78, v82, v80, v82 op_sel:[0,0,1] op_sel_hi:[1,0,1]
	s_delay_alu instid0(VALU_DEP_4) | instskip(NEXT) | instid1(VALU_DEP_4)
	v_fma_mix_f32 v79, v79, v81, v79 op_sel:[0,0,1] op_sel_hi:[1,0,1]
	v_fma_mix_f32 v76, v83, v76, v83 op_sel:[0,0,1] op_sel_hi:[1,0,1]
	s_delay_alu instid0(VALU_DEP_4) | instskip(NEXT) | instid1(VALU_DEP_3)
	v_dual_add_f32 v22, v22, v77 :: v_dual_add_nc_u32 v75, 4, v75
	v_dual_add_f32 v68, v68, v79 :: v_dual_add_nc_u32 v73, 4, v73
	v_add_f32_e32 v67, v67, v78
	s_delay_alu instid0(VALU_DEP_4)
	v_add_f32_e32 v69, v69, v76
	s_cbranch_scc1 .LBB204_20
; %bb.21:                               ;   in Loop: Header=BB204_5 Depth=1
	s_barrier
	buffer_gl0_inv
	s_branch .LBB204_4
.LBB204_22:
	v_cvt_f16_f32_e32 v5, v22
	v_cvt_f16_f32_e32 v3, v67
	v_cvt_f16_f32_e32 v0, v68
	v_cvt_f16_f32_e32 v2, v69
.LBB204_23:
	s_mul_i32 s0, s10, s7
	s_waitcnt vmcnt(0)
	v_cmp_gt_i32_e32 vcc_lo, s0, v20
	s_and_saveexec_b32 s0, vcc_lo
	s_cbranch_execz .LBB204_32
; %bb.24:
	v_mul_lo_u32 v1, v20, s9
	v_add_nc_u32_e32 v4, s11, v21
	s_mov_b32 s0, exec_lo
	s_delay_alu instid0(VALU_DEP_1)
	v_cmpx_gt_u32_e64 s9, v4
	s_cbranch_execz .LBB204_26
; %bb.25:
	s_delay_alu instid0(VALU_DEP_3) | instskip(NEXT) | instid1(VALU_DEP_1)
	v_dual_mov_b32 v7, 0 :: v_dual_add_nc_u32 v6, v1, v4
	v_lshlrev_b64 v[6:7], 1, v[6:7]
	s_delay_alu instid0(VALU_DEP_1) | instskip(NEXT) | instid1(VALU_DEP_2)
	v_add_co_u32 v6, vcc_lo, s12, v6
	v_add_co_ci_u32_e32 v7, vcc_lo, s13, v7, vcc_lo
	global_store_b16 v[6:7], v5, off
.LBB204_26:
	s_or_b32 exec_lo, exec_lo, s0
	v_add_nc_u32_e32 v5, 32, v4
	s_mov_b32 s0, exec_lo
	s_delay_alu instid0(VALU_DEP_1)
	v_cmpx_gt_u32_e64 s9, v5
	s_cbranch_execz .LBB204_28
; %bb.27:
	v_dual_mov_b32 v6, 0 :: v_dual_add_nc_u32 v5, v1, v5
	s_delay_alu instid0(VALU_DEP_1) | instskip(NEXT) | instid1(VALU_DEP_1)
	v_lshlrev_b64 v[5:6], 1, v[5:6]
	v_add_co_u32 v5, vcc_lo, s12, v5
	s_delay_alu instid0(VALU_DEP_2)
	v_add_co_ci_u32_e32 v6, vcc_lo, s13, v6, vcc_lo
	global_store_b16 v[5:6], v3, off
.LBB204_28:
	s_or_b32 exec_lo, exec_lo, s0
	v_add_nc_u32_e32 v3, 64, v4
	s_mov_b32 s0, exec_lo
	s_delay_alu instid0(VALU_DEP_1)
	v_cmpx_gt_u32_e64 s9, v3
	s_cbranch_execz .LBB204_30
; %bb.29:
	v_dual_mov_b32 v6, 0 :: v_dual_add_nc_u32 v5, v1, v3
	s_delay_alu instid0(VALU_DEP_1) | instskip(NEXT) | instid1(VALU_DEP_1)
	v_lshlrev_b64 v[5:6], 1, v[5:6]
	v_add_co_u32 v5, vcc_lo, s12, v5
	s_delay_alu instid0(VALU_DEP_2)
	v_add_co_ci_u32_e32 v6, vcc_lo, s13, v6, vcc_lo
	global_store_b16 v[5:6], v0, off
.LBB204_30:
	s_or_b32 exec_lo, exec_lo, s0
	v_add_nc_u32_e32 v0, 0x60, v4
	s_delay_alu instid0(VALU_DEP_1)
	v_cmp_gt_u32_e32 vcc_lo, s9, v0
	s_and_b32 exec_lo, exec_lo, vcc_lo
	s_cbranch_execz .LBB204_32
; %bb.31:
	v_dual_mov_b32 v1, 0 :: v_dual_add_nc_u32 v0, v1, v0
	s_delay_alu instid0(VALU_DEP_1) | instskip(NEXT) | instid1(VALU_DEP_1)
	v_lshlrev_b64 v[0:1], 1, v[0:1]
	v_add_co_u32 v0, vcc_lo, s12, v0
	s_delay_alu instid0(VALU_DEP_2)
	v_add_co_ci_u32_e32 v1, vcc_lo, s13, v1, vcc_lo
	global_store_b16 v[0:1], v2, off
.LBB204_32:
	s_nop 0
	s_sendmsg sendmsg(MSG_DEALLOC_VGPRS)
	s_endpgm
	.section	.rodata,"a",@progbits
	.p2align	6, 0x0
	.amdhsa_kernel _ZL8moe_q5_1IN3c104HalfELb1EEvPKvS3_PT_PKiS7_S7_iiiiiii
		.amdhsa_group_segment_fixed_size 38656
		.amdhsa_private_segment_fixed_size 0
		.amdhsa_kernarg_size 76
		.amdhsa_user_sgpr_count 14
		.amdhsa_user_sgpr_dispatch_ptr 0
		.amdhsa_user_sgpr_queue_ptr 0
		.amdhsa_user_sgpr_kernarg_segment_ptr 1
		.amdhsa_user_sgpr_dispatch_id 0
		.amdhsa_user_sgpr_private_segment_size 0
		.amdhsa_wavefront_size32 1
		.amdhsa_uses_dynamic_stack 0
		.amdhsa_enable_private_segment 0
		.amdhsa_system_sgpr_workgroup_id_x 1
		.amdhsa_system_sgpr_workgroup_id_y 1
		.amdhsa_system_sgpr_workgroup_id_z 0
		.amdhsa_system_sgpr_workgroup_info 0
		.amdhsa_system_vgpr_workitem_id 1
		.amdhsa_next_free_vgpr 177
		.amdhsa_next_free_sgpr 21
		.amdhsa_reserve_vcc 1
		.amdhsa_float_round_mode_32 0
		.amdhsa_float_round_mode_16_64 0
		.amdhsa_float_denorm_mode_32 3
		.amdhsa_float_denorm_mode_16_64 3
		.amdhsa_dx10_clamp 1
		.amdhsa_ieee_mode 1
		.amdhsa_fp16_overflow 0
		.amdhsa_workgroup_processor_mode 1
		.amdhsa_memory_ordered 1
		.amdhsa_forward_progress 0
		.amdhsa_shared_vgpr_count 0
		.amdhsa_exception_fp_ieee_invalid_op 0
		.amdhsa_exception_fp_denorm_src 0
		.amdhsa_exception_fp_ieee_div_zero 0
		.amdhsa_exception_fp_ieee_overflow 0
		.amdhsa_exception_fp_ieee_underflow 0
		.amdhsa_exception_fp_ieee_inexact 0
		.amdhsa_exception_int_div_zero 0
	.end_amdhsa_kernel
	.section	.text._ZL8moe_q5_1IN3c104HalfELb1EEvPKvS3_PT_PKiS7_S7_iiiiiii,"axG",@progbits,_ZL8moe_q5_1IN3c104HalfELb1EEvPKvS3_PT_PKiS7_S7_iiiiiii,comdat
.Lfunc_end204:
	.size	_ZL8moe_q5_1IN3c104HalfELb1EEvPKvS3_PT_PKiS7_S7_iiiiiii, .Lfunc_end204-_ZL8moe_q5_1IN3c104HalfELb1EEvPKvS3_PT_PKiS7_S7_iiiiiii
                                        ; -- End function
	.section	.AMDGPU.csdata,"",@progbits
; Kernel info:
; codeLenInByte = 7156
; NumSgprs: 23
; NumVgprs: 177
; ScratchSize: 0
; MemoryBound: 0
; FloatMode: 240
; IeeeMode: 1
; LDSByteSize: 38656 bytes/workgroup (compile time only)
; SGPRBlocks: 2
; VGPRBlocks: 22
; NumSGPRsForWavesPerEU: 23
; NumVGPRsForWavesPerEU: 177
; Occupancy: 6
; WaveLimiterHint : 1
; COMPUTE_PGM_RSRC2:SCRATCH_EN: 0
; COMPUTE_PGM_RSRC2:USER_SGPR: 14
; COMPUTE_PGM_RSRC2:TRAP_HANDLER: 0
; COMPUTE_PGM_RSRC2:TGID_X_EN: 1
; COMPUTE_PGM_RSRC2:TGID_Y_EN: 1
; COMPUTE_PGM_RSRC2:TGID_Z_EN: 0
; COMPUTE_PGM_RSRC2:TIDIG_COMP_CNT: 1
	.section	.text._ZL8moe_q8_0IN3c104HalfELb0EEvPKvS3_PT_PKiS7_S7_iiiiiii,"axG",@progbits,_ZL8moe_q8_0IN3c104HalfELb0EEvPKvS3_PT_PKiS7_S7_iiiiiii,comdat
	.globl	_ZL8moe_q8_0IN3c104HalfELb0EEvPKvS3_PT_PKiS7_S7_iiiiiii ; -- Begin function _ZL8moe_q8_0IN3c104HalfELb0EEvPKvS3_PT_PKiS7_S7_iiiiiii
	.p2align	8
	.type	_ZL8moe_q8_0IN3c104HalfELb0EEvPKvS3_PT_PKiS7_S7_iiiiiii,@function
_ZL8moe_q8_0IN3c104HalfELb0EEvPKvS3_PT_PKiS7_S7_iiiiiii: ; @_ZL8moe_q8_0IN3c104HalfELb0EEvPKvS3_PT_PKiS7_S7_iiiiiii
; %bb.0:
	s_load_b128 s[4:7], s[0:1], 0x18
	s_mov_b32 s2, s15
	s_mov_b32 s3, 0
	s_delay_alu instid0(SALU_CYCLE_1)
	s_lshl_b64 s[8:9], s[2:3], 2
	s_waitcnt lgkmcnt(0)
	s_add_u32 s6, s6, s8
	s_addc_u32 s7, s7, s9
	s_load_b32 s15, s[6:7], 0x0
	s_waitcnt lgkmcnt(0)
	s_cmpk_gt_u32 s15, 0xff
	s_cbranch_scc1 .LBB205_23
; %bb.1:
	s_load_b64 s[6:7], s[0:1], 0x28
	s_lshl_b32 s2, s2, 3
	s_waitcnt lgkmcnt(0)
	s_load_b32 s3, s[6:7], 0x0
	s_waitcnt lgkmcnt(0)
	s_cmp_gt_u32 s2, s3
	s_cbranch_scc1 .LBB205_23
; %bb.2:
	v_bfe_u32 v50, v0, 10, 10
	v_mov_b32_e32 v2, 0
	s_lshl_b32 s12, s14, 7
	s_mov_b32 s13, 0
	s_delay_alu instid0(VALU_DEP_1) | instskip(SKIP_1) | instid1(VALU_DEP_2)
	v_dual_mov_b32 v6, v2 :: v_dual_add_nc_u32 v1, s2, v50
	v_mov_b32_e32 v5, v2
	v_lshlrev_b64 v[3:4], 2, v[1:2]
	s_delay_alu instid0(VALU_DEP_1) | instskip(NEXT) | instid1(VALU_DEP_2)
	v_add_co_u32 v3, vcc_lo, s4, v3
	v_add_co_ci_u32_e32 v4, vcc_lo, s5, v4, vcc_lo
	global_load_b32 v3, v[3:4], off
	s_clause 0x2
	s_load_b64 s[10:11], s[0:1], 0x30
	s_load_b64 s[8:9], s[0:1], 0x10
	s_load_b128 s[4:7], s[0:1], 0x3c
	v_and_b32_e32 v4, 0x3ff, v0
	v_mov_b32_e32 v0, v2
	s_waitcnt lgkmcnt(0)
	s_cmp_lt_i32 s11, 32
	s_cbranch_scc1 .LBB205_14
; %bb.3:
	s_load_b128 s[0:3], s[0:1], 0x0
	s_ashr_i32 s14, s11, 31
	s_mul_i32 s15, s15, s10
	s_lshr_b32 s10, s14, 27
	s_ashr_i32 s16, s5, 31
	s_add_i32 s10, s11, s10
	s_lshr_b32 s14, s16, 27
	s_ashr_i32 s10, s10, 5
	s_add_i32 s5, s5, s14
	s_mul_i32 s14, s10, s12
	s_ashr_i32 s16, s15, 31
	s_ashr_i32 s5, s5, 5
	s_mul_hi_i32 s17, s14, 34
	s_mul_i32 s14, s14, 34
	v_mul_lo_u32 v7, s10, v50
	v_lshlrev_b32_e32 v1, 2, v4
	v_lshrrev_b32_e32 v14, 2, v4
	s_waitcnt vmcnt(0)
	v_sub_nc_u32_e32 v21, 0, v3
	v_and_b32_e32 v15, 31, v4
	v_lshlrev_b32_e32 v51, 7, v50
	s_waitcnt lgkmcnt(0)
	s_add_u32 s0, s0, s15
	s_addc_u32 s1, s1, s16
	s_add_u32 s14, s0, s14
	s_addc_u32 s15, s1, s17
	s_abs_i32 s1, s7
	s_lshl_b32 s16, s10, 3
	v_cvt_f32_u32_e32 v0, s1
	s_sub_i32 s0, 0, s1
	v_add_nc_u32_e32 v9, s16, v7
	v_and_b32_e32 v10, 28, v1
	v_mad_u32_u24 v12, 0x84, v50, v1
	v_rcp_iflag_f32_e32 v0, v0
	v_lshlrev_b32_e32 v13, 3, v50
	v_add_nc_u32_e32 v11, s16, v9
	v_max_i32_e32 v35, v3, v21
	v_lshl_add_u32 v16, v50, 2, v4
	v_lshl_or_b32 v39, v15, 2, v51
	v_xor_b32_e32 v20, s7, v3
	v_dual_mov_b32 v5, 0 :: v_dual_and_b32 v6, 3, v4
	v_add_nc_u32_e32 v17, 32, v4
	s_delay_alu instid0(TRANS32_DEP_1) | instskip(SKIP_3) | instid1(VALU_DEP_4)
	v_dual_mul_f32 v0, 0x4f7ffffe, v0 :: v_dual_add_nc_u32 v1, v14, v13
	v_add_nc_u16 v38, v14, v13
	v_add_nc_u32_e32 v13, s16, v11
	v_lshl_add_u32 v14, v16, 2, 0x4e40
	v_cvt_u32_f32_e32 v0, v0
	v_ashrrev_i32_e32 v45, 31, v20
	v_lshlrev_b32_e32 v52, 4, v1
	v_add_nc_u32_e32 v15, s16, v13
	v_add_nc_u32_e32 v18, 64, v4
	v_mul_lo_u32 v22, s0, v0
	v_add_nc_u32_e32 v19, 0x60, v4
	v_lshlrev_b32_e32 v44, 2, v6
	v_add_nc_u32_e32 v16, s16, v15
	v_lshrrev_b32_e32 v2, 3, v4
	v_lshrrev_b32_e32 v47, 1, v18
	;; [unrolled: 1-line block ×4, first 2 shown]
	v_mul_hi_u32 v22, v0, v22
	v_add_nc_u32_e32 v20, s16, v16
	v_lshlrev_b32_e32 v49, 4, v4
	v_and_b32_e32 v46, 0xfc, v46
	v_and_b32_e32 v47, 0xfc, v47
	;; [unrolled: 1-line block ×3, first 2 shown]
	v_add_nc_u32_e32 v25, s16, v20
	v_lshlrev_b32_e32 v56, 2, v2
	v_add_nc_u32_e32 v0, v0, v22
	v_cmp_gt_u32_e32 vcc_lo, 4, v4
	v_mul_u32_u24_e32 v8, 0x84, v4
	v_add_nc_u32_e32 v29, s16, v25
	v_add_nc_u32_e32 v17, 0x420, v12
	v_mul_hi_u32 v0, v35, v0
	v_add_nc_u32_e32 v18, 0x840, v12
	v_add_nc_u32_e32 v19, 0xc60, v12
	;; [unrolled: 1-line block ×7, first 2 shown]
	v_mul_lo_u32 v36, v0, s1
	v_add_nc_u32_e32 v41, 1, v0
	v_add_nc_u32_e32 v37, s16, v34
	;; [unrolled: 1-line block ×7, first 2 shown]
	v_sub_nc_u32_e32 v40, v35, v36
	v_mul_lo_u32 v36, s10, v1
	v_add_nc_u32_e32 v1, 64, v1
	v_add_nc_u32_e32 v32, 0x35a0, v12
	;; [unrolled: 1-line block ×3, first 2 shown]
	v_subrev_nc_u32_e32 v42, s1, v40
	v_cmp_le_u32_e64 s0, s1, v40
	v_lshrrev_b32_e32 v53, 1, v1
	v_lshlrev_b32_e32 v54, 4, v1
	v_add_nc_u32_e32 v35, 0x3de0, v12
	v_add_nc_u32_e32 v39, 0x4a40, v39
	v_cndmask_b32_e64 v0, v0, v41, s0
	v_cndmask_b32_e64 v42, v40, v42, s0
	v_lshrrev_b16 v41, 1, v38
	v_add_nc_u32_e32 v38, s16, v37
	v_and_b32_e32 v53, 0x3ffc, v53
	v_add_nc_u32_e32 v43, 1, v0
	v_cmp_le_u32_e64 s0, s1, v42
	v_lshl_add_u32 v42, s10, 6, v36
	v_add_nc_u32_e32 v40, s16, v38
	v_add3_u32 v53, v53, v44, 0x4200
	v_add3_u32 v46, v49, v46, 0x4800
	v_cndmask_b32_e64 v0, v0, v43, s0
	v_and_b32_e32 v43, 0x1ffc, v41
	v_add_nc_u32_e32 v41, s16, v40
	v_add3_u32 v47, v49, v47, 0x4600
	v_add3_u32 v48, v49, v48, 0x4400
	v_xor_b32_e32 v0, v0, v45
	v_add3_u32 v55, v43, v44, 0x4200
	v_add_nc_u32_e32 v43, s16, v41
	v_add3_u32 v49, v49, v56, 0x4200
	v_lshl_add_u32 v50, v50, 4, 0x4e40
	v_sub_nc_u32_e32 v45, v0, v45
	v_dual_mov_b32 v55, 0 :: v_dual_add_nc_u32 v52, v55, v52
	v_add_co_u32 v0, s0, s2, v10
	s_delay_alu instid0(VALU_DEP_1) | instskip(NEXT) | instid1(VALU_DEP_4)
	v_add_co_ci_u32_e64 v1, null, s3, 0, s0
	v_cmp_gt_i32_e64 s0, s4, v45
	v_mul_lo_u32 v45, v45, s5
	v_add_nc_u32_e32 v44, s16, v43
	v_add_nc_u32_e32 v51, 0x4a40, v51
	v_dual_mov_b32 v53, 0 :: v_dual_add_nc_u32 v56, v53, v54
	v_mov_b32_e32 v54, 0
	s_branch .LBB205_5
.LBB205_4:                              ;   in Loop: Header=BB205_5 Depth=1
	s_add_i32 s13, s13, 4
	s_delay_alu instid0(SALU_CYCLE_1)
	s_cmp_ge_i32 s13, s10
	s_cbranch_scc1 .LBB205_13
.LBB205_5:                              ; =>This Loop Header: Depth=1
                                        ;     Child Loop BB205_11 Depth 2
	s_mul_i32 s1, s13, 34
	s_mul_hi_u32 s17, s13, 34
	s_add_u32 s16, s14, s1
	s_addc_u32 s17, s15, s17
	s_delay_alu instid0(SALU_CYCLE_1) | instskip(SKIP_1) | instid1(VALU_DEP_2)
	v_mad_u64_u32 v[57:58], null, v2, 34, s[16:17]
	v_mad_u64_u32 v[75:76], null, v6, 34, s[16:17]
	v_add_co_u32 v57, s1, v57, v10
	s_delay_alu instid0(VALU_DEP_1) | instskip(NEXT) | instid1(VALU_DEP_2)
	v_add_co_ci_u32_e64 v58, s1, 0, v58, s1
	v_add_co_u32 v57, s1, v57, 2
	s_delay_alu instid0(VALU_DEP_1) | instskip(SKIP_1) | instid1(SALU_CYCLE_1)
	v_add_co_ci_u32_e64 v58, s1, 0, v58, s1
	s_lshl_b32 s1, s13, 5
	s_cmp_lt_i32 s1, s11
	s_delay_alu instid0(VALU_DEP_1)
	v_mad_u64_u32 v[59:60], null, v7, 34, v[57:58]
	v_mad_u64_u32 v[61:62], null, v9, 34, v[57:58]
	;; [unrolled: 1-line block ×8, first 2 shown]
	s_clause 0x7
	global_load_b32 v77, v[59:60], off
	global_load_b32 v78, v[61:62], off
	;; [unrolled: 1-line block ×8, first 2 shown]
	v_mad_u64_u32 v[61:62], null, v36, 34, v[75:76]
	v_mad_u64_u32 v[63:64], null, v42, 34, v[75:76]
	;; [unrolled: 1-line block ×6, first 2 shown]
	s_clause 0x1
	global_load_u16 v75, v[61:62], off
	global_load_u16 v76, v[63:64], off
	v_mad_u64_u32 v[61:62], null, v40, 34, v[57:58]
	v_mad_u64_u32 v[63:64], null, v41, 34, v[57:58]
	;; [unrolled: 1-line block ×4, first 2 shown]
	s_clause 0x7
	global_load_b32 v57, v[59:60], off
	global_load_b32 v58, v[65:66], off
	;; [unrolled: 1-line block ×8, first 2 shown]
	s_waitcnt vmcnt(9)
	v_cvt_f32_f16_e32 v65, v75
	s_waitcnt vmcnt(8)
	v_cvt_f32_f16_e32 v66, v76
	ds_store_b32 v12, v77
	ds_store_b32 v17, v78
	;; [unrolled: 1-line block ×8, first 2 shown]
	s_waitcnt vmcnt(7)
	ds_store_b32 v26, v57
	s_waitcnt vmcnt(6)
	ds_store_b32 v27, v58
	;; [unrolled: 2-line block ×8, first 2 shown]
	ds_store_b32 v52, v65
	ds_store_b32 v56, v66
	s_cbranch_scc0 .LBB205_4
; %bb.6:                                ;   in Loop: Header=BB205_5 Depth=1
	v_add_nc_u32_e32 v57, s13, v2
	s_delay_alu instid0(VALU_DEP_1) | instskip(NEXT) | instid1(VALU_DEP_1)
	v_cmp_gt_i32_e64 s1, s5, v57
	s_and_b32 s16, s0, s1
	s_delay_alu instid0(SALU_CYCLE_1)
	s_and_saveexec_b32 s1, s16
	s_cbranch_execz .LBB205_8
; %bb.7:                                ;   in Loop: Header=BB205_5 Depth=1
	v_add_nc_u32_e32 v59, v45, v57
	s_delay_alu instid0(VALU_DEP_1)
	v_mad_i64_i32 v[57:58], null, v59, 36, v[0:1]
	global_load_b32 v57, v[57:58], off offset:4
	s_waitcnt vmcnt(0)
	ds_store_b32 v39, v57
.LBB205_8:                              ;   in Loop: Header=BB205_5 Depth=1
	s_or_b32 exec_lo, exec_lo, s1
	v_or_b32_e32 v57, s13, v4
	s_delay_alu instid0(VALU_DEP_1) | instskip(NEXT) | instid1(VALU_DEP_1)
	v_cmp_gt_i32_e64 s1, s5, v57
	s_and_b32 s1, s0, s1
	s_delay_alu instid0(SALU_CYCLE_1) | instskip(NEXT) | instid1(SALU_CYCLE_1)
	s_and_b32 s16, vcc_lo, s1
	s_and_saveexec_b32 s1, s16
	s_cbranch_execz .LBB205_10
; %bb.9:                                ;   in Loop: Header=BB205_5 Depth=1
	v_add_nc_u32_e32 v59, v45, v57
	s_delay_alu instid0(VALU_DEP_1)
	v_mad_i64_i32 v[57:58], null, v59, 36, s[2:3]
	global_load_b32 v57, v[57:58], off
	s_waitcnt vmcnt(0)
	v_cvt_f32_f16_e32 v57, v57
	ds_store_b32 v14, v57
.LBB205_10:                             ;   in Loop: Header=BB205_5 Depth=1
	s_or_b32 exec_lo, exec_lo, s1
	v_dual_mov_b32 v57, v51 :: v_dual_mov_b32 v58, v50
	v_dual_mov_b32 v59, v49 :: v_dual_mov_b32 v60, v48
	v_dual_mov_b32 v61, v47 :: v_dual_mov_b32 v62, v46
	v_mov_b32_e32 v63, v8
	s_mov_b32 s1, -8
	s_waitcnt lgkmcnt(0)
	s_barrier
	buffer_gl0_inv
.LBB205_11:                             ;   Parent Loop BB205_5 Depth=1
                                        ; =>  This Inner Loop Header: Depth=2
	ds_load_b128 v[64:67], v57
	ds_load_b128 v[68:71], v57 offset:16
	ds_load_2addr_b32 v[72:73], v63 offset0:2 offset1:3
	ds_load_2addr_b32 v[74:75], v63 offset0:4 offset1:5
	;; [unrolled: 1-line block ×3, first 2 shown]
	ds_load_b32 v104, v58
	ds_load_b32 v105, v59
	;; [unrolled: 1-line block ×4, first 2 shown]
	v_add_nc_u32_e32 v80, 0x1080, v63
	v_add_nc_u32_e32 v82, 0x2100, v63
	;; [unrolled: 1-line block ×3, first 2 shown]
	ds_load_2addr_b32 v[78:79], v63 offset1:1
	ds_load_2addr_b32 v[80:81], v80 offset1:1
	;; [unrolled: 1-line block ×4, first 2 shown]
	ds_load_b32 v108, v62
	v_add_nc_u32_e32 v86, 0x1088, v63
	v_add_nc_u32_e32 v88, 0x2108, v63
	;; [unrolled: 1-line block ×13, first 2 shown]
	s_add_i32 s1, s1, 8
	s_waitcnt lgkmcnt(4)
	v_dot4_i32_iu8 v78, v78, v64, 0 neg_lo:[1,1,0]
	s_waitcnt lgkmcnt(3)
	v_dot4_i32_iu8 v80, v80, v64, 0 neg_lo:[1,1,0]
	;; [unrolled: 2-line block ×4, first 2 shown]
	s_cmp_lt_u32 s1, 24
	v_dot4_i32_iu8 v78, v79, v65, v78 neg_lo:[1,1,0]
	v_dot4_i32_iu8 v79, v81, v65, v80 neg_lo:[1,1,0]
	;; [unrolled: 1-line block ×4, first 2 shown]
	s_delay_alu instid0(VALU_DEP_4) | instskip(NEXT) | instid1(VALU_DEP_1)
	v_dot4_i32_iu8 v65, v72, v66, v78 neg_lo:[1,1,0]
	v_dot4_i32_iu8 v65, v73, v67, v65 neg_lo:[1,1,0]
	s_delay_alu instid0(VALU_DEP_1) | instskip(NEXT) | instid1(VALU_DEP_1)
	v_dot4_i32_iu8 v65, v74, v68, v65 neg_lo:[1,1,0]
	v_dot4_i32_iu8 v65, v75, v69, v65 neg_lo:[1,1,0]
	s_delay_alu instid0(VALU_DEP_1) | instskip(NEXT) | instid1(VALU_DEP_1)
	v_dot4_i32_iu8 v65, v76, v70, v65 neg_lo:[1,1,0]
	v_dot4_i32_iu8 v65, v77, v71, v65 neg_lo:[1,1,0]
	s_delay_alu instid0(VALU_DEP_1)
	v_cvt_f32_i32_e32 v65, v65
	v_add_nc_u32_e32 v92, 0x1090, v63
	ds_load_2addr_b32 v[86:87], v86 offset1:1
	ds_load_2addr_b32 v[88:89], v88 offset1:1
	;; [unrolled: 1-line block ×9, first 2 shown]
	v_add_nc_u32_e32 v63, 32, v63
	s_waitcnt lgkmcnt(8)
	v_dot4_i32_iu8 v72, v86, v66, v79 neg_lo:[1,1,0]
	s_waitcnt lgkmcnt(7)
	v_dot4_i32_iu8 v78, v88, v66, v80 neg_lo:[1,1,0]
	;; [unrolled: 2-line block ×3, first 2 shown]
	v_dot4_i32_iu8 v66, v87, v67, v72 neg_lo:[1,1,0]
	s_delay_alu instid0(VALU_DEP_3) | instskip(NEXT) | instid1(VALU_DEP_3)
	v_dot4_i32_iu8 v72, v89, v67, v78 neg_lo:[1,1,0]
	v_dot4_i32_iu8 v64, v91, v67, v64 neg_lo:[1,1,0]
	s_waitcnt lgkmcnt(5)
	s_delay_alu instid0(VALU_DEP_3)
	v_dot4_i32_iu8 v66, v92, v68, v66 neg_lo:[1,1,0]
	s_waitcnt lgkmcnt(3)
	v_dot4_i32_iu8 v67, v96, v68, v72 neg_lo:[1,1,0]
	s_waitcnt lgkmcnt(1)
	v_dot4_i32_iu8 v64, v100, v68, v64 neg_lo:[1,1,0]
	v_mul_f32_e32 v68, v104, v105
	v_dot4_i32_iu8 v66, v93, v69, v66 neg_lo:[1,1,0]
	v_dot4_i32_iu8 v67, v97, v69, v67 neg_lo:[1,1,0]
	s_delay_alu instid0(VALU_DEP_4)
	v_dot4_i32_iu8 v64, v101, v69, v64 neg_lo:[1,1,0]
	v_mul_f32_e32 v69, v104, v106
	v_fmac_f32_e32 v5, v68, v65
	v_dot4_i32_iu8 v66, v94, v70, v66 neg_lo:[1,1,0]
	v_dot4_i32_iu8 v67, v98, v70, v67 neg_lo:[1,1,0]
	s_waitcnt lgkmcnt(0)
	v_dot4_i32_iu8 v64, v102, v70, v64 neg_lo:[1,1,0]
	v_mul_f32_e32 v70, v104, v107
	v_dot4_i32_iu8 v66, v95, v71, v66 neg_lo:[1,1,0]
	v_dot4_i32_iu8 v67, v99, v71, v67 neg_lo:[1,1,0]
	s_delay_alu instid0(VALU_DEP_4) | instskip(SKIP_1) | instid1(VALU_DEP_4)
	v_dot4_i32_iu8 v64, v103, v71, v64 neg_lo:[1,1,0]
	v_mul_f32_e32 v71, v104, v108
	v_cvt_f32_i32_e32 v66, v66
	s_delay_alu instid0(VALU_DEP_4) | instskip(NEXT) | instid1(VALU_DEP_4)
	v_cvt_f32_i32_e32 v67, v67
	v_cvt_f32_i32_e32 v64, v64
	v_add_nc_u32_e32 v57, 32, v57
	s_delay_alu instid0(VALU_DEP_3) | instskip(NEXT) | instid1(VALU_DEP_3)
	v_dual_fmac_f32 v53, v69, v66 :: v_dual_fmac_f32 v54, v70, v67
	v_fmac_f32_e32 v55, v71, v64
	s_cbranch_scc1 .LBB205_11
; %bb.12:                               ;   in Loop: Header=BB205_5 Depth=1
	s_barrier
	buffer_gl0_inv
	s_branch .LBB205_4
.LBB205_13:
	v_cvt_f16_f32_e32 v6, v5
	v_cvt_f16_f32_e32 v5, v53
	v_cvt_f16_f32_e32 v0, v54
	v_cvt_f16_f32_e32 v2, v55
.LBB205_14:
	s_mul_i32 s0, s7, s4
	s_waitcnt vmcnt(0)
	v_cmp_gt_i32_e32 vcc_lo, s0, v3
	s_and_saveexec_b32 s0, vcc_lo
	s_cbranch_execz .LBB205_23
; %bb.15:
	v_mul_lo_u32 v1, v3, s6
	v_add_nc_u32_e32 v4, s12, v4
	s_mov_b32 s0, exec_lo
	s_delay_alu instid0(VALU_DEP_1)
	v_cmpx_gt_u32_e64 s6, v4
	s_cbranch_execz .LBB205_17
; %bb.16:
	s_delay_alu instid0(VALU_DEP_3) | instskip(NEXT) | instid1(VALU_DEP_1)
	v_dual_mov_b32 v8, 0 :: v_dual_add_nc_u32 v7, v1, v4
	v_lshlrev_b64 v[7:8], 1, v[7:8]
	s_delay_alu instid0(VALU_DEP_1) | instskip(NEXT) | instid1(VALU_DEP_2)
	v_add_co_u32 v7, vcc_lo, s8, v7
	v_add_co_ci_u32_e32 v8, vcc_lo, s9, v8, vcc_lo
	global_store_b16 v[7:8], v6, off
.LBB205_17:
	s_or_b32 exec_lo, exec_lo, s0
	v_add_nc_u32_e32 v3, 32, v4
	s_mov_b32 s0, exec_lo
	s_delay_alu instid0(VALU_DEP_1)
	v_cmpx_gt_u32_e64 s6, v3
	s_cbranch_execz .LBB205_19
; %bb.18:
	v_dual_mov_b32 v7, 0 :: v_dual_add_nc_u32 v6, v1, v3
	s_delay_alu instid0(VALU_DEP_1) | instskip(NEXT) | instid1(VALU_DEP_1)
	v_lshlrev_b64 v[6:7], 1, v[6:7]
	v_add_co_u32 v6, vcc_lo, s8, v6
	s_delay_alu instid0(VALU_DEP_2)
	v_add_co_ci_u32_e32 v7, vcc_lo, s9, v7, vcc_lo
	global_store_b16 v[6:7], v5, off
.LBB205_19:
	s_or_b32 exec_lo, exec_lo, s0
	v_add_nc_u32_e32 v3, 64, v4
	s_mov_b32 s0, exec_lo
	s_delay_alu instid0(VALU_DEP_1)
	v_cmpx_gt_u32_e64 s6, v3
	s_cbranch_execz .LBB205_21
; %bb.20:
	v_dual_mov_b32 v6, 0 :: v_dual_add_nc_u32 v5, v1, v3
	s_delay_alu instid0(VALU_DEP_1) | instskip(NEXT) | instid1(VALU_DEP_1)
	v_lshlrev_b64 v[5:6], 1, v[5:6]
	v_add_co_u32 v5, vcc_lo, s8, v5
	s_delay_alu instid0(VALU_DEP_2)
	v_add_co_ci_u32_e32 v6, vcc_lo, s9, v6, vcc_lo
	global_store_b16 v[5:6], v0, off
.LBB205_21:
	s_or_b32 exec_lo, exec_lo, s0
	v_add_nc_u32_e32 v0, 0x60, v4
	s_delay_alu instid0(VALU_DEP_1)
	v_cmp_gt_u32_e32 vcc_lo, s6, v0
	s_and_b32 exec_lo, exec_lo, vcc_lo
	s_cbranch_execz .LBB205_23
; %bb.22:
	v_dual_mov_b32 v1, 0 :: v_dual_add_nc_u32 v0, v1, v0
	s_delay_alu instid0(VALU_DEP_1) | instskip(NEXT) | instid1(VALU_DEP_1)
	v_lshlrev_b64 v[0:1], 1, v[0:1]
	v_add_co_u32 v0, vcc_lo, s8, v0
	s_delay_alu instid0(VALU_DEP_2)
	v_add_co_ci_u32_e32 v1, vcc_lo, s9, v1, vcc_lo
	global_store_b16 v[0:1], v2, off
.LBB205_23:
	s_nop 0
	s_sendmsg sendmsg(MSG_DEALLOC_VGPRS)
	s_endpgm
	.section	.rodata,"a",@progbits
	.p2align	6, 0x0
	.amdhsa_kernel _ZL8moe_q8_0IN3c104HalfELb0EEvPKvS3_PT_PKiS7_S7_iiiiiii
		.amdhsa_group_segment_fixed_size 20160
		.amdhsa_private_segment_fixed_size 0
		.amdhsa_kernarg_size 76
		.amdhsa_user_sgpr_count 14
		.amdhsa_user_sgpr_dispatch_ptr 0
		.amdhsa_user_sgpr_queue_ptr 0
		.amdhsa_user_sgpr_kernarg_segment_ptr 1
		.amdhsa_user_sgpr_dispatch_id 0
		.amdhsa_user_sgpr_private_segment_size 0
		.amdhsa_wavefront_size32 1
		.amdhsa_uses_dynamic_stack 0
		.amdhsa_enable_private_segment 0
		.amdhsa_system_sgpr_workgroup_id_x 1
		.amdhsa_system_sgpr_workgroup_id_y 1
		.amdhsa_system_sgpr_workgroup_id_z 0
		.amdhsa_system_sgpr_workgroup_info 0
		.amdhsa_system_vgpr_workitem_id 1
		.amdhsa_next_free_vgpr 109
		.amdhsa_next_free_sgpr 18
		.amdhsa_reserve_vcc 1
		.amdhsa_float_round_mode_32 0
		.amdhsa_float_round_mode_16_64 0
		.amdhsa_float_denorm_mode_32 3
		.amdhsa_float_denorm_mode_16_64 3
		.amdhsa_dx10_clamp 1
		.amdhsa_ieee_mode 1
		.amdhsa_fp16_overflow 0
		.amdhsa_workgroup_processor_mode 1
		.amdhsa_memory_ordered 1
		.amdhsa_forward_progress 0
		.amdhsa_shared_vgpr_count 0
		.amdhsa_exception_fp_ieee_invalid_op 0
		.amdhsa_exception_fp_denorm_src 0
		.amdhsa_exception_fp_ieee_div_zero 0
		.amdhsa_exception_fp_ieee_overflow 0
		.amdhsa_exception_fp_ieee_underflow 0
		.amdhsa_exception_fp_ieee_inexact 0
		.amdhsa_exception_int_div_zero 0
	.end_amdhsa_kernel
	.section	.text._ZL8moe_q8_0IN3c104HalfELb0EEvPKvS3_PT_PKiS7_S7_iiiiiii,"axG",@progbits,_ZL8moe_q8_0IN3c104HalfELb0EEvPKvS3_PT_PKiS7_S7_iiiiiii,comdat
.Lfunc_end205:
	.size	_ZL8moe_q8_0IN3c104HalfELb0EEvPKvS3_PT_PKiS7_S7_iiiiiii, .Lfunc_end205-_ZL8moe_q8_0IN3c104HalfELb0EEvPKvS3_PT_PKiS7_S7_iiiiiii
                                        ; -- End function
	.section	.AMDGPU.csdata,"",@progbits
; Kernel info:
; codeLenInByte = 2880
; NumSgprs: 20
; NumVgprs: 109
; ScratchSize: 0
; MemoryBound: 0
; FloatMode: 240
; IeeeMode: 1
; LDSByteSize: 20160 bytes/workgroup (compile time only)
; SGPRBlocks: 2
; VGPRBlocks: 13
; NumSGPRsForWavesPerEU: 20
; NumVGPRsForWavesPerEU: 109
; Occupancy: 12
; WaveLimiterHint : 1
; COMPUTE_PGM_RSRC2:SCRATCH_EN: 0
; COMPUTE_PGM_RSRC2:USER_SGPR: 14
; COMPUTE_PGM_RSRC2:TRAP_HANDLER: 0
; COMPUTE_PGM_RSRC2:TGID_X_EN: 1
; COMPUTE_PGM_RSRC2:TGID_Y_EN: 1
; COMPUTE_PGM_RSRC2:TGID_Z_EN: 0
; COMPUTE_PGM_RSRC2:TIDIG_COMP_CNT: 1
	.section	.text._ZL8moe_q8_0IN3c104HalfELb1EEvPKvS3_PT_PKiS7_S7_iiiiiii,"axG",@progbits,_ZL8moe_q8_0IN3c104HalfELb1EEvPKvS3_PT_PKiS7_S7_iiiiiii,comdat
	.globl	_ZL8moe_q8_0IN3c104HalfELb1EEvPKvS3_PT_PKiS7_S7_iiiiiii ; -- Begin function _ZL8moe_q8_0IN3c104HalfELb1EEvPKvS3_PT_PKiS7_S7_iiiiiii
	.p2align	8
	.type	_ZL8moe_q8_0IN3c104HalfELb1EEvPKvS3_PT_PKiS7_S7_iiiiiii,@function
_ZL8moe_q8_0IN3c104HalfELb1EEvPKvS3_PT_PKiS7_S7_iiiiiii: ; @_ZL8moe_q8_0IN3c104HalfELb1EEvPKvS3_PT_PKiS7_S7_iiiiiii
; %bb.0:
	s_load_b128 s[4:7], s[0:1], 0x18
	s_mov_b32 s2, s15
	s_mov_b32 s3, 0
	s_delay_alu instid0(SALU_CYCLE_1)
	s_lshl_b64 s[8:9], s[2:3], 2
	s_waitcnt lgkmcnt(0)
	s_add_u32 s6, s6, s8
	s_addc_u32 s7, s7, s9
	s_load_b32 s15, s[6:7], 0x0
	s_waitcnt lgkmcnt(0)
	s_cmpk_gt_u32 s15, 0xff
	s_cbranch_scc1 .LBB206_23
; %bb.1:
	s_load_b64 s[6:7], s[0:1], 0x28
	s_lshl_b32 s2, s2, 3
	s_waitcnt lgkmcnt(0)
	s_load_b32 s3, s[6:7], 0x0
	s_waitcnt lgkmcnt(0)
	s_cmp_gt_u32 s2, s3
	s_cbranch_scc1 .LBB206_23
; %bb.2:
	v_bfe_u32 v50, v0, 10, 10
	s_delay_alu instid0(VALU_DEP_1) | instskip(NEXT) | instid1(VALU_DEP_1)
	v_dual_mov_b32 v2, 0 :: v_dual_add_nc_u32 v1, s2, v50
	v_dual_mov_b32 v0, v2 :: v_dual_and_b32 v19, 0x3ff, v0
	v_mov_b32_e32 v5, v2
	s_delay_alu instid0(VALU_DEP_3) | instskip(NEXT) | instid1(VALU_DEP_1)
	v_lshlrev_b64 v[3:4], 2, v[1:2]
	v_add_co_u32 v3, vcc_lo, s4, v3
	s_delay_alu instid0(VALU_DEP_2)
	v_add_co_ci_u32_e32 v4, vcc_lo, s5, v4, vcc_lo
	global_load_b32 v18, v[3:4], off
	s_clause 0x1
	s_load_b256 s[4:11], s[0:1], 0x30
	s_load_b64 s[12:13], s[0:1], 0x10
	v_mov_b32_e32 v3, v2
	s_waitcnt lgkmcnt(0)
	s_lshl_b32 s11, s14, 7
	s_mov_b32 s14, 0
	s_cmp_lt_i32 s5, 32
	s_cbranch_scc1 .LBB206_14
; %bb.3:
	s_load_b128 s[0:3], s[0:1], 0x0
	s_ashr_i32 s16, s5, 31
	s_mul_i32 s15, s15, s4
	s_lshr_b32 s4, s16, 27
	s_ashr_i32 s17, s8, 31
	s_add_i32 s4, s5, s4
	s_lshr_b32 s16, s17, 27
	s_ashr_i32 s4, s4, 5
	s_add_i32 s8, s8, s16
	s_mul_i32 s16, s4, s11
	s_ashr_i32 s17, s15, 31
	s_ashr_i32 s8, s8, 5
	s_mul_hi_i32 s18, s16, 34
	s_mul_i32 s16, s16, 34
	v_dual_mov_b32 v20, 0 :: v_dual_add_nc_u32 v1, 16, v50
	v_lshlrev_b32_e32 v17, 2, v19
	v_add_nc_u32_e32 v3, 24, v50
	v_add_nc_u32_e32 v16, 0x68, v50
	;; [unrolled: 1-line block ×3, first 2 shown]
	s_waitcnt lgkmcnt(0)
	s_add_u32 s0, s0, s15
	s_addc_u32 s1, s1, s17
	s_add_u32 s15, s0, s16
	s_addc_u32 s16, s1, s18
	s_abs_i32 s1, s10
	s_not_b32 s0, s11
	v_cvt_f32_u32_e32 v13, s1
	s_add_i32 s0, s0, s6
	s_sub_i32 s6, 0, s1
	v_min_i32_e32 v2, s0, v50
	v_min_i32_e32 v5, s0, v1
	v_rcp_iflag_f32_e32 v13, v13
	v_add_nc_u32_e32 v0, 8, v50
	v_min_i32_e32 v6, s0, v3
	v_mul_lo_u32 v23, v2, s4
	v_mul_lo_u32 v25, v5, s4
	v_min_i32_e32 v16, s0, v16
	v_add_nc_u32_e32 v40, 0x78, v50
	v_mul_lo_u32 v26, v6, s4
	v_lshlrev_b32_e32 v51, 7, v50
	v_lshrrev_b32_e32 v21, 3, v19
	v_mul_f32_e32 v13, 0x4f7ffffe, v13
	v_min_i32_e32 v4, s0, v0
	s_waitcnt vmcnt(0)
	v_mad_u64_u32 v[0:1], null, 0x84, v2, v[17:18]
	v_mul_lo_u32 v36, v16, s4
	v_cvt_u32_f32_e32 v38, v13
	v_mul_lo_u32 v24, v4, s4
	v_mad_u64_u32 v[1:2], null, 0x84, v4, v[17:18]
	v_add_nc_u32_e32 v4, 32, v50
	v_mad_u64_u32 v[2:3], null, 0x84, v5, v[17:18]
	v_add_nc_u32_e32 v5, 40, v50
	v_min_i32_e32 v40, s0, v40
	s_delay_alu instid0(VALU_DEP_4) | instskip(SKIP_3) | instid1(VALU_DEP_4)
	v_min_i32_e32 v7, s0, v4
	v_mad_u64_u32 v[3:4], null, 0x84, v6, v[17:18]
	v_add_nc_u32_e32 v6, 48, v50
	v_min_i32_e32 v8, s0, v5
	v_mul_lo_u32 v27, v7, s4
	v_mad_u64_u32 v[4:5], null, 0x84, v7, v[17:18]
	s_delay_alu instid0(VALU_DEP_4)
	v_min_i32_e32 v9, s0, v6
	v_add_nc_u32_e32 v7, 56, v50
	v_mul_lo_u32 v28, v8, s4
	v_mad_u64_u32 v[5:6], null, 0x84, v8, v[17:18]
	v_add_nc_u32_e32 v8, 64, v50
	v_mul_lo_u32 v29, v9, s4
	v_min_i32_e32 v10, s0, v7
	v_mad_u64_u32 v[6:7], null, 0x84, v9, v[17:18]
	v_add_nc_u32_e32 v9, 0x48, v50
	v_min_i32_e32 v11, s0, v8
	s_delay_alu instid0(VALU_DEP_4) | instskip(SKIP_1) | instid1(VALU_DEP_4)
	v_mul_lo_u32 v30, v10, s4
	v_mad_u64_u32 v[7:8], null, 0x84, v10, v[17:18]
	v_min_i32_e32 v12, s0, v9
	v_add_nc_u32_e32 v10, 0x50, v50
	v_mul_lo_u32 v31, v11, s4
	v_mad_u64_u32 v[8:9], null, 0x84, v11, v[17:18]
	v_add_nc_u32_e32 v11, 0x58, v50
	v_mul_lo_u32 v32, v12, s4
	v_min_i32_e32 v14, s0, v10
	v_mad_u64_u32 v[9:10], null, 0x84, v12, v[17:18]
	v_add_nc_u32_e32 v12, 0x60, v50
	v_min_i32_e32 v15, s0, v11
	s_delay_alu instid0(VALU_DEP_4) | instskip(SKIP_1) | instid1(VALU_DEP_4)
	v_mul_lo_u32 v33, v14, s4
	v_mad_u64_u32 v[10:11], null, 0x84, v14, v[17:18]
	v_min_i32_e32 v14, s0, v12
	s_delay_alu instid0(VALU_DEP_4) | instskip(SKIP_2) | instid1(VALU_DEP_4)
	v_mul_lo_u32 v34, v15, s4
	v_mad_u64_u32 v[11:12], null, 0x84, v15, v[17:18]
	v_lshrrev_b32_e32 v15, 2, v19
	v_mad_u64_u32 v[12:13], null, 0x84, v14, v[17:18]
	v_mul_lo_u32 v35, v14, s4
	v_lshlrev_b32_e32 v49, 4, v19
	s_delay_alu instid0(VALU_DEP_4) | instskip(SKIP_2) | instid1(VALU_DEP_3)
	v_lshl_add_u32 v13, v50, 3, v15
	v_mul_lo_u32 v15, s6, v38
	v_lshlrev_b32_e32 v58, 2, v21
	v_add_nc_u32_e32 v39, 64, v13
	v_min_i32_e32 v41, s0, v13
	v_mad_u64_u32 v[13:14], null, 0x84, v16, v[17:18]
	v_mul_hi_u32 v15, v38, v15
	s_delay_alu instid0(VALU_DEP_4)
	v_min_i32_e32 v42, s0, v39
	v_sub_nc_u32_e32 v39, 0, v18
	v_ashrrev_i32_e32 v14, 31, v41
	v_min_i32_e32 v16, s0, v37
	v_lshlrev_b32_e32 v53, 4, v41
	v_ashrrev_i32_e32 v43, 31, v42
	v_max_i32_e32 v44, v18, v39
	v_add_nc_u32_e32 v15, v38, v15
	v_lshrrev_b32_e32 v14, 29, v14
	v_and_b32_e32 v38, 3, v19
	v_lshrrev_b32_e32 v39, 29, v43
	v_mul_lo_u32 v37, v16, s4
	v_mul_hi_u32 v43, v44, v15
	v_add_nc_u32_e32 v14, v41, v14
	v_and_b32_e32 v22, 28, v17
	v_lshlrev_b32_e32 v46, 2, v38
	v_lshlrev_b32_e32 v55, 4, v42
	s_delay_alu instid0(VALU_DEP_4) | instskip(SKIP_3) | instid1(VALU_DEP_4)
	v_ashrrev_i32_e32 v45, 3, v14
	v_mad_u64_u32 v[14:15], null, 0x84, v16, v[17:18]
	v_mul_lo_u32 v47, v43, s1
	v_add_nc_u32_e32 v15, v42, v39
	v_lshlrev_b32_e32 v45, 2, v45
	v_mul_lo_u32 v39, v40, s4
	s_delay_alu instid0(VALU_DEP_3)
	v_ashrrev_i32_e32 v48, 3, v15
	v_mad_u64_u32 v[15:16], null, 0x84, v40, v[17:18]
	v_sub_nc_u32_e32 v17, v44, v47
	v_add3_u32 v52, v45, v46, 0x4200
	v_add_nc_u32_e32 v44, 1, v43
	v_lshlrev_b32_e32 v16, 2, v48
	v_mul_lo_u32 v40, v41, s4
	v_subrev_nc_u32_e32 v45, s1, v17
	v_cmp_le_u32_e32 vcc_lo, s1, v17
	v_mul_lo_u32 v41, v42, s4
	v_add3_u32 v54, v16, v46, 0x4200
	v_and_b32_e32 v16, 31, v19
	v_xor_b32_e32 v42, s10, v18
	v_cndmask_b32_e32 v43, v43, v44, vcc_lo
	v_cndmask_b32_e32 v17, v17, v45, vcc_lo
	v_lshl_add_u32 v46, v50, 2, v19
	v_lshl_or_b32 v45, v16, 2, v51
	v_ashrrev_i32_e32 v47, 31, v42
	v_add_nc_u32_e32 v44, 1, v43
	v_cmp_le_u32_e32 vcc_lo, s1, v17
	v_add_nc_u32_e32 v48, 32, v19
	v_add_nc_u32_e32 v42, 0x4a40, v45
	v_add_nc_u32_e32 v45, 0x60, v19
	v_add_co_u32 v16, s0, s2, v22
	v_cndmask_b32_e32 v43, v43, v44, vcc_lo
	v_lshrrev_b32_e32 v48, 1, v48
	s_delay_alu instid0(VALU_DEP_4) | instskip(SKIP_1) | instid1(VALU_DEP_4)
	v_lshrrev_b32_e32 v45, 1, v45
	v_add_co_ci_u32_e64 v17, null, s3, 0, s0
	v_xor_b32_e32 v44, v43, v47
	v_lshl_add_u32 v43, v46, 2, 0x4e40
	v_add_nc_u32_e32 v46, 64, v19
	v_and_b32_e32 v56, 0xfc, v45
	v_and_b32_e32 v48, 0xfc, v48
	v_sub_nc_u32_e32 v47, v44, v47
	v_cmp_gt_u32_e32 vcc_lo, 4, v19
	v_lshrrev_b32_e32 v46, 1, v46
	v_mul_u32_u24_e32 v44, 0x84, v19
	v_add3_u32 v48, v49, v48, 0x4400
	v_mul_lo_u32 v45, v47, s8
	v_cmp_gt_i32_e64 s0, s7, v47
	v_and_b32_e32 v57, 0xfc, v46
	v_add3_u32 v46, v49, v56, 0x4800
	v_lshl_add_u32 v50, v50, 4, 0x4e40
	v_add_nc_u32_e32 v51, 0x4a40, v51
	v_add_nc_u32_e32 v52, v52, v53
	v_add3_u32 v47, v49, v57, 0x4600
	v_add3_u32 v49, v49, v58, 0x4200
	v_dual_mov_b32 v53, 0 :: v_dual_add_nc_u32 v56, v54, v55
	v_dual_mov_b32 v54, 0 :: v_dual_mov_b32 v55, 0
	s_branch .LBB206_5
.LBB206_4:                              ;   in Loop: Header=BB206_5 Depth=1
	s_add_i32 s14, s14, 4
	s_delay_alu instid0(SALU_CYCLE_1)
	s_cmp_ge_i32 s14, s4
	s_cbranch_scc1 .LBB206_13
.LBB206_5:                              ; =>This Loop Header: Depth=1
                                        ;     Child Loop BB206_11 Depth 2
	s_mul_i32 s1, s14, 34
	s_mul_hi_u32 s6, s14, 34
	s_add_u32 s18, s15, s1
	s_addc_u32 s19, s16, s6
	s_delay_alu instid0(SALU_CYCLE_1) | instskip(SKIP_1) | instid1(VALU_DEP_2)
	v_mad_u64_u32 v[57:58], null, v21, 34, s[18:19]
	v_mad_u64_u32 v[69:70], null, v38, 34, s[18:19]
	v_add_co_u32 v57, s1, v57, v22
	s_delay_alu instid0(VALU_DEP_1) | instskip(NEXT) | instid1(VALU_DEP_3)
	v_add_co_ci_u32_e64 v58, s1, 0, v58, s1
	v_mad_i64_i32 v[77:78], null, v40, 34, v[69:70]
	s_delay_alu instid0(VALU_DEP_3) | instskip(NEXT) | instid1(VALU_DEP_1)
	v_add_co_u32 v57, s1, v57, 2
	v_add_co_ci_u32_e64 v58, s1, 0, v58, s1
	s_lshl_b32 s1, s14, 5
	s_delay_alu instid0(SALU_CYCLE_1) | instskip(NEXT) | instid1(VALU_DEP_1)
	s_cmp_lt_i32 s1, s5
	v_mad_i64_i32 v[59:60], null, v23, 34, v[57:58]
	v_mad_i64_i32 v[61:62], null, v24, 34, v[57:58]
	;; [unrolled: 1-line block ×8, first 2 shown]
	s_clause 0x7
	global_load_b32 v79, v[59:60], off
	global_load_b32 v80, v[61:62], off
	;; [unrolled: 1-line block ×8, first 2 shown]
	v_mad_i64_i32 v[59:60], null, v41, 34, v[69:70]
	v_mad_i64_i32 v[61:62], null, v31, 34, v[57:58]
	;; [unrolled: 1-line block ×4, first 2 shown]
	s_clause 0x1
	global_load_u16 v76, v[77:78], off
	global_load_u16 v77, v[59:60], off
	v_mad_i64_i32 v[59:60], null, v34, 34, v[57:58]
	v_mad_i64_i32 v[67:68], null, v35, 34, v[57:58]
	;; [unrolled: 1-line block ×5, first 2 shown]
	s_clause 0x7
	global_load_b32 v57, v[61:62], off
	global_load_b32 v58, v[63:64], off
	;; [unrolled: 1-line block ×8, first 2 shown]
	s_waitcnt vmcnt(9)
	v_cvt_f32_f16_e32 v65, v76
	s_waitcnt vmcnt(8)
	v_cvt_f32_f16_e32 v66, v77
	ds_store_b32 v0, v79
	ds_store_b32 v52, v65
	;; [unrolled: 1-line block ×9, first 2 shown]
	s_waitcnt vmcnt(7)
	ds_store_b32 v8, v57
	s_waitcnt vmcnt(6)
	ds_store_b32 v9, v58
	;; [unrolled: 2-line block ×8, first 2 shown]
	ds_store_b32 v56, v66
	s_cbranch_scc0 .LBB206_4
; %bb.6:                                ;   in Loop: Header=BB206_5 Depth=1
	v_add_nc_u32_e32 v57, s14, v21
	s_delay_alu instid0(VALU_DEP_1) | instskip(NEXT) | instid1(VALU_DEP_1)
	v_cmp_gt_i32_e64 s1, s8, v57
	s_and_b32 s6, s0, s1
	s_delay_alu instid0(SALU_CYCLE_1)
	s_and_saveexec_b32 s1, s6
	s_cbranch_execz .LBB206_8
; %bb.7:                                ;   in Loop: Header=BB206_5 Depth=1
	v_add_nc_u32_e32 v59, v45, v57
	s_delay_alu instid0(VALU_DEP_1)
	v_mad_i64_i32 v[57:58], null, v59, 36, v[16:17]
	global_load_b32 v57, v[57:58], off offset:4
	s_waitcnt vmcnt(0)
	ds_store_b32 v42, v57
.LBB206_8:                              ;   in Loop: Header=BB206_5 Depth=1
	s_or_b32 exec_lo, exec_lo, s1
	v_or_b32_e32 v57, s14, v19
	s_delay_alu instid0(VALU_DEP_1) | instskip(NEXT) | instid1(VALU_DEP_1)
	v_cmp_gt_i32_e64 s1, s8, v57
	s_and_b32 s1, s0, s1
	s_delay_alu instid0(SALU_CYCLE_1) | instskip(NEXT) | instid1(SALU_CYCLE_1)
	s_and_b32 s6, vcc_lo, s1
	s_and_saveexec_b32 s1, s6
	s_cbranch_execz .LBB206_10
; %bb.9:                                ;   in Loop: Header=BB206_5 Depth=1
	v_add_nc_u32_e32 v59, v45, v57
	s_delay_alu instid0(VALU_DEP_1)
	v_mad_i64_i32 v[57:58], null, v59, 36, s[2:3]
	global_load_b32 v57, v[57:58], off
	s_waitcnt vmcnt(0)
	v_cvt_f32_f16_e32 v57, v57
	ds_store_b32 v43, v57
.LBB206_10:                             ;   in Loop: Header=BB206_5 Depth=1
	s_or_b32 exec_lo, exec_lo, s1
	v_dual_mov_b32 v57, v51 :: v_dual_mov_b32 v58, v50
	v_dual_mov_b32 v59, v49 :: v_dual_mov_b32 v60, v48
	;; [unrolled: 1-line block ×3, first 2 shown]
	v_mov_b32_e32 v63, v44
	s_mov_b32 s1, -8
	s_waitcnt lgkmcnt(0)
	s_barrier
	buffer_gl0_inv
.LBB206_11:                             ;   Parent Loop BB206_5 Depth=1
                                        ; =>  This Inner Loop Header: Depth=2
	ds_load_b128 v[64:67], v57
	ds_load_b128 v[68:71], v57 offset:16
	ds_load_2addr_b32 v[72:73], v63 offset0:2 offset1:3
	ds_load_2addr_b32 v[74:75], v63 offset0:4 offset1:5
	;; [unrolled: 1-line block ×3, first 2 shown]
	ds_load_b32 v104, v58
	ds_load_b32 v105, v59
	ds_load_b32 v106, v60
	ds_load_b32 v107, v61
	v_add_nc_u32_e32 v80, 0x1080, v63
	v_add_nc_u32_e32 v82, 0x2100, v63
	;; [unrolled: 1-line block ×3, first 2 shown]
	ds_load_2addr_b32 v[78:79], v63 offset1:1
	ds_load_2addr_b32 v[80:81], v80 offset1:1
	;; [unrolled: 1-line block ×4, first 2 shown]
	ds_load_b32 v108, v62
	v_add_nc_u32_e32 v86, 0x1088, v63
	v_add_nc_u32_e32 v88, 0x2108, v63
	;; [unrolled: 1-line block ×9, first 2 shown]
	ds_load_2addr_b32 v[86:87], v86 offset1:1
	ds_load_2addr_b32 v[88:89], v88 offset1:1
	;; [unrolled: 1-line block ×9, first 2 shown]
	v_add_nc_u32_e32 v63, 32, v63
	v_add_nc_u32_e32 v61, 4, v61
	v_add_nc_u32_e32 v62, 4, v62
	v_add_nc_u32_e32 v60, 4, v60
	v_add_nc_u32_e32 v58, 4, v58
	s_waitcnt lgkmcnt(13)
	v_dot4_i32_iu8 v78, v78, v64, 0 neg_lo:[1,1,0]
	s_waitcnt lgkmcnt(12)
	v_dot4_i32_iu8 v80, v80, v64, 0 neg_lo:[1,1,0]
	;; [unrolled: 2-line block ×4, first 2 shown]
	s_add_i32 s1, s1, 8
	v_dot4_i32_iu8 v78, v79, v65, v78 neg_lo:[1,1,0]
	v_dot4_i32_iu8 v79, v81, v65, v80 neg_lo:[1,1,0]
	;; [unrolled: 1-line block ×4, first 2 shown]
	s_cmp_lt_u32 s1, 24
	v_dot4_i32_iu8 v65, v72, v66, v78 neg_lo:[1,1,0]
	s_waitcnt lgkmcnt(8)
	v_dot4_i32_iu8 v72, v86, v66, v79 neg_lo:[1,1,0]
	s_waitcnt lgkmcnt(7)
	;; [unrolled: 2-line block ×3, first 2 shown]
	v_dot4_i32_iu8 v64, v90, v66, v64 neg_lo:[1,1,0]
	v_dot4_i32_iu8 v65, v73, v67, v65 neg_lo:[1,1,0]
	;; [unrolled: 1-line block ×4, first 2 shown]
	s_delay_alu instid0(VALU_DEP_4) | instskip(NEXT) | instid1(VALU_DEP_4)
	v_dot4_i32_iu8 v64, v91, v67, v64 neg_lo:[1,1,0]
	v_dot4_i32_iu8 v65, v74, v68, v65 neg_lo:[1,1,0]
	s_waitcnt lgkmcnt(5)
	v_dot4_i32_iu8 v66, v92, v68, v66 neg_lo:[1,1,0]
	s_waitcnt lgkmcnt(3)
	v_dot4_i32_iu8 v67, v96, v68, v72 neg_lo:[1,1,0]
	s_waitcnt lgkmcnt(1)
	v_dot4_i32_iu8 v64, v100, v68, v64 neg_lo:[1,1,0]
	v_mul_f32_e32 v68, v104, v105
	v_dot4_i32_iu8 v65, v75, v69, v65 neg_lo:[1,1,0]
	v_dot4_i32_iu8 v66, v93, v69, v66 neg_lo:[1,1,0]
	;; [unrolled: 1-line block ×4, first 2 shown]
	v_mul_f32_e32 v69, v104, v106
	v_dot4_i32_iu8 v65, v76, v70, v65 neg_lo:[1,1,0]
	v_dot4_i32_iu8 v66, v94, v70, v66 neg_lo:[1,1,0]
	;; [unrolled: 1-line block ×3, first 2 shown]
	s_waitcnt lgkmcnt(0)
	v_dot4_i32_iu8 v64, v102, v70, v64 neg_lo:[1,1,0]
	v_mul_f32_e32 v70, v104, v107
	v_dot4_i32_iu8 v65, v77, v71, v65 neg_lo:[1,1,0]
	v_dot4_i32_iu8 v66, v95, v71, v66 neg_lo:[1,1,0]
	;; [unrolled: 1-line block ×4, first 2 shown]
	v_mul_f32_e32 v71, v104, v108
	v_cvt_f32_i32_e32 v65, v65
	v_cvt_f32_i32_e32 v66, v66
	;; [unrolled: 1-line block ×4, first 2 shown]
	s_delay_alu instid0(VALU_DEP_4) | instskip(NEXT) | instid1(VALU_DEP_3)
	v_dual_fmac_f32 v20, v68, v65 :: v_dual_add_nc_u32 v59, 4, v59
	v_dual_fmac_f32 v54, v70, v67 :: v_dual_add_nc_u32 v57, 32, v57
	v_fmac_f32_e32 v53, v69, v66
	s_delay_alu instid0(VALU_DEP_4)
	v_fmac_f32_e32 v55, v71, v64
	s_cbranch_scc1 .LBB206_11
; %bb.12:                               ;   in Loop: Header=BB206_5 Depth=1
	s_barrier
	buffer_gl0_inv
	s_branch .LBB206_4
.LBB206_13:
	v_cvt_f16_f32_e32 v5, v20
	v_cvt_f16_f32_e32 v3, v53
	;; [unrolled: 1-line block ×4, first 2 shown]
.LBB206_14:
	s_mul_i32 s0, s10, s7
	s_waitcnt vmcnt(0)
	v_cmp_gt_i32_e32 vcc_lo, s0, v18
	s_and_saveexec_b32 s0, vcc_lo
	s_cbranch_execz .LBB206_23
; %bb.15:
	v_mul_lo_u32 v1, v18, s9
	v_add_nc_u32_e32 v4, s11, v19
	s_mov_b32 s0, exec_lo
	s_delay_alu instid0(VALU_DEP_1)
	v_cmpx_gt_u32_e64 s9, v4
	s_cbranch_execz .LBB206_17
; %bb.16:
	s_delay_alu instid0(VALU_DEP_3) | instskip(NEXT) | instid1(VALU_DEP_1)
	v_dual_mov_b32 v7, 0 :: v_dual_add_nc_u32 v6, v1, v4
	v_lshlrev_b64 v[6:7], 1, v[6:7]
	s_delay_alu instid0(VALU_DEP_1) | instskip(NEXT) | instid1(VALU_DEP_2)
	v_add_co_u32 v6, vcc_lo, s12, v6
	v_add_co_ci_u32_e32 v7, vcc_lo, s13, v7, vcc_lo
	global_store_b16 v[6:7], v5, off
.LBB206_17:
	s_or_b32 exec_lo, exec_lo, s0
	v_add_nc_u32_e32 v5, 32, v4
	s_mov_b32 s0, exec_lo
	s_delay_alu instid0(VALU_DEP_1)
	v_cmpx_gt_u32_e64 s9, v5
	s_cbranch_execz .LBB206_19
; %bb.18:
	v_dual_mov_b32 v6, 0 :: v_dual_add_nc_u32 v5, v1, v5
	s_delay_alu instid0(VALU_DEP_1) | instskip(NEXT) | instid1(VALU_DEP_1)
	v_lshlrev_b64 v[5:6], 1, v[5:6]
	v_add_co_u32 v5, vcc_lo, s12, v5
	s_delay_alu instid0(VALU_DEP_2)
	v_add_co_ci_u32_e32 v6, vcc_lo, s13, v6, vcc_lo
	global_store_b16 v[5:6], v3, off
.LBB206_19:
	s_or_b32 exec_lo, exec_lo, s0
	v_add_nc_u32_e32 v3, 64, v4
	s_mov_b32 s0, exec_lo
	s_delay_alu instid0(VALU_DEP_1)
	v_cmpx_gt_u32_e64 s9, v3
	s_cbranch_execz .LBB206_21
; %bb.20:
	v_dual_mov_b32 v6, 0 :: v_dual_add_nc_u32 v5, v1, v3
	s_delay_alu instid0(VALU_DEP_1) | instskip(NEXT) | instid1(VALU_DEP_1)
	v_lshlrev_b64 v[5:6], 1, v[5:6]
	v_add_co_u32 v5, vcc_lo, s12, v5
	s_delay_alu instid0(VALU_DEP_2)
	v_add_co_ci_u32_e32 v6, vcc_lo, s13, v6, vcc_lo
	global_store_b16 v[5:6], v0, off
.LBB206_21:
	s_or_b32 exec_lo, exec_lo, s0
	v_add_nc_u32_e32 v0, 0x60, v4
	s_delay_alu instid0(VALU_DEP_1)
	v_cmp_gt_u32_e32 vcc_lo, s9, v0
	s_and_b32 exec_lo, exec_lo, vcc_lo
	s_cbranch_execz .LBB206_23
; %bb.22:
	v_dual_mov_b32 v1, 0 :: v_dual_add_nc_u32 v0, v1, v0
	s_delay_alu instid0(VALU_DEP_1) | instskip(NEXT) | instid1(VALU_DEP_1)
	v_lshlrev_b64 v[0:1], 1, v[0:1]
	v_add_co_u32 v0, vcc_lo, s12, v0
	s_delay_alu instid0(VALU_DEP_2)
	v_add_co_ci_u32_e32 v1, vcc_lo, s13, v1, vcc_lo
	global_store_b16 v[0:1], v2, off
.LBB206_23:
	s_nop 0
	s_sendmsg sendmsg(MSG_DEALLOC_VGPRS)
	s_endpgm
	.section	.rodata,"a",@progbits
	.p2align	6, 0x0
	.amdhsa_kernel _ZL8moe_q8_0IN3c104HalfELb1EEvPKvS3_PT_PKiS7_S7_iiiiiii
		.amdhsa_group_segment_fixed_size 20160
		.amdhsa_private_segment_fixed_size 0
		.amdhsa_kernarg_size 76
		.amdhsa_user_sgpr_count 14
		.amdhsa_user_sgpr_dispatch_ptr 0
		.amdhsa_user_sgpr_queue_ptr 0
		.amdhsa_user_sgpr_kernarg_segment_ptr 1
		.amdhsa_user_sgpr_dispatch_id 0
		.amdhsa_user_sgpr_private_segment_size 0
		.amdhsa_wavefront_size32 1
		.amdhsa_uses_dynamic_stack 0
		.amdhsa_enable_private_segment 0
		.amdhsa_system_sgpr_workgroup_id_x 1
		.amdhsa_system_sgpr_workgroup_id_y 1
		.amdhsa_system_sgpr_workgroup_id_z 0
		.amdhsa_system_sgpr_workgroup_info 0
		.amdhsa_system_vgpr_workitem_id 1
		.amdhsa_next_free_vgpr 109
		.amdhsa_next_free_sgpr 20
		.amdhsa_reserve_vcc 1
		.amdhsa_float_round_mode_32 0
		.amdhsa_float_round_mode_16_64 0
		.amdhsa_float_denorm_mode_32 3
		.amdhsa_float_denorm_mode_16_64 3
		.amdhsa_dx10_clamp 1
		.amdhsa_ieee_mode 1
		.amdhsa_fp16_overflow 0
		.amdhsa_workgroup_processor_mode 1
		.amdhsa_memory_ordered 1
		.amdhsa_forward_progress 0
		.amdhsa_shared_vgpr_count 0
		.amdhsa_exception_fp_ieee_invalid_op 0
		.amdhsa_exception_fp_denorm_src 0
		.amdhsa_exception_fp_ieee_div_zero 0
		.amdhsa_exception_fp_ieee_overflow 0
		.amdhsa_exception_fp_ieee_underflow 0
		.amdhsa_exception_fp_ieee_inexact 0
		.amdhsa_exception_int_div_zero 0
	.end_amdhsa_kernel
	.section	.text._ZL8moe_q8_0IN3c104HalfELb1EEvPKvS3_PT_PKiS7_S7_iiiiiii,"axG",@progbits,_ZL8moe_q8_0IN3c104HalfELb1EEvPKvS3_PT_PKiS7_S7_iiiiiii,comdat
.Lfunc_end206:
	.size	_ZL8moe_q8_0IN3c104HalfELb1EEvPKvS3_PT_PKiS7_S7_iiiiiii, .Lfunc_end206-_ZL8moe_q8_0IN3c104HalfELb1EEvPKvS3_PT_PKiS7_S7_iiiiiii
                                        ; -- End function
	.section	.AMDGPU.csdata,"",@progbits
; Kernel info:
; codeLenInByte = 3148
; NumSgprs: 22
; NumVgprs: 109
; ScratchSize: 0
; MemoryBound: 0
; FloatMode: 240
; IeeeMode: 1
; LDSByteSize: 20160 bytes/workgroup (compile time only)
; SGPRBlocks: 2
; VGPRBlocks: 13
; NumSGPRsForWavesPerEU: 22
; NumVGPRsForWavesPerEU: 109
; Occupancy: 12
; WaveLimiterHint : 1
; COMPUTE_PGM_RSRC2:SCRATCH_EN: 0
; COMPUTE_PGM_RSRC2:USER_SGPR: 14
; COMPUTE_PGM_RSRC2:TRAP_HANDLER: 0
; COMPUTE_PGM_RSRC2:TGID_X_EN: 1
; COMPUTE_PGM_RSRC2:TGID_Y_EN: 1
; COMPUTE_PGM_RSRC2:TGID_Z_EN: 0
; COMPUTE_PGM_RSRC2:TIDIG_COMP_CNT: 1
	.section	.text._ZL8moe_q2_KIN3c104HalfELb0EEvPKvS3_PT_PKiS7_S7_iiiiiii,"axG",@progbits,_ZL8moe_q2_KIN3c104HalfELb0EEvPKvS3_PT_PKiS7_S7_iiiiiii,comdat
	.globl	_ZL8moe_q2_KIN3c104HalfELb0EEvPKvS3_PT_PKiS7_S7_iiiiiii ; -- Begin function _ZL8moe_q2_KIN3c104HalfELb0EEvPKvS3_PT_PKiS7_S7_iiiiiii
	.p2align	8
	.type	_ZL8moe_q2_KIN3c104HalfELb0EEvPKvS3_PT_PKiS7_S7_iiiiiii,@function
_ZL8moe_q2_KIN3c104HalfELb0EEvPKvS3_PT_PKiS7_S7_iiiiiii: ; @_ZL8moe_q2_KIN3c104HalfELb0EEvPKvS3_PT_PKiS7_S7_iiiiiii
; %bb.0:
	s_load_b128 s[4:7], s[0:1], 0x18
	s_mov_b32 s2, s15
	s_mov_b32 s3, 0
	s_delay_alu instid0(SALU_CYCLE_1)
	s_lshl_b64 s[8:9], s[2:3], 2
	s_waitcnt lgkmcnt(0)
	s_add_u32 s6, s6, s8
	s_addc_u32 s7, s7, s9
	s_load_b32 s12, s[6:7], 0x0
	s_waitcnt lgkmcnt(0)
	s_cmpk_gt_u32 s12, 0xff
	s_cbranch_scc1 .LBB207_51
; %bb.1:
	s_load_b64 s[6:7], s[0:1], 0x28
	s_lshl_b32 s2, s2, 3
	s_waitcnt lgkmcnt(0)
	s_load_b32 s3, s[6:7], 0x0
	s_waitcnt lgkmcnt(0)
	s_cmp_gt_u32 s2, s3
	s_cbranch_scc1 .LBB207_51
; %bb.2:
	v_bfe_u32 v3, v0, 10, 10
	v_mov_b32_e32 v2, 0
	s_lshl_b32 s18, s14, 7
	s_mov_b32 s19, 0
	s_delay_alu instid0(VALU_DEP_2) | instskip(SKIP_2) | instid1(VALU_DEP_3)
	v_add_nc_u32_e32 v1, s2, v3
	v_and_b32_e32 v156, 0x3ff, v0
	v_mov_b32_e32 v0, v2
	v_lshlrev_b64 v[4:5], 2, v[1:2]
	s_delay_alu instid0(VALU_DEP_1) | instskip(NEXT) | instid1(VALU_DEP_2)
	v_add_co_u32 v4, vcc_lo, s4, v4
	v_add_co_ci_u32_e32 v5, vcc_lo, s5, v5, vcc_lo
	global_load_b32 v10, v[4:5], off
	v_mov_b32_e32 v5, v2
	s_clause 0x2
	s_load_b64 s[10:11], s[0:1], 0x30
	s_load_b64 s[8:9], s[0:1], 0x10
	s_load_b128 s[4:7], s[0:1], 0x3c
	v_mov_b32_e32 v4, v2
	s_waitcnt lgkmcnt(0)
	s_cmpk_lt_i32 s11, 0x100
	s_cbranch_scc1 .LBB207_42
; %bb.3:
	s_load_b128 s[0:3], s[0:1], 0x0
	v_dual_mov_b32 v12, 0 :: v_dual_lshlrev_b32 v1, 4, v3
	v_lshrrev_b32_e32 v2, 1, v156
	v_lshlrev_b32_e32 v4, 2, v3
	v_lshrrev_b32_e32 v8, 3, v156
	s_ashr_i32 s14, s11, 31
	v_and_b32_e32 v16, 1, v156
	v_add_nc_u32_e32 v2, v2, v1
	s_mul_i32 s16, s12, s10
	v_add_nc_u32_e32 v8, v8, v4
	s_lshr_b32 s10, s14, 24
	s_ashr_i32 s15, s5, 31
	s_add_i32 s10, s11, s10
	s_lshr_b32 s14, s15, 27
	v_and_b32_e32 v5, 7, v156
	v_lshlrev_b32_e32 v7, 2, v16
	v_and_b32_e32 v50, 0x7f, v2
	v_lshrrev_b32_e32 v2, 2, v2
	v_add_nc_u32_e32 v55, 32, v8
	s_ashr_i32 s10, s10, 8
	s_add_i32 s5, s5, s14
	s_mul_i32 s14, s10, s18
	s_ashr_i32 s15, s16, 31
	s_ashr_i32 s5, s5, 5
	s_mul_hi_i32 s17, s14, 0x54
	s_mulk_i32 s14, 0x54
	s_waitcnt lgkmcnt(0)
	s_add_u32 s0, s0, s16
	v_cmp_lt_u32_e32 vcc_lo, 3, v5
	v_lshlrev_b32_e32 v5, 2, v5
	v_add_nc_u32_e32 v56, 64, v8
	v_lshl_or_b32 v7, v50, 3, v7
	v_and_b32_e32 v2, 28, v2
	v_and_b32_e32 v57, 0x3ffc, v55
	s_addc_u32 s1, s1, s15
	s_add_u32 s20, s0, s14
	s_addc_u32 s21, s1, s17
	s_lshl_b32 s0, s10, 3
	v_add3_u32 v36, v7, v2, 0x5280
	v_mad_i32_i24 v22, s10, v3, s0
	v_add3_u32 v7, v57, v5, 0x4200
	v_and_b32_e32 v57, 0x3ffc, v56
	v_and_b32_e32 v51, 0x1ffc, v8
	v_lshlrev_b32_e32 v91, 5, v56
	v_add_nc_u32_e32 v19, s0, v22
	s_abs_i32 s14, s7
	v_add3_u32 v90, v57, v5, 0x4200
	v_add3_u32 v88, v51, v5, 0x4200
	v_cvt_f32_u32_e32 v9, s14
	s_sub_i32 s15, 0, s14
	v_mul_i32_i24_e32 v11, s10, v8
	v_dual_mov_b32 v90, 0 :: v_dual_add_nc_u32 v51, v90, v91
	v_add_nc_u32_e32 v21, s0, v19
	v_rcp_iflag_f32_e32 v9, v9
	v_lshlrev_b32_e32 v0, 2, v156
	scratch_store_b32 off, v11, off         ; 4-byte Folded Spill
	s_waitcnt vmcnt(0)
	scratch_store_b32 off, v10, off offset:92 ; 4-byte Folded Spill
	v_add_nc_u32_e32 v24, s0, v21
	v_sub_nc_u32_e32 v6, 0, v10
	v_mul_i32_i24_e32 v43, s10, v3
	v_lshlrev_b32_e32 v87, 5, v8
	v_and_b32_e32 v57, 31, v156
	v_add_nc_u32_e32 v29, s0, v24
	v_mul_f32_e32 v9, 0x4f7ffffe, v9
	v_max_i32_e32 v6, v10, v6
	v_mad_u32_u24 v31, 0x84, v3, v0
	v_lshlrev_b32_e32 v3, 7, v3
	v_add_nc_u32_e32 v34, s0, v29
	v_cvt_u32_f32_e32 v9, v9
	v_and_b32_e32 v39, 60, v0
	v_and_b32_e32 v42, 12, v0
	;; [unrolled: 1-line block ×3, first 2 shown]
	v_add_nc_u32_e32 v37, s0, v34
	v_mul_lo_u32 v54, s15, v9
	s_lshl_b32 s15, s10, 5
	v_lshl_or_b32 v57, v57, 2, v3
	v_mad_i32_i24 v33, s10, v8, s15
	v_add_nc_u32_e32 v41, s0, v37
	v_add_nc_u32_e32 v8, 0x60, v8
	v_or_b32_e32 v4, v4, v156
	v_xor_b32_e32 v60, s7, v10
	v_mul_hi_u32 v2, v9, v54
	v_add_nc_u32_e32 v45, s0, v41
	v_lshlrev_b32_e32 v92, 5, v8
	v_add_nc_u32_e32 v75, 32, v156
	v_ashrrev_i32_e32 v62, 31, v60
	v_add_nc_u32_e32 v72, 0x60, v156
	v_add_nc_u32_e32 v47, s0, v45
	v_lshrrev_b32_e32 v14, 4, v156
	v_add_nc_u32_e32 v2, v9, v2
	v_and_b32_e32 v9, 0x3ffc, v8
	v_lshrrev_b32_e32 v63, 2, v75
	v_add_nc_u32_e32 v26, s0, v47
	v_lshrrev_b32_e32 v64, 2, v72
	v_mul_hi_u32 v2, v6, v2
	v_add3_u32 v5, v9, v5, 0x4200
	v_and_b32_e32 v63, 0x7c, v63
	v_add_nc_u32_e32 v11, s0, v26
	v_add_nc_u32_e32 v74, 64, v156
	v_lshlrev_b32_e32 v61, 2, v14
	v_lshlrev_b32_e32 v89, 5, v55
	v_add_nc_u32_e32 v35, s15, v33
	v_add_nc_u32_e32 v30, s0, v11
	v_mul_lo_u32 v59, v2, s14
	v_lshlrev_b32_e32 v65, 3, v74
	v_lshlrev_b32_e32 v73, 5, v156
	v_and_b32_e32 v76, 0xfc, v156
	v_add_nc_u32_e32 v32, s0, v30
	s_movk_i32 s12, 0x1080
	s_movk_i32 s13, 0x2100
	;; [unrolled: 1-line block ×3, first 2 shown]
	v_cndmask_b32_e64 v40, 0, 1, vcc_lo
	v_add_nc_u32_e32 v38, s0, v32
	v_add_co_u32 v8, s0, s2, v0
	s_delay_alu instid0(VALU_DEP_1)
	v_add_co_ci_u32_e64 v9, null, s3, 0, s0
	v_add_nc_u32_e32 v0, 0x56a0, v57
	v_add_nc_u32_e32 v44, 0x420, v31
	;; [unrolled: 1-line block ×3, first 2 shown]
	scratch_store_b64 off, v[8:9], off offset:60 ; 8-byte Folded Spill
	v_add_nc_u32_e32 v49, 0xc60, v31
	scratch_store_b32 off, v0, off offset:68 ; 4-byte Folded Spill
	v_lshl_add_u32 v0, v4, 2, 0x5aa0
	v_lshlrev_b32_e32 v4, 3, v156
	v_add_nc_u32_e32 v52, 0x1080, v31
	v_add_nc_u32_e32 v17, 0x14a0, v31
	;; [unrolled: 1-line block ×3, first 2 shown]
	scratch_store_b32 off, v0, off offset:76 ; 4-byte Folded Spill
	v_sub_nc_u32_e32 v0, v6, v59
	v_add_nc_u32_e32 v6, 1, v2
	v_add3_u32 v60, v61, v4, 0x5280
	v_lshrrev_b32_e32 v4, 2, v74
	v_mad_u32_u24 v61, 0x84, v156, s12
	v_subrev_nc_u32_e32 v59, s14, v0
	v_cmp_le_u32_e64 s0, s14, v0
	s_add_u32 s12, s2, 0x90
	v_and_b32_e32 v4, 0x7c, v4
	v_add_nc_u32_e32 v13, 0x1ce0, v31
	v_add_nc_u32_e32 v23, 0x2100, v31
	v_cndmask_b32_e64 v2, v2, v6, s0
	v_cndmask_b32_e64 v0, v0, v59, s0
	v_lshlrev_b32_e32 v6, 3, v75
	v_add_nc_u32_e32 v25, 0x2520, v31
	v_add_nc_u32_e32 v93, 0x2940, v31
	;; [unrolled: 1-line block ×3, first 2 shown]
	v_cmp_le_u32_e64 s0, s14, v0
	v_add_nc_u32_e32 v15, 0x2d60, v31
	v_add_nc_u32_e32 v48, 0x3180, v31
	;; [unrolled: 1-line block ×4, first 2 shown]
	v_cndmask_b32_e64 v0, v2, v59, s0
	v_lshlrev_b32_e32 v2, 3, v72
	v_add_nc_u32_e32 v28, 0x3de0, v31
	v_mul_i32_i24_e32 v20, s10, v50
	v_add_nc_u32_e32 v50, s15, v35
	v_xor_b32_e32 v0, v0, v62
	v_cmp_gt_u32_e32 vcc_lo, 4, v156
	v_mul_u32_u24_e32 v59, 0x84, v156
	v_add3_u32 v65, v65, v4, 0x5280
	v_mad_u32_u24 v66, 0x84, v156, s1
	v_sub_nc_u32_e32 v0, v0, v62
	v_add3_u32 v62, v6, v63, 0x5280
	v_and_b32_e32 v6, 0x7c, v64
	v_mad_u32_u24 v63, 0x84, v156, s13
	s_addc_u32 s13, s3, 0
	v_mul_lo_u32 v8, v0, s5
	v_cmp_gt_i32_e64 s0, s4, v0
	v_add3_u32 v67, v2, v6, 0x5280
	v_lshrrev_b32_e32 v2, 3, v75
	v_and_b32_e32 v75, 0x1fc, v75
	s_add_u32 s14, s2, 0x120
	v_add_nc_u32_e32 v82, 0x4208, v76
	v_add_nc_u32_e32 v86, v73, v76
	v_ashrrev_i32_e32 v0, 31, v8
	v_add_nc_u32_e32 v81, 0x4608, v75
	v_add_nc_u32_e32 v85, v73, v75
	;; [unrolled: 1-line block ×4, first 2 shown]
	scratch_store_b32 off, v0, off offset:84 ; 4-byte Folded Spill
	v_add_nc_u32_e32 v0, 0x56a0, v3
	scratch_store_b32 off, v8, off offset:12 ; 4-byte Folded Spill
	v_dual_mov_b32 v91, 0 :: v_dual_add_nc_u32 v54, v5, v92
	v_mov_b32_e32 v92, 0
	scratch_store_b32 off, v0, off offset:4 ; 4-byte Folded Spill
	v_add_nc_u32_e32 v0, 0x5aa0, v1
	scratch_store_b32 off, v2, off offset:72 ; 4-byte Folded Spill
	v_lshrrev_b32_e32 v2, 3, v74
	v_and_b32_e32 v74, 0x1fc, v74
	s_addc_u32 s15, s3, 0
	scratch_store_b32 off, v0, off offset:8 ; 4-byte Folded Spill
	s_add_u32 s16, s2, 0x1b0
	scratch_store_b32 off, v2, off offset:80 ; 4-byte Folded Spill
	v_lshrrev_b32_e32 v2, 3, v72
	v_and_b32_e32 v72, 0x1fc, v72
	v_add_nc_u32_e32 v80, 0x4a08, v74
	v_add_nc_u32_e32 v84, v73, v74
	s_addc_u32 s17, s3, 0
	scratch_store_b32 off, v2, off offset:88 ; 4-byte Folded Spill
	v_add_nc_u32_e32 v79, 0x4e08, v72
	v_add_nc_u32_e32 v83, v73, v72
	s_clause 0xa
	scratch_store_b32 off, v31, off offset:16
	scratch_store_b32 off, v32, off offset:20
	;; [unrolled: 1-line block ×11, first 2 shown]
	s_branch .LBB207_7
.LBB207_4:                              ;   in Loop: Header=BB207_7 Depth=1
	v_dual_mov_b32 v17, v54 :: v_dual_mov_b32 v18, v56
	v_dual_mov_b32 v22, v87 :: v_dual_mov_b32 v23, v88
	v_dual_mov_b32 v25, v89 :: v_dual_mov_b32 v26, v50
	v_mov_b32_e32 v27, v51
.LBB207_5:                              ;   in Loop: Header=BB207_7 Depth=1
	v_mov_b32_e32 v28, v55
	v_mov_b32_e32 v30, v9
	s_clause 0xa
	scratch_load_b32 v31, off, off offset:16
	scratch_load_b32 v32, off, off offset:20
	;; [unrolled: 1-line block ×11, first 2 shown]
.LBB207_6:                              ;   in Loop: Header=BB207_7 Depth=1
	s_add_i32 s19, s19, 2
	s_delay_alu instid0(SALU_CYCLE_1)
	s_cmp_ge_i32 s19, s10
	s_cbranch_scc1 .LBB207_41
.LBB207_7:                              ; =>This Loop Header: Depth=1
                                        ;     Child Loop BB207_14 Depth 2
                                        ;     Child Loop BB207_22 Depth 2
	;; [unrolled: 1-line block ×4, first 2 shown]
	s_mul_i32 s1, s19, 0x54
	s_mul_hi_u32 s23, s19, 0x54
	s_add_u32 s22, s20, s1
	s_addc_u32 s23, s21, s23
	s_delay_alu instid0(SALU_CYCLE_1) | instskip(SKIP_1) | instid1(VALU_DEP_2)
	v_mad_u64_u32 v[0:1], null, 0x54, v14, s[22:23]
	v_mad_u64_u32 v[104:105], null, 0x54, v20, s[22:23]
	v_add_co_u32 v0, s1, v0, v39
	s_delay_alu instid0(VALU_DEP_1) | instskip(NEXT) | instid1(VALU_DEP_2)
	v_add_co_ci_u32_e64 v1, s1, 0, v1, s1
	v_add_co_u32 v0, s1, v0, 16
	s_delay_alu instid0(VALU_DEP_1) | instskip(NEXT) | instid1(VALU_DEP_1)
	v_add_co_ci_u32_e64 v1, s1, 0, v1, s1
	v_mad_u64_u32 v[2:3], null, 0x54, v43, v[0:1]
	v_mad_u64_u32 v[4:5], null, 0x54, v22, v[0:1]
	;; [unrolled: 1-line block ×8, first 2 shown]
	s_clause 0x7
	global_load_b32 v114, v[2:3], off
	global_load_b32 v115, v[4:5], off
	;; [unrolled: 1-line block ×8, first 2 shown]
	scratch_load_b32 v8, off, off           ; 4-byte Folded Reload
	v_mad_u64_u32 v[98:99], null, 0x54, v40, s[22:23]
	v_mad_u64_u32 v[2:3], null, 0x54, v41, v[0:1]
	v_mad_u64_u32 v[4:5], null, 0x54, v45, v[0:1]
	v_mad_u64_u32 v[6:7], null, 0x54, v47, v[0:1]
	s_delay_alu instid0(VALU_DEP_4)
	v_add_co_u32 v98, s1, v98, v42
	v_mad_u64_u32 v[94:95], null, 0x54, v26, v[0:1]
	v_add_co_ci_u32_e64 v99, s1, 0, v99, s1
	v_mad_u64_u32 v[96:97], null, 0x54, v11, v[0:1]
	v_mad_u64_u32 v[100:101], null, 0x54, v30, v[0:1]
	s_waitcnt vmcnt(18)
	v_mad_u64_u32 v[102:103], null, 0x54, v32, v[0:1]
	s_waitcnt vmcnt(14)
	v_mad_u64_u32 v[106:107], null, 0x54, v38, v[0:1]
	v_mad_u64_u32 v[0:1], null, 0x54, v16, v[104:105]
	;; [unrolled: 1-line block ×4, first 2 shown]
	s_waitcnt vmcnt(13)
	v_mad_u64_u32 v[112:113], null, 0x54, v50, v[98:99]
	s_lshl_b32 s23, s19, 8
	s_delay_alu instid0(SALU_CYCLE_1)
	s_cmp_lt_i32 s23, s11
	s_waitcnt vmcnt(0)
	v_mad_u64_u32 v[104:105], null, 0x54, v8, v[98:99]
	s_clause 0xc
	global_load_b32 v2, v[2:3], off
	global_load_b32 v3, v[4:5], off
	;; [unrolled: 1-line block ×8, first 2 shown]
	global_load_b32 v0, v[0:1], off offset:80
	global_load_b32 v1, v[104:105], off
	global_load_b32 v96, v[108:109], off
	;; [unrolled: 1-line block ×4, first 2 shown]
	ds_store_b32 v31, v114
	ds_store_b32 v44, v115
	;; [unrolled: 1-line block ×8, first 2 shown]
	s_waitcnt vmcnt(12)
	ds_store_b32 v23, v2
	s_waitcnt vmcnt(11)
	ds_store_b32 v25, v3
	;; [unrolled: 2-line block ×13, first 2 shown]
	s_cbranch_scc0 .LBB207_6
; %bb.8:                                ;   in Loop: Header=BB207_7 Depth=1
	v_lshrrev_b32_e32 v0, 3, v156
	s_lshl_b32 s22, s19, 3
	s_delay_alu instid0(VALU_DEP_1) | instid1(SALU_CYCLE_1)
	v_add_nc_u32_e32 v0, s22, v0
	s_delay_alu instid0(VALU_DEP_1) | instskip(NEXT) | instid1(VALU_DEP_1)
	v_cmp_gt_i32_e64 s1, s5, v0
	s_and_b32 s24, s0, s1
	s_delay_alu instid0(SALU_CYCLE_1)
	s_and_saveexec_b32 s1, s24
	s_cbranch_execz .LBB207_10
; %bb.9:                                ;   in Loop: Header=BB207_7 Depth=1
	s_clause 0x1
	scratch_load_b32 v1, off, off offset:12
	scratch_load_b64 v[3:4], off, off offset:60
	s_waitcnt vmcnt(1)
	v_add_nc_u32_e32 v2, v1, v0
	s_waitcnt vmcnt(0)
	s_delay_alu instid0(VALU_DEP_1)
	v_mad_i64_i32 v[0:1], null, v2, 36, v[3:4]
	global_load_b32 v0, v[0:1], off offset:4
	scratch_load_b32 v1, off, off offset:68 ; 4-byte Folded Reload
	s_waitcnt vmcnt(0)
	ds_store_b32 v1, v0
.LBB207_10:                             ;   in Loop: Header=BB207_7 Depth=1
	s_or_b32 exec_lo, exec_lo, s1
	v_dual_mov_b32 v9, v30 :: v_dual_mov_b32 v88, v23
	v_dual_mov_b32 v55, v28 :: v_dual_mov_b32 v50, v26
	v_dual_mov_b32 v51, v27 :: v_dual_mov_b32 v56, v18
	v_mov_b32_e32 v89, v25
	v_dual_mov_b32 v87, v22 :: v_dual_mov_b32 v54, v17
	s_and_saveexec_b32 s24, vcc_lo
	s_cbranch_execz .LBB207_13
; %bb.11:                               ;   in Loop: Header=BB207_7 Depth=1
	v_or_b32_e32 v0, s22, v156
	s_delay_alu instid0(VALU_DEP_1) | instskip(NEXT) | instid1(VALU_DEP_1)
	v_cmp_gt_i32_e64 s1, s5, v0
	s_and_b32 s1, s0, s1
	s_delay_alu instid0(SALU_CYCLE_1)
	s_and_b32 exec_lo, exec_lo, s1
	s_cbranch_execz .LBB207_13
; %bb.12:                               ;   in Loop: Header=BB207_7 Depth=1
	scratch_load_b32 v1, off, off offset:12 ; 4-byte Folded Reload
	s_waitcnt vmcnt(0)
	v_add_nc_u32_e32 v2, v1, v0
	s_delay_alu instid0(VALU_DEP_1)
	v_mad_i64_i32 v[0:1], null, v2, 36, s[2:3]
	global_load_b32 v0, v[0:1], off
	scratch_load_b32 v1, off, off offset:76 ; 4-byte Folded Reload
	s_waitcnt vmcnt(1)
	v_cvt_f32_f16_e32 v0, v0
	s_waitcnt vmcnt(0)
	ds_store_b32 v1, v0
.LBB207_13:                             ;   in Loop: Header=BB207_7 Depth=1
	s_or_b32 exec_lo, exec_lo, s24
	s_waitcnt lgkmcnt(0)
	s_waitcnt_vscnt null, 0x0
	s_clause 0x1
	scratch_load_b32 v94, off, off offset:8
	scratch_load_b32 v95, off, off offset:4
	v_mov_b32_e32 v8, v156
	s_mov_b32 s1, 0
	s_mov_b32 s25, -2
	s_waitcnt vmcnt(0)
	s_barrier
	buffer_gl0_inv
.LBB207_14:                             ;   Parent Loop BB207_7 Depth=1
                                        ; =>  This Inner Loop Header: Depth=2
	ds_load_b32 v96, v94
	ds_load_b128 v[4:7], v95
	ds_load_b128 v[0:3], v95 offset:16
	s_and_b32 s26, s1, -16
	s_add_i32 s24, s25, 2
	v_add_nc_u32_e32 v97, s26, v73
	s_and_b32 s26, s24, 0x3ffffff8
	s_lshr_b32 s27, s24, 2
	s_lshl_b32 s26, s26, 2
	s_and_b32 s27, s27, 0x3ffffffc
	v_add_nc_u32_e32 v98, s26, v59
	v_add_nc_u32_e32 v100, s27, v60
	;; [unrolled: 1-line block ×8, first 2 shown]
	v_add3_u32 v106, v76, s25, v97
	v_add3_u32 v107, v75, s25, v97
	;; [unrolled: 1-line block ×4, first 2 shown]
	ds_load_2addr_b32 v[133:134], v98 offset1:1
	ds_load_2addr_b32 v[135:136], v98 offset0:2 offset1:3
	ds_load_2addr_b32 v[137:138], v98 offset0:4 offset1:5
	;; [unrolled: 1-line block ×6, first 2 shown]
	ds_load_b32 v97, v99
	ds_load_2addr_b32 v[147:148], v102 offset1:1
	ds_load_2addr_b32 v[149:150], v102 offset0:2 offset1:3
	ds_load_2addr_b32 v[151:152], v102 offset0:4 offset1:5
	;; [unrolled: 1-line block ×3, first 2 shown]
	ds_load_b32 v98, v103
	ds_load_2addr_b32 v[155:156], v104 offset1:1
	ds_load_2addr_b32 v[157:158], v104 offset0:2 offset1:3
	ds_load_2addr_b32 v[159:160], v104 offset0:4 offset1:5
	;; [unrolled: 1-line block ×3, first 2 shown]
	ds_load_b32 v99, v105
	ds_load_2addr_b32 v[163:164], v101 offset1:1
	ds_load_b32 v100, v100
	ds_load_u16 v165, v106 offset:16898
	ds_load_u16 v166, v107 offset:17922
	;; [unrolled: 1-line block ×4, first 2 shown]
	s_waitcnt lgkmcnt(25)
	v_bfe_i32 v129, v4, 0, 8
	v_bfe_i32 v126, v4, 8, 8
	;; [unrolled: 1-line block ×3, first 2 shown]
	v_ashrrev_i32_e32 v125, 24, v4
	v_bfe_i32 v4, v5, 0, 8
	v_bfe_i32 v123, v5, 8, 8
	;; [unrolled: 1-line block ×3, first 2 shown]
	v_ashrrev_i32_e32 v121, 24, v5
	s_waitcnt lgkmcnt(24)
	v_bfe_i32 v131, v0, 0, 8
	v_bfe_i32 v128, v0, 8, 8
	v_ashrrev_i32_e32 v114, 24, v0
	v_bfe_i32 v5, v1, 0, 8
	v_bfe_i32 v112, v1, 8, 8
	v_ashrrev_i32_e32 v109, 24, v1
	v_bfe_i32 v127, v6, 0, 8
	v_bfe_i32 v120, v6, 8, 8
	v_bfe_i32 v119, v6, 16, 8
	v_ashrrev_i32_e32 v118, 24, v6
	v_bfe_i32 v117, v7, 0, 8
	v_bfe_i32 v116, v7, 8, 8
	v_bfe_i32 v115, v7, 16, 8
	v_ashrrev_i32_e32 v111, 24, v7
	v_bfe_i32 v113, v0, 16, 8
	v_bfe_i32 v130, v2, 0, 8
	v_bfe_i32 v108, v2, 8, 8
	v_ashrrev_i32_e32 v106, 24, v2
	v_bfe_i32 v105, v3, 0, 8
	v_bfe_i32 v104, v3, 8, 8
	v_bfe_i32 v103, v3, 16, 8
	v_ashrrev_i32_e32 v102, 24, v3
	v_add_nc_u32_e32 v0, v109, v114
	v_add_nc_u32_e32 v3, v112, v128
	;; [unrolled: 1-line block ×7, first 2 shown]
	v_bfe_i32 v107, v2, 16, 8
	v_add3_u32 v2, v0, v106, v102
	v_add3_u32 v0, v3, v108, v104
	;; [unrolled: 1-line block ×7, first 2 shown]
	s_waitcnt lgkmcnt(23)
	v_ashrrev_i32_e32 v169, s24, v133
	v_ashrrev_i32_e32 v170, s24, v134
	s_waitcnt lgkmcnt(21)
	v_ashrrev_i32_e32 v137, s24, v137
	s_waitcnt lgkmcnt(20)
	;; [unrolled: 2-line block ×3, first 2 shown]
	v_ashrrev_i32_e32 v140, s24, v163
	v_ashrrev_i32_e32 v134, s24, v146
	;; [unrolled: 1-line block ×11, first 2 shown]
	v_bfe_i32 v110, v1, 16, 8
	v_ashrrev_i32_e32 v135, s24, v135
	v_ashrrev_i32_e32 v136, s24, v136
	v_ashrrev_i32_e32 v138, s24, v138
	v_ashrrev_i32_e32 v139, s24, v139
	v_ashrrev_i32_e32 v163, s24, v164
	v_ashrrev_i32_e32 v141, s24, v141
	v_ashrrev_i32_e32 v142, s24, v142
	v_ashrrev_i32_e32 v143, s24, v143
	v_ashrrev_i32_e32 v144, s24, v144
	v_ashrrev_i32_e32 v145, s24, v145
	v_ashrrev_i32_e32 v155, s24, v156
	v_ashrrev_i32_e32 v156, s24, v157
	v_ashrrev_i32_e32 v157, s24, v158
	v_ashrrev_i32_e32 v158, s24, v159
	v_ashrrev_i32_e32 v159, s24, v160
	v_ashrrev_i32_e32 v160, s24, v161
	v_ashrrev_i32_e32 v161, s24, v162
	s_waitcnt lgkmcnt(3)
	v_lshrrev_b16 v173, 8, v165
	v_bfe_u32 v174, v165, 4, 4
	s_waitcnt lgkmcnt(2)
	v_lshrrev_b16 v175, 8, v166
	v_bfe_u32 v176, v166, 4, 4
	;; [unrolled: 3-line block ×4, first 2 shown]
	v_and_b32_e32 v181, 3, v169
	v_and_b32_e32 v193, 3, v137
	;; [unrolled: 1-line block ×5, first 2 shown]
	v_add_nc_u32_e32 v1, v110, v113
	v_bfe_u32 v182, v169, 8, 2
	v_and_b32_e32 v184, 3, v170
	v_bfe_u32 v185, v170, 8, 2
	v_bfe_u32 v186, v170, 16, 2
	v_bfe_u32 v170, v170, 24, 2
	v_and_b32_e32 v187, 3, v135
	v_bfe_u32 v188, v135, 8, 2
	v_bfe_u32 v189, v135, 16, 2
	;; [unrolled: 4-line block ×3, first 2 shown]
	v_bfe_u32 v136, v136, 24, 2
	v_bfe_u32 v194, v137, 8, 2
	;; [unrolled: 1-line block ×4, first 2 shown]
	v_and_b32_e32 v196, 3, v138
	v_bfe_u32 v197, v138, 8, 2
	v_bfe_u32 v198, v138, 16, 2
	v_bfe_u32 v138, v138, 24, 2
	v_and_b32_e32 v199, 3, v139
	v_bfe_u32 v200, v139, 8, 2
	v_bfe_u32 v201, v139, 16, 2
	v_bfe_u32 v139, v139, 24, 2
	;; [unrolled: 4-line block ×4, first 2 shown]
	v_and_b32_e32 v213, 3, v147
	v_and_b32_e32 v214, 3, v155
	;; [unrolled: 1-line block ×9, first 2 shown]
	v_bfe_u32 v222, v141, 8, 2
	v_bfe_u32 v223, v141, 16, 2
	v_bfe_u32 v141, v141, 24, 2
	v_and_b32_e32 v224, 3, v142
	v_bfe_u32 v225, v142, 8, 2
	v_bfe_u32 v226, v142, 16, 2
	;; [unrolled: 1-line block ×4, first 2 shown]
	v_and_b32_e32 v228, 3, v145
	v_bfe_u32 v229, v146, 8, 2
	v_and_b32_e32 v230, 3, v148
	v_bfe_u32 v231, v150, 8, 2
	;; [unrolled: 2-line block ×5, first 2 shown]
	v_bfe_u32 v143, v143, 24, 2
	v_bfe_u32 v238, v144, 8, 2
	v_bfe_u32 v239, v144, 16, 2
	v_bfe_u32 v144, v144, 24, 2
	v_bfe_u32 v240, v145, 8, 2
	v_bfe_u32 v241, v145, 16, 2
	v_bfe_u32 v145, v145, 24, 2
	v_and_b32_e32 v242, 3, v134
	v_bfe_u32 v243, v134, 8, 2
	v_bfe_u32 v244, v134, 16, 2
	;; [unrolled: 1-line block ×10, first 2 shown]
	v_and_b32_e32 v252, 3, v149
	v_bfe_u32 v253, v149, 8, 2
	v_bfe_u32 v254, v149, 16, 2
	;; [unrolled: 1-line block ×12, first 2 shown]
	v_and_b32_e32 v10, 3, v157
	v_bfe_u32 v57, v157, 8, 2
	v_bfe_u32 v17, v152, 8, 2
	;; [unrolled: 1-line block ×9, first 2 shown]
	v_and_b32_e32 v22, 3, v153
	v_bfe_u32 v23, v159, 16, 2
	v_bfe_u32 v159, v159, 24, 2
	;; [unrolled: 1-line block ×6, first 2 shown]
	v_and_b32_e32 v28, 3, v161
	v_bfe_u32 v30, v161, 8, 2
	v_bfe_u32 v31, v153, 16, 2
	;; [unrolled: 1-line block ×7, first 2 shown]
	v_mul_lo_u32 v33, 0x1010101, v174
	v_and_b32_e32 v173, 0xffff, v173
	v_mul_lo_u32 v35, 0x1010101, v176
	v_and_b32_e32 v175, 0xffff, v175
	;; [unrolled: 2-line block ×3, first 2 shown]
	v_and_b32_e32 v179, 0xffff, v179
	v_mul_lo_u32 v38, 0x1010101, v180
	v_mul_i32_i24_e32 v174, v174, v132
	v_mul_i32_i24_e32 v176, v176, v132
	;; [unrolled: 1-line block ×9, first 2 shown]
	v_add3_u32 v1, v1, v107, v103
	v_mul_i32_i24_e32 v211, v215, v131
	v_mul_i32_i24_e32 v212, v216, v131
	;; [unrolled: 1-line block ×95, first 2 shown]
	v_lshrrev_b32_e32 v153, 4, v173
	v_lshrrev_b32_e32 v161, 4, v175
	;; [unrolled: 1-line block ×4, first 2 shown]
	v_bfe_u32 v183, v169, 16, 2
	v_bfe_u32 v169, v169, 24, 2
	;; [unrolled: 1-line block ×4, first 2 shown]
	v_mul_i32_i24_e32 v187, v187, v127
	v_mul_i32_i24_e32 v194, v194, v128
	v_mul_i32_i24_e32 v199, v199, v130
	v_mul_i32_i24_e32 v217, v228, v130
	v_mul_i32_i24_e32 v228, v231, v128
	v_mul_i32_i24_e32 v127, v234, v127
	v_mul_i32_i24_e32 v128, v235, v128
	v_mul_i32_i24_e32 v130, v236, v130
	v_lshrrev_b32_e32 v202, 24, v33
	v_bfe_i32 v203, v33, 16, 8
	v_lshrrev_b32_e32 v204, 24, v35
	v_bfe_i32 v225, v35, 16, 8
	;; [unrolled: 2-line block ×4, first 2 shown]
	v_bfe_i32 v33, v33, 8, 8
	v_bfe_i32 v35, v35, 8, 8
	v_bfe_i32 v36, v36, 8, 8
	v_bfe_i32 v38, v38, 8, 8
	v_mad_i32_i24 v180, v184, v4, v180
	v_mad_i32_i24 v181, v208, v4, v181
	;; [unrolled: 1-line block ×12, first 2 shown]
	v_mul_lo_u32 v132, 0x1010101, v153
	v_mul_lo_u32 v153, 0x1010101, v161
	;; [unrolled: 1-line block ×4, first 2 shown]
	v_bfe_u32 v245, v146, 16, 2
	v_bfe_u32 v146, v146, 24, 2
	;; [unrolled: 1-line block ×4, first 2 shown]
	v_mul_i32_i24_e32 v183, v183, v124
	v_mul_i32_i24_e32 v169, v169, v125
	;; [unrolled: 1-line block ×16, first 2 shown]
	v_add3_u32 v38, v180, v187, v182
	v_add3_u32 v129, v129, v199, v194
	;; [unrolled: 1-line block ×3, first 2 shown]
	v_mul_i32_i24_e32 v231, v245, v124
	v_mul_i32_i24_e32 v146, v146, v125
	;; [unrolled: 1-line block ×6, first 2 shown]
	v_add3_u32 v181, v193, v217, v216
	v_add3_u32 v182, v184, v227, v221
	;; [unrolled: 1-line block ×9, first 2 shown]
	v_lshrrev_b32_e32 v101, 24, v132
	v_lshrrev_b32_e32 v131, 24, v153
	;; [unrolled: 1-line block ×4, first 2 shown]
	v_add3_u32 v38, v38, v183, v169
	v_add3_u32 v129, v129, v195, v137
	;; [unrolled: 1-line block ×3, first 2 shown]
	v_mul_i32_i24_e32 v209, v246, v123
	v_mul_i32_i24_e32 v123, v255, v123
	v_bfe_i32 v7, v132, 16, 8
	v_bfe_i32 v130, v153, 16, 8
	;; [unrolled: 1-line block ×8, first 2 shown]
	v_add3_u32 v140, v181, v230, v143
	v_add3_u32 v143, v182, v231, v146
	;; [unrolled: 1-line block ×5, first 2 shown]
	v_mul_i32_i24_e32 v77, v2, v101
	v_mul_i32_i24_e32 v101, v2, v131
	v_mul_i32_i24_e32 v113, v2, v174
	v_mul_i32_i24_e32 v2, v2, v176
	v_add3_u32 v38, v38, v148, v154
	v_add3_u32 v114, v129, v152, v114
	;; [unrolled: 1-line block ×3, first 2 shown]
	v_mul_i32_i24_e32 v7, v1, v7
	v_mul_i32_i24_e32 v124, v1, v130
	;; [unrolled: 1-line block ×8, first 2 shown]
	v_add3_u32 v137, v140, v160, v149
	v_add3_u32 v140, v143, v190, v209
	;; [unrolled: 1-line block ×24, first 2 shown]
	v_cvt_f32_i32_e32 v22, v0
	v_add3_u32 v0, v1, v119, v117
	v_add3_u32 v1, v2, v107, v105
	;; [unrolled: 1-line block ×4, first 2 shown]
	v_and_b32_e32 v165, 15, v165
	v_and_b32_e32 v166, 15, v166
	v_add3_u32 v3, v6, v139, v197
	v_add3_u32 v6, v23, v141, v223
	;; [unrolled: 1-line block ×7, first 2 shown]
	v_mul_lo_u32 v0, v0, v165
	v_and_b32_e32 v167, 15, v167
	v_mul_lo_u32 v1, v1, v166
	v_and_b32_e32 v168, 15, v168
	v_add3_u32 v25, v3, v198, v133
	v_add3_u32 v2, v6, v224, v142
	v_add3_u32 v3, v4, v64, v111
	v_and_b32_e32 v173, 15, v173
	v_add3_u32 v5, v5, v106, v30
	v_add3_u32 v17, v17, v145, v26
	v_mul_lo_u32 v2, v2, v167
	v_mul_lo_u32 v3, v3, v168
	v_and_b32_e32 v175, 15, v175
	v_add3_u32 v26, v5, v32, v102
	v_mad_u64_u32 v[4:5], null, v23, v173, v[0:1]
	v_and_b32_e32 v177, 15, v177
	v_add3_u32 v17, v17, v31, v134
	v_and_b32_e32 v179, 15, v179
	v_lshrrev_b32_e32 v162, 16, v100
	v_lshrrev_b32_e32 v164, 16, v97
	;; [unrolled: 1-line block ×4, first 2 shown]
	v_add3_u32 v7, v10, v7, v130
	v_add3_u32 v10, v18, v124, v131
	;; [unrolled: 1-line block ×3, first 2 shown]
	v_mad_u64_u32 v[5:6], null, v25, v175, v[1:2]
	v_mad_u64_u32 v[0:1], null, v17, v177, v[2:3]
	;; [unrolled: 1-line block ×3, first 2 shown]
	v_cvt_f32_f16_e64 v162, v162
	v_cvt_f32_f16_e64 v164, v164
	;; [unrolled: 1-line block ×4, first 2 shown]
	v_cvt_f32_i32_e32 v7, v7
	v_cvt_f32_i32_e32 v10, v10
	;; [unrolled: 1-line block ×5, first 2 shown]
	s_delay_alu instid0(VALU_DEP_4) | instskip(NEXT) | instid1(VALU_DEP_4)
	v_dual_mul_f32 v2, v162, v7 :: v_dual_mul_f32 v3, v164, v10
	v_mul_f32_e32 v6, v171, v18
	v_mul_f32_e32 v7, v172, v22
	v_cvt_f32_i32_e32 v0, v0
	v_cvt_f32_i32_e32 v1, v1
	v_fma_mix_f32 v2, v100, v4, -v2 op_sel_hi:[1,0,0]
	v_fma_mix_f32 v3, v97, v5, -v3 op_sel_hi:[1,0,0]
	v_add_nc_u32_e32 v95, 32, v95
	v_fma_mix_f32 v0, v98, v0, -v6 op_sel_hi:[1,0,0]
	v_fma_mix_f32 v1, v99, v1, -v7 op_sel_hi:[1,0,0]
	v_add_nc_u32_e32 v94, 4, v94
	v_fmac_f32_e32 v12, v96, v2
	v_fmac_f32_e32 v90, v96, v3
	;; [unrolled: 1-line block ×4, first 2 shown]
	s_add_i32 s1, s1, 2
	s_cmp_lt_u32 s24, 6
	s_mov_b32 s25, s24
	s_cbranch_scc1 .LBB207_14
; %bb.15:                               ;   in Loop: Header=BB207_7 Depth=1
	s_or_b32 s1, s23, 0x80
	s_delay_alu instid0(SALU_CYCLE_1)
	s_cmp_ge_i32 s1, s11
	s_barrier
	buffer_gl0_inv
	s_cbranch_scc1 .LBB207_40
; %bb.16:                               ;   in Loop: Header=BB207_7 Depth=1
	scratch_load_b32 v0, off, off offset:72 ; 4-byte Folded Reload
	s_waitcnt vmcnt(0)
	v_add_nc_u32_e32 v0, s22, v0
	s_delay_alu instid0(VALU_DEP_1) | instskip(NEXT) | instid1(VALU_DEP_1)
	v_cmp_gt_i32_e64 s1, s5, v0
	s_and_b32 s24, s0, s1
	s_mov_b32 s1, exec_lo
	v_mov_b32_e32 v156, v8
	s_and_b32 s24, s1, s24
	s_delay_alu instid0(SALU_CYCLE_1)
	s_mov_b32 exec_lo, s24
	s_cbranch_execz .LBB207_18
; %bb.17:                               ;   in Loop: Header=BB207_7 Depth=1
	s_clause 0x1
	scratch_load_b32 v1, off, off offset:12
	scratch_load_b64 v[3:4], off, off offset:60
	s_waitcnt vmcnt(1)
	v_add_nc_u32_e32 v2, v1, v0
	s_waitcnt vmcnt(0)
	s_delay_alu instid0(VALU_DEP_1)
	v_mad_i64_i32 v[0:1], null, v2, 36, v[3:4]
	global_load_b32 v0, v[0:1], off offset:4
	scratch_load_b32 v1, off, off offset:68 ; 4-byte Folded Reload
	s_waitcnt vmcnt(0)
	ds_store_b32 v1, v0
.LBB207_18:                             ;   in Loop: Header=BB207_7 Depth=1
	s_or_b32 exec_lo, exec_lo, s1
	s_and_saveexec_b32 s24, vcc_lo
	s_cbranch_execz .LBB207_21
; %bb.19:                               ;   in Loop: Header=BB207_7 Depth=1
	v_or_b32_e32 v0, s22, v156
	s_delay_alu instid0(VALU_DEP_1) | instskip(NEXT) | instid1(VALU_DEP_1)
	v_or_b32_e32 v1, 4, v0
	v_cmp_gt_i32_e64 s1, s5, v1
	s_delay_alu instid0(VALU_DEP_1) | instskip(NEXT) | instid1(SALU_CYCLE_1)
	s_and_b32 s1, s0, s1
	s_and_b32 exec_lo, exec_lo, s1
	s_cbranch_execz .LBB207_21
; %bb.20:                               ;   in Loop: Header=BB207_7 Depth=1
	scratch_load_b32 v2, off, off offset:12 ; 4-byte Folded Reload
	v_ashrrev_i32_e32 v1, 31, v0
	s_waitcnt vmcnt(0)
	v_add_co_u32 v2, s1, v2, v0
	scratch_load_b32 v0, off, off offset:84 ; 4-byte Folded Reload
	s_waitcnt vmcnt(0)
	v_add_co_ci_u32_e64 v3, s1, v0, v1, s1
	v_mad_u64_u32 v[0:1], null, v2, 36, s[12:13]
	s_delay_alu instid0(VALU_DEP_1)
	v_mad_i32_i24 v1, v3, 36, v1
	global_load_b32 v0, v[0:1], off
	scratch_load_b32 v1, off, off offset:76 ; 4-byte Folded Reload
	s_waitcnt vmcnt(1)
	v_cvt_f32_f16_e32 v0, v0
	s_waitcnt vmcnt(0)
	ds_store_b32 v1, v0
.LBB207_21:                             ;   in Loop: Header=BB207_7 Depth=1
	s_or_b32 exec_lo, exec_lo, s24
	s_waitcnt lgkmcnt(0)
	s_clause 0x1
	scratch_load_b32 v4, off, off offset:4
	scratch_load_b32 v5, off, off offset:8
	s_mov_b32 s1, 8
	s_mov_b32 s24, 0
	s_waitcnt vmcnt(0)
	s_barrier
	buffer_gl0_inv
.LBB207_22:                             ;   Parent Loop BB207_7 Depth=1
                                        ; =>  This Inner Loop Header: Depth=2
	ds_load_b128 v[0:3], v4
	ds_load_b128 v[122:125], v4 offset:16
	s_add_i32 s25, s24, 8
	s_and_b32 s28, s1, -16
	s_and_b32 s26, s25, 0x3ffffff8
	s_lshr_b32 s27, s25, 2
	s_lshl_b32 s26, s26, 2
	s_and_b32 s27, s27, 0x3ffffffc
	s_add_i32 s1, s1, 2
	v_add_nc_u32_e32 v27, s27, v62
	s_waitcnt lgkmcnt(1)
	v_bfe_i32 v120, v2, 0, 8
	v_bfe_i32 v101, v2, 8, 8
	;; [unrolled: 1-line block ×3, first 2 shown]
	v_ashrrev_i32_e32 v96, 24, v2
	v_add_nc_u32_e32 v2, s26, v59
	v_bfe_i32 v118, v0, 0, 8
	v_bfe_i32 v111, v0, 8, 8
	v_bfe_i32 v117, v0, 16, 8
	v_ashrrev_i32_e32 v116, 24, v0
	v_bfe_i32 v119, v1, 0, 8
	v_bfe_i32 v112, v1, 8, 8
	v_bfe_i32 v105, v1, 16, 8
	v_ashrrev_i32_e32 v104, 24, v1
	;; [unrolled: 4-line block ×3, first 2 shown]
	s_waitcnt lgkmcnt(0)
	v_bfe_i32 v121, v122, 0, 8
	v_bfe_i32 v106, v122, 8, 8
	v_bfe_i32 v107, v122, 16, 8
	v_ashrrev_i32_e32 v113, 24, v122
	v_bfe_i32 v122, v123, 0, 8
	v_bfe_i32 v108, v123, 8, 8
	v_bfe_i32 v109, v123, 16, 8
	v_ashrrev_i32_e32 v110, 24, v123
	v_bfe_i32 v123, v124, 0, 8
	v_bfe_i32 v103, v124, 8, 8
	v_bfe_i32 v102, v124, 16, 8
	v_ashrrev_i32_e32 v98, 24, v124
	v_bfe_i32 v115, v125, 0, 8
	v_bfe_i32 v99, v125, 8, 8
	v_bfe_i32 v95, v125, 16, 8
	v_ashrrev_i32_e32 v94, 24, v125
	ds_load_2addr_b32 v[124:125], v2 offset1:1
	ds_load_2addr_b32 v[0:1], v2 offset0:2 offset1:3
	ds_load_2addr_b32 v[129:130], v2 offset0:4 offset1:5
	;; [unrolled: 1-line block ×3, first 2 shown]
	s_waitcnt lgkmcnt(3)
	v_ashrrev_i32_e32 v126, s24, v124
	v_ashrrev_i32_e32 v124, s24, v125
	s_waitcnt lgkmcnt(2)
	v_ashrrev_i32_e32 v0, s24, v0
	s_waitcnt lgkmcnt(1)
	v_ashrrev_i32_e32 v127, s24, v129
	v_ashrrev_i32_e32 v125, s24, v130
	v_and_b32_e32 v10, 3, v126
	v_and_b32_e32 v17, 3, v124
	;; [unrolled: 1-line block ×3, first 2 shown]
	s_waitcnt lgkmcnt(0)
	v_ashrrev_i32_e32 v2, s24, v2
	v_ashrrev_i32_e32 v1, s24, v1
	v_mul_i32_i24_e32 v10, v10, v118
	v_ashrrev_i32_e32 v3, s24, v3
	v_mul_i32_i24_e32 v18, v18, v120
	s_delay_alu instid0(VALU_DEP_3) | instskip(SKIP_1) | instid1(VALU_DEP_1)
	v_mad_i32_i24 v10, v17, v119, v10
	v_bfe_u32 v17, v126, 8, 2
	v_mul_i32_i24_e32 v17, v17, v111
	s_delay_alu instid0(VALU_DEP_1) | instskip(SKIP_3) | instid1(VALU_DEP_3)
	v_add3_u32 v128, v10, v18, v17
	v_and_b32_e32 v10, 3, v127
	v_and_b32_e32 v17, 3, v125
	;; [unrolled: 1-line block ×3, first 2 shown]
	v_mul_i32_i24_e32 v10, v10, v121
	s_delay_alu instid0(VALU_DEP_2) | instskip(NEXT) | instid1(VALU_DEP_2)
	v_mul_i32_i24_e32 v18, v18, v123
	v_mad_i32_i24 v10, v17, v122, v10
	v_bfe_u32 v17, v127, 8, 2
	s_delay_alu instid0(VALU_DEP_1) | instskip(NEXT) | instid1(VALU_DEP_1)
	v_mul_i32_i24_e32 v17, v17, v106
	v_add3_u32 v129, v10, v18, v17
	v_add_nc_u32_e32 v10, s26, v61
	v_add_nc_u32_e32 v17, s27, v60
	ds_load_2addr_b32 v[131:132], v10 offset0:2 offset1:3
	ds_load_b32 v130, v17
	ds_load_2addr_b32 v[133:134], v10 offset1:1
	s_waitcnt lgkmcnt(2)
	v_ashrrev_i32_e32 v25, s24, v131
	s_waitcnt lgkmcnt(0)
	v_ashrrev_i32_e32 v17, s24, v133
	v_ashrrev_i32_e32 v18, s24, v134
	s_delay_alu instid0(VALU_DEP_3) | instskip(NEXT) | instid1(VALU_DEP_3)
	v_and_b32_e32 v26, 3, v25
	v_and_b32_e32 v22, 3, v17
	s_delay_alu instid0(VALU_DEP_3) | instskip(NEXT) | instid1(VALU_DEP_3)
	v_and_b32_e32 v23, 3, v18
	v_mul_i32_i24_e32 v26, v26, v120
	s_delay_alu instid0(VALU_DEP_3) | instskip(NEXT) | instid1(VALU_DEP_1)
	v_mul_i32_i24_e32 v22, v22, v118
	v_mad_i32_i24 v22, v23, v119, v22
	v_bfe_u32 v23, v17, 8, 2
	s_delay_alu instid0(VALU_DEP_1) | instskip(NEXT) | instid1(VALU_DEP_1)
	v_mul_i32_i24_e32 v23, v23, v111
	v_add3_u32 v22, v22, v26, v23
	v_add_nc_u32_e32 v23, s24, v73
	s_delay_alu instid0(VALU_DEP_1)
	v_add3_u32 v26, v81, s28, v23
	ds_load_u16 v26, v26
	ds_load_b32 v27, v27
	ds_load_2addr_b32 v[133:134], v10 offset0:4 offset1:5
	ds_load_2addr_b32 v[135:136], v10 offset0:6 offset1:7
	s_waitcnt lgkmcnt(1)
	v_ashrrev_i32_e32 v10, s24, v133
	v_ashrrev_i32_e32 v28, s24, v134
	s_waitcnt lgkmcnt(0)
	v_ashrrev_i32_e32 v32, s24, v135
	s_delay_alu instid0(VALU_DEP_3) | instskip(NEXT) | instid1(VALU_DEP_3)
	v_and_b32_e32 v30, 3, v10
	v_and_b32_e32 v31, 3, v28
	s_delay_alu instid0(VALU_DEP_3) | instskip(NEXT) | instid1(VALU_DEP_3)
	v_and_b32_e32 v33, 3, v32
	v_mul_i32_i24_e32 v30, v30, v121
	s_delay_alu instid0(VALU_DEP_2) | instskip(NEXT) | instid1(VALU_DEP_2)
	v_mul_i32_i24_e32 v33, v33, v123
	v_mad_i32_i24 v30, v31, v122, v30
	v_bfe_u32 v31, v10, 8, 2
	s_delay_alu instid0(VALU_DEP_1) | instskip(NEXT) | instid1(VALU_DEP_1)
	v_mul_i32_i24_e32 v31, v31, v106
	v_add3_u32 v30, v30, v33, v31
	v_add_nc_u32_e32 v31, s26, v63
	ds_load_2addr_b32 v[133:134], v31 offset1:1
	ds_load_2addr_b32 v[137:138], v31 offset0:2 offset1:3
	ds_load_2addr_b32 v[139:140], v31 offset0:4 offset1:5
	ds_load_2addr_b32 v[141:142], v31 offset0:6 offset1:7
	s_waitcnt lgkmcnt(3)
	v_ashrrev_i32_e32 v31, s24, v133
	v_ashrrev_i32_e32 v33, s24, v134
	s_waitcnt lgkmcnt(2)
	v_ashrrev_i32_e32 v38, s24, v137
	s_waitcnt lgkmcnt(0)
	v_ashrrev_i32_e32 v68, s24, v141
	v_and_b32_e32 v35, 3, v31
	v_and_b32_e32 v36, 3, v33
	;; [unrolled: 1-line block ×3, first 2 shown]
	s_delay_alu instid0(VALU_DEP_4) | instskip(NEXT) | instid1(VALU_DEP_4)
	v_and_b32_e32 v69, 3, v68
	v_mul_i32_i24_e32 v35, v35, v118
	s_delay_alu instid0(VALU_DEP_3) | instskip(NEXT) | instid1(VALU_DEP_3)
	v_mul_i32_i24_e32 v57, v57, v120
	v_mul_i32_i24_e32 v69, v69, v123
	s_delay_alu instid0(VALU_DEP_3) | instskip(SKIP_1) | instid1(VALU_DEP_1)
	v_mad_i32_i24 v35, v36, v119, v35
	v_bfe_u32 v36, v31, 8, 2
	v_mul_i32_i24_e32 v36, v36, v111
	s_delay_alu instid0(VALU_DEP_1) | instskip(SKIP_2) | instid1(VALU_DEP_2)
	v_add3_u32 v35, v35, v57, v36
	v_ashrrev_i32_e32 v36, s24, v139
	v_ashrrev_i32_e32 v57, s24, v140
	v_and_b32_e32 v58, 3, v36
	s_delay_alu instid0(VALU_DEP_2) | instskip(NEXT) | instid1(VALU_DEP_2)
	v_and_b32_e32 v64, 3, v57
	v_mul_i32_i24_e32 v58, v58, v121
	s_delay_alu instid0(VALU_DEP_1) | instskip(SKIP_1) | instid1(VALU_DEP_1)
	v_mad_i32_i24 v58, v64, v122, v58
	v_bfe_u32 v64, v36, 8, 2
	v_mul_i32_i24_e32 v64, v64, v106
	s_delay_alu instid0(VALU_DEP_1)
	v_add3_u32 v58, v58, v69, v64
	v_add_nc_u32_e32 v64, s26, v66
	v_add_nc_u32_e32 v69, s27, v65
	ds_load_2addr_b32 v[133:134], v64 offset0:2 offset1:3
	ds_load_b32 v69, v69
	ds_load_2addr_b32 v[139:140], v64 offset1:1
	s_waitcnt lgkmcnt(2)
	v_ashrrev_i32_e32 v131, s24, v133
	s_waitcnt lgkmcnt(0)
	v_ashrrev_i32_e32 v70, s24, v139
	v_ashrrev_i32_e32 v71, s24, v140
	s_delay_alu instid0(VALU_DEP_3) | instskip(NEXT) | instid1(VALU_DEP_3)
	v_and_b32_e32 v133, 3, v131
	v_and_b32_e32 v77, 3, v70
	s_delay_alu instid0(VALU_DEP_3) | instskip(NEXT) | instid1(VALU_DEP_3)
	v_and_b32_e32 v78, 3, v71
	v_mul_i32_i24_e32 v133, v133, v120
	s_delay_alu instid0(VALU_DEP_3) | instskip(SKIP_1) | instid1(VALU_DEP_2)
	v_mul_i32_i24_e32 v77, v77, v118
	v_add_nc_u32_e32 v118, v119, v118
	v_mad_i32_i24 v77, v78, v119, v77
	v_bfe_u32 v78, v70, 8, 2
	s_delay_alu instid0(VALU_DEP_3) | instskip(SKIP_1) | instid1(VALU_DEP_3)
	v_add3_u32 v118, v118, v120, v114
	v_add3_u32 v120, v82, s28, v23
	v_mul_i32_i24_e32 v78, v78, v111
	v_add_nc_u32_e32 v111, v112, v111
	s_delay_alu instid0(VALU_DEP_2)
	v_add3_u32 v77, v77, v133, v78
	v_add3_u32 v78, v79, s28, v23
	v_add_nc_u32_e32 v133, s27, v67
	v_add3_u32 v23, v80, s28, v23
	v_add3_u32 v111, v111, v101, v97
	ds_load_u16 v78, v78
	ds_load_b32 v133, v133
	ds_load_2addr_b32 v[139:140], v64 offset0:4 offset1:5
	ds_load_2addr_b32 v[143:144], v64 offset0:6 offset1:7
	ds_load_u16 v120, v120
	ds_load_u16 v23, v23
	s_waitcnt lgkmcnt(3)
	v_ashrrev_i32_e32 v64, s24, v139
	v_ashrrev_i32_e32 v135, s24, v140
	s_waitcnt lgkmcnt(2)
	v_ashrrev_i32_e32 v140, s24, v143
	s_delay_alu instid0(VALU_DEP_3) | instskip(NEXT) | instid1(VALU_DEP_3)
	v_and_b32_e32 v137, 3, v64
	v_and_b32_e32 v139, 3, v135
	s_delay_alu instid0(VALU_DEP_3) | instskip(NEXT) | instid1(VALU_DEP_3)
	v_and_b32_e32 v141, 3, v140
	v_mul_i32_i24_e32 v137, v137, v121
	v_add_nc_u32_e32 v121, v122, v121
	s_delay_alu instid0(VALU_DEP_3) | instskip(NEXT) | instid1(VALU_DEP_3)
	v_mul_i32_i24_e32 v141, v141, v123
	v_mad_i32_i24 v137, v139, v122, v137
	v_bfe_u32 v139, v64, 8, 2
	s_delay_alu instid0(VALU_DEP_4)
	v_add3_u32 v119, v121, v123, v115
	s_waitcnt lgkmcnt(1)
	v_lshrrev_b16 v123, 8, v120
	v_add_nc_u32_e32 v121, v104, v116
	v_add_nc_u32_e32 v122, v105, v117
	v_mul_i32_i24_e32 v139, v139, v106
	s_delay_alu instid0(VALU_DEP_4) | instskip(NEXT) | instid1(VALU_DEP_4)
	v_and_b32_e32 v123, 0xffff, v123
	v_add3_u32 v121, v121, v96, v6
	s_delay_alu instid0(VALU_DEP_4) | instskip(NEXT) | instid1(VALU_DEP_4)
	v_add3_u32 v122, v122, v100, v7
	v_add3_u32 v137, v137, v141, v139
	v_bfe_u32 v139, v120, 4, 4
	v_lshrrev_b32_e32 v143, 4, v123
	s_delay_alu instid0(VALU_DEP_2) | instskip(SKIP_1) | instid1(VALU_DEP_1)
	v_mul_lo_u32 v141, 0x1010101, v139
	v_mul_i32_i24_e32 v139, v139, v118
	v_mad_i32_i24 v139, v143, v119, v139
	s_delay_alu instid0(VALU_DEP_3) | instskip(SKIP_1) | instid1(VALU_DEP_2)
	v_lshrrev_b32_e32 v145, 24, v141
	v_bfe_i32 v146, v141, 16, 8
	v_mul_i32_i24_e32 v145, v121, v145
	s_delay_alu instid0(VALU_DEP_2) | instskip(NEXT) | instid1(VALU_DEP_1)
	v_mul_i32_i24_e32 v146, v122, v146
	v_add3_u32 v139, v139, v145, v146
	s_waitcnt lgkmcnt(0)
	v_bfe_u32 v146, v23, 4, 4
	v_lshrrev_b16 v145, 8, v23
	s_delay_alu instid0(VALU_DEP_2) | instskip(NEXT) | instid1(VALU_DEP_2)
	v_mul_lo_u32 v147, 0x1010101, v146
	v_and_b32_e32 v145, 0xffff, v145
	v_mul_i32_i24_e32 v146, v146, v118
	s_delay_alu instid0(VALU_DEP_2) | instskip(NEXT) | instid1(VALU_DEP_4)
	v_lshrrev_b32_e32 v148, 4, v145
	v_lshrrev_b32_e32 v149, 24, v147
	v_bfe_i32 v150, v147, 16, 8
	s_delay_alu instid0(VALU_DEP_3) | instskip(NEXT) | instid1(VALU_DEP_3)
	v_mad_i32_i24 v146, v148, v119, v146
	v_mul_i32_i24_e32 v149, v121, v149
	s_delay_alu instid0(VALU_DEP_3) | instskip(NEXT) | instid1(VALU_DEP_1)
	v_mul_i32_i24_e32 v150, v122, v150
	v_add3_u32 v146, v146, v149, v150
	v_bfe_u32 v150, v26, 4, 4
	v_lshrrev_b16 v149, 8, v26
	s_delay_alu instid0(VALU_DEP_2) | instskip(NEXT) | instid1(VALU_DEP_2)
	v_mul_lo_u32 v151, 0x1010101, v150
	v_and_b32_e32 v149, 0xffff, v149
	v_mul_i32_i24_e32 v150, v150, v118
	s_delay_alu instid0(VALU_DEP_2) | instskip(NEXT) | instid1(VALU_DEP_4)
	v_lshrrev_b32_e32 v152, 4, v149
	v_lshrrev_b32_e32 v153, 24, v151
	v_bfe_i32 v154, v151, 16, 8
	s_delay_alu instid0(VALU_DEP_3) | instskip(NEXT) | instid1(VALU_DEP_3)
	v_mad_i32_i24 v150, v152, v119, v150
	v_mul_i32_i24_e32 v153, v121, v153
	s_delay_alu instid0(VALU_DEP_3) | instskip(NEXT) | instid1(VALU_DEP_1)
	v_mul_i32_i24_e32 v154, v122, v154
	v_add3_u32 v150, v150, v153, v154
	v_lshrrev_b16 v153, 8, v78
	v_bfe_u32 v154, v78, 4, 4
	s_delay_alu instid0(VALU_DEP_2) | instskip(NEXT) | instid1(VALU_DEP_2)
	v_and_b32_e32 v153, 0xffff, v153
	v_mul_i32_i24_e32 v118, v154, v118
	s_delay_alu instid0(VALU_DEP_2) | instskip(NEXT) | instid1(VALU_DEP_1)
	v_lshrrev_b32_e32 v155, 4, v153
	v_mad_i32_i24 v118, v155, v119, v118
	v_mul_lo_u32 v119, 0x1010101, v154
	s_delay_alu instid0(VALU_DEP_1) | instskip(NEXT) | instid1(VALU_DEP_1)
	v_lshrrev_b32_e32 v154, 24, v119
	v_mul_i32_i24_e32 v121, v121, v154
	v_bfe_i32 v154, v119, 16, 8
	v_bfe_i32 v119, v119, 8, 8
	s_delay_alu instid0(VALU_DEP_2) | instskip(NEXT) | instid1(VALU_DEP_1)
	v_mul_i32_i24_e32 v122, v122, v154
	v_add3_u32 v118, v118, v121, v122
	v_bfe_u32 v121, v126, 16, 2
	v_bfe_u32 v122, v126, 24, 2
	;; [unrolled: 1-line block ×3, first 2 shown]
	s_delay_alu instid0(VALU_DEP_3) | instskip(NEXT) | instid1(VALU_DEP_3)
	v_mul_i32_i24_e32 v121, v121, v117
	v_mul_i32_i24_e32 v122, v122, v116
	s_delay_alu instid0(VALU_DEP_3) | instskip(NEXT) | instid1(VALU_DEP_2)
	v_mul_i32_i24_e32 v126, v126, v113
	v_add3_u32 v121, v128, v121, v122
	v_bfe_u32 v122, v127, 16, 2
	v_mul_lo_u32 v127, 0x1010101, v152
	s_delay_alu instid0(VALU_DEP_2) | instskip(NEXT) | instid1(VALU_DEP_2)
	v_mul_i32_i24_e32 v122, v122, v107
	v_lshrrev_b32_e32 v128, 24, v127
	s_delay_alu instid0(VALU_DEP_2) | instskip(SKIP_2) | instid1(VALU_DEP_2)
	v_add3_u32 v122, v129, v122, v126
	v_bfe_u32 v126, v17, 16, 2
	v_bfe_u32 v17, v17, 24, 2
	v_mul_i32_i24_e32 v126, v126, v117
	s_delay_alu instid0(VALU_DEP_2) | instskip(NEXT) | instid1(VALU_DEP_1)
	v_mul_i32_i24_e32 v17, v17, v116
	v_add3_u32 v17, v22, v126, v17
	v_bfe_u32 v22, v10, 16, 2
	v_bfe_u32 v10, v10, 24, 2
	s_delay_alu instid0(VALU_DEP_2) | instskip(NEXT) | instid1(VALU_DEP_2)
	v_mul_i32_i24_e32 v22, v22, v107
	v_mul_i32_i24_e32 v10, v10, v113
	s_delay_alu instid0(VALU_DEP_1) | instskip(SKIP_3) | instid1(VALU_DEP_3)
	v_add3_u32 v10, v30, v22, v10
	v_bfe_u32 v22, v31, 16, 2
	v_bfe_u32 v30, v31, 24, 2
	;; [unrolled: 1-line block ×3, first 2 shown]
	v_mul_i32_i24_e32 v22, v22, v117
	s_delay_alu instid0(VALU_DEP_3) | instskip(NEXT) | instid1(VALU_DEP_3)
	v_mul_i32_i24_e32 v30, v30, v116
	v_mul_i32_i24_e32 v31, v31, v113
	s_delay_alu instid0(VALU_DEP_2) | instskip(SKIP_3) | instid1(VALU_DEP_3)
	v_add3_u32 v22, v35, v22, v30
	v_bfe_u32 v30, v36, 16, 2
	v_bfe_u32 v35, v70, 24, 2
	;; [unrolled: 1-line block ×3, first 2 shown]
	v_mul_i32_i24_e32 v30, v30, v107
	s_delay_alu instid0(VALU_DEP_3) | instskip(NEXT) | instid1(VALU_DEP_3)
	v_mul_i32_i24_e32 v35, v35, v116
	v_mul_i32_i24_e32 v36, v36, v113
	s_delay_alu instid0(VALU_DEP_3) | instskip(SKIP_3) | instid1(VALU_DEP_3)
	v_add3_u32 v30, v58, v30, v31
	v_bfe_u32 v31, v70, 16, 2
	v_and_b32_e32 v58, 3, v1
	v_bfe_u32 v70, v18, 8, 2
	v_mul_i32_i24_e32 v31, v31, v117
	s_delay_alu instid0(VALU_DEP_3) | instskip(NEXT) | instid1(VALU_DEP_3)
	v_mul_i32_i24_e32 v58, v58, v114
	v_mul_i32_i24_e32 v70, v70, v112
	s_delay_alu instid0(VALU_DEP_3) | instskip(SKIP_2) | instid1(VALU_DEP_2)
	v_add3_u32 v31, v77, v31, v35
	v_bfe_u32 v35, v64, 16, 2
	v_and_b32_e32 v64, 3, v3
	v_mul_i32_i24_e32 v35, v35, v107
	s_delay_alu instid0(VALU_DEP_2) | instskip(NEXT) | instid1(VALU_DEP_2)
	v_mul_i32_i24_e32 v64, v64, v115
	v_add3_u32 v35, v137, v35, v36
	v_bfe_u32 v36, v124, 8, 2
	s_delay_alu instid0(VALU_DEP_1) | instskip(NEXT) | instid1(VALU_DEP_1)
	v_mul_i32_i24_e32 v36, v36, v112
	v_add3_u32 v36, v121, v58, v36
	v_bfe_u32 v58, v125, 8, 2
	s_delay_alu instid0(VALU_DEP_1) | instskip(NEXT) | instid1(VALU_DEP_1)
	v_mul_i32_i24_e32 v58, v58, v108
	v_add3_u32 v58, v122, v64, v58
	v_ashrrev_i32_e32 v64, s24, v132
	v_mul_lo_u32 v122, 0x1010101, v148
	s_delay_alu instid0(VALU_DEP_2) | instskip(NEXT) | instid1(VALU_DEP_2)
	v_and_b32_e32 v77, 3, v64
	v_lshrrev_b32_e32 v126, 24, v122
	s_delay_alu instid0(VALU_DEP_2) | instskip(NEXT) | instid1(VALU_DEP_1)
	v_mul_i32_i24_e32 v77, v77, v114
	v_add3_u32 v17, v17, v77, v70
	v_ashrrev_i32_e32 v70, s24, v136
	v_bfe_u32 v77, v28, 8, 2
	s_delay_alu instid0(VALU_DEP_2) | instskip(NEXT) | instid1(VALU_DEP_2)
	v_and_b32_e32 v116, 3, v70
	v_mul_i32_i24_e32 v77, v77, v108
	s_delay_alu instid0(VALU_DEP_2) | instskip(NEXT) | instid1(VALU_DEP_1)
	v_mul_i32_i24_e32 v116, v116, v115
	v_add3_u32 v10, v10, v116, v77
	v_ashrrev_i32_e32 v77, s24, v138
	v_bfe_u32 v116, v33, 8, 2
	s_delay_alu instid0(VALU_DEP_2) | instskip(NEXT) | instid1(VALU_DEP_2)
	v_and_b32_e32 v117, 3, v77
	v_mul_i32_i24_e32 v116, v116, v112
	s_delay_alu instid0(VALU_DEP_2) | instskip(NEXT) | instid1(VALU_DEP_1)
	v_mul_i32_i24_e32 v117, v117, v114
	v_add3_u32 v22, v22, v117, v116
	v_ashrrev_i32_e32 v116, s24, v142
	v_bfe_u32 v117, v57, 8, 2
	s_delay_alu instid0(VALU_DEP_2) | instskip(NEXT) | instid1(VALU_DEP_2)
	v_and_b32_e32 v121, 3, v116
	v_mul_i32_i24_e32 v117, v117, v108
	s_delay_alu instid0(VALU_DEP_2) | instskip(NEXT) | instid1(VALU_DEP_1)
	v_mul_i32_i24_e32 v121, v121, v115
	v_add3_u32 v30, v30, v121, v117
	v_ashrrev_i32_e32 v117, s24, v134
	s_delay_alu instid0(VALU_DEP_1) | instskip(NEXT) | instid1(VALU_DEP_1)
	v_and_b32_e32 v121, 3, v117
	v_mul_i32_i24_e32 v114, v121, v114
	v_bfe_u32 v121, v71, 8, 2
	s_delay_alu instid0(VALU_DEP_1) | instskip(SKIP_2) | instid1(VALU_DEP_3)
	v_mul_i32_i24_e32 v121, v121, v112
	v_add_nc_u32_e32 v112, v110, v113
	v_bfe_i32 v113, v141, 8, 8
	v_add3_u32 v31, v31, v114, v121
	v_ashrrev_i32_e32 v114, s24, v144
	s_delay_alu instid0(VALU_DEP_4) | instskip(NEXT) | instid1(VALU_DEP_4)
	v_add3_u32 v112, v112, v98, v94
	v_mul_i32_i24_e32 v113, v111, v113
	s_add_i32 s24, s24, 2
	s_cmp_lt_u32 s25, 14
	v_and_b32_e32 v121, 3, v114
	v_mul_i32_i24_e32 v126, v112, v126
	v_mul_i32_i24_e32 v128, v112, v128
	s_delay_alu instid0(VALU_DEP_3) | instskip(SKIP_1) | instid1(VALU_DEP_1)
	v_mul_i32_i24_e32 v115, v121, v115
	v_bfe_u32 v121, v135, 8, 2
	v_mul_i32_i24_e32 v121, v121, v108
	s_delay_alu instid0(VALU_DEP_1) | instskip(SKIP_1) | instid1(VALU_DEP_1)
	v_add3_u32 v35, v35, v115, v121
	v_mul_lo_u32 v115, 0x1010101, v143
	v_lshrrev_b32_e32 v121, 24, v115
	s_delay_alu instid0(VALU_DEP_1) | instskip(NEXT) | instid1(VALU_DEP_1)
	v_mul_i32_i24_e32 v121, v112, v121
	v_add3_u32 v113, v139, v113, v121
	v_bfe_i32 v121, v147, 8, 8
	s_delay_alu instid0(VALU_DEP_1) | instskip(NEXT) | instid1(VALU_DEP_1)
	v_mul_i32_i24_e32 v121, v111, v121
	v_add3_u32 v121, v146, v121, v126
	v_bfe_i32 v126, v151, 8, 8
	s_delay_alu instid0(VALU_DEP_1) | instskip(SKIP_2) | instid1(VALU_DEP_3)
	v_mul_i32_i24_e32 v126, v111, v126
	v_mul_i32_i24_e32 v111, v111, v119
	v_mul_lo_u32 v119, 0x1010101, v155
	v_add3_u32 v126, v150, v126, v128
	s_delay_alu instid0(VALU_DEP_2) | instskip(NEXT) | instid1(VALU_DEP_1)
	v_lshrrev_b32_e32 v128, 24, v119
	v_mul_i32_i24_e32 v112, v112, v128
	s_delay_alu instid0(VALU_DEP_1) | instskip(SKIP_2) | instid1(VALU_DEP_2)
	v_add3_u32 v111, v118, v111, v112
	v_bfe_u32 v112, v124, 16, 2
	v_bfe_u32 v118, v124, 24, 2
	v_mul_i32_i24_e32 v112, v112, v105
	s_delay_alu instid0(VALU_DEP_2) | instskip(NEXT) | instid1(VALU_DEP_1)
	v_mul_i32_i24_e32 v118, v118, v104
	v_add3_u32 v36, v36, v112, v118
	v_bfe_u32 v112, v125, 16, 2
	v_bfe_u32 v118, v125, 24, 2
	s_delay_alu instid0(VALU_DEP_2) | instskip(NEXT) | instid1(VALU_DEP_2)
	v_mul_i32_i24_e32 v112, v112, v109
	v_mul_i32_i24_e32 v118, v118, v110
	s_delay_alu instid0(VALU_DEP_1) | instskip(SKIP_2) | instid1(VALU_DEP_2)
	v_add3_u32 v58, v58, v112, v118
	v_bfe_u32 v112, v18, 16, 2
	v_bfe_u32 v18, v18, 24, 2
	v_mul_i32_i24_e32 v112, v112, v105
	s_delay_alu instid0(VALU_DEP_2) | instskip(NEXT) | instid1(VALU_DEP_1)
	v_mul_i32_i24_e32 v18, v18, v104
	v_add3_u32 v17, v17, v112, v18
	v_bfe_u32 v18, v28, 16, 2
	v_bfe_u32 v28, v28, 24, 2
	s_delay_alu instid0(VALU_DEP_2) | instskip(NEXT) | instid1(VALU_DEP_2)
	v_mul_i32_i24_e32 v18, v18, v109
	v_mul_i32_i24_e32 v28, v28, v110
	s_delay_alu instid0(VALU_DEP_1) | instskip(SKIP_3) | instid1(VALU_DEP_3)
	v_add3_u32 v10, v10, v18, v28
	v_bfe_u32 v18, v33, 16, 2
	v_bfe_u32 v28, v33, 24, 2
	v_add_nc_u32_e32 v33, v108, v106
	v_mul_i32_i24_e32 v18, v18, v105
	s_delay_alu instid0(VALU_DEP_3) | instskip(NEXT) | instid1(VALU_DEP_3)
	v_mul_i32_i24_e32 v28, v28, v104
	v_add3_u32 v33, v33, v103, v99
	s_delay_alu instid0(VALU_DEP_2) | instskip(SKIP_3) | instid1(VALU_DEP_3)
	v_add3_u32 v18, v22, v18, v28
	v_bfe_u32 v22, v57, 16, 2
	v_bfe_u32 v28, v57, 24, 2
	v_bfe_i32 v57, v115, 8, 8
	v_mul_i32_i24_e32 v22, v22, v109
	s_delay_alu instid0(VALU_DEP_3) | instskip(NEXT) | instid1(VALU_DEP_3)
	v_mul_i32_i24_e32 v28, v28, v110
	v_mul_i32_i24_e32 v57, v33, v57
	s_delay_alu instid0(VALU_DEP_2) | instskip(SKIP_3) | instid1(VALU_DEP_3)
	v_add3_u32 v22, v30, v22, v28
	v_bfe_u32 v28, v71, 16, 2
	v_bfe_u32 v30, v71, 24, 2
	v_bfe_i32 v71, v122, 8, 8
	v_mul_i32_i24_e32 v28, v28, v105
	s_delay_alu instid0(VALU_DEP_3) | instskip(NEXT) | instid1(VALU_DEP_3)
	v_mul_i32_i24_e32 v30, v30, v104
	v_mul_i32_i24_e32 v71, v33, v71
	v_bfe_i32 v104, v127, 8, 8
	s_delay_alu instid0(VALU_DEP_3) | instskip(SKIP_2) | instid1(VALU_DEP_4)
	v_add3_u32 v28, v31, v28, v30
	v_bfe_u32 v30, v135, 24, 2
	v_bfe_u32 v31, v135, 16, 2
	v_mul_i32_i24_e32 v104, v33, v104
	s_delay_alu instid0(VALU_DEP_3) | instskip(NEXT) | instid1(VALU_DEP_3)
	v_mul_i32_i24_e32 v30, v30, v110
	v_mul_i32_i24_e32 v31, v31, v109
	s_delay_alu instid0(VALU_DEP_1) | instskip(SKIP_2) | instid1(VALU_DEP_2)
	v_add3_u32 v30, v35, v31, v30
	v_add_nc_u32_e32 v31, v109, v107
	v_bfe_i32 v35, v115, 16, 8
	v_add3_u32 v31, v31, v102, v95
	s_delay_alu instid0(VALU_DEP_1) | instskip(NEXT) | instid1(VALU_DEP_1)
	v_mul_i32_i24_e32 v35, v31, v35
	v_add3_u32 v35, v113, v35, v57
	v_bfe_i32 v57, v122, 16, 8
	s_delay_alu instid0(VALU_DEP_1) | instskip(NEXT) | instid1(VALU_DEP_1)
	v_mul_i32_i24_e32 v57, v31, v57
	v_add3_u32 v57, v121, v57, v71
	v_bfe_i32 v71, v127, 16, 8
	;; [unrolled: 4-line block ×3, first 2 shown]
	s_delay_alu instid0(VALU_DEP_1) | instskip(SKIP_1) | instid1(VALU_DEP_1)
	v_mul_i32_i24_e32 v31, v31, v104
	v_bfe_i32 v104, v119, 8, 8
	v_mul_i32_i24_e32 v33, v33, v104
	v_bfe_u32 v104, v0, 16, 2
	s_delay_alu instid0(VALU_DEP_2) | instskip(SKIP_1) | instid1(VALU_DEP_3)
	v_add3_u32 v31, v111, v31, v33
	v_bfe_u32 v33, v0, 8, 2
	v_mul_i32_i24_e32 v104, v104, v100
	v_bfe_u32 v0, v0, 24, 2
	s_delay_alu instid0(VALU_DEP_4) | instskip(NEXT) | instid1(VALU_DEP_4)
	v_cvt_f32_i32_e32 v31, v31
	v_mul_i32_i24_e32 v33, v33, v101
	s_delay_alu instid0(VALU_DEP_3) | instskip(NEXT) | instid1(VALU_DEP_2)
	v_mul_i32_i24_e32 v0, v0, v96
	v_add3_u32 v33, v36, v33, v104
	v_bfe_u32 v36, v2, 8, 2
	v_bfe_u32 v104, v2, 16, 2
	;; [unrolled: 1-line block ×3, first 2 shown]
	s_delay_alu instid0(VALU_DEP_3) | instskip(NEXT) | instid1(VALU_DEP_3)
	v_mul_i32_i24_e32 v36, v36, v103
	v_mul_i32_i24_e32 v104, v104, v102
	s_delay_alu instid0(VALU_DEP_3) | instskip(NEXT) | instid1(VALU_DEP_2)
	v_mul_i32_i24_e32 v2, v2, v98
	v_add3_u32 v36, v58, v36, v104
	v_bfe_u32 v58, v25, 8, 2
	v_bfe_u32 v104, v25, 16, 2
	;; [unrolled: 1-line block ×3, first 2 shown]
	s_delay_alu instid0(VALU_DEP_3) | instskip(NEXT) | instid1(VALU_DEP_3)
	v_mul_i32_i24_e32 v58, v58, v101
	v_mul_i32_i24_e32 v104, v104, v100
	s_delay_alu instid0(VALU_DEP_3) | instskip(NEXT) | instid1(VALU_DEP_2)
	v_mul_i32_i24_e32 v25, v25, v96
	v_add3_u32 v17, v17, v58, v104
	v_bfe_u32 v58, v32, 8, 2
	v_bfe_u32 v104, v32, 16, 2
	s_delay_alu instid0(VALU_DEP_2) | instskip(NEXT) | instid1(VALU_DEP_2)
	v_mul_i32_i24_e32 v58, v58, v103
	v_mul_i32_i24_e32 v104, v104, v102
	s_delay_alu instid0(VALU_DEP_1) | instskip(SKIP_2) | instid1(VALU_DEP_2)
	v_add3_u32 v10, v10, v58, v104
	v_bfe_u32 v58, v38, 8, 2
	v_bfe_u32 v104, v38, 16, 2
	v_mul_i32_i24_e32 v58, v58, v101
	s_delay_alu instid0(VALU_DEP_2) | instskip(NEXT) | instid1(VALU_DEP_1)
	v_mul_i32_i24_e32 v104, v104, v100
	v_add3_u32 v18, v18, v58, v104
	v_bfe_u32 v58, v68, 8, 2
	v_bfe_u32 v104, v68, 16, 2
	s_delay_alu instid0(VALU_DEP_2) | instskip(NEXT) | instid1(VALU_DEP_2)
	v_mul_i32_i24_e32 v58, v58, v103
	v_mul_i32_i24_e32 v104, v104, v102
	s_delay_alu instid0(VALU_DEP_1) | instskip(SKIP_1) | instid1(VALU_DEP_1)
	v_add3_u32 v22, v22, v58, v104
	v_bfe_u32 v58, v131, 8, 2
	v_mul_i32_i24_e32 v58, v58, v101
	v_bfe_u32 v101, v131, 16, 2
	s_delay_alu instid0(VALU_DEP_1) | instskip(NEXT) | instid1(VALU_DEP_1)
	v_mul_i32_i24_e32 v100, v101, v100
	v_add3_u32 v28, v28, v58, v100
	v_bfe_u32 v58, v140, 8, 2
	v_bfe_u32 v100, v140, 16, 2
	s_delay_alu instid0(VALU_DEP_2) | instskip(NEXT) | instid1(VALU_DEP_2)
	v_mul_i32_i24_e32 v58, v58, v103
	v_mul_i32_i24_e32 v100, v100, v102
	s_delay_alu instid0(VALU_DEP_1) | instskip(SKIP_1) | instid1(VALU_DEP_1)
	v_add3_u32 v30, v30, v58, v100
	v_bfe_u32 v58, v1, 8, 2
	v_mul_i32_i24_e32 v58, v58, v97
	s_delay_alu instid0(VALU_DEP_1) | instskip(SKIP_1) | instid1(VALU_DEP_1)
	v_add3_u32 v0, v33, v0, v58
	v_bfe_u32 v33, v3, 8, 2
	;; [unrolled: 4-line block ×3, first 2 shown]
	v_mul_i32_i24_e32 v33, v33, v97
	s_delay_alu instid0(VALU_DEP_1) | instskip(SKIP_3) | instid1(VALU_DEP_3)
	v_add3_u32 v17, v17, v25, v33
	v_bfe_u32 v25, v32, 24, 2
	v_bfe_u32 v32, v70, 8, 2
	v_and_b32_e32 v33, 15, v153
	v_mul_i32_i24_e32 v25, v25, v98
	s_delay_alu instid0(VALU_DEP_3) | instskip(NEXT) | instid1(VALU_DEP_1)
	v_mul_i32_i24_e32 v32, v32, v99
	v_add3_u32 v10, v10, v25, v32
	v_bfe_u32 v25, v38, 24, 2
	v_bfe_u32 v32, v77, 8, 2
	s_delay_alu instid0(VALU_DEP_2) | instskip(NEXT) | instid1(VALU_DEP_2)
	v_mul_i32_i24_e32 v25, v25, v96
	v_mul_i32_i24_e32 v32, v32, v97
	s_delay_alu instid0(VALU_DEP_1) | instskip(SKIP_2) | instid1(VALU_DEP_2)
	v_add3_u32 v18, v18, v25, v32
	v_bfe_u32 v25, v68, 24, 2
	v_bfe_u32 v32, v116, 8, 2
	v_mul_i32_i24_e32 v25, v25, v98
	s_delay_alu instid0(VALU_DEP_2) | instskip(NEXT) | instid1(VALU_DEP_1)
	v_mul_i32_i24_e32 v32, v32, v99
	v_add3_u32 v22, v22, v25, v32
	v_bfe_u32 v25, v131, 24, 2
	v_bfe_u32 v32, v117, 8, 2
	s_delay_alu instid0(VALU_DEP_2) | instskip(NEXT) | instid1(VALU_DEP_2)
	v_mul_i32_i24_e32 v25, v25, v96
	v_mul_i32_i24_e32 v32, v32, v97
	s_delay_alu instid0(VALU_DEP_1) | instskip(SKIP_2) | instid1(VALU_DEP_2)
	v_add3_u32 v25, v28, v25, v32
	v_bfe_u32 v28, v140, 24, 2
	v_bfe_u32 v32, v114, 8, 2
	v_mul_i32_i24_e32 v28, v28, v98
	s_delay_alu instid0(VALU_DEP_2) | instskip(NEXT) | instid1(VALU_DEP_1)
	v_mul_i32_i24_e32 v32, v32, v99
	v_add3_u32 v28, v30, v28, v32
	v_bfe_u32 v30, v1, 16, 2
	v_bfe_u32 v1, v1, 24, 2
	v_and_b32_e32 v32, 15, v149
	s_delay_alu instid0(VALU_DEP_3) | instskip(NEXT) | instid1(VALU_DEP_3)
	v_mul_i32_i24_e32 v30, v30, v7
	v_mul_i32_i24_e32 v1, v1, v6
	s_delay_alu instid0(VALU_DEP_1) | instskip(SKIP_3) | instid1(VALU_DEP_3)
	v_add3_u32 v0, v0, v30, v1
	v_bfe_u32 v1, v3, 16, 2
	v_bfe_u32 v3, v3, 24, 2
	v_lshrrev_b32_e32 v30, 16, v27
	v_mul_i32_i24_e32 v1, v1, v95
	s_delay_alu instid0(VALU_DEP_3) | instskip(NEXT) | instid1(VALU_DEP_1)
	v_mul_i32_i24_e32 v3, v3, v94
	v_add3_u32 v3, v2, v1, v3
	v_bfe_u32 v1, v64, 16, 2
	v_bfe_u32 v2, v64, 24, 2
	s_delay_alu instid0(VALU_DEP_2) | instskip(NEXT) | instid1(VALU_DEP_2)
	v_mul_i32_i24_e32 v1, v1, v7
	v_mul_i32_i24_e32 v2, v2, v6
	s_delay_alu instid0(VALU_DEP_1) | instskip(SKIP_2) | instid1(VALU_DEP_2)
	v_add3_u32 v17, v17, v1, v2
	v_bfe_u32 v1, v70, 16, 2
	v_bfe_u32 v2, v70, 24, 2
	v_mul_i32_i24_e32 v1, v1, v95
	s_delay_alu instid0(VALU_DEP_2) | instskip(NEXT) | instid1(VALU_DEP_1)
	v_mul_i32_i24_e32 v2, v2, v94
	v_add3_u32 v10, v10, v1, v2
	v_bfe_u32 v1, v77, 16, 2
	v_bfe_u32 v2, v77, 24, 2
	s_delay_alu instid0(VALU_DEP_2) | instskip(NEXT) | instid1(VALU_DEP_2)
	v_mul_i32_i24_e32 v1, v1, v7
	v_mul_i32_i24_e32 v2, v2, v6
	s_delay_alu instid0(VALU_DEP_1) | instskip(SKIP_2) | instid1(VALU_DEP_2)
	v_add3_u32 v18, v18, v1, v2
	v_bfe_u32 v1, v116, 16, 2
	v_bfe_u32 v2, v116, 24, 2
	v_mul_i32_i24_e32 v1, v1, v95
	s_delay_alu instid0(VALU_DEP_2) | instskip(NEXT) | instid1(VALU_DEP_1)
	v_mul_i32_i24_e32 v2, v2, v94
	v_add3_u32 v22, v22, v1, v2
	v_bfe_u32 v1, v117, 16, 2
	v_bfe_u32 v2, v117, 24, 2
	s_delay_alu instid0(VALU_DEP_2) | instskip(NEXT) | instid1(VALU_DEP_2)
	v_mul_i32_i24_e32 v1, v1, v7
	v_mul_i32_i24_e32 v2, v2, v6
	v_and_b32_e32 v7, 15, v23
	v_and_b32_e32 v23, 15, v26
	;; [unrolled: 1-line block ×3, first 2 shown]
	s_delay_alu instid0(VALU_DEP_4) | instskip(SKIP_2) | instid1(VALU_DEP_2)
	v_add3_u32 v6, v25, v1, v2
	v_bfe_u32 v1, v114, 16, 2
	v_bfe_u32 v2, v114, 24, 2
	v_mul_i32_i24_e32 v1, v1, v95
	s_delay_alu instid0(VALU_DEP_2) | instskip(NEXT) | instid1(VALU_DEP_1)
	v_mul_i32_i24_e32 v2, v2, v94
	v_add3_u32 v25, v28, v1, v2
	v_and_b32_e32 v1, 15, v120
	ds_load_b32 v28, v5
	v_add_nc_u32_e32 v5, 4, v5
	v_mul_lo_u32 v0, v0, v1
	s_delay_alu instid0(VALU_DEP_1) | instskip(SKIP_3) | instid1(VALU_DEP_2)
	v_mad_u64_u32 v[1:2], null, v3, v26, v[0:1]
	v_mul_lo_u32 v0, v17, v23
	v_lshrrev_b32_e32 v26, 16, v130
	v_cvt_f32_f16_e32 v23, v30
	v_cvt_f32_f16_e32 v17, v26
	s_delay_alu instid0(VALU_DEP_4) | instskip(SKIP_4) | instid1(VALU_DEP_4)
	v_mad_u64_u32 v[2:3], null, v10, v32, v[0:1]
	v_lshrrev_b32_e32 v0, 16, v69
	v_lshrrev_b32_e32 v3, 16, v133
	v_and_b32_e32 v10, 15, v78
	v_and_b32_e32 v32, 15, v145
	v_cvt_f32_f16_e32 v26, v0
	s_delay_alu instid0(VALU_DEP_4)
	v_cvt_f32_f16_e32 v30, v3
	v_mul_lo_u32 v0, v18, v7
	v_mul_lo_u32 v3, v6, v10
	v_cvt_f32_i32_e32 v10, v35
	v_cvt_f32_i32_e32 v18, v57
	v_cvt_f32_i32_e32 v35, v71
	v_cvt_f32_i32_e32 v2, v2
	v_mad_u64_u32 v[6:7], null, v22, v32, v[0:1]
	v_mad_u64_u32 v[94:95], null, v25, v33, v[3:4]
	v_mul_f32_e32 v0, v17, v10
	v_mul_f32_e32 v3, v26, v18
	;; [unrolled: 1-line block ×4, first 2 shown]
	v_cvt_f32_i32_e32 v1, v1
	v_cvt_f32_i32_e32 v6, v6
	;; [unrolled: 1-line block ×3, first 2 shown]
	v_add_nc_u32_e32 v4, 32, v4
	s_delay_alu instid0(VALU_DEP_4)
	v_fma_mix_f32 v0, v130, v1, -v0 op_sel_hi:[1,0,0]
	v_fma_mix_f32 v1, v27, v2, -v7 op_sel_hi:[1,0,0]
	;; [unrolled: 1-line block ×4, first 2 shown]
	s_waitcnt lgkmcnt(0)
	v_fmac_f32_e32 v12, v28, v0
	v_fmac_f32_e32 v90, v28, v1
	;; [unrolled: 1-line block ×4, first 2 shown]
	s_cbranch_scc1 .LBB207_22
; %bb.23:                               ;   in Loop: Header=BB207_7 Depth=1
	s_or_b32 s1, s23, 0x100
	s_delay_alu instid0(SALU_CYCLE_1)
	s_cmp_ge_i32 s1, s11
	s_barrier
	buffer_gl0_inv
	s_cbranch_scc1 .LBB207_4
; %bb.24:                               ;   in Loop: Header=BB207_7 Depth=1
	scratch_load_b32 v0, off, off offset:80 ; 4-byte Folded Reload
	s_waitcnt vmcnt(0)
	v_add_nc_u32_e32 v0, s22, v0
	s_delay_alu instid0(VALU_DEP_1) | instskip(NEXT) | instid1(VALU_DEP_1)
	v_cmp_gt_i32_e64 s1, s5, v0
	s_and_b32 s24, s0, s1
	s_delay_alu instid0(SALU_CYCLE_1)
	s_and_saveexec_b32 s1, s24
	s_cbranch_execz .LBB207_26
; %bb.25:                               ;   in Loop: Header=BB207_7 Depth=1
	s_clause 0x1
	scratch_load_b32 v1, off, off offset:12
	scratch_load_b64 v[3:4], off, off offset:60
	s_waitcnt vmcnt(1)
	v_add_nc_u32_e32 v2, v1, v0
	s_waitcnt vmcnt(0)
	s_delay_alu instid0(VALU_DEP_1)
	v_mad_i64_i32 v[0:1], null, v2, 36, v[3:4]
	global_load_b32 v0, v[0:1], off offset:4
	scratch_load_b32 v1, off, off offset:68 ; 4-byte Folded Reload
	s_waitcnt vmcnt(0)
	ds_store_b32 v1, v0
.LBB207_26:                             ;   in Loop: Header=BB207_7 Depth=1
	s_or_b32 exec_lo, exec_lo, s1
	s_and_saveexec_b32 s24, vcc_lo
	s_cbranch_execz .LBB207_29
; %bb.27:                               ;   in Loop: Header=BB207_7 Depth=1
	v_or_b32_e32 v0, s22, v156
	s_delay_alu instid0(VALU_DEP_1) | instskip(NEXT) | instid1(VALU_DEP_1)
	v_or_b32_e32 v1, 8, v0
	v_cmp_gt_i32_e64 s1, s5, v1
	s_delay_alu instid0(VALU_DEP_1) | instskip(NEXT) | instid1(SALU_CYCLE_1)
	s_and_b32 s1, s0, s1
	s_and_b32 exec_lo, exec_lo, s1
	s_cbranch_execz .LBB207_29
; %bb.28:                               ;   in Loop: Header=BB207_7 Depth=1
	scratch_load_b32 v2, off, off offset:12 ; 4-byte Folded Reload
	v_ashrrev_i32_e32 v1, 31, v0
	s_waitcnt vmcnt(0)
	v_add_co_u32 v2, s1, v2, v0
	scratch_load_b32 v0, off, off offset:84 ; 4-byte Folded Reload
	s_waitcnt vmcnt(0)
	v_add_co_ci_u32_e64 v3, s1, v0, v1, s1
	v_mad_u64_u32 v[0:1], null, v2, 36, s[14:15]
	s_delay_alu instid0(VALU_DEP_1)
	v_mad_i32_i24 v1, v3, 36, v1
	global_load_b32 v0, v[0:1], off
	scratch_load_b32 v1, off, off offset:76 ; 4-byte Folded Reload
	s_waitcnt vmcnt(1)
	v_cvt_f32_f16_e32 v0, v0
	s_waitcnt vmcnt(0)
	ds_store_b32 v1, v0
.LBB207_29:                             ;   in Loop: Header=BB207_7 Depth=1
	s_or_b32 exec_lo, exec_lo, s24
	s_waitcnt lgkmcnt(0)
	s_clause 0x1
	scratch_load_b32 v4, off, off offset:4
	scratch_load_b32 v5, off, off offset:8
	s_mov_b32 s1, 16
	s_mov_b32 s24, 14
	s_waitcnt vmcnt(0)
	s_barrier
	buffer_gl0_inv
.LBB207_30:                             ;   Parent Loop BB207_7 Depth=1
                                        ; =>  This Inner Loop Header: Depth=2
	ds_load_b128 v[0:3], v4
	ds_load_b128 v[122:125], v4 offset:16
	s_add_i32 s25, s24, 2
	s_add_i32 s26, s24, -14
	s_and_b32 s27, s25, 0x3ffffff8
	s_lshr_b32 s28, s25, 2
	s_lshl_b32 s27, s27, 2
	s_and_b32 s28, s28, 0x3ffffffc
	s_and_b32 s29, s1, -16
	s_add_i32 s1, s1, 2
	s_add_i32 s24, s24, s29
	s_cmp_lt_u32 s25, 22
	s_waitcnt lgkmcnt(1)
	v_bfe_i32 v120, v2, 0, 8
	v_bfe_i32 v101, v2, 8, 8
	;; [unrolled: 1-line block ×3, first 2 shown]
	v_ashrrev_i32_e32 v96, 24, v2
	v_add_nc_u32_e32 v2, s27, v59
	v_bfe_i32 v118, v0, 0, 8
	v_bfe_i32 v111, v0, 8, 8
	v_bfe_i32 v117, v0, 16, 8
	v_ashrrev_i32_e32 v116, 24, v0
	v_bfe_i32 v119, v1, 0, 8
	v_bfe_i32 v112, v1, 8, 8
	v_bfe_i32 v105, v1, 16, 8
	v_ashrrev_i32_e32 v104, 24, v1
	;; [unrolled: 4-line block ×3, first 2 shown]
	s_waitcnt lgkmcnt(0)
	v_bfe_i32 v121, v122, 0, 8
	v_bfe_i32 v106, v122, 8, 8
	v_bfe_i32 v107, v122, 16, 8
	v_ashrrev_i32_e32 v113, 24, v122
	v_bfe_i32 v122, v123, 0, 8
	v_bfe_i32 v108, v123, 8, 8
	v_bfe_i32 v109, v123, 16, 8
	v_ashrrev_i32_e32 v110, 24, v123
	;; [unrolled: 4-line block ×4, first 2 shown]
	ds_load_2addr_b32 v[124:125], v2 offset1:1
	ds_load_2addr_b32 v[0:1], v2 offset0:2 offset1:3
	ds_load_2addr_b32 v[129:130], v2 offset0:4 offset1:5
	;; [unrolled: 1-line block ×3, first 2 shown]
	s_waitcnt lgkmcnt(3)
	v_ashrrev_i32_e32 v126, s26, v124
	v_ashrrev_i32_e32 v124, s26, v125
	s_waitcnt lgkmcnt(2)
	v_ashrrev_i32_e32 v0, s26, v0
	s_waitcnt lgkmcnt(1)
	v_ashrrev_i32_e32 v127, s26, v129
	v_ashrrev_i32_e32 v125, s26, v130
	v_and_b32_e32 v10, 3, v126
	v_and_b32_e32 v17, 3, v124
	v_and_b32_e32 v18, 3, v0
	s_waitcnt lgkmcnt(0)
	v_ashrrev_i32_e32 v2, s26, v2
	v_ashrrev_i32_e32 v1, s26, v1
	v_mul_i32_i24_e32 v10, v10, v118
	v_ashrrev_i32_e32 v3, s26, v3
	v_mul_i32_i24_e32 v18, v18, v120
	s_delay_alu instid0(VALU_DEP_3) | instskip(SKIP_1) | instid1(VALU_DEP_1)
	v_mad_i32_i24 v10, v17, v119, v10
	v_bfe_u32 v17, v126, 8, 2
	v_mul_i32_i24_e32 v17, v17, v111
	s_delay_alu instid0(VALU_DEP_1) | instskip(SKIP_3) | instid1(VALU_DEP_3)
	v_add3_u32 v128, v10, v18, v17
	v_and_b32_e32 v10, 3, v127
	v_and_b32_e32 v17, 3, v125
	;; [unrolled: 1-line block ×3, first 2 shown]
	v_mul_i32_i24_e32 v10, v10, v121
	s_delay_alu instid0(VALU_DEP_2) | instskip(NEXT) | instid1(VALU_DEP_2)
	v_mul_i32_i24_e32 v18, v18, v123
	v_mad_i32_i24 v10, v17, v122, v10
	v_bfe_u32 v17, v127, 8, 2
	s_delay_alu instid0(VALU_DEP_1) | instskip(NEXT) | instid1(VALU_DEP_1)
	v_mul_i32_i24_e32 v17, v17, v106
	v_add3_u32 v129, v10, v18, v17
	v_add_nc_u32_e32 v10, s27, v61
	v_add_nc_u32_e32 v17, s28, v60
	ds_load_2addr_b32 v[131:132], v10 offset0:2 offset1:3
	ds_load_b32 v130, v17
	ds_load_2addr_b32 v[133:134], v10 offset1:1
	s_waitcnt lgkmcnt(2)
	v_ashrrev_i32_e32 v25, s26, v131
	s_waitcnt lgkmcnt(0)
	v_ashrrev_i32_e32 v17, s26, v133
	v_ashrrev_i32_e32 v18, s26, v134
	s_delay_alu instid0(VALU_DEP_3) | instskip(NEXT) | instid1(VALU_DEP_3)
	v_and_b32_e32 v26, 3, v25
	v_and_b32_e32 v22, 3, v17
	s_delay_alu instid0(VALU_DEP_3) | instskip(NEXT) | instid1(VALU_DEP_3)
	v_and_b32_e32 v23, 3, v18
	v_mul_i32_i24_e32 v26, v26, v120
	s_delay_alu instid0(VALU_DEP_3) | instskip(NEXT) | instid1(VALU_DEP_1)
	v_mul_i32_i24_e32 v22, v22, v118
	v_mad_i32_i24 v22, v23, v119, v22
	v_bfe_u32 v23, v17, 8, 2
	s_delay_alu instid0(VALU_DEP_1) | instskip(NEXT) | instid1(VALU_DEP_1)
	v_mul_i32_i24_e32 v23, v23, v111
	v_add3_u32 v22, v22, v26, v23
	v_add_nc_u32_e32 v23, s24, v85
	v_add_nc_u32_e32 v26, s28, v62
	ds_load_u16 v23, v23 offset:17906
	ds_load_b32 v26, v26
	ds_load_2addr_b32 v[133:134], v10 offset0:4 offset1:5
	ds_load_2addr_b32 v[135:136], v10 offset0:6 offset1:7
	s_waitcnt lgkmcnt(1)
	v_ashrrev_i32_e32 v10, s26, v133
	v_ashrrev_i32_e32 v27, s26, v134
	s_waitcnt lgkmcnt(0)
	v_ashrrev_i32_e32 v31, s26, v135
	s_delay_alu instid0(VALU_DEP_3) | instskip(NEXT) | instid1(VALU_DEP_3)
	v_and_b32_e32 v28, 3, v10
	v_and_b32_e32 v30, 3, v27
	s_delay_alu instid0(VALU_DEP_3) | instskip(NEXT) | instid1(VALU_DEP_3)
	v_and_b32_e32 v32, 3, v31
	v_mul_i32_i24_e32 v28, v28, v121
	s_delay_alu instid0(VALU_DEP_2) | instskip(NEXT) | instid1(VALU_DEP_2)
	v_mul_i32_i24_e32 v32, v32, v123
	v_mad_i32_i24 v28, v30, v122, v28
	v_bfe_u32 v30, v10, 8, 2
	s_delay_alu instid0(VALU_DEP_1) | instskip(NEXT) | instid1(VALU_DEP_1)
	v_mul_i32_i24_e32 v30, v30, v106
	v_add3_u32 v28, v28, v32, v30
	v_add_nc_u32_e32 v30, s27, v63
	ds_load_2addr_b32 v[133:134], v30 offset1:1
	ds_load_2addr_b32 v[137:138], v30 offset0:2 offset1:3
	ds_load_2addr_b32 v[139:140], v30 offset0:4 offset1:5
	;; [unrolled: 1-line block ×3, first 2 shown]
	s_waitcnt lgkmcnt(3)
	v_ashrrev_i32_e32 v30, s26, v133
	v_ashrrev_i32_e32 v32, s26, v134
	s_waitcnt lgkmcnt(2)
	v_ashrrev_i32_e32 v36, s26, v137
	s_waitcnt lgkmcnt(0)
	v_ashrrev_i32_e32 v64, s26, v141
	v_and_b32_e32 v33, 3, v30
	v_and_b32_e32 v35, 3, v32
	;; [unrolled: 1-line block ×3, first 2 shown]
	s_delay_alu instid0(VALU_DEP_4) | instskip(NEXT) | instid1(VALU_DEP_4)
	v_and_b32_e32 v68, 3, v64
	v_mul_i32_i24_e32 v33, v33, v118
	s_delay_alu instid0(VALU_DEP_3) | instskip(NEXT) | instid1(VALU_DEP_3)
	v_mul_i32_i24_e32 v38, v38, v120
	v_mul_i32_i24_e32 v68, v68, v123
	s_delay_alu instid0(VALU_DEP_3) | instskip(SKIP_1) | instid1(VALU_DEP_1)
	v_mad_i32_i24 v33, v35, v119, v33
	v_bfe_u32 v35, v30, 8, 2
	v_mul_i32_i24_e32 v35, v35, v111
	s_delay_alu instid0(VALU_DEP_1) | instskip(SKIP_2) | instid1(VALU_DEP_2)
	v_add3_u32 v33, v33, v38, v35
	v_ashrrev_i32_e32 v35, s26, v139
	v_ashrrev_i32_e32 v38, s26, v140
	v_and_b32_e32 v57, 3, v35
	s_delay_alu instid0(VALU_DEP_2) | instskip(NEXT) | instid1(VALU_DEP_2)
	v_and_b32_e32 v58, 3, v38
	v_mul_i32_i24_e32 v57, v57, v121
	s_delay_alu instid0(VALU_DEP_1) | instskip(SKIP_1) | instid1(VALU_DEP_1)
	v_mad_i32_i24 v57, v58, v122, v57
	v_bfe_u32 v58, v35, 8, 2
	v_mul_i32_i24_e32 v58, v58, v106
	s_delay_alu instid0(VALU_DEP_1)
	v_add3_u32 v57, v57, v68, v58
	v_add_nc_u32_e32 v58, s27, v66
	v_add_nc_u32_e32 v68, s28, v65
	ds_load_2addr_b32 v[133:134], v58 offset0:2 offset1:3
	ds_load_b32 v68, v68
	ds_load_2addr_b32 v[139:140], v58 offset1:1
	s_waitcnt lgkmcnt(2)
	v_ashrrev_i32_e32 v78, s26, v133
	s_waitcnt lgkmcnt(0)
	v_ashrrev_i32_e32 v69, s26, v139
	v_ashrrev_i32_e32 v70, s26, v140
	s_delay_alu instid0(VALU_DEP_3) | instskip(NEXT) | instid1(VALU_DEP_3)
	v_and_b32_e32 v131, 3, v78
	v_and_b32_e32 v71, 3, v69
	s_delay_alu instid0(VALU_DEP_3) | instskip(NEXT) | instid1(VALU_DEP_3)
	v_and_b32_e32 v77, 3, v70
	v_mul_i32_i24_e32 v131, v131, v120
	s_delay_alu instid0(VALU_DEP_3) | instskip(SKIP_1) | instid1(VALU_DEP_2)
	v_mul_i32_i24_e32 v71, v71, v118
	v_add_nc_u32_e32 v118, v119, v118
	v_mad_i32_i24 v71, v77, v119, v71
	v_bfe_u32 v77, v69, 8, 2
	s_delay_alu instid0(VALU_DEP_3) | instskip(SKIP_1) | instid1(VALU_DEP_3)
	v_add3_u32 v118, v118, v120, v114
	v_add_nc_u32_e32 v120, s24, v86
	v_mul_i32_i24_e32 v77, v77, v111
	v_add_nc_u32_e32 v111, v112, v111
	s_delay_alu instid0(VALU_DEP_2) | instskip(SKIP_2) | instid1(VALU_DEP_4)
	v_add3_u32 v71, v71, v131, v77
	v_add_nc_u32_e32 v77, s24, v83
	v_add_nc_u32_e32 v131, s28, v67
	v_add3_u32 v111, v111, v101, v97
	ds_load_u16 v77, v77 offset:19954
	ds_load_b32 v131, v131
	ds_load_2addr_b32 v[139:140], v58 offset0:4 offset1:5
	ds_load_2addr_b32 v[143:144], v58 offset0:6 offset1:7
	ds_load_u16 v120, v120 offset:16882
	s_waitcnt lgkmcnt(2)
	v_ashrrev_i32_e32 v58, s26, v139
	v_ashrrev_i32_e32 v133, s26, v140
	s_waitcnt lgkmcnt(1)
	v_ashrrev_i32_e32 v139, s26, v143
	s_delay_alu instid0(VALU_DEP_3) | instskip(NEXT) | instid1(VALU_DEP_3)
	v_and_b32_e32 v135, 3, v58
	v_and_b32_e32 v137, 3, v133
	s_delay_alu instid0(VALU_DEP_3) | instskip(NEXT) | instid1(VALU_DEP_3)
	v_and_b32_e32 v140, 3, v139
	v_mul_i32_i24_e32 v135, v135, v121
	v_add_nc_u32_e32 v121, v122, v121
	s_delay_alu instid0(VALU_DEP_3) | instskip(NEXT) | instid1(VALU_DEP_3)
	v_mul_i32_i24_e32 v140, v140, v123
	v_mad_i32_i24 v135, v137, v122, v135
	v_bfe_u32 v137, v58, 8, 2
	s_delay_alu instid0(VALU_DEP_4)
	v_add3_u32 v119, v121, v123, v115
	s_waitcnt lgkmcnt(0)
	v_lshrrev_b16 v123, 8, v120
	v_add_nc_u32_e32 v121, v104, v116
	v_add_nc_u32_e32 v122, v105, v117
	v_mul_i32_i24_e32 v137, v137, v106
	s_delay_alu instid0(VALU_DEP_4) | instskip(NEXT) | instid1(VALU_DEP_4)
	v_and_b32_e32 v123, 0xffff, v123
	v_add3_u32 v121, v121, v96, v6
	s_delay_alu instid0(VALU_DEP_4) | instskip(NEXT) | instid1(VALU_DEP_4)
	v_add3_u32 v122, v122, v100, v7
	v_add3_u32 v135, v135, v140, v137
	v_bfe_u32 v137, v120, 4, 4
	v_lshrrev_b32_e32 v141, 4, v123
	s_delay_alu instid0(VALU_DEP_2) | instskip(SKIP_1) | instid1(VALU_DEP_1)
	v_mul_lo_u32 v140, 0x1010101, v137
	v_mul_i32_i24_e32 v137, v137, v118
	v_mad_i32_i24 v137, v141, v119, v137
	s_delay_alu instid0(VALU_DEP_3) | instskip(SKIP_1) | instid1(VALU_DEP_2)
	v_lshrrev_b32_e32 v143, 24, v140
	v_bfe_i32 v145, v140, 16, 8
	v_mul_i32_i24_e32 v143, v121, v143
	s_delay_alu instid0(VALU_DEP_2) | instskip(NEXT) | instid1(VALU_DEP_1)
	v_mul_i32_i24_e32 v145, v122, v145
	v_add3_u32 v137, v137, v143, v145
	v_add_nc_u32_e32 v143, s24, v84
	s_mov_b32 s24, s25
	ds_load_u16 v143, v143 offset:18930
	s_waitcnt lgkmcnt(0)
	v_bfe_u32 v146, v143, 4, 4
	v_lshrrev_b16 v145, 8, v143
	s_delay_alu instid0(VALU_DEP_2) | instskip(NEXT) | instid1(VALU_DEP_2)
	v_mul_lo_u32 v147, 0x1010101, v146
	v_and_b32_e32 v145, 0xffff, v145
	v_mul_i32_i24_e32 v146, v146, v118
	s_delay_alu instid0(VALU_DEP_2) | instskip(NEXT) | instid1(VALU_DEP_4)
	v_lshrrev_b32_e32 v148, 4, v145
	v_lshrrev_b32_e32 v149, 24, v147
	v_bfe_i32 v150, v147, 16, 8
	s_delay_alu instid0(VALU_DEP_3) | instskip(NEXT) | instid1(VALU_DEP_3)
	v_mad_i32_i24 v146, v148, v119, v146
	v_mul_i32_i24_e32 v149, v121, v149
	s_delay_alu instid0(VALU_DEP_3) | instskip(NEXT) | instid1(VALU_DEP_1)
	v_mul_i32_i24_e32 v150, v122, v150
	v_add3_u32 v146, v146, v149, v150
	v_bfe_u32 v150, v23, 4, 4
	v_lshrrev_b16 v149, 8, v23
	v_and_b32_e32 v23, 15, v23
	s_delay_alu instid0(VALU_DEP_3) | instskip(NEXT) | instid1(VALU_DEP_3)
	v_mul_lo_u32 v151, 0x1010101, v150
	v_and_b32_e32 v149, 0xffff, v149
	v_mul_i32_i24_e32 v150, v150, v118
	s_delay_alu instid0(VALU_DEP_2) | instskip(NEXT) | instid1(VALU_DEP_4)
	v_lshrrev_b32_e32 v152, 4, v149
	v_lshrrev_b32_e32 v153, 24, v151
	v_bfe_i32 v154, v151, 16, 8
	s_delay_alu instid0(VALU_DEP_3) | instskip(NEXT) | instid1(VALU_DEP_3)
	v_mad_i32_i24 v150, v152, v119, v150
	v_mul_i32_i24_e32 v153, v121, v153
	s_delay_alu instid0(VALU_DEP_3) | instskip(NEXT) | instid1(VALU_DEP_1)
	v_mul_i32_i24_e32 v154, v122, v154
	v_add3_u32 v150, v150, v153, v154
	v_lshrrev_b16 v153, 8, v77
	v_bfe_u32 v154, v77, 4, 4
	s_delay_alu instid0(VALU_DEP_2) | instskip(NEXT) | instid1(VALU_DEP_2)
	v_and_b32_e32 v153, 0xffff, v153
	v_mul_i32_i24_e32 v118, v154, v118
	s_delay_alu instid0(VALU_DEP_2) | instskip(NEXT) | instid1(VALU_DEP_1)
	v_lshrrev_b32_e32 v155, 4, v153
	v_mad_i32_i24 v118, v155, v119, v118
	v_mul_lo_u32 v119, 0x1010101, v154
	s_delay_alu instid0(VALU_DEP_1) | instskip(NEXT) | instid1(VALU_DEP_1)
	v_lshrrev_b32_e32 v154, 24, v119
	v_mul_i32_i24_e32 v121, v121, v154
	v_bfe_i32 v154, v119, 16, 8
	v_bfe_i32 v119, v119, 8, 8
	s_delay_alu instid0(VALU_DEP_2) | instskip(NEXT) | instid1(VALU_DEP_1)
	v_mul_i32_i24_e32 v122, v122, v154
	v_add3_u32 v118, v118, v121, v122
	v_bfe_u32 v121, v126, 16, 2
	v_bfe_u32 v122, v126, 24, 2
	;; [unrolled: 1-line block ×3, first 2 shown]
	s_delay_alu instid0(VALU_DEP_3) | instskip(NEXT) | instid1(VALU_DEP_3)
	v_mul_i32_i24_e32 v121, v121, v117
	v_mul_i32_i24_e32 v122, v122, v116
	s_delay_alu instid0(VALU_DEP_3) | instskip(NEXT) | instid1(VALU_DEP_2)
	v_mul_i32_i24_e32 v126, v126, v113
	v_add3_u32 v121, v128, v121, v122
	v_bfe_u32 v122, v127, 16, 2
	v_mul_lo_u32 v127, 0x1010101, v152
	s_delay_alu instid0(VALU_DEP_2) | instskip(NEXT) | instid1(VALU_DEP_2)
	v_mul_i32_i24_e32 v122, v122, v107
	v_lshrrev_b32_e32 v128, 24, v127
	s_delay_alu instid0(VALU_DEP_2) | instskip(SKIP_2) | instid1(VALU_DEP_2)
	v_add3_u32 v122, v129, v122, v126
	v_bfe_u32 v126, v17, 16, 2
	v_bfe_u32 v17, v17, 24, 2
	v_mul_i32_i24_e32 v126, v126, v117
	s_delay_alu instid0(VALU_DEP_2) | instskip(NEXT) | instid1(VALU_DEP_1)
	v_mul_i32_i24_e32 v17, v17, v116
	v_add3_u32 v17, v22, v126, v17
	v_bfe_u32 v22, v10, 16, 2
	v_bfe_u32 v10, v10, 24, 2
	s_delay_alu instid0(VALU_DEP_2) | instskip(NEXT) | instid1(VALU_DEP_2)
	v_mul_i32_i24_e32 v22, v22, v107
	v_mul_i32_i24_e32 v10, v10, v113
	s_delay_alu instid0(VALU_DEP_1) | instskip(SKIP_3) | instid1(VALU_DEP_3)
	v_add3_u32 v10, v28, v22, v10
	v_bfe_u32 v22, v30, 16, 2
	v_bfe_u32 v28, v30, 24, 2
	;; [unrolled: 1-line block ×3, first 2 shown]
	v_mul_i32_i24_e32 v22, v22, v117
	s_delay_alu instid0(VALU_DEP_3) | instskip(NEXT) | instid1(VALU_DEP_3)
	v_mul_i32_i24_e32 v28, v28, v116
	v_mul_i32_i24_e32 v30, v30, v113
	s_delay_alu instid0(VALU_DEP_2) | instskip(SKIP_3) | instid1(VALU_DEP_3)
	v_add3_u32 v22, v33, v22, v28
	v_bfe_u32 v28, v35, 16, 2
	v_bfe_u32 v33, v69, 24, 2
	;; [unrolled: 1-line block ×3, first 2 shown]
	v_mul_i32_i24_e32 v28, v28, v107
	s_delay_alu instid0(VALU_DEP_3) | instskip(NEXT) | instid1(VALU_DEP_3)
	v_mul_i32_i24_e32 v33, v33, v116
	v_mul_i32_i24_e32 v35, v35, v113
	s_delay_alu instid0(VALU_DEP_3) | instskip(SKIP_3) | instid1(VALU_DEP_3)
	v_add3_u32 v28, v57, v28, v30
	v_bfe_u32 v30, v69, 16, 2
	v_and_b32_e32 v57, 3, v1
	v_bfe_u32 v69, v18, 8, 2
	v_mul_i32_i24_e32 v30, v30, v117
	s_delay_alu instid0(VALU_DEP_3) | instskip(NEXT) | instid1(VALU_DEP_3)
	v_mul_i32_i24_e32 v57, v57, v114
	v_mul_i32_i24_e32 v69, v69, v112
	s_delay_alu instid0(VALU_DEP_3) | instskip(SKIP_2) | instid1(VALU_DEP_2)
	v_add3_u32 v30, v71, v30, v33
	v_bfe_u32 v33, v58, 16, 2
	v_and_b32_e32 v58, 3, v3
	v_mul_i32_i24_e32 v33, v33, v107
	s_delay_alu instid0(VALU_DEP_2) | instskip(NEXT) | instid1(VALU_DEP_2)
	v_mul_i32_i24_e32 v58, v58, v115
	v_add3_u32 v33, v135, v33, v35
	v_bfe_u32 v35, v124, 8, 2
	s_delay_alu instid0(VALU_DEP_1) | instskip(NEXT) | instid1(VALU_DEP_1)
	v_mul_i32_i24_e32 v35, v35, v112
	v_add3_u32 v35, v121, v57, v35
	v_bfe_u32 v57, v125, 8, 2
	s_delay_alu instid0(VALU_DEP_1) | instskip(NEXT) | instid1(VALU_DEP_1)
	v_mul_i32_i24_e32 v57, v57, v108
	v_add3_u32 v57, v122, v58, v57
	v_ashrrev_i32_e32 v58, s26, v132
	v_mul_lo_u32 v122, 0x1010101, v148
	s_delay_alu instid0(VALU_DEP_2) | instskip(NEXT) | instid1(VALU_DEP_2)
	v_and_b32_e32 v71, 3, v58
	v_lshrrev_b32_e32 v126, 24, v122
	s_delay_alu instid0(VALU_DEP_2) | instskip(NEXT) | instid1(VALU_DEP_1)
	v_mul_i32_i24_e32 v71, v71, v114
	v_add3_u32 v17, v17, v71, v69
	v_ashrrev_i32_e32 v69, s26, v136
	v_bfe_u32 v71, v27, 8, 2
	s_delay_alu instid0(VALU_DEP_2) | instskip(NEXT) | instid1(VALU_DEP_2)
	v_and_b32_e32 v116, 3, v69
	v_mul_i32_i24_e32 v71, v71, v108
	s_delay_alu instid0(VALU_DEP_2) | instskip(NEXT) | instid1(VALU_DEP_1)
	v_mul_i32_i24_e32 v116, v116, v115
	v_add3_u32 v10, v10, v116, v71
	v_ashrrev_i32_e32 v71, s26, v138
	v_bfe_u32 v116, v32, 8, 2
	s_delay_alu instid0(VALU_DEP_2) | instskip(NEXT) | instid1(VALU_DEP_2)
	v_and_b32_e32 v117, 3, v71
	v_mul_i32_i24_e32 v116, v116, v112
	;; [unrolled: 8-line block ×3, first 2 shown]
	s_delay_alu instid0(VALU_DEP_2) | instskip(NEXT) | instid1(VALU_DEP_1)
	v_mul_i32_i24_e32 v121, v121, v115
	v_add3_u32 v28, v28, v121, v117
	v_ashrrev_i32_e32 v117, s26, v134
	s_delay_alu instid0(VALU_DEP_1) | instskip(NEXT) | instid1(VALU_DEP_1)
	v_and_b32_e32 v121, 3, v117
	v_mul_i32_i24_e32 v114, v121, v114
	v_bfe_u32 v121, v70, 8, 2
	s_delay_alu instid0(VALU_DEP_1) | instskip(SKIP_2) | instid1(VALU_DEP_3)
	v_mul_i32_i24_e32 v121, v121, v112
	v_add_nc_u32_e32 v112, v110, v113
	v_bfe_i32 v113, v140, 8, 8
	v_add3_u32 v30, v30, v114, v121
	v_ashrrev_i32_e32 v114, s26, v144
	s_delay_alu instid0(VALU_DEP_4) | instskip(NEXT) | instid1(VALU_DEP_4)
	v_add3_u32 v112, v112, v98, v94
	v_mul_i32_i24_e32 v113, v111, v113
	s_delay_alu instid0(VALU_DEP_3) | instskip(NEXT) | instid1(VALU_DEP_3)
	v_and_b32_e32 v121, 3, v114
	v_mul_i32_i24_e32 v126, v112, v126
	v_mul_i32_i24_e32 v128, v112, v128
	s_delay_alu instid0(VALU_DEP_3) | instskip(SKIP_1) | instid1(VALU_DEP_1)
	v_mul_i32_i24_e32 v115, v121, v115
	v_bfe_u32 v121, v133, 8, 2
	v_mul_i32_i24_e32 v121, v121, v108
	s_delay_alu instid0(VALU_DEP_1) | instskip(SKIP_1) | instid1(VALU_DEP_1)
	v_add3_u32 v33, v33, v115, v121
	v_mul_lo_u32 v115, 0x1010101, v141
	v_lshrrev_b32_e32 v121, 24, v115
	s_delay_alu instid0(VALU_DEP_1) | instskip(NEXT) | instid1(VALU_DEP_1)
	v_mul_i32_i24_e32 v121, v112, v121
	v_add3_u32 v113, v137, v113, v121
	v_bfe_i32 v121, v147, 8, 8
	s_delay_alu instid0(VALU_DEP_1) | instskip(NEXT) | instid1(VALU_DEP_1)
	v_mul_i32_i24_e32 v121, v111, v121
	v_add3_u32 v121, v146, v121, v126
	v_bfe_i32 v126, v151, 8, 8
	s_delay_alu instid0(VALU_DEP_1) | instskip(SKIP_2) | instid1(VALU_DEP_3)
	v_mul_i32_i24_e32 v126, v111, v126
	v_mul_i32_i24_e32 v111, v111, v119
	v_mul_lo_u32 v119, 0x1010101, v155
	v_add3_u32 v126, v150, v126, v128
	s_delay_alu instid0(VALU_DEP_2) | instskip(NEXT) | instid1(VALU_DEP_1)
	v_lshrrev_b32_e32 v128, 24, v119
	v_mul_i32_i24_e32 v112, v112, v128
	s_delay_alu instid0(VALU_DEP_1) | instskip(SKIP_2) | instid1(VALU_DEP_2)
	v_add3_u32 v111, v118, v111, v112
	v_bfe_u32 v112, v124, 16, 2
	v_bfe_u32 v118, v124, 24, 2
	v_mul_i32_i24_e32 v112, v112, v105
	s_delay_alu instid0(VALU_DEP_2) | instskip(NEXT) | instid1(VALU_DEP_1)
	v_mul_i32_i24_e32 v118, v118, v104
	v_add3_u32 v35, v35, v112, v118
	v_bfe_u32 v112, v125, 16, 2
	v_bfe_u32 v118, v125, 24, 2
	s_delay_alu instid0(VALU_DEP_2) | instskip(NEXT) | instid1(VALU_DEP_2)
	v_mul_i32_i24_e32 v112, v112, v109
	v_mul_i32_i24_e32 v118, v118, v110
	s_delay_alu instid0(VALU_DEP_1) | instskip(SKIP_2) | instid1(VALU_DEP_2)
	v_add3_u32 v57, v57, v112, v118
	v_bfe_u32 v112, v18, 16, 2
	v_bfe_u32 v18, v18, 24, 2
	v_mul_i32_i24_e32 v112, v112, v105
	s_delay_alu instid0(VALU_DEP_2) | instskip(NEXT) | instid1(VALU_DEP_1)
	v_mul_i32_i24_e32 v18, v18, v104
	v_add3_u32 v17, v17, v112, v18
	v_bfe_u32 v18, v27, 16, 2
	v_bfe_u32 v27, v27, 24, 2
	s_delay_alu instid0(VALU_DEP_2) | instskip(NEXT) | instid1(VALU_DEP_2)
	v_mul_i32_i24_e32 v18, v18, v109
	v_mul_i32_i24_e32 v27, v27, v110
	s_delay_alu instid0(VALU_DEP_1) | instskip(SKIP_3) | instid1(VALU_DEP_3)
	v_add3_u32 v10, v10, v18, v27
	v_bfe_u32 v18, v32, 16, 2
	v_bfe_u32 v27, v32, 24, 2
	v_add_nc_u32_e32 v32, v108, v106
	v_mul_i32_i24_e32 v18, v18, v105
	s_delay_alu instid0(VALU_DEP_3) | instskip(NEXT) | instid1(VALU_DEP_3)
	v_mul_i32_i24_e32 v27, v27, v104
	v_add3_u32 v32, v32, v103, v99
	s_delay_alu instid0(VALU_DEP_2) | instskip(SKIP_3) | instid1(VALU_DEP_3)
	v_add3_u32 v18, v22, v18, v27
	v_bfe_u32 v22, v38, 16, 2
	v_bfe_u32 v27, v38, 24, 2
	v_bfe_i32 v38, v115, 8, 8
	v_mul_i32_i24_e32 v22, v22, v109
	s_delay_alu instid0(VALU_DEP_3) | instskip(NEXT) | instid1(VALU_DEP_3)
	v_mul_i32_i24_e32 v27, v27, v110
	v_mul_i32_i24_e32 v38, v32, v38
	s_delay_alu instid0(VALU_DEP_2) | instskip(SKIP_3) | instid1(VALU_DEP_3)
	v_add3_u32 v22, v28, v22, v27
	v_bfe_u32 v27, v70, 16, 2
	v_bfe_u32 v28, v70, 24, 2
	v_bfe_i32 v70, v122, 8, 8
	v_mul_i32_i24_e32 v27, v27, v105
	s_delay_alu instid0(VALU_DEP_3) | instskip(NEXT) | instid1(VALU_DEP_3)
	v_mul_i32_i24_e32 v28, v28, v104
	v_mul_i32_i24_e32 v70, v32, v70
	v_bfe_i32 v104, v127, 8, 8
	s_delay_alu instid0(VALU_DEP_3) | instskip(SKIP_2) | instid1(VALU_DEP_4)
	v_add3_u32 v27, v30, v27, v28
	v_bfe_u32 v28, v133, 24, 2
	v_bfe_u32 v30, v133, 16, 2
	v_mul_i32_i24_e32 v104, v32, v104
	s_delay_alu instid0(VALU_DEP_3) | instskip(NEXT) | instid1(VALU_DEP_3)
	v_mul_i32_i24_e32 v28, v28, v110
	v_mul_i32_i24_e32 v30, v30, v109
	s_delay_alu instid0(VALU_DEP_1) | instskip(SKIP_2) | instid1(VALU_DEP_2)
	v_add3_u32 v28, v33, v30, v28
	v_add_nc_u32_e32 v30, v109, v107
	v_bfe_i32 v33, v115, 16, 8
	v_add3_u32 v30, v30, v102, v95
	s_delay_alu instid0(VALU_DEP_1) | instskip(NEXT) | instid1(VALU_DEP_1)
	v_mul_i32_i24_e32 v33, v30, v33
	v_add3_u32 v33, v113, v33, v38
	v_bfe_i32 v38, v122, 16, 8
	s_delay_alu instid0(VALU_DEP_1) | instskip(NEXT) | instid1(VALU_DEP_1)
	v_mul_i32_i24_e32 v38, v30, v38
	v_add3_u32 v38, v121, v38, v70
	v_bfe_i32 v70, v127, 16, 8
	;; [unrolled: 4-line block ×3, first 2 shown]
	s_delay_alu instid0(VALU_DEP_1) | instskip(SKIP_1) | instid1(VALU_DEP_1)
	v_mul_i32_i24_e32 v30, v30, v104
	v_bfe_i32 v104, v119, 8, 8
	v_mul_i32_i24_e32 v32, v32, v104
	v_bfe_u32 v104, v0, 16, 2
	s_delay_alu instid0(VALU_DEP_2) | instskip(SKIP_1) | instid1(VALU_DEP_3)
	v_add3_u32 v30, v111, v30, v32
	v_bfe_u32 v32, v0, 8, 2
	v_mul_i32_i24_e32 v104, v104, v100
	v_bfe_u32 v0, v0, 24, 2
	s_delay_alu instid0(VALU_DEP_4) | instskip(NEXT) | instid1(VALU_DEP_4)
	v_cvt_f32_i32_e32 v30, v30
	v_mul_i32_i24_e32 v32, v32, v101
	s_delay_alu instid0(VALU_DEP_3) | instskip(NEXT) | instid1(VALU_DEP_2)
	v_mul_i32_i24_e32 v0, v0, v96
	v_add3_u32 v32, v35, v32, v104
	v_bfe_u32 v35, v2, 8, 2
	v_bfe_u32 v104, v2, 16, 2
	;; [unrolled: 1-line block ×3, first 2 shown]
	s_delay_alu instid0(VALU_DEP_3) | instskip(NEXT) | instid1(VALU_DEP_3)
	v_mul_i32_i24_e32 v35, v35, v103
	v_mul_i32_i24_e32 v104, v104, v102
	s_delay_alu instid0(VALU_DEP_3) | instskip(NEXT) | instid1(VALU_DEP_2)
	v_mul_i32_i24_e32 v2, v2, v98
	v_add3_u32 v35, v57, v35, v104
	v_bfe_u32 v57, v25, 8, 2
	v_bfe_u32 v104, v25, 16, 2
	;; [unrolled: 1-line block ×3, first 2 shown]
	s_delay_alu instid0(VALU_DEP_3) | instskip(NEXT) | instid1(VALU_DEP_3)
	v_mul_i32_i24_e32 v57, v57, v101
	v_mul_i32_i24_e32 v104, v104, v100
	s_delay_alu instid0(VALU_DEP_3) | instskip(NEXT) | instid1(VALU_DEP_2)
	v_mul_i32_i24_e32 v25, v25, v96
	v_add3_u32 v17, v17, v57, v104
	v_bfe_u32 v57, v31, 8, 2
	v_bfe_u32 v104, v31, 16, 2
	s_delay_alu instid0(VALU_DEP_2) | instskip(NEXT) | instid1(VALU_DEP_2)
	v_mul_i32_i24_e32 v57, v57, v103
	v_mul_i32_i24_e32 v104, v104, v102
	s_delay_alu instid0(VALU_DEP_1) | instskip(SKIP_2) | instid1(VALU_DEP_2)
	v_add3_u32 v10, v10, v57, v104
	v_bfe_u32 v57, v36, 8, 2
	v_bfe_u32 v104, v36, 16, 2
	v_mul_i32_i24_e32 v57, v57, v101
	s_delay_alu instid0(VALU_DEP_2) | instskip(NEXT) | instid1(VALU_DEP_1)
	v_mul_i32_i24_e32 v104, v104, v100
	v_add3_u32 v18, v18, v57, v104
	v_bfe_u32 v57, v64, 8, 2
	v_bfe_u32 v104, v64, 16, 2
	s_delay_alu instid0(VALU_DEP_2) | instskip(NEXT) | instid1(VALU_DEP_2)
	v_mul_i32_i24_e32 v57, v57, v103
	v_mul_i32_i24_e32 v104, v104, v102
	s_delay_alu instid0(VALU_DEP_1) | instskip(SKIP_1) | instid1(VALU_DEP_1)
	v_add3_u32 v22, v22, v57, v104
	v_bfe_u32 v57, v78, 8, 2
	v_mul_i32_i24_e32 v57, v57, v101
	v_bfe_u32 v101, v78, 16, 2
	s_delay_alu instid0(VALU_DEP_1) | instskip(NEXT) | instid1(VALU_DEP_1)
	v_mul_i32_i24_e32 v100, v101, v100
	v_add3_u32 v27, v27, v57, v100
	v_bfe_u32 v57, v139, 8, 2
	v_bfe_u32 v100, v139, 16, 2
	s_delay_alu instid0(VALU_DEP_2) | instskip(NEXT) | instid1(VALU_DEP_2)
	v_mul_i32_i24_e32 v57, v57, v103
	v_mul_i32_i24_e32 v100, v100, v102
	s_delay_alu instid0(VALU_DEP_1) | instskip(SKIP_1) | instid1(VALU_DEP_1)
	v_add3_u32 v28, v28, v57, v100
	v_bfe_u32 v57, v1, 8, 2
	v_mul_i32_i24_e32 v57, v57, v97
	s_delay_alu instid0(VALU_DEP_1) | instskip(SKIP_1) | instid1(VALU_DEP_1)
	v_add3_u32 v0, v32, v0, v57
	v_bfe_u32 v32, v3, 8, 2
	v_mul_i32_i24_e32 v32, v32, v99
	s_delay_alu instid0(VALU_DEP_1) | instskip(SKIP_2) | instid1(VALU_DEP_2)
	v_add3_u32 v2, v35, v2, v32
	v_bfe_u32 v32, v58, 8, 2
	v_and_b32_e32 v35, 15, v149
	v_mul_i32_i24_e32 v32, v32, v97
	s_delay_alu instid0(VALU_DEP_1) | instskip(SKIP_3) | instid1(VALU_DEP_3)
	v_add3_u32 v17, v17, v25, v32
	v_bfe_u32 v25, v31, 24, 2
	v_bfe_u32 v31, v69, 8, 2
	v_lshrrev_b32_e32 v32, 16, v68
	v_mul_i32_i24_e32 v25, v25, v98
	s_delay_alu instid0(VALU_DEP_3) | instskip(NEXT) | instid1(VALU_DEP_1)
	v_mul_i32_i24_e32 v31, v31, v99
	v_add3_u32 v10, v10, v25, v31
	v_bfe_u32 v25, v36, 24, 2
	v_bfe_u32 v31, v71, 8, 2
	s_delay_alu instid0(VALU_DEP_2) | instskip(NEXT) | instid1(VALU_DEP_2)
	v_mul_i32_i24_e32 v25, v25, v96
	v_mul_i32_i24_e32 v31, v31, v97
	s_delay_alu instid0(VALU_DEP_1) | instskip(SKIP_2) | instid1(VALU_DEP_2)
	v_add3_u32 v18, v18, v25, v31
	v_bfe_u32 v25, v64, 24, 2
	v_bfe_u32 v31, v116, 8, 2
	v_mul_i32_i24_e32 v25, v25, v98
	s_delay_alu instid0(VALU_DEP_2) | instskip(NEXT) | instid1(VALU_DEP_1)
	v_mul_i32_i24_e32 v31, v31, v99
	v_add3_u32 v22, v22, v25, v31
	v_bfe_u32 v25, v78, 24, 2
	v_bfe_u32 v31, v117, 8, 2
	s_delay_alu instid0(VALU_DEP_2) | instskip(NEXT) | instid1(VALU_DEP_2)
	v_mul_i32_i24_e32 v25, v25, v96
	v_mul_i32_i24_e32 v31, v31, v97
	s_delay_alu instid0(VALU_DEP_1) | instskip(SKIP_2) | instid1(VALU_DEP_2)
	v_add3_u32 v25, v27, v25, v31
	v_bfe_u32 v27, v139, 24, 2
	v_bfe_u32 v31, v114, 8, 2
	v_mul_i32_i24_e32 v27, v27, v98
	s_delay_alu instid0(VALU_DEP_2) | instskip(NEXT) | instid1(VALU_DEP_1)
	v_mul_i32_i24_e32 v31, v31, v99
	v_add3_u32 v27, v28, v27, v31
	v_bfe_u32 v28, v1, 16, 2
	v_bfe_u32 v1, v1, 24, 2
	v_and_b32_e32 v31, 15, v123
	s_delay_alu instid0(VALU_DEP_3) | instskip(NEXT) | instid1(VALU_DEP_3)
	v_mul_i32_i24_e32 v28, v28, v7
	v_mul_i32_i24_e32 v1, v1, v6
	s_delay_alu instid0(VALU_DEP_1) | instskip(SKIP_3) | instid1(VALU_DEP_3)
	v_add3_u32 v0, v0, v28, v1
	v_bfe_u32 v1, v3, 16, 2
	v_bfe_u32 v3, v3, 24, 2
	v_lshrrev_b32_e32 v28, 16, v130
	v_mul_i32_i24_e32 v1, v1, v95
	s_delay_alu instid0(VALU_DEP_3) | instskip(NEXT) | instid1(VALU_DEP_1)
	v_mul_i32_i24_e32 v3, v3, v94
	v_add3_u32 v3, v2, v1, v3
	v_bfe_u32 v1, v58, 16, 2
	v_bfe_u32 v2, v58, 24, 2
	s_delay_alu instid0(VALU_DEP_2) | instskip(NEXT) | instid1(VALU_DEP_2)
	v_mul_i32_i24_e32 v1, v1, v7
	v_mul_i32_i24_e32 v2, v2, v6
	s_delay_alu instid0(VALU_DEP_1) | instskip(SKIP_2) | instid1(VALU_DEP_2)
	v_add3_u32 v17, v17, v1, v2
	v_bfe_u32 v1, v69, 16, 2
	v_bfe_u32 v2, v69, 24, 2
	v_mul_i32_i24_e32 v1, v1, v95
	s_delay_alu instid0(VALU_DEP_2) | instskip(NEXT) | instid1(VALU_DEP_1)
	v_mul_i32_i24_e32 v2, v2, v94
	v_add3_u32 v10, v10, v1, v2
	v_bfe_u32 v1, v71, 16, 2
	v_bfe_u32 v2, v71, 24, 2
	s_delay_alu instid0(VALU_DEP_2) | instskip(NEXT) | instid1(VALU_DEP_2)
	v_mul_i32_i24_e32 v1, v1, v7
	v_mul_i32_i24_e32 v2, v2, v6
	s_delay_alu instid0(VALU_DEP_1) | instskip(SKIP_2) | instid1(VALU_DEP_2)
	v_add3_u32 v18, v18, v1, v2
	v_bfe_u32 v1, v116, 16, 2
	v_bfe_u32 v2, v116, 24, 2
	v_mul_i32_i24_e32 v1, v1, v95
	s_delay_alu instid0(VALU_DEP_2) | instskip(NEXT) | instid1(VALU_DEP_1)
	v_mul_i32_i24_e32 v2, v2, v94
	v_add3_u32 v22, v22, v1, v2
	v_bfe_u32 v1, v117, 16, 2
	v_bfe_u32 v2, v117, 24, 2
	s_delay_alu instid0(VALU_DEP_2) | instskip(NEXT) | instid1(VALU_DEP_2)
	v_mul_i32_i24_e32 v1, v1, v7
	v_mul_i32_i24_e32 v2, v2, v6
	v_and_b32_e32 v7, 15, v143
	s_delay_alu instid0(VALU_DEP_2) | instskip(SKIP_2) | instid1(VALU_DEP_2)
	v_add3_u32 v6, v25, v1, v2
	v_bfe_u32 v1, v114, 16, 2
	v_bfe_u32 v2, v114, 24, 2
	v_mul_i32_i24_e32 v1, v1, v95
	s_delay_alu instid0(VALU_DEP_2) | instskip(NEXT) | instid1(VALU_DEP_1)
	v_mul_i32_i24_e32 v2, v2, v94
	v_add3_u32 v25, v27, v1, v2
	v_and_b32_e32 v1, 15, v120
	ds_load_b32 v27, v5
	v_add_nc_u32_e32 v5, 4, v5
	v_mul_lo_u32 v0, v0, v1
	s_delay_alu instid0(VALU_DEP_1) | instskip(SKIP_4) | instid1(VALU_DEP_3)
	v_mad_u64_u32 v[1:2], null, v3, v31, v[0:1]
	v_mul_lo_u32 v0, v17, v23
	v_lshrrev_b32_e32 v31, 16, v26
	v_cvt_f32_f16_e32 v23, v32
	v_and_b32_e32 v32, 15, v153
	v_cvt_f32_f16_e32 v17, v31
	v_and_b32_e32 v31, 15, v145
	v_mad_u64_u32 v[2:3], null, v10, v35, v[0:1]
	v_lshrrev_b32_e32 v0, 16, v131
	v_and_b32_e32 v3, 15, v77
	v_cvt_f32_f16_e32 v10, v28
	v_cvt_f32_i32_e32 v35, v70
	s_delay_alu instid0(VALU_DEP_4)
	v_cvt_f32_f16_e32 v28, v0
	v_mul_lo_u32 v0, v18, v7
	v_mul_lo_u32 v3, v6, v3
	v_cvt_f32_i32_e32 v18, v33
	v_cvt_f32_i32_e32 v33, v38
	;; [unrolled: 1-line block ×3, first 2 shown]
	v_mad_u64_u32 v[6:7], null, v22, v31, v[0:1]
	v_mad_u64_u32 v[94:95], null, v25, v32, v[3:4]
	s_delay_alu instid0(VALU_DEP_4)
	v_dual_mul_f32 v0, v10, v18 :: v_dual_mul_f32 v3, v23, v33
	v_dual_mul_f32 v7, v17, v35 :: v_dual_mul_f32 v10, v28, v30
	v_cvt_f32_i32_e32 v1, v1
	v_cvt_f32_i32_e32 v6, v6
	;; [unrolled: 1-line block ×3, first 2 shown]
	v_add_nc_u32_e32 v4, 32, v4
	s_delay_alu instid0(VALU_DEP_4)
	v_fma_mix_f32 v0, v130, v1, -v0 op_sel_hi:[1,0,0]
	v_fma_mix_f32 v1, v26, v2, -v7 op_sel_hi:[1,0,0]
	;; [unrolled: 1-line block ×4, first 2 shown]
	s_waitcnt lgkmcnt(0)
	v_fmac_f32_e32 v12, v27, v0
	v_fmac_f32_e32 v90, v27, v1
	;; [unrolled: 1-line block ×4, first 2 shown]
	s_cbranch_scc1 .LBB207_30
; %bb.31:                               ;   in Loop: Header=BB207_7 Depth=1
	s_or_b32 s1, s23, 0x180
	s_delay_alu instid0(SALU_CYCLE_1)
	s_cmp_ge_i32 s1, s11
	s_barrier
	buffer_gl0_inv
	s_cbranch_scc1 .LBB207_4
; %bb.32:                               ;   in Loop: Header=BB207_7 Depth=1
	scratch_load_b32 v0, off, off offset:88 ; 4-byte Folded Reload
	s_waitcnt vmcnt(0)
	v_add_nc_u32_e32 v0, s22, v0
	s_delay_alu instid0(VALU_DEP_1) | instskip(NEXT) | instid1(VALU_DEP_1)
	v_cmp_gt_i32_e64 s1, s5, v0
	s_and_b32 s23, s0, s1
	s_delay_alu instid0(SALU_CYCLE_1)
	s_and_saveexec_b32 s1, s23
	s_cbranch_execz .LBB207_34
; %bb.33:                               ;   in Loop: Header=BB207_7 Depth=1
	s_clause 0x1
	scratch_load_b32 v1, off, off offset:12
	scratch_load_b64 v[3:4], off, off offset:60
	s_waitcnt vmcnt(1)
	v_add_nc_u32_e32 v2, v1, v0
	s_waitcnt vmcnt(0)
	s_delay_alu instid0(VALU_DEP_1)
	v_mad_i64_i32 v[0:1], null, v2, 36, v[3:4]
	global_load_b32 v0, v[0:1], off offset:4
	scratch_load_b32 v1, off, off offset:68 ; 4-byte Folded Reload
	s_waitcnt vmcnt(0)
	ds_store_b32 v1, v0
.LBB207_34:                             ;   in Loop: Header=BB207_7 Depth=1
	s_or_b32 exec_lo, exec_lo, s1
	s_and_saveexec_b32 s23, vcc_lo
	s_cbranch_execz .LBB207_37
; %bb.35:                               ;   in Loop: Header=BB207_7 Depth=1
	v_or_b32_e32 v0, s22, v156
	s_delay_alu instid0(VALU_DEP_1) | instskip(NEXT) | instid1(VALU_DEP_1)
	v_or_b32_e32 v1, 12, v0
	v_cmp_gt_i32_e64 s1, s5, v1
	s_delay_alu instid0(VALU_DEP_1) | instskip(NEXT) | instid1(SALU_CYCLE_1)
	s_and_b32 s1, s0, s1
	s_and_b32 exec_lo, exec_lo, s1
	s_cbranch_execz .LBB207_37
; %bb.36:                               ;   in Loop: Header=BB207_7 Depth=1
	scratch_load_b32 v2, off, off offset:12 ; 4-byte Folded Reload
	v_ashrrev_i32_e32 v1, 31, v0
	s_waitcnt vmcnt(0)
	v_add_co_u32 v2, s1, v2, v0
	scratch_load_b32 v0, off, off offset:84 ; 4-byte Folded Reload
	s_waitcnt vmcnt(0)
	v_add_co_ci_u32_e64 v3, s1, v0, v1, s1
	v_mad_u64_u32 v[0:1], null, v2, 36, s[16:17]
	s_delay_alu instid0(VALU_DEP_1)
	v_mad_i32_i24 v1, v3, 36, v1
	global_load_b32 v0, v[0:1], off
	scratch_load_b32 v1, off, off offset:76 ; 4-byte Folded Reload
	s_waitcnt vmcnt(1)
	v_cvt_f32_f16_e32 v0, v0
	s_waitcnt vmcnt(0)
	ds_store_b32 v1, v0
.LBB207_37:                             ;   in Loop: Header=BB207_7 Depth=1
	s_or_b32 exec_lo, exec_lo, s23
	s_waitcnt lgkmcnt(0)
	s_clause 0x1
	scratch_load_b32 v4, off, off offset:4
	scratch_load_b32 v5, off, off offset:8
	s_mov_b32 s1, 24
	s_mov_b32 s22, 22
	s_waitcnt vmcnt(0)
	s_barrier
	buffer_gl0_inv
.LBB207_38:                             ;   Parent Loop BB207_7 Depth=1
                                        ; =>  This Inner Loop Header: Depth=2
	ds_load_b128 v[0:3], v4
	ds_load_b128 v[122:125], v4 offset:16
	s_add_i32 s23, s22, 2
	s_sub_i32 s24, s22, 22
	s_and_b32 s25, s23, 0x3ffffff8
	s_lshr_b32 s26, s23, 2
	s_lshl_b32 s25, s25, 2
	s_and_b32 s26, s26, 0x3ffffffc
	s_and_b32 s27, s1, -16
	s_add_i32 s1, s1, 2
	s_add_i32 s22, s22, s27
	s_cmp_lt_u32 s23, 30
	s_waitcnt lgkmcnt(1)
	v_bfe_i32 v120, v2, 0, 8
	v_bfe_i32 v101, v2, 8, 8
	;; [unrolled: 1-line block ×3, first 2 shown]
	v_ashrrev_i32_e32 v96, 24, v2
	v_add_nc_u32_e32 v2, s25, v59
	v_bfe_i32 v118, v0, 0, 8
	v_bfe_i32 v111, v0, 8, 8
	v_bfe_i32 v117, v0, 16, 8
	v_ashrrev_i32_e32 v116, 24, v0
	v_bfe_i32 v119, v1, 0, 8
	v_bfe_i32 v112, v1, 8, 8
	v_bfe_i32 v105, v1, 16, 8
	v_ashrrev_i32_e32 v104, 24, v1
	;; [unrolled: 4-line block ×3, first 2 shown]
	s_waitcnt lgkmcnt(0)
	v_bfe_i32 v121, v122, 0, 8
	v_bfe_i32 v106, v122, 8, 8
	v_bfe_i32 v107, v122, 16, 8
	v_ashrrev_i32_e32 v113, 24, v122
	v_bfe_i32 v122, v123, 0, 8
	v_bfe_i32 v108, v123, 8, 8
	v_bfe_i32 v109, v123, 16, 8
	v_ashrrev_i32_e32 v110, 24, v123
	;; [unrolled: 4-line block ×4, first 2 shown]
	ds_load_2addr_b32 v[124:125], v2 offset1:1
	ds_load_2addr_b32 v[0:1], v2 offset0:2 offset1:3
	ds_load_2addr_b32 v[129:130], v2 offset0:4 offset1:5
	;; [unrolled: 1-line block ×3, first 2 shown]
	s_waitcnt lgkmcnt(3)
	v_ashrrev_i32_e32 v126, s24, v124
	v_ashrrev_i32_e32 v124, s24, v125
	s_waitcnt lgkmcnt(2)
	v_ashrrev_i32_e32 v0, s24, v0
	s_waitcnt lgkmcnt(1)
	v_ashrrev_i32_e32 v127, s24, v129
	v_ashrrev_i32_e32 v125, s24, v130
	v_and_b32_e32 v10, 3, v126
	v_and_b32_e32 v17, 3, v124
	;; [unrolled: 1-line block ×3, first 2 shown]
	s_waitcnt lgkmcnt(0)
	v_ashrrev_i32_e32 v2, s24, v2
	v_ashrrev_i32_e32 v1, s24, v1
	v_mul_i32_i24_e32 v10, v10, v118
	v_ashrrev_i32_e32 v3, s24, v3
	v_mul_i32_i24_e32 v18, v18, v120
	s_delay_alu instid0(VALU_DEP_3) | instskip(SKIP_1) | instid1(VALU_DEP_1)
	v_mad_i32_i24 v10, v17, v119, v10
	v_bfe_u32 v17, v126, 8, 2
	v_mul_i32_i24_e32 v17, v17, v111
	s_delay_alu instid0(VALU_DEP_1) | instskip(SKIP_3) | instid1(VALU_DEP_3)
	v_add3_u32 v128, v10, v18, v17
	v_and_b32_e32 v10, 3, v127
	v_and_b32_e32 v17, 3, v125
	;; [unrolled: 1-line block ×3, first 2 shown]
	v_mul_i32_i24_e32 v10, v10, v121
	s_delay_alu instid0(VALU_DEP_2) | instskip(NEXT) | instid1(VALU_DEP_2)
	v_mul_i32_i24_e32 v18, v18, v123
	v_mad_i32_i24 v10, v17, v122, v10
	v_bfe_u32 v17, v127, 8, 2
	s_delay_alu instid0(VALU_DEP_1) | instskip(NEXT) | instid1(VALU_DEP_1)
	v_mul_i32_i24_e32 v17, v17, v106
	v_add3_u32 v129, v10, v18, v17
	v_add_nc_u32_e32 v10, s25, v61
	v_add_nc_u32_e32 v17, s26, v60
	ds_load_2addr_b32 v[131:132], v10 offset0:2 offset1:3
	ds_load_b32 v130, v17
	ds_load_2addr_b32 v[133:134], v10 offset1:1
	s_waitcnt lgkmcnt(2)
	v_ashrrev_i32_e32 v25, s24, v131
	s_waitcnt lgkmcnt(0)
	v_ashrrev_i32_e32 v17, s24, v133
	v_ashrrev_i32_e32 v18, s24, v134
	s_delay_alu instid0(VALU_DEP_3) | instskip(NEXT) | instid1(VALU_DEP_3)
	v_and_b32_e32 v26, 3, v25
	v_and_b32_e32 v22, 3, v17
	s_delay_alu instid0(VALU_DEP_3) | instskip(NEXT) | instid1(VALU_DEP_3)
	v_and_b32_e32 v23, 3, v18
	v_mul_i32_i24_e32 v26, v26, v120
	s_delay_alu instid0(VALU_DEP_3) | instskip(NEXT) | instid1(VALU_DEP_1)
	v_mul_i32_i24_e32 v22, v22, v118
	v_mad_i32_i24 v22, v23, v119, v22
	v_bfe_u32 v23, v17, 8, 2
	s_delay_alu instid0(VALU_DEP_1) | instskip(NEXT) | instid1(VALU_DEP_1)
	v_mul_i32_i24_e32 v23, v23, v111
	v_add3_u32 v22, v22, v26, v23
	v_add_nc_u32_e32 v23, s22, v85
	v_add_nc_u32_e32 v26, s26, v62
	ds_load_u16 v23, v23 offset:17906
	ds_load_b32 v26, v26
	ds_load_2addr_b32 v[133:134], v10 offset0:4 offset1:5
	ds_load_2addr_b32 v[135:136], v10 offset0:6 offset1:7
	s_waitcnt lgkmcnt(1)
	v_ashrrev_i32_e32 v10, s24, v133
	v_ashrrev_i32_e32 v27, s24, v134
	s_waitcnt lgkmcnt(0)
	v_ashrrev_i32_e32 v31, s24, v135
	s_delay_alu instid0(VALU_DEP_3) | instskip(NEXT) | instid1(VALU_DEP_3)
	v_and_b32_e32 v28, 3, v10
	v_and_b32_e32 v30, 3, v27
	s_delay_alu instid0(VALU_DEP_3) | instskip(NEXT) | instid1(VALU_DEP_3)
	v_and_b32_e32 v32, 3, v31
	v_mul_i32_i24_e32 v28, v28, v121
	s_delay_alu instid0(VALU_DEP_2) | instskip(NEXT) | instid1(VALU_DEP_2)
	v_mul_i32_i24_e32 v32, v32, v123
	v_mad_i32_i24 v28, v30, v122, v28
	v_bfe_u32 v30, v10, 8, 2
	s_delay_alu instid0(VALU_DEP_1) | instskip(NEXT) | instid1(VALU_DEP_1)
	v_mul_i32_i24_e32 v30, v30, v106
	v_add3_u32 v28, v28, v32, v30
	v_add_nc_u32_e32 v30, s25, v63
	ds_load_2addr_b32 v[133:134], v30 offset1:1
	ds_load_2addr_b32 v[137:138], v30 offset0:2 offset1:3
	ds_load_2addr_b32 v[139:140], v30 offset0:4 offset1:5
	;; [unrolled: 1-line block ×3, first 2 shown]
	s_waitcnt lgkmcnt(3)
	v_ashrrev_i32_e32 v30, s24, v133
	v_ashrrev_i32_e32 v32, s24, v134
	s_waitcnt lgkmcnt(2)
	v_ashrrev_i32_e32 v36, s24, v137
	s_waitcnt lgkmcnt(0)
	v_ashrrev_i32_e32 v64, s24, v141
	v_and_b32_e32 v33, 3, v30
	v_and_b32_e32 v35, 3, v32
	;; [unrolled: 1-line block ×3, first 2 shown]
	s_delay_alu instid0(VALU_DEP_4) | instskip(NEXT) | instid1(VALU_DEP_4)
	v_and_b32_e32 v68, 3, v64
	v_mul_i32_i24_e32 v33, v33, v118
	s_delay_alu instid0(VALU_DEP_3) | instskip(NEXT) | instid1(VALU_DEP_3)
	v_mul_i32_i24_e32 v38, v38, v120
	v_mul_i32_i24_e32 v68, v68, v123
	s_delay_alu instid0(VALU_DEP_3) | instskip(SKIP_1) | instid1(VALU_DEP_1)
	v_mad_i32_i24 v33, v35, v119, v33
	v_bfe_u32 v35, v30, 8, 2
	v_mul_i32_i24_e32 v35, v35, v111
	s_delay_alu instid0(VALU_DEP_1) | instskip(SKIP_2) | instid1(VALU_DEP_2)
	v_add3_u32 v33, v33, v38, v35
	v_ashrrev_i32_e32 v35, s24, v139
	v_ashrrev_i32_e32 v38, s24, v140
	v_and_b32_e32 v57, 3, v35
	s_delay_alu instid0(VALU_DEP_2) | instskip(NEXT) | instid1(VALU_DEP_2)
	v_and_b32_e32 v58, 3, v38
	v_mul_i32_i24_e32 v57, v57, v121
	s_delay_alu instid0(VALU_DEP_1) | instskip(SKIP_1) | instid1(VALU_DEP_1)
	v_mad_i32_i24 v57, v58, v122, v57
	v_bfe_u32 v58, v35, 8, 2
	v_mul_i32_i24_e32 v58, v58, v106
	s_delay_alu instid0(VALU_DEP_1)
	v_add3_u32 v57, v57, v68, v58
	v_add_nc_u32_e32 v58, s25, v66
	v_add_nc_u32_e32 v68, s26, v65
	ds_load_2addr_b32 v[133:134], v58 offset0:2 offset1:3
	ds_load_b32 v68, v68
	ds_load_2addr_b32 v[139:140], v58 offset1:1
	s_waitcnt lgkmcnt(2)
	v_ashrrev_i32_e32 v78, s24, v133
	s_waitcnt lgkmcnt(0)
	v_ashrrev_i32_e32 v69, s24, v139
	v_ashrrev_i32_e32 v70, s24, v140
	s_delay_alu instid0(VALU_DEP_3) | instskip(NEXT) | instid1(VALU_DEP_3)
	v_and_b32_e32 v131, 3, v78
	v_and_b32_e32 v71, 3, v69
	s_delay_alu instid0(VALU_DEP_3) | instskip(NEXT) | instid1(VALU_DEP_3)
	v_and_b32_e32 v77, 3, v70
	v_mul_i32_i24_e32 v131, v131, v120
	s_delay_alu instid0(VALU_DEP_3) | instskip(SKIP_1) | instid1(VALU_DEP_2)
	v_mul_i32_i24_e32 v71, v71, v118
	v_add_nc_u32_e32 v118, v119, v118
	v_mad_i32_i24 v71, v77, v119, v71
	v_bfe_u32 v77, v69, 8, 2
	s_delay_alu instid0(VALU_DEP_3) | instskip(SKIP_1) | instid1(VALU_DEP_3)
	v_add3_u32 v118, v118, v120, v114
	v_add_nc_u32_e32 v120, s22, v86
	v_mul_i32_i24_e32 v77, v77, v111
	v_add_nc_u32_e32 v111, v112, v111
	s_delay_alu instid0(VALU_DEP_2) | instskip(SKIP_2) | instid1(VALU_DEP_4)
	v_add3_u32 v71, v71, v131, v77
	v_add_nc_u32_e32 v77, s22, v83
	v_add_nc_u32_e32 v131, s26, v67
	v_add3_u32 v111, v111, v101, v97
	ds_load_u16 v77, v77 offset:19954
	ds_load_b32 v131, v131
	ds_load_2addr_b32 v[139:140], v58 offset0:4 offset1:5
	ds_load_2addr_b32 v[143:144], v58 offset0:6 offset1:7
	ds_load_u16 v120, v120 offset:16882
	s_waitcnt lgkmcnt(2)
	v_ashrrev_i32_e32 v58, s24, v139
	v_ashrrev_i32_e32 v133, s24, v140
	s_waitcnt lgkmcnt(1)
	v_ashrrev_i32_e32 v139, s24, v143
	s_delay_alu instid0(VALU_DEP_3) | instskip(NEXT) | instid1(VALU_DEP_3)
	v_and_b32_e32 v135, 3, v58
	v_and_b32_e32 v137, 3, v133
	s_delay_alu instid0(VALU_DEP_3) | instskip(NEXT) | instid1(VALU_DEP_3)
	v_and_b32_e32 v140, 3, v139
	v_mul_i32_i24_e32 v135, v135, v121
	v_add_nc_u32_e32 v121, v122, v121
	s_delay_alu instid0(VALU_DEP_3) | instskip(NEXT) | instid1(VALU_DEP_3)
	v_mul_i32_i24_e32 v140, v140, v123
	v_mad_i32_i24 v135, v137, v122, v135
	v_bfe_u32 v137, v58, 8, 2
	s_delay_alu instid0(VALU_DEP_4)
	v_add3_u32 v119, v121, v123, v115
	s_waitcnt lgkmcnt(0)
	v_lshrrev_b16 v123, 8, v120
	v_add_nc_u32_e32 v121, v104, v116
	v_add_nc_u32_e32 v122, v105, v117
	v_mul_i32_i24_e32 v137, v137, v106
	s_delay_alu instid0(VALU_DEP_4) | instskip(NEXT) | instid1(VALU_DEP_4)
	v_and_b32_e32 v123, 0xffff, v123
	v_add3_u32 v121, v121, v96, v6
	s_delay_alu instid0(VALU_DEP_4) | instskip(NEXT) | instid1(VALU_DEP_4)
	v_add3_u32 v122, v122, v100, v7
	v_add3_u32 v135, v135, v140, v137
	v_bfe_u32 v137, v120, 4, 4
	v_lshrrev_b32_e32 v141, 4, v123
	s_delay_alu instid0(VALU_DEP_2) | instskip(SKIP_1) | instid1(VALU_DEP_1)
	v_mul_lo_u32 v140, 0x1010101, v137
	v_mul_i32_i24_e32 v137, v137, v118
	v_mad_i32_i24 v137, v141, v119, v137
	s_delay_alu instid0(VALU_DEP_3) | instskip(SKIP_1) | instid1(VALU_DEP_2)
	v_lshrrev_b32_e32 v143, 24, v140
	v_bfe_i32 v145, v140, 16, 8
	v_mul_i32_i24_e32 v143, v121, v143
	s_delay_alu instid0(VALU_DEP_2) | instskip(NEXT) | instid1(VALU_DEP_1)
	v_mul_i32_i24_e32 v145, v122, v145
	v_add3_u32 v137, v137, v143, v145
	v_add_nc_u32_e32 v143, s22, v84
	s_mov_b32 s22, s23
	ds_load_u16 v143, v143 offset:18930
	s_waitcnt lgkmcnt(0)
	v_bfe_u32 v146, v143, 4, 4
	v_lshrrev_b16 v145, 8, v143
	s_delay_alu instid0(VALU_DEP_2) | instskip(NEXT) | instid1(VALU_DEP_2)
	v_mul_lo_u32 v147, 0x1010101, v146
	v_and_b32_e32 v145, 0xffff, v145
	v_mul_i32_i24_e32 v146, v146, v118
	s_delay_alu instid0(VALU_DEP_2) | instskip(NEXT) | instid1(VALU_DEP_4)
	v_lshrrev_b32_e32 v148, 4, v145
	v_lshrrev_b32_e32 v149, 24, v147
	v_bfe_i32 v150, v147, 16, 8
	s_delay_alu instid0(VALU_DEP_3) | instskip(NEXT) | instid1(VALU_DEP_3)
	v_mad_i32_i24 v146, v148, v119, v146
	v_mul_i32_i24_e32 v149, v121, v149
	s_delay_alu instid0(VALU_DEP_3) | instskip(NEXT) | instid1(VALU_DEP_1)
	v_mul_i32_i24_e32 v150, v122, v150
	v_add3_u32 v146, v146, v149, v150
	v_bfe_u32 v150, v23, 4, 4
	v_lshrrev_b16 v149, 8, v23
	v_and_b32_e32 v23, 15, v23
	s_delay_alu instid0(VALU_DEP_3) | instskip(NEXT) | instid1(VALU_DEP_3)
	v_mul_lo_u32 v151, 0x1010101, v150
	v_and_b32_e32 v149, 0xffff, v149
	v_mul_i32_i24_e32 v150, v150, v118
	s_delay_alu instid0(VALU_DEP_2) | instskip(NEXT) | instid1(VALU_DEP_4)
	v_lshrrev_b32_e32 v152, 4, v149
	v_lshrrev_b32_e32 v153, 24, v151
	v_bfe_i32 v154, v151, 16, 8
	s_delay_alu instid0(VALU_DEP_3) | instskip(NEXT) | instid1(VALU_DEP_3)
	v_mad_i32_i24 v150, v152, v119, v150
	v_mul_i32_i24_e32 v153, v121, v153
	s_delay_alu instid0(VALU_DEP_3) | instskip(NEXT) | instid1(VALU_DEP_1)
	v_mul_i32_i24_e32 v154, v122, v154
	v_add3_u32 v150, v150, v153, v154
	v_lshrrev_b16 v153, 8, v77
	v_bfe_u32 v154, v77, 4, 4
	s_delay_alu instid0(VALU_DEP_2) | instskip(NEXT) | instid1(VALU_DEP_2)
	v_and_b32_e32 v153, 0xffff, v153
	v_mul_i32_i24_e32 v118, v154, v118
	s_delay_alu instid0(VALU_DEP_2) | instskip(NEXT) | instid1(VALU_DEP_1)
	v_lshrrev_b32_e32 v155, 4, v153
	v_mad_i32_i24 v118, v155, v119, v118
	v_mul_lo_u32 v119, 0x1010101, v154
	s_delay_alu instid0(VALU_DEP_1) | instskip(NEXT) | instid1(VALU_DEP_1)
	v_lshrrev_b32_e32 v154, 24, v119
	v_mul_i32_i24_e32 v121, v121, v154
	v_bfe_i32 v154, v119, 16, 8
	v_bfe_i32 v119, v119, 8, 8
	s_delay_alu instid0(VALU_DEP_2) | instskip(NEXT) | instid1(VALU_DEP_1)
	v_mul_i32_i24_e32 v122, v122, v154
	v_add3_u32 v118, v118, v121, v122
	v_bfe_u32 v121, v126, 16, 2
	v_bfe_u32 v122, v126, 24, 2
	;; [unrolled: 1-line block ×3, first 2 shown]
	s_delay_alu instid0(VALU_DEP_3) | instskip(NEXT) | instid1(VALU_DEP_3)
	v_mul_i32_i24_e32 v121, v121, v117
	v_mul_i32_i24_e32 v122, v122, v116
	s_delay_alu instid0(VALU_DEP_3) | instskip(NEXT) | instid1(VALU_DEP_2)
	v_mul_i32_i24_e32 v126, v126, v113
	v_add3_u32 v121, v128, v121, v122
	v_bfe_u32 v122, v127, 16, 2
	v_mul_lo_u32 v127, 0x1010101, v152
	s_delay_alu instid0(VALU_DEP_2) | instskip(NEXT) | instid1(VALU_DEP_2)
	v_mul_i32_i24_e32 v122, v122, v107
	v_lshrrev_b32_e32 v128, 24, v127
	s_delay_alu instid0(VALU_DEP_2) | instskip(SKIP_2) | instid1(VALU_DEP_2)
	v_add3_u32 v122, v129, v122, v126
	v_bfe_u32 v126, v17, 16, 2
	v_bfe_u32 v17, v17, 24, 2
	v_mul_i32_i24_e32 v126, v126, v117
	s_delay_alu instid0(VALU_DEP_2) | instskip(NEXT) | instid1(VALU_DEP_1)
	v_mul_i32_i24_e32 v17, v17, v116
	v_add3_u32 v17, v22, v126, v17
	v_bfe_u32 v22, v10, 16, 2
	v_bfe_u32 v10, v10, 24, 2
	s_delay_alu instid0(VALU_DEP_2) | instskip(NEXT) | instid1(VALU_DEP_2)
	v_mul_i32_i24_e32 v22, v22, v107
	v_mul_i32_i24_e32 v10, v10, v113
	s_delay_alu instid0(VALU_DEP_1) | instskip(SKIP_3) | instid1(VALU_DEP_3)
	v_add3_u32 v10, v28, v22, v10
	v_bfe_u32 v22, v30, 16, 2
	v_bfe_u32 v28, v30, 24, 2
	;; [unrolled: 1-line block ×3, first 2 shown]
	v_mul_i32_i24_e32 v22, v22, v117
	s_delay_alu instid0(VALU_DEP_3) | instskip(NEXT) | instid1(VALU_DEP_3)
	v_mul_i32_i24_e32 v28, v28, v116
	v_mul_i32_i24_e32 v30, v30, v113
	s_delay_alu instid0(VALU_DEP_2) | instskip(SKIP_3) | instid1(VALU_DEP_3)
	v_add3_u32 v22, v33, v22, v28
	v_bfe_u32 v28, v35, 16, 2
	v_bfe_u32 v33, v69, 24, 2
	;; [unrolled: 1-line block ×3, first 2 shown]
	v_mul_i32_i24_e32 v28, v28, v107
	s_delay_alu instid0(VALU_DEP_3) | instskip(NEXT) | instid1(VALU_DEP_3)
	v_mul_i32_i24_e32 v33, v33, v116
	v_mul_i32_i24_e32 v35, v35, v113
	s_delay_alu instid0(VALU_DEP_3) | instskip(SKIP_3) | instid1(VALU_DEP_3)
	v_add3_u32 v28, v57, v28, v30
	v_bfe_u32 v30, v69, 16, 2
	v_and_b32_e32 v57, 3, v1
	v_bfe_u32 v69, v18, 8, 2
	v_mul_i32_i24_e32 v30, v30, v117
	s_delay_alu instid0(VALU_DEP_3) | instskip(NEXT) | instid1(VALU_DEP_3)
	v_mul_i32_i24_e32 v57, v57, v114
	v_mul_i32_i24_e32 v69, v69, v112
	s_delay_alu instid0(VALU_DEP_3) | instskip(SKIP_2) | instid1(VALU_DEP_2)
	v_add3_u32 v30, v71, v30, v33
	v_bfe_u32 v33, v58, 16, 2
	v_and_b32_e32 v58, 3, v3
	v_mul_i32_i24_e32 v33, v33, v107
	s_delay_alu instid0(VALU_DEP_2) | instskip(NEXT) | instid1(VALU_DEP_2)
	v_mul_i32_i24_e32 v58, v58, v115
	v_add3_u32 v33, v135, v33, v35
	v_bfe_u32 v35, v124, 8, 2
	s_delay_alu instid0(VALU_DEP_1) | instskip(NEXT) | instid1(VALU_DEP_1)
	v_mul_i32_i24_e32 v35, v35, v112
	v_add3_u32 v35, v121, v57, v35
	v_bfe_u32 v57, v125, 8, 2
	s_delay_alu instid0(VALU_DEP_1) | instskip(NEXT) | instid1(VALU_DEP_1)
	v_mul_i32_i24_e32 v57, v57, v108
	v_add3_u32 v57, v122, v58, v57
	v_ashrrev_i32_e32 v58, s24, v132
	v_mul_lo_u32 v122, 0x1010101, v148
	s_delay_alu instid0(VALU_DEP_2) | instskip(NEXT) | instid1(VALU_DEP_2)
	v_and_b32_e32 v71, 3, v58
	v_lshrrev_b32_e32 v126, 24, v122
	s_delay_alu instid0(VALU_DEP_2) | instskip(NEXT) | instid1(VALU_DEP_1)
	v_mul_i32_i24_e32 v71, v71, v114
	v_add3_u32 v17, v17, v71, v69
	v_ashrrev_i32_e32 v69, s24, v136
	v_bfe_u32 v71, v27, 8, 2
	s_delay_alu instid0(VALU_DEP_2) | instskip(NEXT) | instid1(VALU_DEP_2)
	v_and_b32_e32 v116, 3, v69
	v_mul_i32_i24_e32 v71, v71, v108
	s_delay_alu instid0(VALU_DEP_2) | instskip(NEXT) | instid1(VALU_DEP_1)
	v_mul_i32_i24_e32 v116, v116, v115
	v_add3_u32 v10, v10, v116, v71
	v_ashrrev_i32_e32 v71, s24, v138
	v_bfe_u32 v116, v32, 8, 2
	s_delay_alu instid0(VALU_DEP_2) | instskip(NEXT) | instid1(VALU_DEP_2)
	v_and_b32_e32 v117, 3, v71
	v_mul_i32_i24_e32 v116, v116, v112
	;; [unrolled: 8-line block ×3, first 2 shown]
	s_delay_alu instid0(VALU_DEP_2) | instskip(NEXT) | instid1(VALU_DEP_1)
	v_mul_i32_i24_e32 v121, v121, v115
	v_add3_u32 v28, v28, v121, v117
	v_ashrrev_i32_e32 v117, s24, v134
	s_delay_alu instid0(VALU_DEP_1) | instskip(NEXT) | instid1(VALU_DEP_1)
	v_and_b32_e32 v121, 3, v117
	v_mul_i32_i24_e32 v114, v121, v114
	v_bfe_u32 v121, v70, 8, 2
	s_delay_alu instid0(VALU_DEP_1) | instskip(SKIP_2) | instid1(VALU_DEP_3)
	v_mul_i32_i24_e32 v121, v121, v112
	v_add_nc_u32_e32 v112, v110, v113
	v_bfe_i32 v113, v140, 8, 8
	v_add3_u32 v30, v30, v114, v121
	v_ashrrev_i32_e32 v114, s24, v144
	s_delay_alu instid0(VALU_DEP_4) | instskip(NEXT) | instid1(VALU_DEP_4)
	v_add3_u32 v112, v112, v98, v94
	v_mul_i32_i24_e32 v113, v111, v113
	s_delay_alu instid0(VALU_DEP_3) | instskip(NEXT) | instid1(VALU_DEP_3)
	v_and_b32_e32 v121, 3, v114
	v_mul_i32_i24_e32 v126, v112, v126
	v_mul_i32_i24_e32 v128, v112, v128
	s_delay_alu instid0(VALU_DEP_3) | instskip(SKIP_1) | instid1(VALU_DEP_1)
	v_mul_i32_i24_e32 v115, v121, v115
	v_bfe_u32 v121, v133, 8, 2
	v_mul_i32_i24_e32 v121, v121, v108
	s_delay_alu instid0(VALU_DEP_1) | instskip(SKIP_1) | instid1(VALU_DEP_1)
	v_add3_u32 v33, v33, v115, v121
	v_mul_lo_u32 v115, 0x1010101, v141
	v_lshrrev_b32_e32 v121, 24, v115
	s_delay_alu instid0(VALU_DEP_1) | instskip(NEXT) | instid1(VALU_DEP_1)
	v_mul_i32_i24_e32 v121, v112, v121
	v_add3_u32 v113, v137, v113, v121
	v_bfe_i32 v121, v147, 8, 8
	s_delay_alu instid0(VALU_DEP_1) | instskip(NEXT) | instid1(VALU_DEP_1)
	v_mul_i32_i24_e32 v121, v111, v121
	v_add3_u32 v121, v146, v121, v126
	v_bfe_i32 v126, v151, 8, 8
	s_delay_alu instid0(VALU_DEP_1) | instskip(SKIP_2) | instid1(VALU_DEP_3)
	v_mul_i32_i24_e32 v126, v111, v126
	v_mul_i32_i24_e32 v111, v111, v119
	v_mul_lo_u32 v119, 0x1010101, v155
	v_add3_u32 v126, v150, v126, v128
	s_delay_alu instid0(VALU_DEP_2) | instskip(NEXT) | instid1(VALU_DEP_1)
	v_lshrrev_b32_e32 v128, 24, v119
	v_mul_i32_i24_e32 v112, v112, v128
	s_delay_alu instid0(VALU_DEP_1) | instskip(SKIP_2) | instid1(VALU_DEP_2)
	v_add3_u32 v111, v118, v111, v112
	v_bfe_u32 v112, v124, 16, 2
	v_bfe_u32 v118, v124, 24, 2
	v_mul_i32_i24_e32 v112, v112, v105
	s_delay_alu instid0(VALU_DEP_2) | instskip(NEXT) | instid1(VALU_DEP_1)
	v_mul_i32_i24_e32 v118, v118, v104
	v_add3_u32 v35, v35, v112, v118
	v_bfe_u32 v112, v125, 16, 2
	v_bfe_u32 v118, v125, 24, 2
	s_delay_alu instid0(VALU_DEP_2) | instskip(NEXT) | instid1(VALU_DEP_2)
	v_mul_i32_i24_e32 v112, v112, v109
	v_mul_i32_i24_e32 v118, v118, v110
	s_delay_alu instid0(VALU_DEP_1) | instskip(SKIP_2) | instid1(VALU_DEP_2)
	v_add3_u32 v57, v57, v112, v118
	v_bfe_u32 v112, v18, 16, 2
	v_bfe_u32 v18, v18, 24, 2
	v_mul_i32_i24_e32 v112, v112, v105
	s_delay_alu instid0(VALU_DEP_2) | instskip(NEXT) | instid1(VALU_DEP_1)
	v_mul_i32_i24_e32 v18, v18, v104
	v_add3_u32 v17, v17, v112, v18
	v_bfe_u32 v18, v27, 16, 2
	v_bfe_u32 v27, v27, 24, 2
	s_delay_alu instid0(VALU_DEP_2) | instskip(NEXT) | instid1(VALU_DEP_2)
	v_mul_i32_i24_e32 v18, v18, v109
	v_mul_i32_i24_e32 v27, v27, v110
	s_delay_alu instid0(VALU_DEP_1) | instskip(SKIP_3) | instid1(VALU_DEP_3)
	v_add3_u32 v10, v10, v18, v27
	v_bfe_u32 v18, v32, 16, 2
	v_bfe_u32 v27, v32, 24, 2
	v_add_nc_u32_e32 v32, v108, v106
	v_mul_i32_i24_e32 v18, v18, v105
	s_delay_alu instid0(VALU_DEP_3) | instskip(NEXT) | instid1(VALU_DEP_3)
	v_mul_i32_i24_e32 v27, v27, v104
	v_add3_u32 v32, v32, v103, v99
	s_delay_alu instid0(VALU_DEP_2) | instskip(SKIP_3) | instid1(VALU_DEP_3)
	v_add3_u32 v18, v22, v18, v27
	v_bfe_u32 v22, v38, 16, 2
	v_bfe_u32 v27, v38, 24, 2
	v_bfe_i32 v38, v115, 8, 8
	v_mul_i32_i24_e32 v22, v22, v109
	s_delay_alu instid0(VALU_DEP_3) | instskip(NEXT) | instid1(VALU_DEP_3)
	v_mul_i32_i24_e32 v27, v27, v110
	v_mul_i32_i24_e32 v38, v32, v38
	s_delay_alu instid0(VALU_DEP_2) | instskip(SKIP_3) | instid1(VALU_DEP_3)
	v_add3_u32 v22, v28, v22, v27
	v_bfe_u32 v27, v70, 16, 2
	v_bfe_u32 v28, v70, 24, 2
	v_bfe_i32 v70, v122, 8, 8
	v_mul_i32_i24_e32 v27, v27, v105
	s_delay_alu instid0(VALU_DEP_3) | instskip(NEXT) | instid1(VALU_DEP_3)
	v_mul_i32_i24_e32 v28, v28, v104
	v_mul_i32_i24_e32 v70, v32, v70
	v_bfe_i32 v104, v127, 8, 8
	s_delay_alu instid0(VALU_DEP_3) | instskip(SKIP_2) | instid1(VALU_DEP_4)
	v_add3_u32 v27, v30, v27, v28
	v_bfe_u32 v28, v133, 24, 2
	v_bfe_u32 v30, v133, 16, 2
	v_mul_i32_i24_e32 v104, v32, v104
	s_delay_alu instid0(VALU_DEP_3) | instskip(NEXT) | instid1(VALU_DEP_3)
	v_mul_i32_i24_e32 v28, v28, v110
	v_mul_i32_i24_e32 v30, v30, v109
	s_delay_alu instid0(VALU_DEP_1) | instskip(SKIP_2) | instid1(VALU_DEP_2)
	v_add3_u32 v28, v33, v30, v28
	v_add_nc_u32_e32 v30, v109, v107
	v_bfe_i32 v33, v115, 16, 8
	v_add3_u32 v30, v30, v102, v95
	s_delay_alu instid0(VALU_DEP_1) | instskip(NEXT) | instid1(VALU_DEP_1)
	v_mul_i32_i24_e32 v33, v30, v33
	v_add3_u32 v33, v113, v33, v38
	v_bfe_i32 v38, v122, 16, 8
	s_delay_alu instid0(VALU_DEP_1) | instskip(NEXT) | instid1(VALU_DEP_1)
	v_mul_i32_i24_e32 v38, v30, v38
	v_add3_u32 v38, v121, v38, v70
	v_bfe_i32 v70, v127, 16, 8
	;; [unrolled: 4-line block ×3, first 2 shown]
	s_delay_alu instid0(VALU_DEP_1) | instskip(SKIP_1) | instid1(VALU_DEP_1)
	v_mul_i32_i24_e32 v30, v30, v104
	v_bfe_i32 v104, v119, 8, 8
	v_mul_i32_i24_e32 v32, v32, v104
	v_bfe_u32 v104, v0, 16, 2
	s_delay_alu instid0(VALU_DEP_2) | instskip(SKIP_1) | instid1(VALU_DEP_3)
	v_add3_u32 v30, v111, v30, v32
	v_bfe_u32 v32, v0, 8, 2
	v_mul_i32_i24_e32 v104, v104, v100
	v_bfe_u32 v0, v0, 24, 2
	s_delay_alu instid0(VALU_DEP_4) | instskip(NEXT) | instid1(VALU_DEP_4)
	v_cvt_f32_i32_e32 v30, v30
	v_mul_i32_i24_e32 v32, v32, v101
	s_delay_alu instid0(VALU_DEP_3) | instskip(NEXT) | instid1(VALU_DEP_2)
	v_mul_i32_i24_e32 v0, v0, v96
	v_add3_u32 v32, v35, v32, v104
	v_bfe_u32 v35, v2, 8, 2
	v_bfe_u32 v104, v2, 16, 2
	;; [unrolled: 1-line block ×3, first 2 shown]
	s_delay_alu instid0(VALU_DEP_3) | instskip(NEXT) | instid1(VALU_DEP_3)
	v_mul_i32_i24_e32 v35, v35, v103
	v_mul_i32_i24_e32 v104, v104, v102
	s_delay_alu instid0(VALU_DEP_3) | instskip(NEXT) | instid1(VALU_DEP_2)
	v_mul_i32_i24_e32 v2, v2, v98
	v_add3_u32 v35, v57, v35, v104
	v_bfe_u32 v57, v25, 8, 2
	v_bfe_u32 v104, v25, 16, 2
	;; [unrolled: 1-line block ×3, first 2 shown]
	s_delay_alu instid0(VALU_DEP_3) | instskip(NEXT) | instid1(VALU_DEP_3)
	v_mul_i32_i24_e32 v57, v57, v101
	v_mul_i32_i24_e32 v104, v104, v100
	s_delay_alu instid0(VALU_DEP_3) | instskip(NEXT) | instid1(VALU_DEP_2)
	v_mul_i32_i24_e32 v25, v25, v96
	v_add3_u32 v17, v17, v57, v104
	v_bfe_u32 v57, v31, 8, 2
	v_bfe_u32 v104, v31, 16, 2
	s_delay_alu instid0(VALU_DEP_2) | instskip(NEXT) | instid1(VALU_DEP_2)
	v_mul_i32_i24_e32 v57, v57, v103
	v_mul_i32_i24_e32 v104, v104, v102
	s_delay_alu instid0(VALU_DEP_1) | instskip(SKIP_2) | instid1(VALU_DEP_2)
	v_add3_u32 v10, v10, v57, v104
	v_bfe_u32 v57, v36, 8, 2
	v_bfe_u32 v104, v36, 16, 2
	v_mul_i32_i24_e32 v57, v57, v101
	s_delay_alu instid0(VALU_DEP_2) | instskip(NEXT) | instid1(VALU_DEP_1)
	v_mul_i32_i24_e32 v104, v104, v100
	v_add3_u32 v18, v18, v57, v104
	v_bfe_u32 v57, v64, 8, 2
	v_bfe_u32 v104, v64, 16, 2
	s_delay_alu instid0(VALU_DEP_2) | instskip(NEXT) | instid1(VALU_DEP_2)
	v_mul_i32_i24_e32 v57, v57, v103
	v_mul_i32_i24_e32 v104, v104, v102
	s_delay_alu instid0(VALU_DEP_1) | instskip(SKIP_1) | instid1(VALU_DEP_1)
	v_add3_u32 v22, v22, v57, v104
	v_bfe_u32 v57, v78, 8, 2
	v_mul_i32_i24_e32 v57, v57, v101
	v_bfe_u32 v101, v78, 16, 2
	s_delay_alu instid0(VALU_DEP_1) | instskip(NEXT) | instid1(VALU_DEP_1)
	v_mul_i32_i24_e32 v100, v101, v100
	v_add3_u32 v27, v27, v57, v100
	v_bfe_u32 v57, v139, 8, 2
	v_bfe_u32 v100, v139, 16, 2
	s_delay_alu instid0(VALU_DEP_2) | instskip(NEXT) | instid1(VALU_DEP_2)
	v_mul_i32_i24_e32 v57, v57, v103
	v_mul_i32_i24_e32 v100, v100, v102
	s_delay_alu instid0(VALU_DEP_1) | instskip(SKIP_1) | instid1(VALU_DEP_1)
	v_add3_u32 v28, v28, v57, v100
	v_bfe_u32 v57, v1, 8, 2
	v_mul_i32_i24_e32 v57, v57, v97
	s_delay_alu instid0(VALU_DEP_1) | instskip(SKIP_1) | instid1(VALU_DEP_1)
	v_add3_u32 v0, v32, v0, v57
	v_bfe_u32 v32, v3, 8, 2
	v_mul_i32_i24_e32 v32, v32, v99
	s_delay_alu instid0(VALU_DEP_1) | instskip(SKIP_2) | instid1(VALU_DEP_2)
	v_add3_u32 v2, v35, v2, v32
	v_bfe_u32 v32, v58, 8, 2
	v_and_b32_e32 v35, 15, v149
	v_mul_i32_i24_e32 v32, v32, v97
	s_delay_alu instid0(VALU_DEP_1) | instskip(SKIP_3) | instid1(VALU_DEP_3)
	v_add3_u32 v17, v17, v25, v32
	v_bfe_u32 v25, v31, 24, 2
	v_bfe_u32 v31, v69, 8, 2
	v_lshrrev_b32_e32 v32, 16, v68
	v_mul_i32_i24_e32 v25, v25, v98
	s_delay_alu instid0(VALU_DEP_3) | instskip(NEXT) | instid1(VALU_DEP_1)
	v_mul_i32_i24_e32 v31, v31, v99
	v_add3_u32 v10, v10, v25, v31
	v_bfe_u32 v25, v36, 24, 2
	v_bfe_u32 v31, v71, 8, 2
	s_delay_alu instid0(VALU_DEP_2) | instskip(NEXT) | instid1(VALU_DEP_2)
	v_mul_i32_i24_e32 v25, v25, v96
	v_mul_i32_i24_e32 v31, v31, v97
	s_delay_alu instid0(VALU_DEP_1) | instskip(SKIP_2) | instid1(VALU_DEP_2)
	v_add3_u32 v18, v18, v25, v31
	v_bfe_u32 v25, v64, 24, 2
	v_bfe_u32 v31, v116, 8, 2
	v_mul_i32_i24_e32 v25, v25, v98
	s_delay_alu instid0(VALU_DEP_2) | instskip(NEXT) | instid1(VALU_DEP_1)
	v_mul_i32_i24_e32 v31, v31, v99
	v_add3_u32 v22, v22, v25, v31
	v_bfe_u32 v25, v78, 24, 2
	v_bfe_u32 v31, v117, 8, 2
	s_delay_alu instid0(VALU_DEP_2) | instskip(NEXT) | instid1(VALU_DEP_2)
	v_mul_i32_i24_e32 v25, v25, v96
	v_mul_i32_i24_e32 v31, v31, v97
	s_delay_alu instid0(VALU_DEP_1) | instskip(SKIP_2) | instid1(VALU_DEP_2)
	v_add3_u32 v25, v27, v25, v31
	v_bfe_u32 v27, v139, 24, 2
	v_bfe_u32 v31, v114, 8, 2
	v_mul_i32_i24_e32 v27, v27, v98
	s_delay_alu instid0(VALU_DEP_2) | instskip(NEXT) | instid1(VALU_DEP_1)
	v_mul_i32_i24_e32 v31, v31, v99
	v_add3_u32 v27, v28, v27, v31
	v_bfe_u32 v28, v1, 16, 2
	v_bfe_u32 v1, v1, 24, 2
	v_and_b32_e32 v31, 15, v123
	s_delay_alu instid0(VALU_DEP_3) | instskip(NEXT) | instid1(VALU_DEP_3)
	v_mul_i32_i24_e32 v28, v28, v7
	v_mul_i32_i24_e32 v1, v1, v6
	s_delay_alu instid0(VALU_DEP_1) | instskip(SKIP_3) | instid1(VALU_DEP_3)
	v_add3_u32 v0, v0, v28, v1
	v_bfe_u32 v1, v3, 16, 2
	v_bfe_u32 v3, v3, 24, 2
	v_lshrrev_b32_e32 v28, 16, v130
	v_mul_i32_i24_e32 v1, v1, v95
	s_delay_alu instid0(VALU_DEP_3) | instskip(NEXT) | instid1(VALU_DEP_1)
	v_mul_i32_i24_e32 v3, v3, v94
	v_add3_u32 v3, v2, v1, v3
	v_bfe_u32 v1, v58, 16, 2
	v_bfe_u32 v2, v58, 24, 2
	s_delay_alu instid0(VALU_DEP_2) | instskip(NEXT) | instid1(VALU_DEP_2)
	v_mul_i32_i24_e32 v1, v1, v7
	v_mul_i32_i24_e32 v2, v2, v6
	s_delay_alu instid0(VALU_DEP_1) | instskip(SKIP_2) | instid1(VALU_DEP_2)
	v_add3_u32 v17, v17, v1, v2
	v_bfe_u32 v1, v69, 16, 2
	v_bfe_u32 v2, v69, 24, 2
	v_mul_i32_i24_e32 v1, v1, v95
	s_delay_alu instid0(VALU_DEP_2) | instskip(NEXT) | instid1(VALU_DEP_1)
	v_mul_i32_i24_e32 v2, v2, v94
	v_add3_u32 v10, v10, v1, v2
	v_bfe_u32 v1, v71, 16, 2
	v_bfe_u32 v2, v71, 24, 2
	s_delay_alu instid0(VALU_DEP_2) | instskip(NEXT) | instid1(VALU_DEP_2)
	v_mul_i32_i24_e32 v1, v1, v7
	v_mul_i32_i24_e32 v2, v2, v6
	s_delay_alu instid0(VALU_DEP_1) | instskip(SKIP_2) | instid1(VALU_DEP_2)
	v_add3_u32 v18, v18, v1, v2
	v_bfe_u32 v1, v116, 16, 2
	v_bfe_u32 v2, v116, 24, 2
	v_mul_i32_i24_e32 v1, v1, v95
	s_delay_alu instid0(VALU_DEP_2) | instskip(NEXT) | instid1(VALU_DEP_1)
	v_mul_i32_i24_e32 v2, v2, v94
	v_add3_u32 v22, v22, v1, v2
	v_bfe_u32 v1, v117, 16, 2
	v_bfe_u32 v2, v117, 24, 2
	s_delay_alu instid0(VALU_DEP_2) | instskip(NEXT) | instid1(VALU_DEP_2)
	v_mul_i32_i24_e32 v1, v1, v7
	v_mul_i32_i24_e32 v2, v2, v6
	v_and_b32_e32 v7, 15, v143
	s_delay_alu instid0(VALU_DEP_2) | instskip(SKIP_2) | instid1(VALU_DEP_2)
	v_add3_u32 v6, v25, v1, v2
	v_bfe_u32 v1, v114, 16, 2
	v_bfe_u32 v2, v114, 24, 2
	v_mul_i32_i24_e32 v1, v1, v95
	s_delay_alu instid0(VALU_DEP_2) | instskip(NEXT) | instid1(VALU_DEP_1)
	v_mul_i32_i24_e32 v2, v2, v94
	v_add3_u32 v25, v27, v1, v2
	v_and_b32_e32 v1, 15, v120
	ds_load_b32 v27, v5
	v_add_nc_u32_e32 v5, 4, v5
	v_mul_lo_u32 v0, v0, v1
	s_delay_alu instid0(VALU_DEP_1) | instskip(SKIP_4) | instid1(VALU_DEP_3)
	v_mad_u64_u32 v[1:2], null, v3, v31, v[0:1]
	v_mul_lo_u32 v0, v17, v23
	v_lshrrev_b32_e32 v31, 16, v26
	v_cvt_f32_f16_e32 v23, v32
	v_and_b32_e32 v32, 15, v153
	v_cvt_f32_f16_e32 v17, v31
	v_and_b32_e32 v31, 15, v145
	v_mad_u64_u32 v[2:3], null, v10, v35, v[0:1]
	v_lshrrev_b32_e32 v0, 16, v131
	v_and_b32_e32 v3, 15, v77
	v_cvt_f32_f16_e32 v10, v28
	v_cvt_f32_i32_e32 v35, v70
	s_delay_alu instid0(VALU_DEP_4)
	v_cvt_f32_f16_e32 v28, v0
	v_mul_lo_u32 v0, v18, v7
	v_mul_lo_u32 v3, v6, v3
	v_cvt_f32_i32_e32 v18, v33
	v_cvt_f32_i32_e32 v33, v38
	;; [unrolled: 1-line block ×3, first 2 shown]
	v_mad_u64_u32 v[6:7], null, v22, v31, v[0:1]
	v_mad_u64_u32 v[94:95], null, v25, v32, v[3:4]
	s_delay_alu instid0(VALU_DEP_4)
	v_dual_mul_f32 v0, v10, v18 :: v_dual_mul_f32 v3, v23, v33
	v_dual_mul_f32 v7, v17, v35 :: v_dual_mul_f32 v10, v28, v30
	v_cvt_f32_i32_e32 v1, v1
	v_cvt_f32_i32_e32 v6, v6
	v_cvt_f32_i32_e32 v17, v94
	v_add_nc_u32_e32 v4, 32, v4
	s_delay_alu instid0(VALU_DEP_4)
	v_fma_mix_f32 v0, v130, v1, -v0 op_sel_hi:[1,0,0]
	v_fma_mix_f32 v1, v26, v2, -v7 op_sel_hi:[1,0,0]
	;; [unrolled: 1-line block ×4, first 2 shown]
	s_waitcnt lgkmcnt(0)
	v_fmac_f32_e32 v12, v27, v0
	v_fmac_f32_e32 v90, v27, v1
	;; [unrolled: 1-line block ×4, first 2 shown]
	s_cbranch_scc1 .LBB207_38
; %bb.39:                               ;   in Loop: Header=BB207_7 Depth=1
	s_barrier
	buffer_gl0_inv
	s_branch .LBB207_4
.LBB207_40:                             ;   in Loop: Header=BB207_7 Depth=1
	v_dual_mov_b32 v17, v54 :: v_dual_mov_b32 v18, v56
	v_dual_mov_b32 v22, v87 :: v_dual_mov_b32 v23, v88
	;; [unrolled: 1-line block ×4, first 2 shown]
	s_branch .LBB207_5
.LBB207_41:
	scratch_load_b32 v10, off, off offset:92 ; 4-byte Folded Reload
	v_cvt_f16_f32_e32 v5, v12
	v_cvt_f16_f32_e32 v4, v90
	;; [unrolled: 1-line block ×4, first 2 shown]
.LBB207_42:
	s_mul_i32 s0, s7, s4
	s_waitcnt vmcnt(0)
	v_cmp_gt_i32_e32 vcc_lo, s0, v10
	s_and_saveexec_b32 s0, vcc_lo
	s_cbranch_execz .LBB207_51
; %bb.43:
	v_mul_lo_u32 v1, v10, s6
	v_add_nc_u32_e32 v3, s18, v156
	s_mov_b32 s0, exec_lo
	s_delay_alu instid0(VALU_DEP_1)
	v_cmpx_gt_u32_e64 s6, v3
	s_cbranch_execz .LBB207_45
; %bb.44:
	s_delay_alu instid0(VALU_DEP_3) | instskip(NEXT) | instid1(VALU_DEP_1)
	v_dual_mov_b32 v7, 0 :: v_dual_add_nc_u32 v6, v1, v3
	v_lshlrev_b64 v[6:7], 1, v[6:7]
	s_delay_alu instid0(VALU_DEP_1) | instskip(NEXT) | instid1(VALU_DEP_2)
	v_add_co_u32 v6, vcc_lo, s8, v6
	v_add_co_ci_u32_e32 v7, vcc_lo, s9, v7, vcc_lo
	global_store_b16 v[6:7], v5, off
.LBB207_45:
	s_or_b32 exec_lo, exec_lo, s0
	v_add_nc_u32_e32 v5, 32, v3
	s_mov_b32 s0, exec_lo
	s_delay_alu instid0(VALU_DEP_1)
	v_cmpx_gt_u32_e64 s6, v5
	s_cbranch_execz .LBB207_47
; %bb.46:
	v_dual_mov_b32 v6, 0 :: v_dual_add_nc_u32 v5, v1, v5
	s_delay_alu instid0(VALU_DEP_1) | instskip(NEXT) | instid1(VALU_DEP_1)
	v_lshlrev_b64 v[5:6], 1, v[5:6]
	v_add_co_u32 v5, vcc_lo, s8, v5
	s_delay_alu instid0(VALU_DEP_2)
	v_add_co_ci_u32_e32 v6, vcc_lo, s9, v6, vcc_lo
	global_store_b16 v[5:6], v4, off
.LBB207_47:
	s_or_b32 exec_lo, exec_lo, s0
	v_add_nc_u32_e32 v4, 64, v3
	s_mov_b32 s0, exec_lo
	s_delay_alu instid0(VALU_DEP_1)
	v_cmpx_gt_u32_e64 s6, v4
	s_cbranch_execz .LBB207_49
; %bb.48:
	v_dual_mov_b32 v5, 0 :: v_dual_add_nc_u32 v4, v1, v4
	s_delay_alu instid0(VALU_DEP_1) | instskip(NEXT) | instid1(VALU_DEP_1)
	v_lshlrev_b64 v[4:5], 1, v[4:5]
	v_add_co_u32 v4, vcc_lo, s8, v4
	s_delay_alu instid0(VALU_DEP_2)
	v_add_co_ci_u32_e32 v5, vcc_lo, s9, v5, vcc_lo
	global_store_b16 v[4:5], v0, off
.LBB207_49:
	s_or_b32 exec_lo, exec_lo, s0
	v_add_nc_u32_e32 v0, 0x60, v3
	s_delay_alu instid0(VALU_DEP_1)
	v_cmp_gt_u32_e32 vcc_lo, s6, v0
	s_and_b32 exec_lo, exec_lo, vcc_lo
	s_cbranch_execz .LBB207_51
; %bb.50:
	v_dual_mov_b32 v1, 0 :: v_dual_add_nc_u32 v0, v1, v0
	s_delay_alu instid0(VALU_DEP_1) | instskip(NEXT) | instid1(VALU_DEP_1)
	v_lshlrev_b64 v[0:1], 1, v[0:1]
	v_add_co_u32 v0, vcc_lo, s8, v0
	s_delay_alu instid0(VALU_DEP_2)
	v_add_co_ci_u32_e32 v1, vcc_lo, s9, v1, vcc_lo
	global_store_b16 v[0:1], v2, off
.LBB207_51:
	s_endpgm
	.section	.rodata,"a",@progbits
	.p2align	6, 0x0
	.amdhsa_kernel _ZL8moe_q2_KIN3c104HalfELb0EEvPKvS3_PT_PKiS7_S7_iiiiiii
		.amdhsa_group_segment_fixed_size 23328
		.amdhsa_private_segment_fixed_size 100
		.amdhsa_kernarg_size 76
		.amdhsa_user_sgpr_count 14
		.amdhsa_user_sgpr_dispatch_ptr 0
		.amdhsa_user_sgpr_queue_ptr 0
		.amdhsa_user_sgpr_kernarg_segment_ptr 1
		.amdhsa_user_sgpr_dispatch_id 0
		.amdhsa_user_sgpr_private_segment_size 0
		.amdhsa_wavefront_size32 1
		.amdhsa_uses_dynamic_stack 0
		.amdhsa_enable_private_segment 1
		.amdhsa_system_sgpr_workgroup_id_x 1
		.amdhsa_system_sgpr_workgroup_id_y 1
		.amdhsa_system_sgpr_workgroup_id_z 0
		.amdhsa_system_sgpr_workgroup_info 0
		.amdhsa_system_vgpr_workitem_id 1
		.amdhsa_next_free_vgpr 256
		.amdhsa_next_free_sgpr 30
		.amdhsa_reserve_vcc 1
		.amdhsa_float_round_mode_32 0
		.amdhsa_float_round_mode_16_64 0
		.amdhsa_float_denorm_mode_32 3
		.amdhsa_float_denorm_mode_16_64 3
		.amdhsa_dx10_clamp 1
		.amdhsa_ieee_mode 1
		.amdhsa_fp16_overflow 0
		.amdhsa_workgroup_processor_mode 1
		.amdhsa_memory_ordered 1
		.amdhsa_forward_progress 0
		.amdhsa_shared_vgpr_count 0
		.amdhsa_exception_fp_ieee_invalid_op 0
		.amdhsa_exception_fp_denorm_src 0
		.amdhsa_exception_fp_ieee_div_zero 0
		.amdhsa_exception_fp_ieee_overflow 0
		.amdhsa_exception_fp_ieee_underflow 0
		.amdhsa_exception_fp_ieee_inexact 0
		.amdhsa_exception_int_div_zero 0
	.end_amdhsa_kernel
	.section	.text._ZL8moe_q2_KIN3c104HalfELb0EEvPKvS3_PT_PKiS7_S7_iiiiiii,"axG",@progbits,_ZL8moe_q2_KIN3c104HalfELb0EEvPKvS3_PT_PKiS7_S7_iiiiiii,comdat
.Lfunc_end207:
	.size	_ZL8moe_q2_KIN3c104HalfELb0EEvPKvS3_PT_PKiS7_S7_iiiiiii, .Lfunc_end207-_ZL8moe_q2_KIN3c104HalfELb0EEvPKvS3_PT_PKiS7_S7_iiiiiii
                                        ; -- End function
	.section	.AMDGPU.csdata,"",@progbits
; Kernel info:
; codeLenInByte = 20228
; NumSgprs: 32
; NumVgprs: 256
; ScratchSize: 100
; MemoryBound: 0
; FloatMode: 240
; IeeeMode: 1
; LDSByteSize: 23328 bytes/workgroup (compile time only)
; SGPRBlocks: 3
; VGPRBlocks: 31
; NumSGPRsForWavesPerEU: 32
; NumVGPRsForWavesPerEU: 256
; Occupancy: 5
; WaveLimiterHint : 1
; COMPUTE_PGM_RSRC2:SCRATCH_EN: 1
; COMPUTE_PGM_RSRC2:USER_SGPR: 14
; COMPUTE_PGM_RSRC2:TRAP_HANDLER: 0
; COMPUTE_PGM_RSRC2:TGID_X_EN: 1
; COMPUTE_PGM_RSRC2:TGID_Y_EN: 1
; COMPUTE_PGM_RSRC2:TGID_Z_EN: 0
; COMPUTE_PGM_RSRC2:TIDIG_COMP_CNT: 1
	.section	.text._ZL8moe_q2_KIN3c104HalfELb1EEvPKvS3_PT_PKiS7_S7_iiiiiii,"axG",@progbits,_ZL8moe_q2_KIN3c104HalfELb1EEvPKvS3_PT_PKiS7_S7_iiiiiii,comdat
	.globl	_ZL8moe_q2_KIN3c104HalfELb1EEvPKvS3_PT_PKiS7_S7_iiiiiii ; -- Begin function _ZL8moe_q2_KIN3c104HalfELb1EEvPKvS3_PT_PKiS7_S7_iiiiiii
	.p2align	8
	.type	_ZL8moe_q2_KIN3c104HalfELb1EEvPKvS3_PT_PKiS7_S7_iiiiiii,@function
_ZL8moe_q2_KIN3c104HalfELb1EEvPKvS3_PT_PKiS7_S7_iiiiiii: ; @_ZL8moe_q2_KIN3c104HalfELb1EEvPKvS3_PT_PKiS7_S7_iiiiiii
; %bb.0:
	s_load_b128 s[4:7], s[0:1], 0x18
	s_mov_b32 s2, s15
	s_mov_b32 s3, 0
	s_delay_alu instid0(SALU_CYCLE_1)
	s_lshl_b64 s[8:9], s[2:3], 2
	s_waitcnt lgkmcnt(0)
	s_add_u32 s6, s6, s8
	s_addc_u32 s7, s7, s9
	s_load_b32 s15, s[6:7], 0x0
	s_waitcnt lgkmcnt(0)
	s_cmpk_gt_u32 s15, 0xff
	s_cbranch_scc1 .LBB208_53
; %bb.1:
	s_load_b64 s[6:7], s[0:1], 0x28
	s_lshl_b32 s2, s2, 3
	s_waitcnt lgkmcnt(0)
	s_load_b32 s3, s[6:7], 0x0
	s_waitcnt lgkmcnt(0)
	s_cmp_gt_u32 s2, s3
	s_cbranch_scc1 .LBB208_53
; %bb.2:
	v_bfe_u32 v3, v0, 10, 10
	v_mov_b32_e32 v2, 0
	s_mov_b32 s20, 0
	s_delay_alu instid0(VALU_DEP_2) | instskip(SKIP_1) | instid1(VALU_DEP_3)
	v_add_nc_u32_e32 v1, s2, v3
	v_and_b32_e32 v156, 0x3ff, v0
	v_mov_b32_e32 v0, v2
	s_delay_alu instid0(VALU_DEP_3) | instskip(NEXT) | instid1(VALU_DEP_1)
	v_lshlrev_b64 v[4:5], 2, v[1:2]
	v_add_co_u32 v4, vcc_lo, s4, v4
	s_delay_alu instid0(VALU_DEP_2)
	v_add_co_ci_u32_e32 v5, vcc_lo, s5, v5, vcc_lo
	global_load_b32 v26, v[4:5], off
	v_mov_b32_e32 v5, v2
	s_clause 0x1
	s_load_b256 s[4:11], s[0:1], 0x30
	s_load_b64 s[12:13], s[0:1], 0x10
	v_mov_b32_e32 v4, v2
	s_waitcnt lgkmcnt(0)
	s_lshl_b32 s11, s14, 7
	s_cmpk_lt_i32 s5, 0x100
	s_cbranch_scc1 .LBB208_44
; %bb.3:
	s_load_b128 s[0:3], s[0:1], 0x0
	s_ashr_i32 s14, s5, 31
	s_mul_i32 s15, s15, s4
	s_lshr_b32 s4, s14, 24
	s_ashr_i32 s16, s8, 31
	s_add_i32 s4, s5, s4
	s_lshr_b32 s14, s16, 27
	s_ashr_i32 s4, s4, 8
	s_add_i32 s8, s8, s14
	s_mul_i32 s14, s4, s11
	s_ashr_i32 s16, s15, 31
	s_ashr_i32 s8, s8, 5
	s_mul_hi_i32 s17, s14, 0x54
	s_mulk_i32 s14, 0x54
	v_dual_mov_b32 v28, 0 :: v_dual_add_nc_u32 v1, 8, v3
	v_lshlrev_b32_e32 v0, 2, v156
	v_add_nc_u32_e32 v2, 16, v3
	v_lshlrev_b32_e32 v5, 4, v3
	v_lshrrev_b32_e32 v6, 1, v156
	s_waitcnt lgkmcnt(0)
	s_add_u32 s0, s0, s15
	s_addc_u32 s1, s1, s16
	s_add_u32 s21, s0, s14
	s_addc_u32 s22, s1, s17
	s_not_b32 s0, s11
	v_add_nc_u32_e32 v6, v6, v5
	s_add_i32 s0, s0, s6
	v_add_nc_u32_e32 v23, 0x78, v3
	v_min_i32_e32 v4, s0, v3
	v_min_i32_e32 v1, s0, v1
	;; [unrolled: 1-line block ×3, first 2 shown]
	v_and_b32_e32 v6, 0x7f, v6
	v_min_i32_e32 v25, s0, v23
	v_mul_lo_u32 v46, v4, s4
	v_mad_u64_u32 v[9:10], null, 0x84, v4, v[0:1]
	v_add_nc_u32_e32 v4, 24, v3
	v_mul_lo_u32 v48, v1, s4
	v_mad_u64_u32 v[41:42], null, 0x84, v1, v[0:1]
	v_mul_lo_u32 v49, v2, s4
	s_delay_alu instid0(VALU_DEP_4)
	v_min_i32_e32 v1, s0, v4
	v_add_nc_u32_e32 v4, 32, v3
	v_min_i32_e32 v6, s0, v6
	v_lshrrev_b32_e32 v24, 3, v156
	s_abs_i32 s1, s10
	v_mad_u64_u32 v[39:40], null, 0x84, v2, v[0:1]
	v_add_nc_u32_e32 v2, 40, v3
	v_mul_lo_u32 v29, v1, s4
	v_min_i32_e32 v4, s0, v4
	v_mad_u64_u32 v[10:11], null, 0x84, v1, v[0:1]
	s_delay_alu instid0(VALU_DEP_4) | instskip(SKIP_1) | instid1(VALU_DEP_4)
	v_min_i32_e32 v1, s0, v2
	v_add_nc_u32_e32 v2, 48, v3
	v_mul_lo_u32 v51, v4, s4
	v_ashrrev_i32_e32 v7, 31, v6
	v_and_b32_e32 v52, 7, v156
	v_mad_u64_u32 v[11:12], null, 0x84, v4, v[0:1]
	v_mul_lo_u32 v31, v1, s4
	v_min_i32_e32 v2, s0, v2
	v_add_nc_u32_e32 v4, 56, v3
	v_mad_u64_u32 v[12:13], null, 0x84, v1, v[0:1]
	v_add_nc_u32_e32 v1, 64, v3
	s_delay_alu instid0(VALU_DEP_4) | instskip(NEXT) | instid1(VALU_DEP_4)
	v_mul_lo_u32 v32, v2, s4
	v_min_i32_e32 v4, s0, v4
	s_sub_i32 s6, 0, s1
	v_lshlrev_b32_e32 v56, 2, v52
	v_mad_u64_u32 v[13:14], null, 0x84, v2, v[0:1]
	v_min_i32_e32 v1, s0, v1
	v_add_nc_u32_e32 v2, 0x48, v3
	v_mul_lo_u32 v33, v4, s4
	v_and_b32_e32 v27, 1, v156
	v_cmp_lt_u32_e32 vcc_lo, 3, v52
	v_mad_u64_u32 v[14:15], null, 0x84, v4, v[0:1]
	v_add_nc_u32_e32 v4, 0x50, v3
	v_mul_lo_u32 v34, v1, s4
	v_min_i32_e32 v2, s0, v2
	v_mad_u64_u32 v[15:16], null, 0x84, v1, v[0:1]
	s_delay_alu instid0(VALU_DEP_4) | instskip(SKIP_1) | instid1(VALU_DEP_4)
	v_min_i32_e32 v1, s0, v4
	v_add_nc_u32_e32 v4, 0x58, v3
	v_mul_lo_u32 v86, v2, s4
	v_lshrrev_b32_e32 v30, 4, v156
	s_waitcnt vmcnt(0)
	v_xor_b32_e32 v63, s10, v26
	v_mad_u64_u32 v[16:17], null, 0x84, v2, v[0:1]
	v_min_i32_e32 v2, s0, v4
	v_add_nc_u32_e32 v4, 0x60, v3
	v_mul_lo_u32 v35, v1, s4
	v_mad_u64_u32 v[17:18], null, 0x84, v1, v[0:1]
	s_delay_alu instid0(VALU_DEP_4) | instskip(NEXT) | instid1(VALU_DEP_4)
	v_mul_lo_u32 v36, v2, s4
	v_min_i32_e32 v1, s0, v4
	v_add_nc_u32_e32 v4, 0x68, v3
	v_lshlrev_b32_e32 v65, 2, v30
	v_ashrrev_i32_e32 v63, 31, v63
	v_add_nc_u32_e32 v73, 64, v156
	v_mad_u64_u32 v[18:19], null, 0x84, v2, v[0:1]
	v_min_i32_e32 v2, s0, v4
	v_add_nc_u32_e32 v4, 0x70, v3
	v_mul_lo_u32 v37, v1, s4
	v_mad_u64_u32 v[19:20], null, 0x84, v1, v[0:1]
	s_delay_alu instid0(VALU_DEP_4) | instskip(NEXT) | instid1(VALU_DEP_4)
	v_mul_lo_u32 v93, v2, s4
	v_min_i32_e32 v1, s0, v4
	v_lshrrev_b32_e32 v4, 28, v7
	v_lshlrev_b32_e32 v7, 2, v3
	v_lshlrev_b32_e32 v3, 7, v3
	v_add_nc_u32_e32 v71, 0x60, v156
	v_mad_u64_u32 v[20:21], null, 0x84, v2, v[0:1]
	v_add_nc_u32_e32 v2, v6, v4
	v_mul_lo_u32 v47, v1, s4
	v_mad_u64_u32 v[22:23], null, 0x84, v1, v[0:1]
	v_mul_lo_u32 v1, v25, s4
	v_add_nc_u32_e32 v4, v24, v7
	v_ashrrev_i32_e32 v2, 4, v2
	v_or_b32_e32 v7, v7, v156
	v_cvt_f32_u32_e32 v24, s1
	v_mul_lo_u32 v38, v6, s4
	v_add_nc_u32_e32 v55, 64, v4
	v_min_i32_e32 v53, s0, v4
	v_lshl_add_u32 v7, v7, 2, 0x5aa0
	scratch_store_b32 off, v1, off          ; 4-byte Folded Spill
	v_lshlrev_b32_e32 v1, 2, v2
	v_rcp_iflag_f32_e32 v24, v24
	v_min_i32_e32 v55, s0, v55
	scratch_store_b32 off, v7, off offset:84 ; 4-byte Folded Spill
	v_lshlrev_b32_e32 v2, 2, v27
	v_mad_u64_u32 v[42:43], null, 0x84, v25, v[0:1]
	v_add_nc_u32_e32 v25, 32, v4
	v_add_nc_u32_e32 v4, 0x60, v4
	v_ashrrev_i32_e32 v57, 31, v55
	v_dual_mul_f32 v24, 0x4f7ffffe, v24 :: v_dual_lshlrev_b32 v91, 5, v55
	s_delay_alu instid0(VALU_DEP_4) | instskip(NEXT) | instid1(VALU_DEP_4)
	v_min_i32_e32 v25, s0, v25
	v_min_i32_e32 v4, s0, v4
	s_delay_alu instid0(VALU_DEP_4)
	v_lshrrev_b32_e32 v57, 30, v57
	v_ashrrev_i32_e32 v50, 31, v53
	v_cvt_u32_f32_e32 v24, v24
	v_ashrrev_i32_e32 v54, 31, v25
	v_ashrrev_i32_e32 v59, 31, v4
	v_mul_lo_u32 v40, v25, s4
	v_lshlrev_b32_e32 v89, 5, v25
	v_mul_lo_u32 v58, s6, v24
	v_lshrrev_b32_e32 v54, 30, v54
	v_add3_u32 v1, v1, v2, 0x5280
	v_lshrrev_b32_e32 v2, 30, v50
	v_lshlrev_b32_e32 v7, 3, v156
	v_lshlrev_b32_e32 v6, 3, v6
	v_add_nc_u32_e32 v54, v25, v54
	v_lshlrev_b32_e32 v87, 5, v53
	v_add_nc_u32_e32 v2, v53, v2
	v_mul_lo_u32 v45, v4, s4
	v_lshlrev_b32_e32 v64, 3, v73
	v_and_b32_e32 v54, -4, v54
	v_lshlrev_b32_e32 v66, 3, v71
	v_and_b32_e32 v2, -4, v2
	v_lshlrev_b32_e32 v72, 5, v156
	v_and_b32_e32 v75, 0xfc, v156
	v_add3_u32 v88, v54, v56, 0x4200
	v_add_nc_u32_e32 v54, v55, v57
	v_mul_hi_u32 v57, v24, v58
	v_lshrrev_b32_e32 v58, 30, v59
	v_sub_nc_u32_e32 v59, 0, v26
	v_add3_u32 v2, v2, v56, 0x4200
	v_and_b32_e32 v25, -4, v54
	v_mul_lo_u32 v21, v53, s4
	v_add_nc_u32_e32 v58, v4, v58
	v_max_i32_e32 v59, v26, v59
	v_add_nc_u32_e32 v24, v24, v57
	v_add3_u32 v90, v25, v56, 0x4200
	v_and_b32_e32 v57, 31, v156
	v_and_b32_e32 v25, -4, v58
	v_lshlrev_b32_e32 v4, 5, v4
	v_mul_hi_u32 v58, v59, v24
	v_dual_mov_b32 v91, 0 :: v_dual_add_nc_u32 v52, v90, v91
	v_and_b32_e32 v44, 60, v0
	v_and_b32_e32 v23, 12, v0
	;; [unrolled: 1-line block ×3, first 2 shown]
	v_add3_u32 v92, v25, v56, 0x4200
	v_lshl_or_b32 v56, v57, 2, v3
	v_mul_lo_u32 v60, v58, s1
	v_mov_b32_e32 v90, 0
	v_add_co_u32 v24, s0, s2, v0
	s_delay_alu instid0(VALU_DEP_1)
	v_add_co_ci_u32_e64 v25, null, s3, 0, s0
	v_add_nc_u32_e32 v0, 0x56a0, v56
	v_mul_lo_u32 v43, v55, s4
	v_sub_nc_u32_e32 v59, v59, v60
	v_add_nc_u32_e32 v60, 1, v58
	s_clause 0x2
	scratch_store_b64 off, v[24:25], off offset:68
	scratch_store_b32 off, v0, off offset:76
	scratch_store_b32 off, v26, off offset:100
	v_subrev_nc_u32_e32 v62, s1, v59
	v_cmp_le_u32_e64 s0, s1, v59
	v_add_nc_u32_e32 v0, 32, v156
	s_add_u32 s14, s2, 0x90
	s_addc_u32 s15, s3, 0
	v_cndmask_b32_e64 v8, 0, 1, vcc_lo
	v_cndmask_b32_e64 v60, v58, v60, s0
	v_cndmask_b32_e64 v59, v59, v62, s0
	v_lshrrev_b32_e32 v67, 2, v0
	v_lshlrev_b32_e32 v61, 3, v0
	v_lshrrev_b32_e32 v25, 3, v0
	v_add_nc_u32_e32 v62, 1, v60
	v_cmp_le_u32_e64 s0, s1, v59
	v_add3_u32 v59, v65, v7, 0x5280
	v_and_b32_e32 v67, 0x7c, v67
	v_lshrrev_b32_e32 v65, 2, v71
	v_and_b32_e32 v74, 0x1fc, v0
	v_cndmask_b32_e64 v62, v60, v62, s0
	s_movk_i32 s0, 0x1080
	v_add_nc_u32_e32 v0, 0x56a0, v3
	v_mad_u32_u24 v60, 0x84, v156, s0
	s_movk_i32 s0, 0x2100
	v_xor_b32_e32 v7, v62, v63
	v_lshrrev_b32_e32 v62, 2, v73
	v_add3_u32 v61, v61, v67, 0x5280
	v_and_b32_e32 v68, 0x7c, v65
	scratch_store_b32 off, v0, off offset:4 ; 4-byte Folded Spill
	v_sub_nc_u32_e32 v7, v7, v63
	v_and_b32_e32 v67, 0x7c, v62
	v_mad_u32_u24 v62, 0x84, v156, s0
	s_movk_i32 s0, 0x3180
	v_add_nc_u32_e32 v0, 0x5aa0, v5
	v_mul_lo_u32 v24, v7, s8
	v_mad_u32_u24 v65, 0x84, v156, s0
	scratch_store_b32 off, v25, off offset:80 ; 4-byte Folded Spill
	v_lshrrev_b32_e32 v25, 3, v73
	scratch_store_b32 off, v0, off offset:8 ; 4-byte Folded Spill
	v_cmp_gt_i32_e64 s0, s7, v7
	v_and_b32_e32 v73, 0x1fc, v73
	v_cmp_gt_u32_e32 vcc_lo, 4, v156
	v_ashrrev_i32_e32 v7, 31, v24
	s_clause 0x1
	scratch_store_b32 off, v24, off offset:12
	scratch_store_b32 off, v25, off offset:88
	v_lshrrev_b32_e32 v25, 3, v71
	v_and_b32_e32 v71, 0x1fc, v71
	scratch_store_b32 off, v7, off offset:92 ; 4-byte Folded Spill
	v_mul_u32_u24_e32 v58, 0x84, v156
	v_add3_u32 v64, v64, v67, 0x5280
	v_add3_u32 v66, v66, v68, 0x5280
	scratch_store_b32 off, v25, off offset:96 ; 4-byte Folded Spill
	s_add_u32 s16, s2, 0x120
	v_add_nc_u32_e32 v78, 0x4e08, v71
	v_add_nc_u32_e32 v79, 0x4a08, v73
	;; [unrolled: 1-line block ×11, first 2 shown]
	v_dual_mov_b32 v92, 0 :: v_dual_add_nc_u32 v53, v92, v4
	s_addc_u32 s17, s3, 0
	s_add_u32 s18, s2, 0x1b0
	s_addc_u32 s19, s3, 0
	s_clause 0xa
	scratch_store_b64 off, v[41:42], off offset:16
	scratch_store_b64 off, v[42:43], off offset:24
	scratch_store_b32 off, v21, off offset:32
	scratch_store_b32 off, v40, off offset:36
	;; [unrolled: 1-line block ×9, first 2 shown]
	s_branch .LBB208_7
.LBB208_4:                              ;   in Loop: Header=BB208_7 Depth=1
	scratch_load_b64 v[41:42], off, off offset:16 ; 8-byte Folded Reload
	v_dual_mov_b32 v156, v24 :: v_dual_mov_b32 v39, v10
	v_mov_b32_e32 v38, v25
	v_dual_mov_b32 v10, v11 :: v_dual_mov_b32 v11, v12
	v_dual_mov_b32 v12, v13 :: v_dual_mov_b32 v13, v14
	;; [unrolled: 1-line block ×5, first 2 shown]
	v_mov_b32_e32 v20, v21
	s_clause 0x2
	scratch_load_b64 v[42:43], off, off offset:24
	scratch_load_b32 v21, off, off offset:32
	scratch_load_b32 v40, off, off offset:36
	v_dual_mov_b32 v30, v50 :: v_dual_mov_b32 v31, v52
	v_dual_mov_b32 v32, v53 :: v_dual_mov_b32 v33, v54
	s_clause 0x6
	scratch_load_b32 v43, off, off offset:40
	scratch_load_b32 v45, off, off offset:44
	scratch_load_b32 v25, off, off offset:48
	scratch_load_b32 v26, off, off offset:52
	scratch_load_b32 v50, off, off offset:56
	scratch_load_b32 v52, off, off offset:60
	scratch_load_b32 v53, off, off offset:64
.LBB208_5:                              ;   in Loop: Header=BB208_7 Depth=1
	v_dual_mov_b32 v34, v55 :: v_dual_mov_b32 v37, v89
	v_dual_mov_b32 v35, v87 :: v_dual_mov_b32 v36, v88
.LBB208_6:                              ;   in Loop: Header=BB208_7 Depth=1
	s_add_i32 s20, s20, 2
	s_delay_alu instid0(SALU_CYCLE_1)
	s_cmp_ge_i32 s20, s4
	s_cbranch_scc1 .LBB208_43
.LBB208_7:                              ; =>This Loop Header: Depth=1
                                        ;     Child Loop BB208_14 Depth 2
                                        ;     Child Loop BB208_22 Depth 2
	;; [unrolled: 1-line block ×4, first 2 shown]
	s_mul_i32 s1, s20, 0x54
	s_mul_hi_u32 s6, s20, 0x54
	s_add_u32 s24, s21, s1
	s_addc_u32 s25, s22, s6
	s_lshl_b32 s23, s20, 8
	v_mad_u64_u32 v[0:1], null, 0x54, v30, s[24:25]
	v_mad_i64_i32 v[104:105], null, 0x54, v38, s[24:25]
	s_cmp_lt_i32 s23, s5
	s_delay_alu instid0(VALU_DEP_2) | instskip(NEXT) | instid1(VALU_DEP_1)
	v_add_co_u32 v0, s1, v0, v44
	v_add_co_ci_u32_e64 v1, s1, 0, v1, s1
	s_delay_alu instid0(VALU_DEP_2) | instskip(NEXT) | instid1(VALU_DEP_1)
	v_add_co_u32 v0, s1, v0, 16
	v_add_co_ci_u32_e64 v1, s1, 0, v1, s1
	s_delay_alu instid0(VALU_DEP_1)
	v_mad_i64_i32 v[2:3], null, 0x54, v46, v[0:1]
	v_mad_i64_i32 v[4:5], null, 0x54, v48, v[0:1]
	;; [unrolled: 1-line block ×8, first 2 shown]
	s_clause 0x7
	global_load_b32 v114, v[2:3], off
	global_load_b32 v115, v[4:5], off
	;; [unrolled: 1-line block ×8, first 2 shown]
	scratch_load_b32 v24, off, off          ; 4-byte Folded Reload
	v_mad_u64_u32 v[98:99], null, 0x54, v8, s[24:25]
	v_mad_i64_i32 v[2:3], null, 0x54, v34, v[0:1]
	v_mad_i64_i32 v[4:5], null, 0x54, v86, v[0:1]
	;; [unrolled: 1-line block ×3, first 2 shown]
	s_delay_alu instid0(VALU_DEP_4)
	v_add_co_u32 v98, s1, v98, v23
	v_mad_i64_i32 v[94:95], null, 0x54, v36, v[0:1]
	v_add_co_ci_u32_e64 v99, s1, 0, v99, s1
	v_mad_i64_i32 v[96:97], null, 0x54, v37, v[0:1]
	v_mad_i64_i32 v[100:101], null, 0x54, v93, v[0:1]
	v_mad_i64_i32 v[102:103], null, 0x54, v47, v[0:1]
	s_waitcnt vmcnt(16)
	v_mad_i64_i32 v[108:109], null, 0x54, v40, v[98:99]
	s_waitcnt vmcnt(9)
	v_mad_i64_i32 v[110:111], null, 0x54, v43, v[98:99]
	v_mad_i64_i32 v[112:113], null, 0x54, v45, v[98:99]
	s_waitcnt vmcnt(0)
	v_mad_i64_i32 v[106:107], null, 0x54, v24, v[0:1]
	v_mad_u64_u32 v[0:1], null, 0x54, v27, v[104:105]
	v_mad_i64_i32 v[104:105], null, 0x54, v21, v[98:99]
	s_clause 0xc
	global_load_b32 v2, v[2:3], off
	global_load_b32 v3, v[4:5], off
	global_load_b32 v4, v[6:7], off
	global_load_b32 v5, v[94:95], off
	global_load_b32 v6, v[96:97], off
	global_load_b32 v7, v[100:101], off
	global_load_b32 v94, v[102:103], off
	global_load_b32 v95, v[106:107], off
	global_load_b32 v0, v[0:1], off offset:80
	global_load_b32 v1, v[104:105], off
	global_load_b32 v96, v[108:109], off
	;; [unrolled: 1-line block ×4, first 2 shown]
	ds_store_b32 v9, v114
	ds_store_b32 v41, v115
	;; [unrolled: 1-line block ×8, first 2 shown]
	s_waitcnt vmcnt(12)
	ds_store_b32 v15, v2
	s_waitcnt vmcnt(11)
	ds_store_b32 v16, v3
	;; [unrolled: 2-line block ×13, first 2 shown]
	s_cbranch_scc0 .LBB208_6
; %bb.8:                                ;   in Loop: Header=BB208_7 Depth=1
	v_lshrrev_b32_e32 v0, 3, v156
	s_lshl_b32 s6, s20, 3
	s_delay_alu instid0(VALU_DEP_1) | instid1(SALU_CYCLE_1)
	v_add_nc_u32_e32 v0, s6, v0
	s_delay_alu instid0(VALU_DEP_1) | instskip(NEXT) | instid1(VALU_DEP_1)
	v_cmp_gt_i32_e64 s1, s8, v0
	s_and_b32 s24, s0, s1
	s_delay_alu instid0(SALU_CYCLE_1)
	s_and_saveexec_b32 s1, s24
	s_cbranch_execz .LBB208_10
; %bb.9:                                ;   in Loop: Header=BB208_7 Depth=1
	s_clause 0x1
	scratch_load_b32 v1, off, off offset:12
	scratch_load_b64 v[3:4], off, off offset:68
	s_waitcnt vmcnt(1)
	v_add_nc_u32_e32 v2, v1, v0
	s_waitcnt vmcnt(0)
	s_delay_alu instid0(VALU_DEP_1)
	v_mad_i64_i32 v[0:1], null, v2, 36, v[3:4]
	global_load_b32 v0, v[0:1], off offset:4
	scratch_load_b32 v1, off, off offset:76 ; 4-byte Folded Reload
	s_waitcnt vmcnt(0)
	ds_store_b32 v1, v0
.LBB208_10:                             ;   in Loop: Header=BB208_7 Depth=1
	s_or_b32 exec_lo, exec_lo, s1
	v_dual_mov_b32 v21, v20 :: v_dual_mov_b32 v20, v19
	v_dual_mov_b32 v19, v18 :: v_dual_mov_b32 v18, v17
	;; [unrolled: 1-line block ×9, first 2 shown]
	v_mov_b32_e32 v55, v34
	v_dual_mov_b32 v53, v32 :: v_dual_mov_b32 v50, v30
	s_and_saveexec_b32 s24, vcc_lo
	s_cbranch_execz .LBB208_13
; %bb.11:                               ;   in Loop: Header=BB208_7 Depth=1
	v_or_b32_e32 v0, s6, v156
	s_delay_alu instid0(VALU_DEP_1) | instskip(NEXT) | instid1(VALU_DEP_1)
	v_cmp_gt_i32_e64 s1, s8, v0
	s_and_b32 s1, s0, s1
	s_delay_alu instid0(SALU_CYCLE_1)
	s_and_b32 exec_lo, exec_lo, s1
	s_cbranch_execz .LBB208_13
; %bb.12:                               ;   in Loop: Header=BB208_7 Depth=1
	scratch_load_b32 v1, off, off offset:12 ; 4-byte Folded Reload
	s_waitcnt vmcnt(0)
	v_add_nc_u32_e32 v2, v1, v0
	s_delay_alu instid0(VALU_DEP_1)
	v_mad_i64_i32 v[0:1], null, v2, 36, s[2:3]
	global_load_b32 v0, v[0:1], off
	scratch_load_b32 v1, off, off offset:84 ; 4-byte Folded Reload
	s_waitcnt vmcnt(1)
	v_cvt_f32_f16_e32 v0, v0
	s_waitcnt vmcnt(0)
	ds_store_b32 v1, v0
.LBB208_13:                             ;   in Loop: Header=BB208_7 Depth=1
	s_or_b32 exec_lo, exec_lo, s24
	s_waitcnt lgkmcnt(0)
	s_waitcnt_vscnt null, 0x0
	s_clause 0x1
	scratch_load_b32 v94, off, off offset:8
	scratch_load_b32 v95, off, off offset:4
	v_mov_b32_e32 v24, v156
	s_mov_b32 s1, 0
	s_mov_b32 s25, -2
	s_waitcnt vmcnt(0)
	s_barrier
	buffer_gl0_inv
.LBB208_14:                             ;   Parent Loop BB208_7 Depth=1
                                        ; =>  This Inner Loop Header: Depth=2
	ds_load_b32 v96, v94
	ds_load_b128 v[4:7], v95
	ds_load_b128 v[0:3], v95 offset:16
	s_and_b32 s26, s1, -16
	s_add_i32 s24, s25, 2
	v_add_nc_u32_e32 v97, s26, v72
	s_and_b32 s26, s24, 0x3ffffff8
	s_lshr_b32 s27, s24, 2
	s_lshl_b32 s26, s26, 2
	s_and_b32 s27, s27, 0x3ffffffc
	v_add_nc_u32_e32 v98, s26, v58
	v_add_nc_u32_e32 v100, s27, v59
	v_add_nc_u32_e32 v101, s26, v60
	v_add_nc_u32_e32 v99, s27, v61
	v_add_nc_u32_e32 v102, s26, v62
	v_add_nc_u32_e32 v103, s27, v64
	v_add_nc_u32_e32 v104, s26, v65
	v_add_nc_u32_e32 v105, s27, v66
	v_add3_u32 v106, v75, s25, v97
	v_add3_u32 v107, v74, s25, v97
	;; [unrolled: 1-line block ×4, first 2 shown]
	ds_load_2addr_b32 v[133:134], v98 offset1:1
	ds_load_2addr_b32 v[135:136], v98 offset0:2 offset1:3
	ds_load_2addr_b32 v[137:138], v98 offset0:4 offset1:5
	ds_load_2addr_b32 v[139:140], v98 offset0:6 offset1:7
	ds_load_2addr_b32 v[141:142], v101 offset0:2 offset1:3
	ds_load_2addr_b32 v[143:144], v101 offset0:4 offset1:5
	ds_load_2addr_b32 v[145:146], v101 offset0:6 offset1:7
	ds_load_b32 v97, v99
	ds_load_2addr_b32 v[147:148], v102 offset1:1
	ds_load_2addr_b32 v[149:150], v102 offset0:2 offset1:3
	ds_load_2addr_b32 v[151:152], v102 offset0:4 offset1:5
	;; [unrolled: 1-line block ×3, first 2 shown]
	ds_load_b32 v98, v103
	ds_load_2addr_b32 v[155:156], v104 offset1:1
	ds_load_2addr_b32 v[157:158], v104 offset0:2 offset1:3
	ds_load_2addr_b32 v[159:160], v104 offset0:4 offset1:5
	;; [unrolled: 1-line block ×3, first 2 shown]
	ds_load_b32 v99, v105
	ds_load_2addr_b32 v[163:164], v101 offset1:1
	ds_load_b32 v100, v100
	ds_load_u16 v165, v106 offset:16898
	ds_load_u16 v166, v107 offset:17922
	;; [unrolled: 1-line block ×4, first 2 shown]
	s_waitcnt lgkmcnt(25)
	v_bfe_i32 v129, v4, 0, 8
	v_bfe_i32 v126, v4, 8, 8
	v_bfe_i32 v124, v4, 16, 8
	v_ashrrev_i32_e32 v125, 24, v4
	v_bfe_i32 v4, v5, 0, 8
	v_bfe_i32 v123, v5, 8, 8
	;; [unrolled: 1-line block ×3, first 2 shown]
	v_ashrrev_i32_e32 v121, 24, v5
	s_waitcnt lgkmcnt(24)
	v_bfe_i32 v131, v0, 0, 8
	v_bfe_i32 v128, v0, 8, 8
	v_ashrrev_i32_e32 v114, 24, v0
	v_bfe_i32 v5, v1, 0, 8
	v_bfe_i32 v112, v1, 8, 8
	v_ashrrev_i32_e32 v109, 24, v1
	v_bfe_i32 v127, v6, 0, 8
	v_bfe_i32 v120, v6, 8, 8
	v_bfe_i32 v119, v6, 16, 8
	v_ashrrev_i32_e32 v118, 24, v6
	v_bfe_i32 v117, v7, 0, 8
	v_bfe_i32 v116, v7, 8, 8
	v_bfe_i32 v115, v7, 16, 8
	v_ashrrev_i32_e32 v111, 24, v7
	v_bfe_i32 v113, v0, 16, 8
	v_bfe_i32 v130, v2, 0, 8
	v_bfe_i32 v108, v2, 8, 8
	v_ashrrev_i32_e32 v106, 24, v2
	v_bfe_i32 v105, v3, 0, 8
	v_bfe_i32 v104, v3, 8, 8
	v_bfe_i32 v103, v3, 16, 8
	v_ashrrev_i32_e32 v102, 24, v3
	v_add_nc_u32_e32 v0, v109, v114
	v_add_nc_u32_e32 v3, v112, v128
	;; [unrolled: 1-line block ×7, first 2 shown]
	v_bfe_i32 v107, v2, 16, 8
	v_add3_u32 v2, v0, v106, v102
	v_add3_u32 v0, v3, v108, v104
	v_add3_u32 v101, v6, v130, v105
	v_add3_u32 v6, v7, v118, v111
	v_add3_u32 v7, v132, v119, v115
	v_add3_u32 v3, v169, v120, v116
	v_add3_u32 v132, v170, v127, v117
	s_waitcnt lgkmcnt(23)
	v_ashrrev_i32_e32 v169, s24, v133
	v_ashrrev_i32_e32 v170, s24, v134
	s_waitcnt lgkmcnt(21)
	v_ashrrev_i32_e32 v137, s24, v137
	s_waitcnt lgkmcnt(20)
	;; [unrolled: 2-line block ×3, first 2 shown]
	v_ashrrev_i32_e32 v140, s24, v163
	v_ashrrev_i32_e32 v134, s24, v146
	;; [unrolled: 1-line block ×11, first 2 shown]
	v_bfe_i32 v110, v1, 16, 8
	v_ashrrev_i32_e32 v135, s24, v135
	v_ashrrev_i32_e32 v136, s24, v136
	;; [unrolled: 1-line block ×17, first 2 shown]
	s_waitcnt lgkmcnt(3)
	v_lshrrev_b16 v173, 8, v165
	v_bfe_u32 v174, v165, 4, 4
	s_waitcnt lgkmcnt(2)
	v_lshrrev_b16 v175, 8, v166
	v_bfe_u32 v176, v166, 4, 4
	;; [unrolled: 3-line block ×4, first 2 shown]
	v_and_b32_e32 v181, 3, v169
	v_and_b32_e32 v193, 3, v137
	;; [unrolled: 1-line block ×5, first 2 shown]
	v_add_nc_u32_e32 v1, v110, v113
	v_bfe_u32 v182, v169, 8, 2
	v_and_b32_e32 v184, 3, v170
	v_bfe_u32 v185, v170, 8, 2
	v_bfe_u32 v186, v170, 16, 2
	v_bfe_u32 v170, v170, 24, 2
	v_and_b32_e32 v187, 3, v135
	v_bfe_u32 v188, v135, 8, 2
	v_bfe_u32 v189, v135, 16, 2
	;; [unrolled: 4-line block ×3, first 2 shown]
	v_bfe_u32 v136, v136, 24, 2
	v_bfe_u32 v194, v137, 8, 2
	;; [unrolled: 1-line block ×4, first 2 shown]
	v_and_b32_e32 v196, 3, v138
	v_bfe_u32 v197, v138, 8, 2
	v_bfe_u32 v198, v138, 16, 2
	v_bfe_u32 v138, v138, 24, 2
	v_and_b32_e32 v199, 3, v139
	v_bfe_u32 v200, v139, 8, 2
	v_bfe_u32 v201, v139, 16, 2
	v_bfe_u32 v139, v139, 24, 2
	;; [unrolled: 4-line block ×4, first 2 shown]
	v_and_b32_e32 v213, 3, v147
	v_and_b32_e32 v214, 3, v155
	;; [unrolled: 1-line block ×9, first 2 shown]
	v_bfe_u32 v222, v141, 8, 2
	v_bfe_u32 v223, v141, 16, 2
	;; [unrolled: 1-line block ×3, first 2 shown]
	v_and_b32_e32 v224, 3, v142
	v_bfe_u32 v225, v142, 8, 2
	v_bfe_u32 v226, v142, 16, 2
	;; [unrolled: 1-line block ×4, first 2 shown]
	v_and_b32_e32 v228, 3, v145
	v_bfe_u32 v229, v146, 8, 2
	v_and_b32_e32 v230, 3, v148
	v_bfe_u32 v231, v150, 8, 2
	;; [unrolled: 2-line block ×5, first 2 shown]
	v_bfe_u32 v143, v143, 24, 2
	v_bfe_u32 v238, v144, 8, 2
	;; [unrolled: 1-line block ×7, first 2 shown]
	v_and_b32_e32 v242, 3, v134
	v_bfe_u32 v243, v134, 8, 2
	v_bfe_u32 v244, v134, 16, 2
	;; [unrolled: 1-line block ×10, first 2 shown]
	v_and_b32_e32 v252, 3, v149
	v_bfe_u32 v253, v149, 8, 2
	v_bfe_u32 v254, v149, 16, 2
	;; [unrolled: 1-line block ×12, first 2 shown]
	v_and_b32_e32 v26, 3, v157
	v_bfe_u32 v56, v157, 8, 2
	v_bfe_u32 v45, v152, 8, 2
	;; [unrolled: 1-line block ×9, first 2 shown]
	v_and_b32_e32 v31, 3, v153
	v_bfe_u32 v32, v159, 16, 2
	v_bfe_u32 v159, v159, 24, 2
	;; [unrolled: 1-line block ×6, first 2 shown]
	v_and_b32_e32 v36, 3, v161
	v_bfe_u32 v37, v161, 8, 2
	v_bfe_u32 v38, v153, 16, 2
	;; [unrolled: 1-line block ×7, first 2 shown]
	v_mul_lo_u32 v40, 0x1010101, v174
	v_and_b32_e32 v173, 0xffff, v173
	v_mul_lo_u32 v41, 0x1010101, v176
	v_and_b32_e32 v175, 0xffff, v175
	;; [unrolled: 2-line block ×3, first 2 shown]
	v_and_b32_e32 v179, 0xffff, v179
	v_mul_lo_u32 v43, 0x1010101, v180
	v_mul_i32_i24_e32 v174, v174, v132
	v_mul_i32_i24_e32 v176, v176, v132
	;; [unrolled: 1-line block ×9, first 2 shown]
	v_add3_u32 v1, v1, v107, v103
	v_mul_i32_i24_e32 v211, v215, v131
	v_mul_i32_i24_e32 v212, v216, v131
	;; [unrolled: 1-line block ×95, first 2 shown]
	v_lshrrev_b32_e32 v153, 4, v173
	v_lshrrev_b32_e32 v161, 4, v175
	;; [unrolled: 1-line block ×4, first 2 shown]
	v_bfe_u32 v183, v169, 16, 2
	v_bfe_u32 v169, v169, 24, 2
	;; [unrolled: 1-line block ×4, first 2 shown]
	v_mul_i32_i24_e32 v187, v187, v127
	v_mul_i32_i24_e32 v194, v194, v128
	;; [unrolled: 1-line block ×8, first 2 shown]
	v_lshrrev_b32_e32 v202, 24, v40
	v_bfe_i32 v203, v40, 16, 8
	v_lshrrev_b32_e32 v204, 24, v41
	v_bfe_i32 v225, v41, 16, 8
	;; [unrolled: 2-line block ×4, first 2 shown]
	v_bfe_i32 v40, v40, 8, 8
	v_bfe_i32 v41, v41, 8, 8
	;; [unrolled: 1-line block ×4, first 2 shown]
	v_mad_i32_i24 v180, v184, v4, v180
	v_mad_i32_i24 v181, v208, v4, v181
	;; [unrolled: 1-line block ×12, first 2 shown]
	v_mul_lo_u32 v132, 0x1010101, v153
	v_mul_lo_u32 v153, 0x1010101, v161
	;; [unrolled: 1-line block ×4, first 2 shown]
	v_bfe_u32 v245, v146, 16, 2
	v_bfe_u32 v146, v146, 24, 2
	;; [unrolled: 1-line block ×4, first 2 shown]
	v_mul_i32_i24_e32 v183, v183, v124
	v_mul_i32_i24_e32 v169, v169, v125
	;; [unrolled: 1-line block ×16, first 2 shown]
	v_add3_u32 v43, v180, v187, v182
	v_add3_u32 v129, v129, v199, v194
	;; [unrolled: 1-line block ×3, first 2 shown]
	v_mul_i32_i24_e32 v231, v245, v124
	v_mul_i32_i24_e32 v146, v146, v125
	;; [unrolled: 1-line block ×6, first 2 shown]
	v_add3_u32 v181, v193, v217, v216
	v_add3_u32 v182, v184, v227, v221
	;; [unrolled: 1-line block ×8, first 2 shown]
	v_lshrrev_b32_e32 v101, 24, v132
	v_lshrrev_b32_e32 v131, 24, v153
	;; [unrolled: 1-line block ×4, first 2 shown]
	v_add3_u32 v43, v43, v183, v169
	v_add3_u32 v129, v129, v195, v137
	;; [unrolled: 1-line block ×3, first 2 shown]
	v_mul_i32_i24_e32 v209, v246, v123
	v_mul_i32_i24_e32 v123, v255, v123
	v_bfe_i32 v7, v132, 16, 8
	v_bfe_i32 v130, v153, 16, 8
	;; [unrolled: 1-line block ×8, first 2 shown]
	v_add3_u32 v140, v181, v230, v143
	v_add3_u32 v143, v182, v231, v146
	;; [unrolled: 1-line block ×4, first 2 shown]
	v_mul_i32_i24_e32 v76, v2, v101
	v_mul_i32_i24_e32 v101, v2, v131
	;; [unrolled: 1-line block ×4, first 2 shown]
	v_add3_u32 v43, v43, v148, v154
	v_add3_u32 v114, v129, v152, v114
	v_add3_u32 v129, v137, v156, v185
	v_add3_u32 v184, v196, v229, v228
	v_mul_i32_i24_e32 v7, v1, v7
	v_mul_i32_i24_e32 v124, v1, v130
	;; [unrolled: 1-line block ×8, first 2 shown]
	v_add3_u32 v137, v140, v160, v149
	v_add3_u32 v140, v143, v190, v209
	;; [unrolled: 1-line block ×24, first 2 shown]
	v_cvt_f32_i32_e32 v33, v0
	v_add3_u32 v0, v1, v119, v117
	v_add3_u32 v1, v2, v107, v105
	;; [unrolled: 1-line block ×5, first 2 shown]
	v_and_b32_e32 v165, 15, v165
	v_and_b32_e32 v166, 15, v166
	v_add3_u32 v3, v6, v139, v197
	v_add3_u32 v6, v32, v141, v223
	;; [unrolled: 1-line block ×7, first 2 shown]
	v_mul_lo_u32 v0, v0, v165
	v_and_b32_e32 v167, 15, v167
	v_mul_lo_u32 v1, v1, v166
	v_and_b32_e32 v168, 15, v168
	v_add3_u32 v31, v31, v145, v34
	v_add3_u32 v34, v3, v198, v133
	;; [unrolled: 1-line block ×4, first 2 shown]
	v_and_b32_e32 v173, 15, v173
	v_add3_u32 v5, v5, v106, v37
	v_and_b32_e32 v175, 15, v175
	v_mul_lo_u32 v2, v2, v167
	v_mul_lo_u32 v3, v3, v168
	v_and_b32_e32 v177, 15, v177
	v_add3_u32 v35, v5, v39, v102
	v_mad_u64_u32 v[4:5], null, v32, v173, v[0:1]
	v_add3_u32 v31, v31, v38, v134
	v_and_b32_e32 v179, 15, v179
	v_lshrrev_b32_e32 v162, 16, v100
	v_lshrrev_b32_e32 v164, 16, v97
	;; [unrolled: 1-line block ×4, first 2 shown]
	v_add3_u32 v7, v26, v7, v130
	v_add3_u32 v26, v30, v124, v131
	;; [unrolled: 1-line block ×3, first 2 shown]
	v_mad_u64_u32 v[5:6], null, v34, v175, v[1:2]
	v_mad_u64_u32 v[0:1], null, v31, v177, v[2:3]
	;; [unrolled: 1-line block ×3, first 2 shown]
	v_cvt_f32_f16_e64 v162, v162
	v_cvt_f32_f16_e64 v164, v164
	;; [unrolled: 1-line block ×4, first 2 shown]
	v_cvt_f32_i32_e32 v7, v7
	v_cvt_f32_i32_e32 v26, v26
	;; [unrolled: 1-line block ×5, first 2 shown]
	s_delay_alu instid0(VALU_DEP_4) | instskip(NEXT) | instid1(VALU_DEP_4)
	v_dual_mul_f32 v2, v162, v7 :: v_dual_mul_f32 v3, v164, v26
	v_dual_mul_f32 v6, v171, v30 :: v_dual_mul_f32 v7, v172, v33
	v_cvt_f32_i32_e32 v0, v0
	v_cvt_f32_i32_e32 v1, v1
	s_delay_alu instid0(VALU_DEP_4)
	v_fma_mix_f32 v2, v100, v4, -v2 op_sel_hi:[1,0,0]
	v_fma_mix_f32 v3, v97, v5, -v3 op_sel_hi:[1,0,0]
	v_add_nc_u32_e32 v95, 32, v95
	v_fma_mix_f32 v0, v98, v0, -v6 op_sel_hi:[1,0,0]
	v_fma_mix_f32 v1, v99, v1, -v7 op_sel_hi:[1,0,0]
	v_add_nc_u32_e32 v94, 4, v94
	v_fmac_f32_e32 v28, v96, v2
	v_fmac_f32_e32 v90, v96, v3
	;; [unrolled: 1-line block ×4, first 2 shown]
	s_add_i32 s1, s1, 2
	s_cmp_lt_u32 s24, 6
	s_mov_b32 s25, s24
	s_cbranch_scc1 .LBB208_14
; %bb.15:                               ;   in Loop: Header=BB208_7 Depth=1
	s_or_b32 s1, s23, 0x80
	s_delay_alu instid0(SALU_CYCLE_1)
	s_cmp_ge_i32 s1, s5
	s_barrier
	buffer_gl0_inv
	s_cbranch_scc1 .LBB208_4
; %bb.16:                               ;   in Loop: Header=BB208_7 Depth=1
	scratch_load_b32 v0, off, off offset:80 ; 4-byte Folded Reload
	s_waitcnt vmcnt(0)
	v_add_nc_u32_e32 v0, s6, v0
	s_delay_alu instid0(VALU_DEP_1) | instskip(NEXT) | instid1(VALU_DEP_1)
	v_cmp_gt_i32_e64 s1, s8, v0
	s_and_b32 s24, s0, s1
	s_mov_b32 s1, exec_lo
	v_mov_b32_e32 v156, v24
	s_and_b32 s24, s1, s24
	s_delay_alu instid0(SALU_CYCLE_1)
	s_mov_b32 exec_lo, s24
	s_cbranch_execz .LBB208_18
; %bb.17:                               ;   in Loop: Header=BB208_7 Depth=1
	s_clause 0x1
	scratch_load_b32 v1, off, off offset:12
	scratch_load_b64 v[3:4], off, off offset:68
	s_waitcnt vmcnt(1)
	v_add_nc_u32_e32 v2, v1, v0
	s_waitcnt vmcnt(0)
	s_delay_alu instid0(VALU_DEP_1)
	v_mad_i64_i32 v[0:1], null, v2, 36, v[3:4]
	global_load_b32 v0, v[0:1], off offset:4
	scratch_load_b32 v1, off, off offset:76 ; 4-byte Folded Reload
	s_waitcnt vmcnt(0)
	ds_store_b32 v1, v0
.LBB208_18:                             ;   in Loop: Header=BB208_7 Depth=1
	s_or_b32 exec_lo, exec_lo, s1
	s_and_saveexec_b32 s24, vcc_lo
	s_cbranch_execz .LBB208_21
; %bb.19:                               ;   in Loop: Header=BB208_7 Depth=1
	v_or_b32_e32 v0, s6, v156
	s_delay_alu instid0(VALU_DEP_1) | instskip(NEXT) | instid1(VALU_DEP_1)
	v_or_b32_e32 v1, 4, v0
	v_cmp_gt_i32_e64 s1, s8, v1
	s_delay_alu instid0(VALU_DEP_1) | instskip(NEXT) | instid1(SALU_CYCLE_1)
	s_and_b32 s1, s0, s1
	s_and_b32 exec_lo, exec_lo, s1
	s_cbranch_execz .LBB208_21
; %bb.20:                               ;   in Loop: Header=BB208_7 Depth=1
	scratch_load_b32 v2, off, off offset:12 ; 4-byte Folded Reload
	v_ashrrev_i32_e32 v1, 31, v0
	s_waitcnt vmcnt(0)
	v_add_co_u32 v2, s1, v2, v0
	scratch_load_b32 v0, off, off offset:92 ; 4-byte Folded Reload
	s_waitcnt vmcnt(0)
	v_add_co_ci_u32_e64 v3, s1, v0, v1, s1
	v_mad_u64_u32 v[0:1], null, v2, 36, s[14:15]
	s_delay_alu instid0(VALU_DEP_1)
	v_mad_i32_i24 v1, v3, 36, v1
	global_load_b32 v0, v[0:1], off
	scratch_load_b32 v1, off, off offset:84 ; 4-byte Folded Reload
	s_waitcnt vmcnt(1)
	v_cvt_f32_f16_e32 v0, v0
	s_waitcnt vmcnt(0)
	ds_store_b32 v1, v0
.LBB208_21:                             ;   in Loop: Header=BB208_7 Depth=1
	s_or_b32 exec_lo, exec_lo, s24
	s_waitcnt lgkmcnt(0)
	s_clause 0x1
	scratch_load_b32 v4, off, off offset:4
	scratch_load_b32 v5, off, off offset:8
	s_mov_b32 s1, 8
	s_mov_b32 s24, 0
	s_waitcnt vmcnt(0)
	s_barrier
	buffer_gl0_inv
.LBB208_22:                             ;   Parent Loop BB208_7 Depth=1
                                        ; =>  This Inner Loop Header: Depth=2
	ds_load_b128 v[0:3], v4
	ds_load_b128 v[122:125], v4 offset:16
	s_add_i32 s25, s24, 8
	s_and_b32 s28, s1, -16
	s_and_b32 s26, s25, 0x3ffffff8
	s_lshr_b32 s27, s25, 2
	s_lshl_b32 s26, s26, 2
	s_and_b32 s27, s27, 0x3ffffffc
	s_add_i32 s1, s1, 2
	v_add_nc_u32_e32 v36, s27, v61
	s_waitcnt lgkmcnt(1)
	v_bfe_i32 v120, v2, 0, 8
	v_bfe_i32 v101, v2, 8, 8
	;; [unrolled: 1-line block ×3, first 2 shown]
	v_ashrrev_i32_e32 v96, 24, v2
	v_add_nc_u32_e32 v2, s26, v58
	v_bfe_i32 v118, v0, 0, 8
	v_bfe_i32 v111, v0, 8, 8
	v_bfe_i32 v117, v0, 16, 8
	v_ashrrev_i32_e32 v116, 24, v0
	v_bfe_i32 v119, v1, 0, 8
	v_bfe_i32 v112, v1, 8, 8
	v_bfe_i32 v105, v1, 16, 8
	v_ashrrev_i32_e32 v104, 24, v1
	;; [unrolled: 4-line block ×3, first 2 shown]
	s_waitcnt lgkmcnt(0)
	v_bfe_i32 v121, v122, 0, 8
	v_bfe_i32 v106, v122, 8, 8
	v_bfe_i32 v107, v122, 16, 8
	v_ashrrev_i32_e32 v113, 24, v122
	v_bfe_i32 v122, v123, 0, 8
	v_bfe_i32 v108, v123, 8, 8
	v_bfe_i32 v109, v123, 16, 8
	v_ashrrev_i32_e32 v110, 24, v123
	;; [unrolled: 4-line block ×4, first 2 shown]
	ds_load_2addr_b32 v[124:125], v2 offset1:1
	ds_load_2addr_b32 v[0:1], v2 offset0:2 offset1:3
	ds_load_2addr_b32 v[129:130], v2 offset0:4 offset1:5
	;; [unrolled: 1-line block ×3, first 2 shown]
	s_waitcnt lgkmcnt(3)
	v_ashrrev_i32_e32 v126, s24, v124
	v_ashrrev_i32_e32 v124, s24, v125
	s_waitcnt lgkmcnt(2)
	v_ashrrev_i32_e32 v0, s24, v0
	s_waitcnt lgkmcnt(1)
	v_ashrrev_i32_e32 v127, s24, v129
	v_ashrrev_i32_e32 v125, s24, v130
	v_and_b32_e32 v26, 3, v126
	v_and_b32_e32 v30, 3, v124
	;; [unrolled: 1-line block ×3, first 2 shown]
	s_waitcnt lgkmcnt(0)
	v_ashrrev_i32_e32 v2, s24, v2
	v_ashrrev_i32_e32 v1, s24, v1
	v_mul_i32_i24_e32 v26, v26, v118
	v_ashrrev_i32_e32 v3, s24, v3
	v_mul_i32_i24_e32 v31, v31, v120
	s_delay_alu instid0(VALU_DEP_3) | instskip(SKIP_1) | instid1(VALU_DEP_1)
	v_mad_i32_i24 v26, v30, v119, v26
	v_bfe_u32 v30, v126, 8, 2
	v_mul_i32_i24_e32 v30, v30, v111
	s_delay_alu instid0(VALU_DEP_1) | instskip(SKIP_3) | instid1(VALU_DEP_3)
	v_add3_u32 v128, v26, v31, v30
	v_and_b32_e32 v26, 3, v127
	v_and_b32_e32 v30, 3, v125
	;; [unrolled: 1-line block ×3, first 2 shown]
	v_mul_i32_i24_e32 v26, v26, v121
	s_delay_alu instid0(VALU_DEP_2) | instskip(NEXT) | instid1(VALU_DEP_2)
	v_mul_i32_i24_e32 v31, v31, v123
	v_mad_i32_i24 v26, v30, v122, v26
	v_bfe_u32 v30, v127, 8, 2
	s_delay_alu instid0(VALU_DEP_1) | instskip(NEXT) | instid1(VALU_DEP_1)
	v_mul_i32_i24_e32 v30, v30, v106
	v_add3_u32 v129, v26, v31, v30
	v_add_nc_u32_e32 v26, s26, v60
	v_add_nc_u32_e32 v30, s27, v59
	ds_load_2addr_b32 v[131:132], v26 offset0:2 offset1:3
	ds_load_b32 v130, v30
	ds_load_2addr_b32 v[133:134], v26 offset1:1
	s_waitcnt lgkmcnt(2)
	v_ashrrev_i32_e32 v34, s24, v131
	s_waitcnt lgkmcnt(0)
	v_ashrrev_i32_e32 v30, s24, v133
	v_ashrrev_i32_e32 v31, s24, v134
	s_delay_alu instid0(VALU_DEP_3) | instskip(NEXT) | instid1(VALU_DEP_3)
	v_and_b32_e32 v35, 3, v34
	v_and_b32_e32 v32, 3, v30
	s_delay_alu instid0(VALU_DEP_3) | instskip(NEXT) | instid1(VALU_DEP_3)
	v_and_b32_e32 v33, 3, v31
	v_mul_i32_i24_e32 v35, v35, v120
	s_delay_alu instid0(VALU_DEP_3) | instskip(NEXT) | instid1(VALU_DEP_1)
	v_mul_i32_i24_e32 v32, v32, v118
	v_mad_i32_i24 v32, v33, v119, v32
	v_bfe_u32 v33, v30, 8, 2
	s_delay_alu instid0(VALU_DEP_1) | instskip(NEXT) | instid1(VALU_DEP_1)
	v_mul_i32_i24_e32 v33, v33, v111
	v_add3_u32 v32, v32, v35, v33
	v_add_nc_u32_e32 v33, s24, v72
	s_delay_alu instid0(VALU_DEP_1)
	v_add3_u32 v35, v80, s28, v33
	ds_load_u16 v35, v35
	ds_load_b32 v36, v36
	ds_load_2addr_b32 v[133:134], v26 offset0:4 offset1:5
	ds_load_2addr_b32 v[135:136], v26 offset0:6 offset1:7
	s_waitcnt lgkmcnt(1)
	v_ashrrev_i32_e32 v26, s24, v133
	v_ashrrev_i32_e32 v37, s24, v134
	s_waitcnt lgkmcnt(0)
	v_ashrrev_i32_e32 v40, s24, v135
	s_delay_alu instid0(VALU_DEP_3) | instskip(NEXT) | instid1(VALU_DEP_3)
	v_and_b32_e32 v38, 3, v26
	v_and_b32_e32 v39, 3, v37
	s_delay_alu instid0(VALU_DEP_3) | instskip(NEXT) | instid1(VALU_DEP_3)
	v_and_b32_e32 v41, 3, v40
	v_mul_i32_i24_e32 v38, v38, v121
	s_delay_alu instid0(VALU_DEP_2) | instskip(NEXT) | instid1(VALU_DEP_2)
	v_mul_i32_i24_e32 v41, v41, v123
	v_mad_i32_i24 v38, v39, v122, v38
	v_bfe_u32 v39, v26, 8, 2
	s_delay_alu instid0(VALU_DEP_1) | instskip(NEXT) | instid1(VALU_DEP_1)
	v_mul_i32_i24_e32 v39, v39, v106
	v_add3_u32 v38, v38, v41, v39
	v_add_nc_u32_e32 v39, s26, v62
	ds_load_2addr_b32 v[133:134], v39 offset1:1
	ds_load_2addr_b32 v[137:138], v39 offset0:2 offset1:3
	ds_load_2addr_b32 v[139:140], v39 offset0:4 offset1:5
	;; [unrolled: 1-line block ×3, first 2 shown]
	s_waitcnt lgkmcnt(3)
	v_ashrrev_i32_e32 v39, s24, v133
	v_ashrrev_i32_e32 v41, s24, v134
	s_waitcnt lgkmcnt(2)
	v_ashrrev_i32_e32 v45, s24, v137
	s_waitcnt lgkmcnt(0)
	v_ashrrev_i32_e32 v67, s24, v141
	v_and_b32_e32 v42, 3, v39
	v_and_b32_e32 v43, 3, v41
	;; [unrolled: 1-line block ×3, first 2 shown]
	s_delay_alu instid0(VALU_DEP_4) | instskip(NEXT) | instid1(VALU_DEP_4)
	v_and_b32_e32 v68, 3, v67
	v_mul_i32_i24_e32 v42, v42, v118
	s_delay_alu instid0(VALU_DEP_3) | instskip(NEXT) | instid1(VALU_DEP_3)
	v_mul_i32_i24_e32 v56, v56, v120
	v_mul_i32_i24_e32 v68, v68, v123
	s_delay_alu instid0(VALU_DEP_3) | instskip(SKIP_1) | instid1(VALU_DEP_1)
	v_mad_i32_i24 v42, v43, v119, v42
	v_bfe_u32 v43, v39, 8, 2
	v_mul_i32_i24_e32 v43, v43, v111
	s_delay_alu instid0(VALU_DEP_1) | instskip(SKIP_2) | instid1(VALU_DEP_2)
	v_add3_u32 v42, v42, v56, v43
	v_ashrrev_i32_e32 v43, s24, v139
	v_ashrrev_i32_e32 v56, s24, v140
	v_and_b32_e32 v57, 3, v43
	s_delay_alu instid0(VALU_DEP_2) | instskip(NEXT) | instid1(VALU_DEP_2)
	v_and_b32_e32 v63, 3, v56
	v_mul_i32_i24_e32 v57, v57, v121
	s_delay_alu instid0(VALU_DEP_1) | instskip(SKIP_1) | instid1(VALU_DEP_1)
	v_mad_i32_i24 v57, v63, v122, v57
	v_bfe_u32 v63, v43, 8, 2
	v_mul_i32_i24_e32 v63, v63, v106
	s_delay_alu instid0(VALU_DEP_1)
	v_add3_u32 v57, v57, v68, v63
	v_add_nc_u32_e32 v63, s26, v65
	v_add_nc_u32_e32 v68, s27, v64
	ds_load_2addr_b32 v[133:134], v63 offset0:2 offset1:3
	ds_load_b32 v68, v68
	ds_load_2addr_b32 v[139:140], v63 offset1:1
	s_waitcnt lgkmcnt(2)
	v_ashrrev_i32_e32 v131, s24, v133
	s_waitcnt lgkmcnt(0)
	v_ashrrev_i32_e32 v69, s24, v139
	v_ashrrev_i32_e32 v70, s24, v140
	s_delay_alu instid0(VALU_DEP_3) | instskip(NEXT) | instid1(VALU_DEP_3)
	v_and_b32_e32 v133, 3, v131
	v_and_b32_e32 v76, 3, v69
	s_delay_alu instid0(VALU_DEP_3) | instskip(NEXT) | instid1(VALU_DEP_3)
	v_and_b32_e32 v77, 3, v70
	v_mul_i32_i24_e32 v133, v133, v120
	s_delay_alu instid0(VALU_DEP_3) | instskip(SKIP_1) | instid1(VALU_DEP_2)
	v_mul_i32_i24_e32 v76, v76, v118
	v_add_nc_u32_e32 v118, v119, v118
	v_mad_i32_i24 v76, v77, v119, v76
	v_bfe_u32 v77, v69, 8, 2
	s_delay_alu instid0(VALU_DEP_3) | instskip(SKIP_1) | instid1(VALU_DEP_3)
	v_add3_u32 v118, v118, v120, v114
	v_add3_u32 v120, v81, s28, v33
	v_mul_i32_i24_e32 v77, v77, v111
	v_add_nc_u32_e32 v111, v112, v111
	s_delay_alu instid0(VALU_DEP_2)
	v_add3_u32 v76, v76, v133, v77
	v_add3_u32 v77, v78, s28, v33
	v_add_nc_u32_e32 v133, s27, v66
	v_add3_u32 v33, v79, s28, v33
	v_add3_u32 v111, v111, v101, v97
	ds_load_u16 v77, v77
	ds_load_b32 v133, v133
	ds_load_2addr_b32 v[139:140], v63 offset0:4 offset1:5
	ds_load_2addr_b32 v[143:144], v63 offset0:6 offset1:7
	ds_load_u16 v120, v120
	ds_load_u16 v33, v33
	s_waitcnt lgkmcnt(3)
	v_ashrrev_i32_e32 v63, s24, v139
	v_ashrrev_i32_e32 v135, s24, v140
	s_waitcnt lgkmcnt(2)
	v_ashrrev_i32_e32 v140, s24, v143
	s_delay_alu instid0(VALU_DEP_3) | instskip(NEXT) | instid1(VALU_DEP_3)
	v_and_b32_e32 v137, 3, v63
	v_and_b32_e32 v139, 3, v135
	s_delay_alu instid0(VALU_DEP_3) | instskip(NEXT) | instid1(VALU_DEP_3)
	v_and_b32_e32 v141, 3, v140
	v_mul_i32_i24_e32 v137, v137, v121
	v_add_nc_u32_e32 v121, v122, v121
	s_delay_alu instid0(VALU_DEP_3) | instskip(NEXT) | instid1(VALU_DEP_3)
	v_mul_i32_i24_e32 v141, v141, v123
	v_mad_i32_i24 v137, v139, v122, v137
	v_bfe_u32 v139, v63, 8, 2
	s_delay_alu instid0(VALU_DEP_4)
	v_add3_u32 v119, v121, v123, v115
	s_waitcnt lgkmcnt(1)
	v_lshrrev_b16 v123, 8, v120
	v_add_nc_u32_e32 v121, v104, v116
	v_add_nc_u32_e32 v122, v105, v117
	v_mul_i32_i24_e32 v139, v139, v106
	s_delay_alu instid0(VALU_DEP_4) | instskip(NEXT) | instid1(VALU_DEP_4)
	v_and_b32_e32 v123, 0xffff, v123
	v_add3_u32 v121, v121, v96, v6
	s_delay_alu instid0(VALU_DEP_4) | instskip(NEXT) | instid1(VALU_DEP_4)
	v_add3_u32 v122, v122, v100, v7
	v_add3_u32 v137, v137, v141, v139
	v_bfe_u32 v139, v120, 4, 4
	v_lshrrev_b32_e32 v143, 4, v123
	s_delay_alu instid0(VALU_DEP_2) | instskip(SKIP_1) | instid1(VALU_DEP_1)
	v_mul_lo_u32 v141, 0x1010101, v139
	v_mul_i32_i24_e32 v139, v139, v118
	v_mad_i32_i24 v139, v143, v119, v139
	s_delay_alu instid0(VALU_DEP_3) | instskip(SKIP_1) | instid1(VALU_DEP_2)
	v_lshrrev_b32_e32 v145, 24, v141
	v_bfe_i32 v146, v141, 16, 8
	v_mul_i32_i24_e32 v145, v121, v145
	s_delay_alu instid0(VALU_DEP_2) | instskip(NEXT) | instid1(VALU_DEP_1)
	v_mul_i32_i24_e32 v146, v122, v146
	v_add3_u32 v139, v139, v145, v146
	s_waitcnt lgkmcnt(0)
	v_bfe_u32 v146, v33, 4, 4
	v_lshrrev_b16 v145, 8, v33
	s_delay_alu instid0(VALU_DEP_2) | instskip(NEXT) | instid1(VALU_DEP_2)
	v_mul_lo_u32 v147, 0x1010101, v146
	v_and_b32_e32 v145, 0xffff, v145
	v_mul_i32_i24_e32 v146, v146, v118
	s_delay_alu instid0(VALU_DEP_2) | instskip(NEXT) | instid1(VALU_DEP_4)
	v_lshrrev_b32_e32 v148, 4, v145
	v_lshrrev_b32_e32 v149, 24, v147
	v_bfe_i32 v150, v147, 16, 8
	s_delay_alu instid0(VALU_DEP_3) | instskip(NEXT) | instid1(VALU_DEP_3)
	v_mad_i32_i24 v146, v148, v119, v146
	v_mul_i32_i24_e32 v149, v121, v149
	s_delay_alu instid0(VALU_DEP_3) | instskip(NEXT) | instid1(VALU_DEP_1)
	v_mul_i32_i24_e32 v150, v122, v150
	v_add3_u32 v146, v146, v149, v150
	v_bfe_u32 v150, v35, 4, 4
	v_lshrrev_b16 v149, 8, v35
	s_delay_alu instid0(VALU_DEP_2) | instskip(NEXT) | instid1(VALU_DEP_2)
	v_mul_lo_u32 v151, 0x1010101, v150
	v_and_b32_e32 v149, 0xffff, v149
	v_mul_i32_i24_e32 v150, v150, v118
	s_delay_alu instid0(VALU_DEP_2) | instskip(NEXT) | instid1(VALU_DEP_4)
	v_lshrrev_b32_e32 v152, 4, v149
	v_lshrrev_b32_e32 v153, 24, v151
	v_bfe_i32 v154, v151, 16, 8
	s_delay_alu instid0(VALU_DEP_3) | instskip(NEXT) | instid1(VALU_DEP_3)
	v_mad_i32_i24 v150, v152, v119, v150
	v_mul_i32_i24_e32 v153, v121, v153
	s_delay_alu instid0(VALU_DEP_3) | instskip(NEXT) | instid1(VALU_DEP_1)
	v_mul_i32_i24_e32 v154, v122, v154
	v_add3_u32 v150, v150, v153, v154
	v_lshrrev_b16 v153, 8, v77
	v_bfe_u32 v154, v77, 4, 4
	s_delay_alu instid0(VALU_DEP_2) | instskip(NEXT) | instid1(VALU_DEP_2)
	v_and_b32_e32 v153, 0xffff, v153
	v_mul_i32_i24_e32 v118, v154, v118
	s_delay_alu instid0(VALU_DEP_2) | instskip(NEXT) | instid1(VALU_DEP_1)
	v_lshrrev_b32_e32 v155, 4, v153
	v_mad_i32_i24 v118, v155, v119, v118
	v_mul_lo_u32 v119, 0x1010101, v154
	s_delay_alu instid0(VALU_DEP_1) | instskip(NEXT) | instid1(VALU_DEP_1)
	v_lshrrev_b32_e32 v154, 24, v119
	v_mul_i32_i24_e32 v121, v121, v154
	v_bfe_i32 v154, v119, 16, 8
	v_bfe_i32 v119, v119, 8, 8
	s_delay_alu instid0(VALU_DEP_2) | instskip(NEXT) | instid1(VALU_DEP_1)
	v_mul_i32_i24_e32 v122, v122, v154
	v_add3_u32 v118, v118, v121, v122
	v_bfe_u32 v121, v126, 16, 2
	v_bfe_u32 v122, v126, 24, 2
	;; [unrolled: 1-line block ×3, first 2 shown]
	s_delay_alu instid0(VALU_DEP_3) | instskip(NEXT) | instid1(VALU_DEP_3)
	v_mul_i32_i24_e32 v121, v121, v117
	v_mul_i32_i24_e32 v122, v122, v116
	s_delay_alu instid0(VALU_DEP_3) | instskip(NEXT) | instid1(VALU_DEP_2)
	v_mul_i32_i24_e32 v126, v126, v113
	v_add3_u32 v121, v128, v121, v122
	v_bfe_u32 v122, v127, 16, 2
	v_mul_lo_u32 v127, 0x1010101, v152
	s_delay_alu instid0(VALU_DEP_2) | instskip(NEXT) | instid1(VALU_DEP_2)
	v_mul_i32_i24_e32 v122, v122, v107
	v_lshrrev_b32_e32 v128, 24, v127
	s_delay_alu instid0(VALU_DEP_2) | instskip(SKIP_2) | instid1(VALU_DEP_2)
	v_add3_u32 v122, v129, v122, v126
	v_bfe_u32 v126, v30, 16, 2
	v_bfe_u32 v30, v30, 24, 2
	v_mul_i32_i24_e32 v126, v126, v117
	s_delay_alu instid0(VALU_DEP_2) | instskip(NEXT) | instid1(VALU_DEP_1)
	v_mul_i32_i24_e32 v30, v30, v116
	v_add3_u32 v30, v32, v126, v30
	v_bfe_u32 v32, v26, 16, 2
	v_bfe_u32 v26, v26, 24, 2
	s_delay_alu instid0(VALU_DEP_2) | instskip(NEXT) | instid1(VALU_DEP_2)
	v_mul_i32_i24_e32 v32, v32, v107
	v_mul_i32_i24_e32 v26, v26, v113
	s_delay_alu instid0(VALU_DEP_1) | instskip(SKIP_3) | instid1(VALU_DEP_3)
	v_add3_u32 v26, v38, v32, v26
	v_bfe_u32 v32, v39, 16, 2
	v_bfe_u32 v38, v39, 24, 2
	;; [unrolled: 1-line block ×3, first 2 shown]
	v_mul_i32_i24_e32 v32, v32, v117
	s_delay_alu instid0(VALU_DEP_3) | instskip(NEXT) | instid1(VALU_DEP_3)
	v_mul_i32_i24_e32 v38, v38, v116
	v_mul_i32_i24_e32 v39, v39, v113
	s_delay_alu instid0(VALU_DEP_2) | instskip(SKIP_3) | instid1(VALU_DEP_3)
	v_add3_u32 v32, v42, v32, v38
	v_bfe_u32 v38, v43, 16, 2
	v_bfe_u32 v42, v69, 24, 2
	;; [unrolled: 1-line block ×3, first 2 shown]
	v_mul_i32_i24_e32 v38, v38, v107
	s_delay_alu instid0(VALU_DEP_3) | instskip(NEXT) | instid1(VALU_DEP_3)
	v_mul_i32_i24_e32 v42, v42, v116
	v_mul_i32_i24_e32 v43, v43, v113
	s_delay_alu instid0(VALU_DEP_3) | instskip(SKIP_3) | instid1(VALU_DEP_3)
	v_add3_u32 v38, v57, v38, v39
	v_bfe_u32 v39, v69, 16, 2
	v_and_b32_e32 v57, 3, v1
	v_bfe_u32 v69, v31, 8, 2
	v_mul_i32_i24_e32 v39, v39, v117
	s_delay_alu instid0(VALU_DEP_3) | instskip(NEXT) | instid1(VALU_DEP_3)
	v_mul_i32_i24_e32 v57, v57, v114
	v_mul_i32_i24_e32 v69, v69, v112
	s_delay_alu instid0(VALU_DEP_3) | instskip(SKIP_2) | instid1(VALU_DEP_2)
	v_add3_u32 v39, v76, v39, v42
	v_bfe_u32 v42, v63, 16, 2
	v_and_b32_e32 v63, 3, v3
	v_mul_i32_i24_e32 v42, v42, v107
	s_delay_alu instid0(VALU_DEP_2) | instskip(NEXT) | instid1(VALU_DEP_2)
	v_mul_i32_i24_e32 v63, v63, v115
	v_add3_u32 v42, v137, v42, v43
	v_bfe_u32 v43, v124, 8, 2
	s_delay_alu instid0(VALU_DEP_1) | instskip(NEXT) | instid1(VALU_DEP_1)
	v_mul_i32_i24_e32 v43, v43, v112
	v_add3_u32 v43, v121, v57, v43
	v_bfe_u32 v57, v125, 8, 2
	s_delay_alu instid0(VALU_DEP_1) | instskip(NEXT) | instid1(VALU_DEP_1)
	v_mul_i32_i24_e32 v57, v57, v108
	v_add3_u32 v57, v122, v63, v57
	v_ashrrev_i32_e32 v63, s24, v132
	v_mul_lo_u32 v122, 0x1010101, v148
	s_delay_alu instid0(VALU_DEP_2) | instskip(NEXT) | instid1(VALU_DEP_2)
	v_and_b32_e32 v76, 3, v63
	v_lshrrev_b32_e32 v126, 24, v122
	s_delay_alu instid0(VALU_DEP_2) | instskip(NEXT) | instid1(VALU_DEP_1)
	v_mul_i32_i24_e32 v76, v76, v114
	v_add3_u32 v30, v30, v76, v69
	v_ashrrev_i32_e32 v69, s24, v136
	v_bfe_u32 v76, v37, 8, 2
	s_delay_alu instid0(VALU_DEP_2) | instskip(NEXT) | instid1(VALU_DEP_2)
	v_and_b32_e32 v116, 3, v69
	v_mul_i32_i24_e32 v76, v76, v108
	s_delay_alu instid0(VALU_DEP_2) | instskip(NEXT) | instid1(VALU_DEP_1)
	v_mul_i32_i24_e32 v116, v116, v115
	v_add3_u32 v26, v26, v116, v76
	v_ashrrev_i32_e32 v76, s24, v138
	v_bfe_u32 v116, v41, 8, 2
	s_delay_alu instid0(VALU_DEP_2) | instskip(NEXT) | instid1(VALU_DEP_2)
	v_and_b32_e32 v117, 3, v76
	v_mul_i32_i24_e32 v116, v116, v112
	;; [unrolled: 8-line block ×3, first 2 shown]
	s_delay_alu instid0(VALU_DEP_2) | instskip(NEXT) | instid1(VALU_DEP_1)
	v_mul_i32_i24_e32 v121, v121, v115
	v_add3_u32 v38, v38, v121, v117
	v_ashrrev_i32_e32 v117, s24, v134
	s_delay_alu instid0(VALU_DEP_1) | instskip(NEXT) | instid1(VALU_DEP_1)
	v_and_b32_e32 v121, 3, v117
	v_mul_i32_i24_e32 v114, v121, v114
	v_bfe_u32 v121, v70, 8, 2
	s_delay_alu instid0(VALU_DEP_1) | instskip(SKIP_2) | instid1(VALU_DEP_3)
	v_mul_i32_i24_e32 v121, v121, v112
	v_add_nc_u32_e32 v112, v110, v113
	v_bfe_i32 v113, v141, 8, 8
	v_add3_u32 v39, v39, v114, v121
	v_ashrrev_i32_e32 v114, s24, v144
	s_delay_alu instid0(VALU_DEP_4) | instskip(NEXT) | instid1(VALU_DEP_4)
	v_add3_u32 v112, v112, v98, v94
	v_mul_i32_i24_e32 v113, v111, v113
	s_add_i32 s24, s24, 2
	s_cmp_lt_u32 s25, 14
	v_and_b32_e32 v121, 3, v114
	v_mul_i32_i24_e32 v126, v112, v126
	v_mul_i32_i24_e32 v128, v112, v128
	s_delay_alu instid0(VALU_DEP_3) | instskip(SKIP_1) | instid1(VALU_DEP_1)
	v_mul_i32_i24_e32 v115, v121, v115
	v_bfe_u32 v121, v135, 8, 2
	v_mul_i32_i24_e32 v121, v121, v108
	s_delay_alu instid0(VALU_DEP_1) | instskip(SKIP_1) | instid1(VALU_DEP_1)
	v_add3_u32 v42, v42, v115, v121
	v_mul_lo_u32 v115, 0x1010101, v143
	v_lshrrev_b32_e32 v121, 24, v115
	s_delay_alu instid0(VALU_DEP_1) | instskip(NEXT) | instid1(VALU_DEP_1)
	v_mul_i32_i24_e32 v121, v112, v121
	v_add3_u32 v113, v139, v113, v121
	v_bfe_i32 v121, v147, 8, 8
	s_delay_alu instid0(VALU_DEP_1) | instskip(NEXT) | instid1(VALU_DEP_1)
	v_mul_i32_i24_e32 v121, v111, v121
	v_add3_u32 v121, v146, v121, v126
	v_bfe_i32 v126, v151, 8, 8
	s_delay_alu instid0(VALU_DEP_1) | instskip(SKIP_2) | instid1(VALU_DEP_3)
	v_mul_i32_i24_e32 v126, v111, v126
	v_mul_i32_i24_e32 v111, v111, v119
	v_mul_lo_u32 v119, 0x1010101, v155
	v_add3_u32 v126, v150, v126, v128
	s_delay_alu instid0(VALU_DEP_2) | instskip(NEXT) | instid1(VALU_DEP_1)
	v_lshrrev_b32_e32 v128, 24, v119
	v_mul_i32_i24_e32 v112, v112, v128
	s_delay_alu instid0(VALU_DEP_1) | instskip(SKIP_2) | instid1(VALU_DEP_2)
	v_add3_u32 v111, v118, v111, v112
	v_bfe_u32 v112, v124, 16, 2
	v_bfe_u32 v118, v124, 24, 2
	v_mul_i32_i24_e32 v112, v112, v105
	s_delay_alu instid0(VALU_DEP_2) | instskip(NEXT) | instid1(VALU_DEP_1)
	v_mul_i32_i24_e32 v118, v118, v104
	v_add3_u32 v43, v43, v112, v118
	v_bfe_u32 v112, v125, 16, 2
	v_bfe_u32 v118, v125, 24, 2
	s_delay_alu instid0(VALU_DEP_2) | instskip(NEXT) | instid1(VALU_DEP_2)
	v_mul_i32_i24_e32 v112, v112, v109
	v_mul_i32_i24_e32 v118, v118, v110
	s_delay_alu instid0(VALU_DEP_1) | instskip(SKIP_2) | instid1(VALU_DEP_2)
	v_add3_u32 v57, v57, v112, v118
	v_bfe_u32 v112, v31, 16, 2
	v_bfe_u32 v31, v31, 24, 2
	v_mul_i32_i24_e32 v112, v112, v105
	s_delay_alu instid0(VALU_DEP_2) | instskip(NEXT) | instid1(VALU_DEP_1)
	v_mul_i32_i24_e32 v31, v31, v104
	v_add3_u32 v30, v30, v112, v31
	v_bfe_u32 v31, v37, 16, 2
	v_bfe_u32 v37, v37, 24, 2
	s_delay_alu instid0(VALU_DEP_2) | instskip(NEXT) | instid1(VALU_DEP_2)
	v_mul_i32_i24_e32 v31, v31, v109
	v_mul_i32_i24_e32 v37, v37, v110
	s_delay_alu instid0(VALU_DEP_1) | instskip(SKIP_3) | instid1(VALU_DEP_3)
	v_add3_u32 v26, v26, v31, v37
	v_bfe_u32 v31, v41, 16, 2
	v_bfe_u32 v37, v41, 24, 2
	v_add_nc_u32_e32 v41, v108, v106
	v_mul_i32_i24_e32 v31, v31, v105
	s_delay_alu instid0(VALU_DEP_3) | instskip(NEXT) | instid1(VALU_DEP_3)
	v_mul_i32_i24_e32 v37, v37, v104
	v_add3_u32 v41, v41, v103, v99
	s_delay_alu instid0(VALU_DEP_2) | instskip(SKIP_3) | instid1(VALU_DEP_3)
	v_add3_u32 v31, v32, v31, v37
	v_bfe_u32 v32, v56, 16, 2
	v_bfe_u32 v37, v56, 24, 2
	v_bfe_i32 v56, v115, 8, 8
	v_mul_i32_i24_e32 v32, v32, v109
	s_delay_alu instid0(VALU_DEP_3) | instskip(NEXT) | instid1(VALU_DEP_3)
	v_mul_i32_i24_e32 v37, v37, v110
	v_mul_i32_i24_e32 v56, v41, v56
	s_delay_alu instid0(VALU_DEP_2) | instskip(SKIP_3) | instid1(VALU_DEP_3)
	v_add3_u32 v32, v38, v32, v37
	v_bfe_u32 v37, v70, 16, 2
	v_bfe_u32 v38, v70, 24, 2
	v_bfe_i32 v70, v122, 8, 8
	v_mul_i32_i24_e32 v37, v37, v105
	s_delay_alu instid0(VALU_DEP_3) | instskip(NEXT) | instid1(VALU_DEP_3)
	v_mul_i32_i24_e32 v38, v38, v104
	v_mul_i32_i24_e32 v70, v41, v70
	v_bfe_i32 v104, v127, 8, 8
	s_delay_alu instid0(VALU_DEP_3) | instskip(SKIP_2) | instid1(VALU_DEP_4)
	v_add3_u32 v37, v39, v37, v38
	v_bfe_u32 v38, v135, 24, 2
	v_bfe_u32 v39, v135, 16, 2
	v_mul_i32_i24_e32 v104, v41, v104
	s_delay_alu instid0(VALU_DEP_3) | instskip(NEXT) | instid1(VALU_DEP_3)
	v_mul_i32_i24_e32 v38, v38, v110
	v_mul_i32_i24_e32 v39, v39, v109
	s_delay_alu instid0(VALU_DEP_1) | instskip(SKIP_2) | instid1(VALU_DEP_2)
	v_add3_u32 v38, v42, v39, v38
	v_add_nc_u32_e32 v39, v109, v107
	v_bfe_i32 v42, v115, 16, 8
	v_add3_u32 v39, v39, v102, v95
	s_delay_alu instid0(VALU_DEP_1) | instskip(NEXT) | instid1(VALU_DEP_1)
	v_mul_i32_i24_e32 v42, v39, v42
	v_add3_u32 v42, v113, v42, v56
	v_bfe_i32 v56, v122, 16, 8
	s_delay_alu instid0(VALU_DEP_1) | instskip(NEXT) | instid1(VALU_DEP_1)
	v_mul_i32_i24_e32 v56, v39, v56
	v_add3_u32 v56, v121, v56, v70
	v_bfe_i32 v70, v127, 16, 8
	;; [unrolled: 4-line block ×3, first 2 shown]
	s_delay_alu instid0(VALU_DEP_1) | instskip(SKIP_1) | instid1(VALU_DEP_1)
	v_mul_i32_i24_e32 v39, v39, v104
	v_bfe_i32 v104, v119, 8, 8
	v_mul_i32_i24_e32 v41, v41, v104
	v_bfe_u32 v104, v0, 16, 2
	s_delay_alu instid0(VALU_DEP_2) | instskip(SKIP_1) | instid1(VALU_DEP_3)
	v_add3_u32 v39, v111, v39, v41
	v_bfe_u32 v41, v0, 8, 2
	v_mul_i32_i24_e32 v104, v104, v100
	v_bfe_u32 v0, v0, 24, 2
	s_delay_alu instid0(VALU_DEP_4) | instskip(NEXT) | instid1(VALU_DEP_4)
	v_cvt_f32_i32_e32 v39, v39
	v_mul_i32_i24_e32 v41, v41, v101
	s_delay_alu instid0(VALU_DEP_3) | instskip(NEXT) | instid1(VALU_DEP_2)
	v_mul_i32_i24_e32 v0, v0, v96
	v_add3_u32 v41, v43, v41, v104
	v_bfe_u32 v43, v2, 8, 2
	v_bfe_u32 v104, v2, 16, 2
	v_bfe_u32 v2, v2, 24, 2
	s_delay_alu instid0(VALU_DEP_3) | instskip(NEXT) | instid1(VALU_DEP_3)
	v_mul_i32_i24_e32 v43, v43, v103
	v_mul_i32_i24_e32 v104, v104, v102
	s_delay_alu instid0(VALU_DEP_3) | instskip(NEXT) | instid1(VALU_DEP_2)
	v_mul_i32_i24_e32 v2, v2, v98
	v_add3_u32 v43, v57, v43, v104
	v_bfe_u32 v57, v34, 8, 2
	v_bfe_u32 v104, v34, 16, 2
	;; [unrolled: 1-line block ×3, first 2 shown]
	s_delay_alu instid0(VALU_DEP_3) | instskip(NEXT) | instid1(VALU_DEP_3)
	v_mul_i32_i24_e32 v57, v57, v101
	v_mul_i32_i24_e32 v104, v104, v100
	s_delay_alu instid0(VALU_DEP_3) | instskip(NEXT) | instid1(VALU_DEP_2)
	v_mul_i32_i24_e32 v34, v34, v96
	v_add3_u32 v30, v30, v57, v104
	v_bfe_u32 v57, v40, 8, 2
	v_bfe_u32 v104, v40, 16, 2
	s_delay_alu instid0(VALU_DEP_2) | instskip(NEXT) | instid1(VALU_DEP_2)
	v_mul_i32_i24_e32 v57, v57, v103
	v_mul_i32_i24_e32 v104, v104, v102
	s_delay_alu instid0(VALU_DEP_1) | instskip(SKIP_2) | instid1(VALU_DEP_2)
	v_add3_u32 v26, v26, v57, v104
	v_bfe_u32 v57, v45, 8, 2
	v_bfe_u32 v104, v45, 16, 2
	v_mul_i32_i24_e32 v57, v57, v101
	s_delay_alu instid0(VALU_DEP_2) | instskip(NEXT) | instid1(VALU_DEP_1)
	v_mul_i32_i24_e32 v104, v104, v100
	v_add3_u32 v31, v31, v57, v104
	v_bfe_u32 v57, v67, 8, 2
	v_bfe_u32 v104, v67, 16, 2
	s_delay_alu instid0(VALU_DEP_2) | instskip(NEXT) | instid1(VALU_DEP_2)
	v_mul_i32_i24_e32 v57, v57, v103
	v_mul_i32_i24_e32 v104, v104, v102
	s_delay_alu instid0(VALU_DEP_1) | instskip(SKIP_1) | instid1(VALU_DEP_1)
	v_add3_u32 v32, v32, v57, v104
	v_bfe_u32 v57, v131, 8, 2
	v_mul_i32_i24_e32 v57, v57, v101
	v_bfe_u32 v101, v131, 16, 2
	s_delay_alu instid0(VALU_DEP_1) | instskip(NEXT) | instid1(VALU_DEP_1)
	v_mul_i32_i24_e32 v100, v101, v100
	v_add3_u32 v37, v37, v57, v100
	v_bfe_u32 v57, v140, 8, 2
	v_bfe_u32 v100, v140, 16, 2
	s_delay_alu instid0(VALU_DEP_2) | instskip(NEXT) | instid1(VALU_DEP_2)
	v_mul_i32_i24_e32 v57, v57, v103
	v_mul_i32_i24_e32 v100, v100, v102
	s_delay_alu instid0(VALU_DEP_1) | instskip(SKIP_1) | instid1(VALU_DEP_1)
	v_add3_u32 v38, v38, v57, v100
	v_bfe_u32 v57, v1, 8, 2
	v_mul_i32_i24_e32 v57, v57, v97
	s_delay_alu instid0(VALU_DEP_1) | instskip(SKIP_1) | instid1(VALU_DEP_1)
	v_add3_u32 v0, v41, v0, v57
	v_bfe_u32 v41, v3, 8, 2
	;; [unrolled: 4-line block ×3, first 2 shown]
	v_mul_i32_i24_e32 v41, v41, v97
	s_delay_alu instid0(VALU_DEP_1) | instskip(SKIP_3) | instid1(VALU_DEP_3)
	v_add3_u32 v30, v30, v34, v41
	v_bfe_u32 v34, v40, 24, 2
	v_bfe_u32 v40, v69, 8, 2
	v_and_b32_e32 v41, 15, v153
	v_mul_i32_i24_e32 v34, v34, v98
	s_delay_alu instid0(VALU_DEP_3) | instskip(NEXT) | instid1(VALU_DEP_1)
	v_mul_i32_i24_e32 v40, v40, v99
	v_add3_u32 v26, v26, v34, v40
	v_bfe_u32 v34, v45, 24, 2
	v_bfe_u32 v40, v76, 8, 2
	s_delay_alu instid0(VALU_DEP_2) | instskip(NEXT) | instid1(VALU_DEP_2)
	v_mul_i32_i24_e32 v34, v34, v96
	v_mul_i32_i24_e32 v40, v40, v97
	s_delay_alu instid0(VALU_DEP_1) | instskip(SKIP_2) | instid1(VALU_DEP_2)
	v_add3_u32 v31, v31, v34, v40
	v_bfe_u32 v34, v67, 24, 2
	v_bfe_u32 v40, v116, 8, 2
	v_mul_i32_i24_e32 v34, v34, v98
	s_delay_alu instid0(VALU_DEP_2) | instskip(NEXT) | instid1(VALU_DEP_1)
	v_mul_i32_i24_e32 v40, v40, v99
	v_add3_u32 v32, v32, v34, v40
	v_bfe_u32 v34, v131, 24, 2
	v_bfe_u32 v40, v117, 8, 2
	s_delay_alu instid0(VALU_DEP_2) | instskip(NEXT) | instid1(VALU_DEP_2)
	v_mul_i32_i24_e32 v34, v34, v96
	v_mul_i32_i24_e32 v40, v40, v97
	s_delay_alu instid0(VALU_DEP_1) | instskip(SKIP_2) | instid1(VALU_DEP_2)
	v_add3_u32 v34, v37, v34, v40
	v_bfe_u32 v37, v140, 24, 2
	v_bfe_u32 v40, v114, 8, 2
	v_mul_i32_i24_e32 v37, v37, v98
	s_delay_alu instid0(VALU_DEP_2) | instskip(NEXT) | instid1(VALU_DEP_1)
	v_mul_i32_i24_e32 v40, v40, v99
	v_add3_u32 v37, v38, v37, v40
	v_bfe_u32 v38, v1, 16, 2
	v_bfe_u32 v1, v1, 24, 2
	v_and_b32_e32 v40, 15, v149
	s_delay_alu instid0(VALU_DEP_3) | instskip(NEXT) | instid1(VALU_DEP_3)
	v_mul_i32_i24_e32 v38, v38, v7
	v_mul_i32_i24_e32 v1, v1, v6
	s_delay_alu instid0(VALU_DEP_1) | instskip(SKIP_3) | instid1(VALU_DEP_3)
	v_add3_u32 v0, v0, v38, v1
	v_bfe_u32 v1, v3, 16, 2
	v_bfe_u32 v3, v3, 24, 2
	v_lshrrev_b32_e32 v38, 16, v36
	v_mul_i32_i24_e32 v1, v1, v95
	s_delay_alu instid0(VALU_DEP_3) | instskip(NEXT) | instid1(VALU_DEP_1)
	v_mul_i32_i24_e32 v3, v3, v94
	v_add3_u32 v3, v2, v1, v3
	v_bfe_u32 v1, v63, 16, 2
	v_bfe_u32 v2, v63, 24, 2
	s_delay_alu instid0(VALU_DEP_2) | instskip(NEXT) | instid1(VALU_DEP_2)
	v_mul_i32_i24_e32 v1, v1, v7
	v_mul_i32_i24_e32 v2, v2, v6
	s_delay_alu instid0(VALU_DEP_1) | instskip(SKIP_2) | instid1(VALU_DEP_2)
	v_add3_u32 v30, v30, v1, v2
	v_bfe_u32 v1, v69, 16, 2
	v_bfe_u32 v2, v69, 24, 2
	v_mul_i32_i24_e32 v1, v1, v95
	s_delay_alu instid0(VALU_DEP_2) | instskip(NEXT) | instid1(VALU_DEP_1)
	v_mul_i32_i24_e32 v2, v2, v94
	v_add3_u32 v26, v26, v1, v2
	v_bfe_u32 v1, v76, 16, 2
	v_bfe_u32 v2, v76, 24, 2
	s_delay_alu instid0(VALU_DEP_2) | instskip(NEXT) | instid1(VALU_DEP_2)
	v_mul_i32_i24_e32 v1, v1, v7
	v_mul_i32_i24_e32 v2, v2, v6
	s_delay_alu instid0(VALU_DEP_1) | instskip(SKIP_2) | instid1(VALU_DEP_2)
	v_add3_u32 v31, v31, v1, v2
	v_bfe_u32 v1, v116, 16, 2
	v_bfe_u32 v2, v116, 24, 2
	v_mul_i32_i24_e32 v1, v1, v95
	s_delay_alu instid0(VALU_DEP_2) | instskip(NEXT) | instid1(VALU_DEP_1)
	v_mul_i32_i24_e32 v2, v2, v94
	v_add3_u32 v32, v32, v1, v2
	v_bfe_u32 v1, v117, 16, 2
	v_bfe_u32 v2, v117, 24, 2
	s_delay_alu instid0(VALU_DEP_2) | instskip(NEXT) | instid1(VALU_DEP_2)
	v_mul_i32_i24_e32 v1, v1, v7
	v_mul_i32_i24_e32 v2, v2, v6
	v_and_b32_e32 v7, 15, v33
	v_and_b32_e32 v33, 15, v35
	;; [unrolled: 1-line block ×3, first 2 shown]
	s_delay_alu instid0(VALU_DEP_4) | instskip(SKIP_2) | instid1(VALU_DEP_2)
	v_add3_u32 v6, v34, v1, v2
	v_bfe_u32 v1, v114, 16, 2
	v_bfe_u32 v2, v114, 24, 2
	v_mul_i32_i24_e32 v1, v1, v95
	s_delay_alu instid0(VALU_DEP_2) | instskip(NEXT) | instid1(VALU_DEP_1)
	v_mul_i32_i24_e32 v2, v2, v94
	v_add3_u32 v34, v37, v1, v2
	v_and_b32_e32 v1, 15, v120
	ds_load_b32 v37, v5
	v_add_nc_u32_e32 v5, 4, v5
	v_mul_lo_u32 v0, v0, v1
	s_delay_alu instid0(VALU_DEP_1) | instskip(SKIP_3) | instid1(VALU_DEP_2)
	v_mad_u64_u32 v[1:2], null, v3, v35, v[0:1]
	v_mul_lo_u32 v0, v30, v33
	v_lshrrev_b32_e32 v35, 16, v130
	v_cvt_f32_f16_e32 v33, v38
	v_cvt_f32_f16_e32 v30, v35
	s_delay_alu instid0(VALU_DEP_4) | instskip(SKIP_4) | instid1(VALU_DEP_4)
	v_mad_u64_u32 v[2:3], null, v26, v40, v[0:1]
	v_lshrrev_b32_e32 v0, 16, v68
	v_lshrrev_b32_e32 v3, 16, v133
	v_and_b32_e32 v26, 15, v77
	v_and_b32_e32 v40, 15, v145
	v_cvt_f32_f16_e32 v35, v0
	s_delay_alu instid0(VALU_DEP_4)
	v_cvt_f32_f16_e32 v38, v3
	v_mul_lo_u32 v0, v31, v7
	v_mul_lo_u32 v3, v6, v26
	v_cvt_f32_i32_e32 v26, v42
	v_cvt_f32_i32_e32 v31, v56
	;; [unrolled: 1-line block ×4, first 2 shown]
	v_mad_u64_u32 v[6:7], null, v32, v40, v[0:1]
	v_mad_u64_u32 v[94:95], null, v34, v41, v[3:4]
	v_dual_mul_f32 v0, v30, v26 :: v_dual_mul_f32 v3, v35, v31
	v_dual_mul_f32 v7, v33, v42 :: v_dual_mul_f32 v26, v38, v39
	v_cvt_f32_i32_e32 v1, v1
	v_cvt_f32_i32_e32 v6, v6
	;; [unrolled: 1-line block ×3, first 2 shown]
	v_add_nc_u32_e32 v4, 32, v4
	s_delay_alu instid0(VALU_DEP_4)
	v_fma_mix_f32 v0, v130, v1, -v0 op_sel_hi:[1,0,0]
	v_fma_mix_f32 v1, v36, v2, -v7 op_sel_hi:[1,0,0]
	;; [unrolled: 1-line block ×4, first 2 shown]
	s_waitcnt lgkmcnt(0)
	v_fmac_f32_e32 v28, v37, v0
	v_fmac_f32_e32 v90, v37, v1
	;; [unrolled: 1-line block ×4, first 2 shown]
	s_cbranch_scc1 .LBB208_22
; %bb.23:                               ;   in Loop: Header=BB208_7 Depth=1
	s_or_b32 s1, s23, 0x100
	s_delay_alu instid0(SALU_CYCLE_1)
	s_cmp_ge_i32 s1, s5
	s_barrier
	buffer_gl0_inv
	s_cbranch_scc1 .LBB208_41
; %bb.24:                               ;   in Loop: Header=BB208_7 Depth=1
	scratch_load_b32 v0, off, off offset:88 ; 4-byte Folded Reload
	s_waitcnt vmcnt(0)
	v_add_nc_u32_e32 v0, s6, v0
	s_delay_alu instid0(VALU_DEP_1) | instskip(NEXT) | instid1(VALU_DEP_1)
	v_cmp_gt_i32_e64 s1, s8, v0
	s_and_b32 s24, s0, s1
	s_delay_alu instid0(SALU_CYCLE_1)
	s_and_saveexec_b32 s1, s24
	s_cbranch_execz .LBB208_26
; %bb.25:                               ;   in Loop: Header=BB208_7 Depth=1
	s_clause 0x1
	scratch_load_b32 v1, off, off offset:12
	scratch_load_b64 v[3:4], off, off offset:68
	s_waitcnt vmcnt(1)
	v_add_nc_u32_e32 v2, v1, v0
	s_waitcnt vmcnt(0)
	s_delay_alu instid0(VALU_DEP_1)
	v_mad_i64_i32 v[0:1], null, v2, 36, v[3:4]
	global_load_b32 v0, v[0:1], off offset:4
	scratch_load_b32 v1, off, off offset:76 ; 4-byte Folded Reload
	s_waitcnt vmcnt(0)
	ds_store_b32 v1, v0
.LBB208_26:                             ;   in Loop: Header=BB208_7 Depth=1
	s_or_b32 exec_lo, exec_lo, s1
	s_and_saveexec_b32 s24, vcc_lo
	s_cbranch_execz .LBB208_29
; %bb.27:                               ;   in Loop: Header=BB208_7 Depth=1
	v_or_b32_e32 v0, s6, v156
	s_delay_alu instid0(VALU_DEP_1) | instskip(NEXT) | instid1(VALU_DEP_1)
	v_or_b32_e32 v1, 8, v0
	v_cmp_gt_i32_e64 s1, s8, v1
	s_delay_alu instid0(VALU_DEP_1) | instskip(NEXT) | instid1(SALU_CYCLE_1)
	s_and_b32 s1, s0, s1
	s_and_b32 exec_lo, exec_lo, s1
	s_cbranch_execz .LBB208_29
; %bb.28:                               ;   in Loop: Header=BB208_7 Depth=1
	scratch_load_b32 v2, off, off offset:12 ; 4-byte Folded Reload
	v_ashrrev_i32_e32 v1, 31, v0
	s_waitcnt vmcnt(0)
	v_add_co_u32 v2, s1, v2, v0
	scratch_load_b32 v0, off, off offset:92 ; 4-byte Folded Reload
	s_waitcnt vmcnt(0)
	v_add_co_ci_u32_e64 v3, s1, v0, v1, s1
	v_mad_u64_u32 v[0:1], null, v2, 36, s[16:17]
	s_delay_alu instid0(VALU_DEP_1)
	v_mad_i32_i24 v1, v3, 36, v1
	global_load_b32 v0, v[0:1], off
	scratch_load_b32 v1, off, off offset:84 ; 4-byte Folded Reload
	s_waitcnt vmcnt(1)
	v_cvt_f32_f16_e32 v0, v0
	s_waitcnt vmcnt(0)
	ds_store_b32 v1, v0
.LBB208_29:                             ;   in Loop: Header=BB208_7 Depth=1
	s_or_b32 exec_lo, exec_lo, s24
	s_waitcnt lgkmcnt(0)
	s_clause 0x1
	scratch_load_b32 v4, off, off offset:4
	scratch_load_b32 v5, off, off offset:8
	s_mov_b32 s1, 16
	s_mov_b32 s24, 14
	s_waitcnt vmcnt(0)
	s_barrier
	buffer_gl0_inv
.LBB208_30:                             ;   Parent Loop BB208_7 Depth=1
                                        ; =>  This Inner Loop Header: Depth=2
	ds_load_b128 v[0:3], v4
	ds_load_b128 v[122:125], v4 offset:16
	s_add_i32 s25, s24, 2
	s_add_i32 s26, s24, -14
	s_and_b32 s27, s25, 0x3ffffff8
	s_lshr_b32 s28, s25, 2
	s_lshl_b32 s27, s27, 2
	s_and_b32 s28, s28, 0x3ffffffc
	s_and_b32 s29, s1, -16
	s_add_i32 s1, s1, 2
	s_add_i32 s24, s24, s29
	s_cmp_lt_u32 s25, 22
	s_waitcnt lgkmcnt(1)
	v_bfe_i32 v120, v2, 0, 8
	v_bfe_i32 v101, v2, 8, 8
	;; [unrolled: 1-line block ×3, first 2 shown]
	v_ashrrev_i32_e32 v96, 24, v2
	v_add_nc_u32_e32 v2, s27, v58
	v_bfe_i32 v118, v0, 0, 8
	v_bfe_i32 v111, v0, 8, 8
	v_bfe_i32 v117, v0, 16, 8
	v_ashrrev_i32_e32 v116, 24, v0
	v_bfe_i32 v119, v1, 0, 8
	v_bfe_i32 v112, v1, 8, 8
	v_bfe_i32 v105, v1, 16, 8
	v_ashrrev_i32_e32 v104, 24, v1
	;; [unrolled: 4-line block ×3, first 2 shown]
	s_waitcnt lgkmcnt(0)
	v_bfe_i32 v121, v122, 0, 8
	v_bfe_i32 v106, v122, 8, 8
	v_bfe_i32 v107, v122, 16, 8
	v_ashrrev_i32_e32 v113, 24, v122
	v_bfe_i32 v122, v123, 0, 8
	v_bfe_i32 v108, v123, 8, 8
	v_bfe_i32 v109, v123, 16, 8
	v_ashrrev_i32_e32 v110, 24, v123
	;; [unrolled: 4-line block ×4, first 2 shown]
	ds_load_2addr_b32 v[124:125], v2 offset1:1
	ds_load_2addr_b32 v[0:1], v2 offset0:2 offset1:3
	ds_load_2addr_b32 v[129:130], v2 offset0:4 offset1:5
	;; [unrolled: 1-line block ×3, first 2 shown]
	s_waitcnt lgkmcnt(3)
	v_ashrrev_i32_e32 v126, s26, v124
	v_ashrrev_i32_e32 v124, s26, v125
	s_waitcnt lgkmcnt(2)
	v_ashrrev_i32_e32 v0, s26, v0
	s_waitcnt lgkmcnt(1)
	v_ashrrev_i32_e32 v127, s26, v129
	v_ashrrev_i32_e32 v125, s26, v130
	v_and_b32_e32 v26, 3, v126
	v_and_b32_e32 v30, 3, v124
	;; [unrolled: 1-line block ×3, first 2 shown]
	s_waitcnt lgkmcnt(0)
	v_ashrrev_i32_e32 v2, s26, v2
	v_ashrrev_i32_e32 v1, s26, v1
	v_mul_i32_i24_e32 v26, v26, v118
	v_ashrrev_i32_e32 v3, s26, v3
	v_mul_i32_i24_e32 v31, v31, v120
	s_delay_alu instid0(VALU_DEP_3) | instskip(SKIP_1) | instid1(VALU_DEP_1)
	v_mad_i32_i24 v26, v30, v119, v26
	v_bfe_u32 v30, v126, 8, 2
	v_mul_i32_i24_e32 v30, v30, v111
	s_delay_alu instid0(VALU_DEP_1) | instskip(SKIP_3) | instid1(VALU_DEP_3)
	v_add3_u32 v128, v26, v31, v30
	v_and_b32_e32 v26, 3, v127
	v_and_b32_e32 v30, 3, v125
	;; [unrolled: 1-line block ×3, first 2 shown]
	v_mul_i32_i24_e32 v26, v26, v121
	s_delay_alu instid0(VALU_DEP_2) | instskip(NEXT) | instid1(VALU_DEP_2)
	v_mul_i32_i24_e32 v31, v31, v123
	v_mad_i32_i24 v26, v30, v122, v26
	v_bfe_u32 v30, v127, 8, 2
	s_delay_alu instid0(VALU_DEP_1) | instskip(NEXT) | instid1(VALU_DEP_1)
	v_mul_i32_i24_e32 v30, v30, v106
	v_add3_u32 v129, v26, v31, v30
	v_add_nc_u32_e32 v26, s27, v60
	v_add_nc_u32_e32 v30, s28, v59
	ds_load_2addr_b32 v[131:132], v26 offset0:2 offset1:3
	ds_load_b32 v130, v30
	ds_load_2addr_b32 v[133:134], v26 offset1:1
	s_waitcnt lgkmcnt(2)
	v_ashrrev_i32_e32 v34, s26, v131
	s_waitcnt lgkmcnt(0)
	v_ashrrev_i32_e32 v30, s26, v133
	v_ashrrev_i32_e32 v31, s26, v134
	s_delay_alu instid0(VALU_DEP_3) | instskip(NEXT) | instid1(VALU_DEP_3)
	v_and_b32_e32 v35, 3, v34
	v_and_b32_e32 v32, 3, v30
	s_delay_alu instid0(VALU_DEP_3) | instskip(NEXT) | instid1(VALU_DEP_3)
	v_and_b32_e32 v33, 3, v31
	v_mul_i32_i24_e32 v35, v35, v120
	s_delay_alu instid0(VALU_DEP_3) | instskip(NEXT) | instid1(VALU_DEP_1)
	v_mul_i32_i24_e32 v32, v32, v118
	v_mad_i32_i24 v32, v33, v119, v32
	v_bfe_u32 v33, v30, 8, 2
	s_delay_alu instid0(VALU_DEP_1) | instskip(NEXT) | instid1(VALU_DEP_1)
	v_mul_i32_i24_e32 v33, v33, v111
	v_add3_u32 v32, v32, v35, v33
	v_add_nc_u32_e32 v33, s24, v84
	v_add_nc_u32_e32 v35, s28, v61
	ds_load_u16 v33, v33 offset:17906
	ds_load_b32 v35, v35
	ds_load_2addr_b32 v[133:134], v26 offset0:4 offset1:5
	ds_load_2addr_b32 v[135:136], v26 offset0:6 offset1:7
	s_waitcnt lgkmcnt(1)
	v_ashrrev_i32_e32 v26, s26, v133
	v_ashrrev_i32_e32 v36, s26, v134
	s_waitcnt lgkmcnt(0)
	v_ashrrev_i32_e32 v39, s26, v135
	s_delay_alu instid0(VALU_DEP_3) | instskip(NEXT) | instid1(VALU_DEP_3)
	v_and_b32_e32 v37, 3, v26
	v_and_b32_e32 v38, 3, v36
	s_delay_alu instid0(VALU_DEP_3) | instskip(NEXT) | instid1(VALU_DEP_3)
	v_and_b32_e32 v40, 3, v39
	v_mul_i32_i24_e32 v37, v37, v121
	s_delay_alu instid0(VALU_DEP_2) | instskip(NEXT) | instid1(VALU_DEP_2)
	v_mul_i32_i24_e32 v40, v40, v123
	v_mad_i32_i24 v37, v38, v122, v37
	v_bfe_u32 v38, v26, 8, 2
	s_delay_alu instid0(VALU_DEP_1) | instskip(NEXT) | instid1(VALU_DEP_1)
	v_mul_i32_i24_e32 v38, v38, v106
	v_add3_u32 v37, v37, v40, v38
	v_add_nc_u32_e32 v38, s27, v62
	ds_load_2addr_b32 v[133:134], v38 offset1:1
	ds_load_2addr_b32 v[137:138], v38 offset0:2 offset1:3
	ds_load_2addr_b32 v[139:140], v38 offset0:4 offset1:5
	;; [unrolled: 1-line block ×3, first 2 shown]
	s_waitcnt lgkmcnt(3)
	v_ashrrev_i32_e32 v38, s26, v133
	v_ashrrev_i32_e32 v40, s26, v134
	s_waitcnt lgkmcnt(2)
	v_ashrrev_i32_e32 v43, s26, v137
	s_waitcnt lgkmcnt(0)
	v_ashrrev_i32_e32 v63, s26, v141
	v_and_b32_e32 v41, 3, v38
	v_and_b32_e32 v42, 3, v40
	;; [unrolled: 1-line block ×3, first 2 shown]
	s_delay_alu instid0(VALU_DEP_4) | instskip(NEXT) | instid1(VALU_DEP_4)
	v_and_b32_e32 v67, 3, v63
	v_mul_i32_i24_e32 v41, v41, v118
	s_delay_alu instid0(VALU_DEP_3) | instskip(NEXT) | instid1(VALU_DEP_3)
	v_mul_i32_i24_e32 v45, v45, v120
	v_mul_i32_i24_e32 v67, v67, v123
	s_delay_alu instid0(VALU_DEP_3) | instskip(SKIP_1) | instid1(VALU_DEP_1)
	v_mad_i32_i24 v41, v42, v119, v41
	v_bfe_u32 v42, v38, 8, 2
	v_mul_i32_i24_e32 v42, v42, v111
	s_delay_alu instid0(VALU_DEP_1) | instskip(SKIP_2) | instid1(VALU_DEP_2)
	v_add3_u32 v41, v41, v45, v42
	v_ashrrev_i32_e32 v42, s26, v139
	v_ashrrev_i32_e32 v45, s26, v140
	v_and_b32_e32 v56, 3, v42
	s_delay_alu instid0(VALU_DEP_2) | instskip(NEXT) | instid1(VALU_DEP_2)
	v_and_b32_e32 v57, 3, v45
	v_mul_i32_i24_e32 v56, v56, v121
	s_delay_alu instid0(VALU_DEP_1) | instskip(SKIP_1) | instid1(VALU_DEP_1)
	v_mad_i32_i24 v56, v57, v122, v56
	v_bfe_u32 v57, v42, 8, 2
	v_mul_i32_i24_e32 v57, v57, v106
	s_delay_alu instid0(VALU_DEP_1)
	v_add3_u32 v56, v56, v67, v57
	v_add_nc_u32_e32 v57, s27, v65
	v_add_nc_u32_e32 v67, s28, v64
	ds_load_2addr_b32 v[133:134], v57 offset0:2 offset1:3
	ds_load_b32 v67, v67
	ds_load_2addr_b32 v[139:140], v57 offset1:1
	s_waitcnt lgkmcnt(2)
	v_ashrrev_i32_e32 v77, s26, v133
	s_waitcnt lgkmcnt(0)
	v_ashrrev_i32_e32 v68, s26, v139
	v_ashrrev_i32_e32 v69, s26, v140
	s_delay_alu instid0(VALU_DEP_3) | instskip(NEXT) | instid1(VALU_DEP_3)
	v_and_b32_e32 v131, 3, v77
	v_and_b32_e32 v70, 3, v68
	s_delay_alu instid0(VALU_DEP_3) | instskip(NEXT) | instid1(VALU_DEP_3)
	v_and_b32_e32 v76, 3, v69
	v_mul_i32_i24_e32 v131, v131, v120
	s_delay_alu instid0(VALU_DEP_3) | instskip(SKIP_1) | instid1(VALU_DEP_2)
	v_mul_i32_i24_e32 v70, v70, v118
	v_add_nc_u32_e32 v118, v119, v118
	v_mad_i32_i24 v70, v76, v119, v70
	v_bfe_u32 v76, v68, 8, 2
	s_delay_alu instid0(VALU_DEP_3) | instskip(SKIP_1) | instid1(VALU_DEP_3)
	v_add3_u32 v118, v118, v120, v114
	v_add_nc_u32_e32 v120, s24, v85
	v_mul_i32_i24_e32 v76, v76, v111
	v_add_nc_u32_e32 v111, v112, v111
	s_delay_alu instid0(VALU_DEP_2) | instskip(SKIP_2) | instid1(VALU_DEP_4)
	v_add3_u32 v70, v70, v131, v76
	v_add_nc_u32_e32 v76, s24, v82
	v_add_nc_u32_e32 v131, s28, v66
	v_add3_u32 v111, v111, v101, v97
	ds_load_u16 v76, v76 offset:19954
	ds_load_b32 v131, v131
	ds_load_2addr_b32 v[139:140], v57 offset0:4 offset1:5
	ds_load_2addr_b32 v[143:144], v57 offset0:6 offset1:7
	ds_load_u16 v120, v120 offset:16882
	s_waitcnt lgkmcnt(2)
	v_ashrrev_i32_e32 v57, s26, v139
	v_ashrrev_i32_e32 v133, s26, v140
	s_waitcnt lgkmcnt(1)
	v_ashrrev_i32_e32 v139, s26, v143
	s_delay_alu instid0(VALU_DEP_3) | instskip(NEXT) | instid1(VALU_DEP_3)
	v_and_b32_e32 v135, 3, v57
	v_and_b32_e32 v137, 3, v133
	s_delay_alu instid0(VALU_DEP_3) | instskip(NEXT) | instid1(VALU_DEP_3)
	v_and_b32_e32 v140, 3, v139
	v_mul_i32_i24_e32 v135, v135, v121
	v_add_nc_u32_e32 v121, v122, v121
	s_delay_alu instid0(VALU_DEP_3) | instskip(NEXT) | instid1(VALU_DEP_3)
	v_mul_i32_i24_e32 v140, v140, v123
	v_mad_i32_i24 v135, v137, v122, v135
	v_bfe_u32 v137, v57, 8, 2
	s_delay_alu instid0(VALU_DEP_4)
	v_add3_u32 v119, v121, v123, v115
	s_waitcnt lgkmcnt(0)
	v_lshrrev_b16 v123, 8, v120
	v_add_nc_u32_e32 v121, v104, v116
	v_add_nc_u32_e32 v122, v105, v117
	v_mul_i32_i24_e32 v137, v137, v106
	s_delay_alu instid0(VALU_DEP_4) | instskip(NEXT) | instid1(VALU_DEP_4)
	v_and_b32_e32 v123, 0xffff, v123
	v_add3_u32 v121, v121, v96, v6
	s_delay_alu instid0(VALU_DEP_4) | instskip(NEXT) | instid1(VALU_DEP_4)
	v_add3_u32 v122, v122, v100, v7
	v_add3_u32 v135, v135, v140, v137
	v_bfe_u32 v137, v120, 4, 4
	v_lshrrev_b32_e32 v141, 4, v123
	s_delay_alu instid0(VALU_DEP_2) | instskip(SKIP_1) | instid1(VALU_DEP_1)
	v_mul_lo_u32 v140, 0x1010101, v137
	v_mul_i32_i24_e32 v137, v137, v118
	v_mad_i32_i24 v137, v141, v119, v137
	s_delay_alu instid0(VALU_DEP_3) | instskip(SKIP_1) | instid1(VALU_DEP_2)
	v_lshrrev_b32_e32 v143, 24, v140
	v_bfe_i32 v145, v140, 16, 8
	v_mul_i32_i24_e32 v143, v121, v143
	s_delay_alu instid0(VALU_DEP_2) | instskip(NEXT) | instid1(VALU_DEP_1)
	v_mul_i32_i24_e32 v145, v122, v145
	v_add3_u32 v137, v137, v143, v145
	v_add_nc_u32_e32 v143, s24, v83
	s_mov_b32 s24, s25
	ds_load_u16 v143, v143 offset:18930
	s_waitcnt lgkmcnt(0)
	v_bfe_u32 v146, v143, 4, 4
	v_lshrrev_b16 v145, 8, v143
	s_delay_alu instid0(VALU_DEP_2) | instskip(NEXT) | instid1(VALU_DEP_2)
	v_mul_lo_u32 v147, 0x1010101, v146
	v_and_b32_e32 v145, 0xffff, v145
	v_mul_i32_i24_e32 v146, v146, v118
	s_delay_alu instid0(VALU_DEP_2) | instskip(NEXT) | instid1(VALU_DEP_4)
	v_lshrrev_b32_e32 v148, 4, v145
	v_lshrrev_b32_e32 v149, 24, v147
	v_bfe_i32 v150, v147, 16, 8
	s_delay_alu instid0(VALU_DEP_3) | instskip(NEXT) | instid1(VALU_DEP_3)
	v_mad_i32_i24 v146, v148, v119, v146
	v_mul_i32_i24_e32 v149, v121, v149
	s_delay_alu instid0(VALU_DEP_3) | instskip(NEXT) | instid1(VALU_DEP_1)
	v_mul_i32_i24_e32 v150, v122, v150
	v_add3_u32 v146, v146, v149, v150
	v_bfe_u32 v150, v33, 4, 4
	v_lshrrev_b16 v149, 8, v33
	v_and_b32_e32 v33, 15, v33
	s_delay_alu instid0(VALU_DEP_3) | instskip(NEXT) | instid1(VALU_DEP_3)
	v_mul_lo_u32 v151, 0x1010101, v150
	v_and_b32_e32 v149, 0xffff, v149
	v_mul_i32_i24_e32 v150, v150, v118
	s_delay_alu instid0(VALU_DEP_2) | instskip(NEXT) | instid1(VALU_DEP_4)
	v_lshrrev_b32_e32 v152, 4, v149
	v_lshrrev_b32_e32 v153, 24, v151
	v_bfe_i32 v154, v151, 16, 8
	s_delay_alu instid0(VALU_DEP_3) | instskip(NEXT) | instid1(VALU_DEP_3)
	v_mad_i32_i24 v150, v152, v119, v150
	v_mul_i32_i24_e32 v153, v121, v153
	s_delay_alu instid0(VALU_DEP_3) | instskip(NEXT) | instid1(VALU_DEP_1)
	v_mul_i32_i24_e32 v154, v122, v154
	v_add3_u32 v150, v150, v153, v154
	v_lshrrev_b16 v153, 8, v76
	v_bfe_u32 v154, v76, 4, 4
	s_delay_alu instid0(VALU_DEP_2) | instskip(NEXT) | instid1(VALU_DEP_2)
	v_and_b32_e32 v153, 0xffff, v153
	v_mul_i32_i24_e32 v118, v154, v118
	s_delay_alu instid0(VALU_DEP_2) | instskip(NEXT) | instid1(VALU_DEP_1)
	v_lshrrev_b32_e32 v155, 4, v153
	v_mad_i32_i24 v118, v155, v119, v118
	v_mul_lo_u32 v119, 0x1010101, v154
	s_delay_alu instid0(VALU_DEP_1) | instskip(NEXT) | instid1(VALU_DEP_1)
	v_lshrrev_b32_e32 v154, 24, v119
	v_mul_i32_i24_e32 v121, v121, v154
	v_bfe_i32 v154, v119, 16, 8
	v_bfe_i32 v119, v119, 8, 8
	s_delay_alu instid0(VALU_DEP_2) | instskip(NEXT) | instid1(VALU_DEP_1)
	v_mul_i32_i24_e32 v122, v122, v154
	v_add3_u32 v118, v118, v121, v122
	v_bfe_u32 v121, v126, 16, 2
	v_bfe_u32 v122, v126, 24, 2
	;; [unrolled: 1-line block ×3, first 2 shown]
	s_delay_alu instid0(VALU_DEP_3) | instskip(NEXT) | instid1(VALU_DEP_3)
	v_mul_i32_i24_e32 v121, v121, v117
	v_mul_i32_i24_e32 v122, v122, v116
	s_delay_alu instid0(VALU_DEP_3) | instskip(NEXT) | instid1(VALU_DEP_2)
	v_mul_i32_i24_e32 v126, v126, v113
	v_add3_u32 v121, v128, v121, v122
	v_bfe_u32 v122, v127, 16, 2
	v_mul_lo_u32 v127, 0x1010101, v152
	s_delay_alu instid0(VALU_DEP_2) | instskip(NEXT) | instid1(VALU_DEP_2)
	v_mul_i32_i24_e32 v122, v122, v107
	v_lshrrev_b32_e32 v128, 24, v127
	s_delay_alu instid0(VALU_DEP_2) | instskip(SKIP_2) | instid1(VALU_DEP_2)
	v_add3_u32 v122, v129, v122, v126
	v_bfe_u32 v126, v30, 16, 2
	v_bfe_u32 v30, v30, 24, 2
	v_mul_i32_i24_e32 v126, v126, v117
	s_delay_alu instid0(VALU_DEP_2) | instskip(NEXT) | instid1(VALU_DEP_1)
	v_mul_i32_i24_e32 v30, v30, v116
	v_add3_u32 v30, v32, v126, v30
	v_bfe_u32 v32, v26, 16, 2
	v_bfe_u32 v26, v26, 24, 2
	s_delay_alu instid0(VALU_DEP_2) | instskip(NEXT) | instid1(VALU_DEP_2)
	v_mul_i32_i24_e32 v32, v32, v107
	v_mul_i32_i24_e32 v26, v26, v113
	s_delay_alu instid0(VALU_DEP_1) | instskip(SKIP_3) | instid1(VALU_DEP_3)
	v_add3_u32 v26, v37, v32, v26
	v_bfe_u32 v32, v38, 16, 2
	v_bfe_u32 v37, v38, 24, 2
	;; [unrolled: 1-line block ×3, first 2 shown]
	v_mul_i32_i24_e32 v32, v32, v117
	s_delay_alu instid0(VALU_DEP_3) | instskip(NEXT) | instid1(VALU_DEP_3)
	v_mul_i32_i24_e32 v37, v37, v116
	v_mul_i32_i24_e32 v38, v38, v113
	s_delay_alu instid0(VALU_DEP_2) | instskip(SKIP_3) | instid1(VALU_DEP_3)
	v_add3_u32 v32, v41, v32, v37
	v_bfe_u32 v37, v42, 16, 2
	v_bfe_u32 v41, v68, 24, 2
	;; [unrolled: 1-line block ×3, first 2 shown]
	v_mul_i32_i24_e32 v37, v37, v107
	s_delay_alu instid0(VALU_DEP_3) | instskip(NEXT) | instid1(VALU_DEP_3)
	v_mul_i32_i24_e32 v41, v41, v116
	v_mul_i32_i24_e32 v42, v42, v113
	s_delay_alu instid0(VALU_DEP_3) | instskip(SKIP_3) | instid1(VALU_DEP_3)
	v_add3_u32 v37, v56, v37, v38
	v_bfe_u32 v38, v68, 16, 2
	v_and_b32_e32 v56, 3, v1
	v_bfe_u32 v68, v31, 8, 2
	v_mul_i32_i24_e32 v38, v38, v117
	s_delay_alu instid0(VALU_DEP_3) | instskip(NEXT) | instid1(VALU_DEP_3)
	v_mul_i32_i24_e32 v56, v56, v114
	v_mul_i32_i24_e32 v68, v68, v112
	s_delay_alu instid0(VALU_DEP_3) | instskip(SKIP_2) | instid1(VALU_DEP_2)
	v_add3_u32 v38, v70, v38, v41
	v_bfe_u32 v41, v57, 16, 2
	v_and_b32_e32 v57, 3, v3
	v_mul_i32_i24_e32 v41, v41, v107
	s_delay_alu instid0(VALU_DEP_2) | instskip(NEXT) | instid1(VALU_DEP_2)
	v_mul_i32_i24_e32 v57, v57, v115
	v_add3_u32 v41, v135, v41, v42
	v_bfe_u32 v42, v124, 8, 2
	s_delay_alu instid0(VALU_DEP_1) | instskip(NEXT) | instid1(VALU_DEP_1)
	v_mul_i32_i24_e32 v42, v42, v112
	v_add3_u32 v42, v121, v56, v42
	v_bfe_u32 v56, v125, 8, 2
	s_delay_alu instid0(VALU_DEP_1) | instskip(NEXT) | instid1(VALU_DEP_1)
	v_mul_i32_i24_e32 v56, v56, v108
	v_add3_u32 v56, v122, v57, v56
	v_ashrrev_i32_e32 v57, s26, v132
	v_mul_lo_u32 v122, 0x1010101, v148
	s_delay_alu instid0(VALU_DEP_2) | instskip(NEXT) | instid1(VALU_DEP_2)
	v_and_b32_e32 v70, 3, v57
	v_lshrrev_b32_e32 v126, 24, v122
	s_delay_alu instid0(VALU_DEP_2) | instskip(NEXT) | instid1(VALU_DEP_1)
	v_mul_i32_i24_e32 v70, v70, v114
	v_add3_u32 v30, v30, v70, v68
	v_ashrrev_i32_e32 v68, s26, v136
	v_bfe_u32 v70, v36, 8, 2
	s_delay_alu instid0(VALU_DEP_2) | instskip(NEXT) | instid1(VALU_DEP_2)
	v_and_b32_e32 v116, 3, v68
	v_mul_i32_i24_e32 v70, v70, v108
	s_delay_alu instid0(VALU_DEP_2) | instskip(NEXT) | instid1(VALU_DEP_1)
	v_mul_i32_i24_e32 v116, v116, v115
	v_add3_u32 v26, v26, v116, v70
	v_ashrrev_i32_e32 v70, s26, v138
	v_bfe_u32 v116, v40, 8, 2
	s_delay_alu instid0(VALU_DEP_2) | instskip(NEXT) | instid1(VALU_DEP_2)
	v_and_b32_e32 v117, 3, v70
	v_mul_i32_i24_e32 v116, v116, v112
	;; [unrolled: 8-line block ×3, first 2 shown]
	s_delay_alu instid0(VALU_DEP_2) | instskip(NEXT) | instid1(VALU_DEP_1)
	v_mul_i32_i24_e32 v121, v121, v115
	v_add3_u32 v37, v37, v121, v117
	v_ashrrev_i32_e32 v117, s26, v134
	s_delay_alu instid0(VALU_DEP_1) | instskip(NEXT) | instid1(VALU_DEP_1)
	v_and_b32_e32 v121, 3, v117
	v_mul_i32_i24_e32 v114, v121, v114
	v_bfe_u32 v121, v69, 8, 2
	s_delay_alu instid0(VALU_DEP_1) | instskip(SKIP_2) | instid1(VALU_DEP_3)
	v_mul_i32_i24_e32 v121, v121, v112
	v_add_nc_u32_e32 v112, v110, v113
	v_bfe_i32 v113, v140, 8, 8
	v_add3_u32 v38, v38, v114, v121
	v_ashrrev_i32_e32 v114, s26, v144
	s_delay_alu instid0(VALU_DEP_4) | instskip(NEXT) | instid1(VALU_DEP_4)
	v_add3_u32 v112, v112, v98, v94
	v_mul_i32_i24_e32 v113, v111, v113
	s_delay_alu instid0(VALU_DEP_3) | instskip(NEXT) | instid1(VALU_DEP_3)
	v_and_b32_e32 v121, 3, v114
	v_mul_i32_i24_e32 v126, v112, v126
	v_mul_i32_i24_e32 v128, v112, v128
	s_delay_alu instid0(VALU_DEP_3) | instskip(SKIP_1) | instid1(VALU_DEP_1)
	v_mul_i32_i24_e32 v115, v121, v115
	v_bfe_u32 v121, v133, 8, 2
	v_mul_i32_i24_e32 v121, v121, v108
	s_delay_alu instid0(VALU_DEP_1) | instskip(SKIP_1) | instid1(VALU_DEP_1)
	v_add3_u32 v41, v41, v115, v121
	v_mul_lo_u32 v115, 0x1010101, v141
	v_lshrrev_b32_e32 v121, 24, v115
	s_delay_alu instid0(VALU_DEP_1) | instskip(NEXT) | instid1(VALU_DEP_1)
	v_mul_i32_i24_e32 v121, v112, v121
	v_add3_u32 v113, v137, v113, v121
	v_bfe_i32 v121, v147, 8, 8
	s_delay_alu instid0(VALU_DEP_1) | instskip(NEXT) | instid1(VALU_DEP_1)
	v_mul_i32_i24_e32 v121, v111, v121
	v_add3_u32 v121, v146, v121, v126
	v_bfe_i32 v126, v151, 8, 8
	s_delay_alu instid0(VALU_DEP_1) | instskip(SKIP_2) | instid1(VALU_DEP_3)
	v_mul_i32_i24_e32 v126, v111, v126
	v_mul_i32_i24_e32 v111, v111, v119
	v_mul_lo_u32 v119, 0x1010101, v155
	v_add3_u32 v126, v150, v126, v128
	s_delay_alu instid0(VALU_DEP_2) | instskip(NEXT) | instid1(VALU_DEP_1)
	v_lshrrev_b32_e32 v128, 24, v119
	v_mul_i32_i24_e32 v112, v112, v128
	s_delay_alu instid0(VALU_DEP_1) | instskip(SKIP_2) | instid1(VALU_DEP_2)
	v_add3_u32 v111, v118, v111, v112
	v_bfe_u32 v112, v124, 16, 2
	v_bfe_u32 v118, v124, 24, 2
	v_mul_i32_i24_e32 v112, v112, v105
	s_delay_alu instid0(VALU_DEP_2) | instskip(NEXT) | instid1(VALU_DEP_1)
	v_mul_i32_i24_e32 v118, v118, v104
	v_add3_u32 v42, v42, v112, v118
	v_bfe_u32 v112, v125, 16, 2
	v_bfe_u32 v118, v125, 24, 2
	s_delay_alu instid0(VALU_DEP_2) | instskip(NEXT) | instid1(VALU_DEP_2)
	v_mul_i32_i24_e32 v112, v112, v109
	v_mul_i32_i24_e32 v118, v118, v110
	s_delay_alu instid0(VALU_DEP_1) | instskip(SKIP_2) | instid1(VALU_DEP_2)
	v_add3_u32 v56, v56, v112, v118
	v_bfe_u32 v112, v31, 16, 2
	v_bfe_u32 v31, v31, 24, 2
	v_mul_i32_i24_e32 v112, v112, v105
	s_delay_alu instid0(VALU_DEP_2) | instskip(NEXT) | instid1(VALU_DEP_1)
	v_mul_i32_i24_e32 v31, v31, v104
	v_add3_u32 v30, v30, v112, v31
	v_bfe_u32 v31, v36, 16, 2
	v_bfe_u32 v36, v36, 24, 2
	s_delay_alu instid0(VALU_DEP_2) | instskip(NEXT) | instid1(VALU_DEP_2)
	v_mul_i32_i24_e32 v31, v31, v109
	v_mul_i32_i24_e32 v36, v36, v110
	s_delay_alu instid0(VALU_DEP_1) | instskip(SKIP_3) | instid1(VALU_DEP_3)
	v_add3_u32 v26, v26, v31, v36
	v_bfe_u32 v31, v40, 16, 2
	v_bfe_u32 v36, v40, 24, 2
	v_add_nc_u32_e32 v40, v108, v106
	v_mul_i32_i24_e32 v31, v31, v105
	s_delay_alu instid0(VALU_DEP_3) | instskip(NEXT) | instid1(VALU_DEP_3)
	v_mul_i32_i24_e32 v36, v36, v104
	v_add3_u32 v40, v40, v103, v99
	s_delay_alu instid0(VALU_DEP_2) | instskip(SKIP_3) | instid1(VALU_DEP_3)
	v_add3_u32 v31, v32, v31, v36
	v_bfe_u32 v32, v45, 16, 2
	v_bfe_u32 v36, v45, 24, 2
	v_bfe_i32 v45, v115, 8, 8
	v_mul_i32_i24_e32 v32, v32, v109
	s_delay_alu instid0(VALU_DEP_3) | instskip(NEXT) | instid1(VALU_DEP_3)
	v_mul_i32_i24_e32 v36, v36, v110
	v_mul_i32_i24_e32 v45, v40, v45
	s_delay_alu instid0(VALU_DEP_2) | instskip(SKIP_3) | instid1(VALU_DEP_3)
	v_add3_u32 v32, v37, v32, v36
	v_bfe_u32 v36, v69, 16, 2
	v_bfe_u32 v37, v69, 24, 2
	v_bfe_i32 v69, v122, 8, 8
	v_mul_i32_i24_e32 v36, v36, v105
	s_delay_alu instid0(VALU_DEP_3) | instskip(NEXT) | instid1(VALU_DEP_3)
	v_mul_i32_i24_e32 v37, v37, v104
	v_mul_i32_i24_e32 v69, v40, v69
	v_bfe_i32 v104, v127, 8, 8
	s_delay_alu instid0(VALU_DEP_3) | instskip(SKIP_2) | instid1(VALU_DEP_4)
	v_add3_u32 v36, v38, v36, v37
	v_bfe_u32 v37, v133, 24, 2
	v_bfe_u32 v38, v133, 16, 2
	v_mul_i32_i24_e32 v104, v40, v104
	s_delay_alu instid0(VALU_DEP_3) | instskip(NEXT) | instid1(VALU_DEP_3)
	v_mul_i32_i24_e32 v37, v37, v110
	v_mul_i32_i24_e32 v38, v38, v109
	s_delay_alu instid0(VALU_DEP_1) | instskip(SKIP_2) | instid1(VALU_DEP_2)
	v_add3_u32 v37, v41, v38, v37
	v_add_nc_u32_e32 v38, v109, v107
	v_bfe_i32 v41, v115, 16, 8
	v_add3_u32 v38, v38, v102, v95
	s_delay_alu instid0(VALU_DEP_1) | instskip(NEXT) | instid1(VALU_DEP_1)
	v_mul_i32_i24_e32 v41, v38, v41
	v_add3_u32 v41, v113, v41, v45
	v_bfe_i32 v45, v122, 16, 8
	s_delay_alu instid0(VALU_DEP_1) | instskip(NEXT) | instid1(VALU_DEP_1)
	v_mul_i32_i24_e32 v45, v38, v45
	v_add3_u32 v45, v121, v45, v69
	v_bfe_i32 v69, v127, 16, 8
	s_delay_alu instid0(VALU_DEP_1) | instskip(NEXT) | instid1(VALU_DEP_1)
	v_mul_i32_i24_e32 v69, v38, v69
	v_add3_u32 v69, v126, v69, v104
	v_bfe_i32 v104, v119, 16, 8
	s_delay_alu instid0(VALU_DEP_1) | instskip(SKIP_1) | instid1(VALU_DEP_1)
	v_mul_i32_i24_e32 v38, v38, v104
	v_bfe_i32 v104, v119, 8, 8
	v_mul_i32_i24_e32 v40, v40, v104
	v_bfe_u32 v104, v0, 16, 2
	s_delay_alu instid0(VALU_DEP_2) | instskip(SKIP_1) | instid1(VALU_DEP_3)
	v_add3_u32 v38, v111, v38, v40
	v_bfe_u32 v40, v0, 8, 2
	v_mul_i32_i24_e32 v104, v104, v100
	v_bfe_u32 v0, v0, 24, 2
	s_delay_alu instid0(VALU_DEP_4) | instskip(NEXT) | instid1(VALU_DEP_4)
	v_cvt_f32_i32_e32 v38, v38
	v_mul_i32_i24_e32 v40, v40, v101
	s_delay_alu instid0(VALU_DEP_3) | instskip(NEXT) | instid1(VALU_DEP_2)
	v_mul_i32_i24_e32 v0, v0, v96
	v_add3_u32 v40, v42, v40, v104
	v_bfe_u32 v42, v2, 8, 2
	v_bfe_u32 v104, v2, 16, 2
	v_bfe_u32 v2, v2, 24, 2
	s_delay_alu instid0(VALU_DEP_3) | instskip(NEXT) | instid1(VALU_DEP_3)
	v_mul_i32_i24_e32 v42, v42, v103
	v_mul_i32_i24_e32 v104, v104, v102
	s_delay_alu instid0(VALU_DEP_3) | instskip(NEXT) | instid1(VALU_DEP_2)
	v_mul_i32_i24_e32 v2, v2, v98
	v_add3_u32 v42, v56, v42, v104
	v_bfe_u32 v56, v34, 8, 2
	v_bfe_u32 v104, v34, 16, 2
	;; [unrolled: 1-line block ×3, first 2 shown]
	s_delay_alu instid0(VALU_DEP_3) | instskip(NEXT) | instid1(VALU_DEP_3)
	v_mul_i32_i24_e32 v56, v56, v101
	v_mul_i32_i24_e32 v104, v104, v100
	s_delay_alu instid0(VALU_DEP_3) | instskip(NEXT) | instid1(VALU_DEP_2)
	v_mul_i32_i24_e32 v34, v34, v96
	v_add3_u32 v30, v30, v56, v104
	v_bfe_u32 v56, v39, 8, 2
	v_bfe_u32 v104, v39, 16, 2
	s_delay_alu instid0(VALU_DEP_2) | instskip(NEXT) | instid1(VALU_DEP_2)
	v_mul_i32_i24_e32 v56, v56, v103
	v_mul_i32_i24_e32 v104, v104, v102
	s_delay_alu instid0(VALU_DEP_1) | instskip(SKIP_2) | instid1(VALU_DEP_2)
	v_add3_u32 v26, v26, v56, v104
	v_bfe_u32 v56, v43, 8, 2
	v_bfe_u32 v104, v43, 16, 2
	v_mul_i32_i24_e32 v56, v56, v101
	s_delay_alu instid0(VALU_DEP_2) | instskip(NEXT) | instid1(VALU_DEP_1)
	v_mul_i32_i24_e32 v104, v104, v100
	v_add3_u32 v31, v31, v56, v104
	v_bfe_u32 v56, v63, 8, 2
	v_bfe_u32 v104, v63, 16, 2
	s_delay_alu instid0(VALU_DEP_2) | instskip(NEXT) | instid1(VALU_DEP_2)
	v_mul_i32_i24_e32 v56, v56, v103
	v_mul_i32_i24_e32 v104, v104, v102
	s_delay_alu instid0(VALU_DEP_1) | instskip(SKIP_1) | instid1(VALU_DEP_1)
	v_add3_u32 v32, v32, v56, v104
	v_bfe_u32 v56, v77, 8, 2
	v_mul_i32_i24_e32 v56, v56, v101
	v_bfe_u32 v101, v77, 16, 2
	s_delay_alu instid0(VALU_DEP_1) | instskip(NEXT) | instid1(VALU_DEP_1)
	v_mul_i32_i24_e32 v100, v101, v100
	v_add3_u32 v36, v36, v56, v100
	v_bfe_u32 v56, v139, 8, 2
	v_bfe_u32 v100, v139, 16, 2
	s_delay_alu instid0(VALU_DEP_2) | instskip(NEXT) | instid1(VALU_DEP_2)
	v_mul_i32_i24_e32 v56, v56, v103
	v_mul_i32_i24_e32 v100, v100, v102
	s_delay_alu instid0(VALU_DEP_1) | instskip(SKIP_1) | instid1(VALU_DEP_1)
	v_add3_u32 v37, v37, v56, v100
	v_bfe_u32 v56, v1, 8, 2
	v_mul_i32_i24_e32 v56, v56, v97
	s_delay_alu instid0(VALU_DEP_1) | instskip(SKIP_1) | instid1(VALU_DEP_1)
	v_add3_u32 v0, v40, v0, v56
	v_bfe_u32 v40, v3, 8, 2
	v_mul_i32_i24_e32 v40, v40, v99
	s_delay_alu instid0(VALU_DEP_1) | instskip(SKIP_2) | instid1(VALU_DEP_2)
	v_add3_u32 v2, v42, v2, v40
	v_bfe_u32 v40, v57, 8, 2
	v_and_b32_e32 v42, 15, v149
	v_mul_i32_i24_e32 v40, v40, v97
	s_delay_alu instid0(VALU_DEP_1) | instskip(SKIP_3) | instid1(VALU_DEP_3)
	v_add3_u32 v30, v30, v34, v40
	v_bfe_u32 v34, v39, 24, 2
	v_bfe_u32 v39, v68, 8, 2
	v_lshrrev_b32_e32 v40, 16, v67
	v_mul_i32_i24_e32 v34, v34, v98
	s_delay_alu instid0(VALU_DEP_3) | instskip(NEXT) | instid1(VALU_DEP_1)
	v_mul_i32_i24_e32 v39, v39, v99
	v_add3_u32 v26, v26, v34, v39
	v_bfe_u32 v34, v43, 24, 2
	v_bfe_u32 v39, v70, 8, 2
	s_delay_alu instid0(VALU_DEP_2) | instskip(NEXT) | instid1(VALU_DEP_2)
	v_mul_i32_i24_e32 v34, v34, v96
	v_mul_i32_i24_e32 v39, v39, v97
	s_delay_alu instid0(VALU_DEP_1) | instskip(SKIP_2) | instid1(VALU_DEP_2)
	v_add3_u32 v31, v31, v34, v39
	v_bfe_u32 v34, v63, 24, 2
	v_bfe_u32 v39, v116, 8, 2
	v_mul_i32_i24_e32 v34, v34, v98
	s_delay_alu instid0(VALU_DEP_2) | instskip(NEXT) | instid1(VALU_DEP_1)
	v_mul_i32_i24_e32 v39, v39, v99
	v_add3_u32 v32, v32, v34, v39
	v_bfe_u32 v34, v77, 24, 2
	v_bfe_u32 v39, v117, 8, 2
	s_delay_alu instid0(VALU_DEP_2) | instskip(NEXT) | instid1(VALU_DEP_2)
	v_mul_i32_i24_e32 v34, v34, v96
	v_mul_i32_i24_e32 v39, v39, v97
	s_delay_alu instid0(VALU_DEP_1) | instskip(SKIP_2) | instid1(VALU_DEP_2)
	v_add3_u32 v34, v36, v34, v39
	v_bfe_u32 v36, v139, 24, 2
	v_bfe_u32 v39, v114, 8, 2
	v_mul_i32_i24_e32 v36, v36, v98
	s_delay_alu instid0(VALU_DEP_2) | instskip(NEXT) | instid1(VALU_DEP_1)
	v_mul_i32_i24_e32 v39, v39, v99
	v_add3_u32 v36, v37, v36, v39
	v_bfe_u32 v37, v1, 16, 2
	v_bfe_u32 v1, v1, 24, 2
	v_and_b32_e32 v39, 15, v123
	s_delay_alu instid0(VALU_DEP_3) | instskip(NEXT) | instid1(VALU_DEP_3)
	v_mul_i32_i24_e32 v37, v37, v7
	v_mul_i32_i24_e32 v1, v1, v6
	s_delay_alu instid0(VALU_DEP_1) | instskip(SKIP_3) | instid1(VALU_DEP_3)
	v_add3_u32 v0, v0, v37, v1
	v_bfe_u32 v1, v3, 16, 2
	v_bfe_u32 v3, v3, 24, 2
	v_lshrrev_b32_e32 v37, 16, v130
	v_mul_i32_i24_e32 v1, v1, v95
	s_delay_alu instid0(VALU_DEP_3) | instskip(NEXT) | instid1(VALU_DEP_1)
	v_mul_i32_i24_e32 v3, v3, v94
	v_add3_u32 v3, v2, v1, v3
	v_bfe_u32 v1, v57, 16, 2
	v_bfe_u32 v2, v57, 24, 2
	s_delay_alu instid0(VALU_DEP_2) | instskip(NEXT) | instid1(VALU_DEP_2)
	v_mul_i32_i24_e32 v1, v1, v7
	v_mul_i32_i24_e32 v2, v2, v6
	s_delay_alu instid0(VALU_DEP_1) | instskip(SKIP_2) | instid1(VALU_DEP_2)
	v_add3_u32 v30, v30, v1, v2
	v_bfe_u32 v1, v68, 16, 2
	v_bfe_u32 v2, v68, 24, 2
	v_mul_i32_i24_e32 v1, v1, v95
	s_delay_alu instid0(VALU_DEP_2) | instskip(NEXT) | instid1(VALU_DEP_1)
	v_mul_i32_i24_e32 v2, v2, v94
	v_add3_u32 v26, v26, v1, v2
	v_bfe_u32 v1, v70, 16, 2
	v_bfe_u32 v2, v70, 24, 2
	s_delay_alu instid0(VALU_DEP_2) | instskip(NEXT) | instid1(VALU_DEP_2)
	v_mul_i32_i24_e32 v1, v1, v7
	v_mul_i32_i24_e32 v2, v2, v6
	s_delay_alu instid0(VALU_DEP_1) | instskip(SKIP_2) | instid1(VALU_DEP_2)
	v_add3_u32 v31, v31, v1, v2
	v_bfe_u32 v1, v116, 16, 2
	v_bfe_u32 v2, v116, 24, 2
	v_mul_i32_i24_e32 v1, v1, v95
	s_delay_alu instid0(VALU_DEP_2) | instskip(NEXT) | instid1(VALU_DEP_1)
	v_mul_i32_i24_e32 v2, v2, v94
	v_add3_u32 v32, v32, v1, v2
	v_bfe_u32 v1, v117, 16, 2
	v_bfe_u32 v2, v117, 24, 2
	s_delay_alu instid0(VALU_DEP_2) | instskip(NEXT) | instid1(VALU_DEP_2)
	v_mul_i32_i24_e32 v1, v1, v7
	v_mul_i32_i24_e32 v2, v2, v6
	v_and_b32_e32 v7, 15, v143
	s_delay_alu instid0(VALU_DEP_2) | instskip(SKIP_2) | instid1(VALU_DEP_2)
	v_add3_u32 v6, v34, v1, v2
	v_bfe_u32 v1, v114, 16, 2
	v_bfe_u32 v2, v114, 24, 2
	v_mul_i32_i24_e32 v1, v1, v95
	s_delay_alu instid0(VALU_DEP_2) | instskip(NEXT) | instid1(VALU_DEP_1)
	v_mul_i32_i24_e32 v2, v2, v94
	v_add3_u32 v34, v36, v1, v2
	v_and_b32_e32 v1, 15, v120
	ds_load_b32 v36, v5
	v_add_nc_u32_e32 v5, 4, v5
	v_mul_lo_u32 v0, v0, v1
	s_delay_alu instid0(VALU_DEP_1) | instskip(SKIP_4) | instid1(VALU_DEP_3)
	v_mad_u64_u32 v[1:2], null, v3, v39, v[0:1]
	v_mul_lo_u32 v0, v30, v33
	v_lshrrev_b32_e32 v39, 16, v35
	v_cvt_f32_f16_e32 v33, v40
	v_and_b32_e32 v40, 15, v153
	v_cvt_f32_f16_e32 v30, v39
	v_and_b32_e32 v39, 15, v145
	v_mad_u64_u32 v[2:3], null, v26, v42, v[0:1]
	v_lshrrev_b32_e32 v0, 16, v131
	v_and_b32_e32 v3, 15, v76
	v_cvt_f32_f16_e32 v26, v37
	v_cvt_f32_i32_e32 v42, v69
	s_delay_alu instid0(VALU_DEP_4)
	v_cvt_f32_f16_e32 v37, v0
	v_mul_lo_u32 v0, v31, v7
	v_mul_lo_u32 v3, v6, v3
	v_cvt_f32_i32_e32 v31, v41
	v_cvt_f32_i32_e32 v41, v45
	;; [unrolled: 1-line block ×3, first 2 shown]
	v_mad_u64_u32 v[6:7], null, v32, v39, v[0:1]
	v_mad_u64_u32 v[94:95], null, v34, v40, v[3:4]
	s_delay_alu instid0(VALU_DEP_4)
	v_dual_mul_f32 v0, v26, v31 :: v_dual_mul_f32 v3, v33, v41
	v_mul_f32_e32 v7, v30, v42
	v_mul_f32_e32 v26, v37, v38
	v_cvt_f32_i32_e32 v1, v1
	v_cvt_f32_i32_e32 v6, v6
	;; [unrolled: 1-line block ×3, first 2 shown]
	v_add_nc_u32_e32 v4, 32, v4
	s_delay_alu instid0(VALU_DEP_4)
	v_fma_mix_f32 v0, v130, v1, -v0 op_sel_hi:[1,0,0]
	v_fma_mix_f32 v1, v35, v2, -v7 op_sel_hi:[1,0,0]
	;; [unrolled: 1-line block ×4, first 2 shown]
	s_waitcnt lgkmcnt(0)
	v_fmac_f32_e32 v28, v36, v0
	v_fmac_f32_e32 v90, v36, v1
	;; [unrolled: 1-line block ×4, first 2 shown]
	s_cbranch_scc1 .LBB208_30
; %bb.31:                               ;   in Loop: Header=BB208_7 Depth=1
	s_or_b32 s1, s23, 0x180
	s_delay_alu instid0(SALU_CYCLE_1)
	s_cmp_ge_i32 s1, s5
	s_barrier
	buffer_gl0_inv
	s_cbranch_scc1 .LBB208_40
; %bb.32:                               ;   in Loop: Header=BB208_7 Depth=1
	scratch_load_b32 v0, off, off offset:96 ; 4-byte Folded Reload
	s_waitcnt vmcnt(0)
	v_add_nc_u32_e32 v0, s6, v0
	s_delay_alu instid0(VALU_DEP_1) | instskip(NEXT) | instid1(VALU_DEP_1)
	v_cmp_gt_i32_e64 s1, s8, v0
	s_and_b32 s23, s0, s1
	s_delay_alu instid0(SALU_CYCLE_1)
	s_and_saveexec_b32 s1, s23
	s_cbranch_execz .LBB208_34
; %bb.33:                               ;   in Loop: Header=BB208_7 Depth=1
	s_clause 0x1
	scratch_load_b32 v1, off, off offset:12
	scratch_load_b64 v[3:4], off, off offset:68
	s_waitcnt vmcnt(1)
	v_add_nc_u32_e32 v2, v1, v0
	s_waitcnt vmcnt(0)
	s_delay_alu instid0(VALU_DEP_1)
	v_mad_i64_i32 v[0:1], null, v2, 36, v[3:4]
	global_load_b32 v0, v[0:1], off offset:4
	scratch_load_b32 v1, off, off offset:76 ; 4-byte Folded Reload
	s_waitcnt vmcnt(0)
	ds_store_b32 v1, v0
.LBB208_34:                             ;   in Loop: Header=BB208_7 Depth=1
	s_or_b32 exec_lo, exec_lo, s1
	s_and_saveexec_b32 s23, vcc_lo
	s_cbranch_execz .LBB208_37
; %bb.35:                               ;   in Loop: Header=BB208_7 Depth=1
	v_or_b32_e32 v0, s6, v156
	s_delay_alu instid0(VALU_DEP_1) | instskip(NEXT) | instid1(VALU_DEP_1)
	v_or_b32_e32 v1, 12, v0
	v_cmp_gt_i32_e64 s1, s8, v1
	s_delay_alu instid0(VALU_DEP_1) | instskip(NEXT) | instid1(SALU_CYCLE_1)
	s_and_b32 s1, s0, s1
	s_and_b32 exec_lo, exec_lo, s1
	s_cbranch_execz .LBB208_37
; %bb.36:                               ;   in Loop: Header=BB208_7 Depth=1
	scratch_load_b32 v2, off, off offset:12 ; 4-byte Folded Reload
	v_ashrrev_i32_e32 v1, 31, v0
	s_waitcnt vmcnt(0)
	v_add_co_u32 v2, s1, v2, v0
	scratch_load_b32 v0, off, off offset:92 ; 4-byte Folded Reload
	s_waitcnt vmcnt(0)
	v_add_co_ci_u32_e64 v3, s1, v0, v1, s1
	v_mad_u64_u32 v[0:1], null, v2, 36, s[18:19]
	s_delay_alu instid0(VALU_DEP_1)
	v_mad_i32_i24 v1, v3, 36, v1
	global_load_b32 v0, v[0:1], off
	scratch_load_b32 v1, off, off offset:84 ; 4-byte Folded Reload
	s_waitcnt vmcnt(1)
	v_cvt_f32_f16_e32 v0, v0
	s_waitcnt vmcnt(0)
	ds_store_b32 v1, v0
.LBB208_37:                             ;   in Loop: Header=BB208_7 Depth=1
	s_or_b32 exec_lo, exec_lo, s23
	s_waitcnt lgkmcnt(0)
	s_clause 0x1
	scratch_load_b32 v4, off, off offset:4
	scratch_load_b32 v5, off, off offset:8
	s_mov_b32 s1, 24
	s_mov_b32 s6, 22
	s_waitcnt vmcnt(0)
	s_barrier
	buffer_gl0_inv
.LBB208_38:                             ;   Parent Loop BB208_7 Depth=1
                                        ; =>  This Inner Loop Header: Depth=2
	ds_load_b128 v[0:3], v4
	ds_load_b128 v[122:125], v4 offset:16
	s_add_i32 s23, s6, 2
	s_sub_i32 s24, s6, 22
	s_and_b32 s25, s23, 0x3ffffff8
	s_lshr_b32 s26, s23, 2
	s_lshl_b32 s25, s25, 2
	s_and_b32 s26, s26, 0x3ffffffc
	s_and_b32 s27, s1, -16
	s_add_i32 s1, s1, 2
	s_add_i32 s6, s6, s27
	s_cmp_lt_u32 s23, 30
	s_waitcnt lgkmcnt(1)
	v_bfe_i32 v120, v2, 0, 8
	v_bfe_i32 v101, v2, 8, 8
	;; [unrolled: 1-line block ×3, first 2 shown]
	v_ashrrev_i32_e32 v96, 24, v2
	v_add_nc_u32_e32 v2, s25, v58
	v_bfe_i32 v118, v0, 0, 8
	v_bfe_i32 v111, v0, 8, 8
	v_bfe_i32 v117, v0, 16, 8
	v_ashrrev_i32_e32 v116, 24, v0
	v_bfe_i32 v119, v1, 0, 8
	v_bfe_i32 v112, v1, 8, 8
	v_bfe_i32 v105, v1, 16, 8
	v_ashrrev_i32_e32 v104, 24, v1
	;; [unrolled: 4-line block ×3, first 2 shown]
	s_waitcnt lgkmcnt(0)
	v_bfe_i32 v121, v122, 0, 8
	v_bfe_i32 v106, v122, 8, 8
	v_bfe_i32 v107, v122, 16, 8
	v_ashrrev_i32_e32 v113, 24, v122
	v_bfe_i32 v122, v123, 0, 8
	v_bfe_i32 v108, v123, 8, 8
	v_bfe_i32 v109, v123, 16, 8
	v_ashrrev_i32_e32 v110, 24, v123
	v_bfe_i32 v123, v124, 0, 8
	v_bfe_i32 v103, v124, 8, 8
	v_bfe_i32 v102, v124, 16, 8
	v_ashrrev_i32_e32 v98, 24, v124
	v_bfe_i32 v115, v125, 0, 8
	v_bfe_i32 v99, v125, 8, 8
	v_bfe_i32 v95, v125, 16, 8
	v_ashrrev_i32_e32 v94, 24, v125
	ds_load_2addr_b32 v[124:125], v2 offset1:1
	ds_load_2addr_b32 v[0:1], v2 offset0:2 offset1:3
	ds_load_2addr_b32 v[129:130], v2 offset0:4 offset1:5
	;; [unrolled: 1-line block ×3, first 2 shown]
	s_waitcnt lgkmcnt(3)
	v_ashrrev_i32_e32 v126, s24, v124
	v_ashrrev_i32_e32 v124, s24, v125
	s_waitcnt lgkmcnt(2)
	v_ashrrev_i32_e32 v0, s24, v0
	s_waitcnt lgkmcnt(1)
	v_ashrrev_i32_e32 v127, s24, v129
	v_ashrrev_i32_e32 v125, s24, v130
	v_and_b32_e32 v26, 3, v126
	v_and_b32_e32 v30, 3, v124
	;; [unrolled: 1-line block ×3, first 2 shown]
	s_waitcnt lgkmcnt(0)
	v_ashrrev_i32_e32 v2, s24, v2
	v_ashrrev_i32_e32 v1, s24, v1
	v_mul_i32_i24_e32 v26, v26, v118
	v_ashrrev_i32_e32 v3, s24, v3
	v_mul_i32_i24_e32 v31, v31, v120
	s_delay_alu instid0(VALU_DEP_3) | instskip(SKIP_1) | instid1(VALU_DEP_1)
	v_mad_i32_i24 v26, v30, v119, v26
	v_bfe_u32 v30, v126, 8, 2
	v_mul_i32_i24_e32 v30, v30, v111
	s_delay_alu instid0(VALU_DEP_1) | instskip(SKIP_3) | instid1(VALU_DEP_3)
	v_add3_u32 v128, v26, v31, v30
	v_and_b32_e32 v26, 3, v127
	v_and_b32_e32 v30, 3, v125
	;; [unrolled: 1-line block ×3, first 2 shown]
	v_mul_i32_i24_e32 v26, v26, v121
	s_delay_alu instid0(VALU_DEP_2) | instskip(NEXT) | instid1(VALU_DEP_2)
	v_mul_i32_i24_e32 v31, v31, v123
	v_mad_i32_i24 v26, v30, v122, v26
	v_bfe_u32 v30, v127, 8, 2
	s_delay_alu instid0(VALU_DEP_1) | instskip(NEXT) | instid1(VALU_DEP_1)
	v_mul_i32_i24_e32 v30, v30, v106
	v_add3_u32 v129, v26, v31, v30
	v_add_nc_u32_e32 v26, s25, v60
	v_add_nc_u32_e32 v30, s26, v59
	ds_load_2addr_b32 v[131:132], v26 offset0:2 offset1:3
	ds_load_b32 v130, v30
	ds_load_2addr_b32 v[133:134], v26 offset1:1
	s_waitcnt lgkmcnt(2)
	v_ashrrev_i32_e32 v34, s24, v131
	s_waitcnt lgkmcnt(0)
	v_ashrrev_i32_e32 v30, s24, v133
	v_ashrrev_i32_e32 v31, s24, v134
	s_delay_alu instid0(VALU_DEP_3) | instskip(NEXT) | instid1(VALU_DEP_3)
	v_and_b32_e32 v35, 3, v34
	v_and_b32_e32 v32, 3, v30
	s_delay_alu instid0(VALU_DEP_3) | instskip(NEXT) | instid1(VALU_DEP_3)
	v_and_b32_e32 v33, 3, v31
	v_mul_i32_i24_e32 v35, v35, v120
	s_delay_alu instid0(VALU_DEP_3) | instskip(NEXT) | instid1(VALU_DEP_1)
	v_mul_i32_i24_e32 v32, v32, v118
	v_mad_i32_i24 v32, v33, v119, v32
	v_bfe_u32 v33, v30, 8, 2
	s_delay_alu instid0(VALU_DEP_1) | instskip(NEXT) | instid1(VALU_DEP_1)
	v_mul_i32_i24_e32 v33, v33, v111
	v_add3_u32 v32, v32, v35, v33
	v_add_nc_u32_e32 v33, s6, v84
	v_add_nc_u32_e32 v35, s26, v61
	ds_load_u16 v33, v33 offset:17906
	ds_load_b32 v35, v35
	ds_load_2addr_b32 v[133:134], v26 offset0:4 offset1:5
	ds_load_2addr_b32 v[135:136], v26 offset0:6 offset1:7
	s_waitcnt lgkmcnt(1)
	v_ashrrev_i32_e32 v26, s24, v133
	v_ashrrev_i32_e32 v36, s24, v134
	s_waitcnt lgkmcnt(0)
	v_ashrrev_i32_e32 v39, s24, v135
	s_delay_alu instid0(VALU_DEP_3) | instskip(NEXT) | instid1(VALU_DEP_3)
	v_and_b32_e32 v37, 3, v26
	v_and_b32_e32 v38, 3, v36
	s_delay_alu instid0(VALU_DEP_3) | instskip(NEXT) | instid1(VALU_DEP_3)
	v_and_b32_e32 v40, 3, v39
	v_mul_i32_i24_e32 v37, v37, v121
	s_delay_alu instid0(VALU_DEP_2) | instskip(NEXT) | instid1(VALU_DEP_2)
	v_mul_i32_i24_e32 v40, v40, v123
	v_mad_i32_i24 v37, v38, v122, v37
	v_bfe_u32 v38, v26, 8, 2
	s_delay_alu instid0(VALU_DEP_1) | instskip(NEXT) | instid1(VALU_DEP_1)
	v_mul_i32_i24_e32 v38, v38, v106
	v_add3_u32 v37, v37, v40, v38
	v_add_nc_u32_e32 v38, s25, v62
	ds_load_2addr_b32 v[133:134], v38 offset1:1
	ds_load_2addr_b32 v[137:138], v38 offset0:2 offset1:3
	ds_load_2addr_b32 v[139:140], v38 offset0:4 offset1:5
	;; [unrolled: 1-line block ×3, first 2 shown]
	s_waitcnt lgkmcnt(3)
	v_ashrrev_i32_e32 v38, s24, v133
	v_ashrrev_i32_e32 v40, s24, v134
	s_waitcnt lgkmcnt(2)
	v_ashrrev_i32_e32 v43, s24, v137
	s_waitcnt lgkmcnt(0)
	v_ashrrev_i32_e32 v63, s24, v141
	v_and_b32_e32 v41, 3, v38
	v_and_b32_e32 v42, 3, v40
	v_and_b32_e32 v45, 3, v43
	s_delay_alu instid0(VALU_DEP_4) | instskip(NEXT) | instid1(VALU_DEP_4)
	v_and_b32_e32 v67, 3, v63
	v_mul_i32_i24_e32 v41, v41, v118
	s_delay_alu instid0(VALU_DEP_3) | instskip(NEXT) | instid1(VALU_DEP_3)
	v_mul_i32_i24_e32 v45, v45, v120
	v_mul_i32_i24_e32 v67, v67, v123
	s_delay_alu instid0(VALU_DEP_3) | instskip(SKIP_1) | instid1(VALU_DEP_1)
	v_mad_i32_i24 v41, v42, v119, v41
	v_bfe_u32 v42, v38, 8, 2
	v_mul_i32_i24_e32 v42, v42, v111
	s_delay_alu instid0(VALU_DEP_1) | instskip(SKIP_2) | instid1(VALU_DEP_2)
	v_add3_u32 v41, v41, v45, v42
	v_ashrrev_i32_e32 v42, s24, v139
	v_ashrrev_i32_e32 v45, s24, v140
	v_and_b32_e32 v56, 3, v42
	s_delay_alu instid0(VALU_DEP_2) | instskip(NEXT) | instid1(VALU_DEP_2)
	v_and_b32_e32 v57, 3, v45
	v_mul_i32_i24_e32 v56, v56, v121
	s_delay_alu instid0(VALU_DEP_1) | instskip(SKIP_1) | instid1(VALU_DEP_1)
	v_mad_i32_i24 v56, v57, v122, v56
	v_bfe_u32 v57, v42, 8, 2
	v_mul_i32_i24_e32 v57, v57, v106
	s_delay_alu instid0(VALU_DEP_1)
	v_add3_u32 v56, v56, v67, v57
	v_add_nc_u32_e32 v57, s25, v65
	v_add_nc_u32_e32 v67, s26, v64
	ds_load_2addr_b32 v[133:134], v57 offset0:2 offset1:3
	ds_load_b32 v67, v67
	ds_load_2addr_b32 v[139:140], v57 offset1:1
	s_waitcnt lgkmcnt(2)
	v_ashrrev_i32_e32 v77, s24, v133
	s_waitcnt lgkmcnt(0)
	v_ashrrev_i32_e32 v68, s24, v139
	v_ashrrev_i32_e32 v69, s24, v140
	s_delay_alu instid0(VALU_DEP_3) | instskip(NEXT) | instid1(VALU_DEP_3)
	v_and_b32_e32 v131, 3, v77
	v_and_b32_e32 v70, 3, v68
	s_delay_alu instid0(VALU_DEP_3) | instskip(NEXT) | instid1(VALU_DEP_3)
	v_and_b32_e32 v76, 3, v69
	v_mul_i32_i24_e32 v131, v131, v120
	s_delay_alu instid0(VALU_DEP_3) | instskip(SKIP_1) | instid1(VALU_DEP_2)
	v_mul_i32_i24_e32 v70, v70, v118
	v_add_nc_u32_e32 v118, v119, v118
	v_mad_i32_i24 v70, v76, v119, v70
	v_bfe_u32 v76, v68, 8, 2
	s_delay_alu instid0(VALU_DEP_3) | instskip(SKIP_1) | instid1(VALU_DEP_3)
	v_add3_u32 v118, v118, v120, v114
	v_add_nc_u32_e32 v120, s6, v85
	v_mul_i32_i24_e32 v76, v76, v111
	v_add_nc_u32_e32 v111, v112, v111
	s_delay_alu instid0(VALU_DEP_2) | instskip(SKIP_2) | instid1(VALU_DEP_4)
	v_add3_u32 v70, v70, v131, v76
	v_add_nc_u32_e32 v76, s6, v82
	v_add_nc_u32_e32 v131, s26, v66
	v_add3_u32 v111, v111, v101, v97
	ds_load_u16 v76, v76 offset:19954
	ds_load_b32 v131, v131
	ds_load_2addr_b32 v[139:140], v57 offset0:4 offset1:5
	ds_load_2addr_b32 v[143:144], v57 offset0:6 offset1:7
	ds_load_u16 v120, v120 offset:16882
	s_waitcnt lgkmcnt(2)
	v_ashrrev_i32_e32 v57, s24, v139
	v_ashrrev_i32_e32 v133, s24, v140
	s_waitcnt lgkmcnt(1)
	v_ashrrev_i32_e32 v139, s24, v143
	s_delay_alu instid0(VALU_DEP_3) | instskip(NEXT) | instid1(VALU_DEP_3)
	v_and_b32_e32 v135, 3, v57
	v_and_b32_e32 v137, 3, v133
	s_delay_alu instid0(VALU_DEP_3) | instskip(NEXT) | instid1(VALU_DEP_3)
	v_and_b32_e32 v140, 3, v139
	v_mul_i32_i24_e32 v135, v135, v121
	v_add_nc_u32_e32 v121, v122, v121
	s_delay_alu instid0(VALU_DEP_3) | instskip(NEXT) | instid1(VALU_DEP_3)
	v_mul_i32_i24_e32 v140, v140, v123
	v_mad_i32_i24 v135, v137, v122, v135
	v_bfe_u32 v137, v57, 8, 2
	s_delay_alu instid0(VALU_DEP_4)
	v_add3_u32 v119, v121, v123, v115
	s_waitcnt lgkmcnt(0)
	v_lshrrev_b16 v123, 8, v120
	v_add_nc_u32_e32 v121, v104, v116
	v_add_nc_u32_e32 v122, v105, v117
	v_mul_i32_i24_e32 v137, v137, v106
	s_delay_alu instid0(VALU_DEP_4) | instskip(NEXT) | instid1(VALU_DEP_4)
	v_and_b32_e32 v123, 0xffff, v123
	v_add3_u32 v121, v121, v96, v6
	s_delay_alu instid0(VALU_DEP_4) | instskip(NEXT) | instid1(VALU_DEP_4)
	v_add3_u32 v122, v122, v100, v7
	v_add3_u32 v135, v135, v140, v137
	v_bfe_u32 v137, v120, 4, 4
	v_lshrrev_b32_e32 v141, 4, v123
	s_delay_alu instid0(VALU_DEP_2) | instskip(SKIP_1) | instid1(VALU_DEP_1)
	v_mul_lo_u32 v140, 0x1010101, v137
	v_mul_i32_i24_e32 v137, v137, v118
	v_mad_i32_i24 v137, v141, v119, v137
	s_delay_alu instid0(VALU_DEP_3) | instskip(SKIP_1) | instid1(VALU_DEP_2)
	v_lshrrev_b32_e32 v143, 24, v140
	v_bfe_i32 v145, v140, 16, 8
	v_mul_i32_i24_e32 v143, v121, v143
	s_delay_alu instid0(VALU_DEP_2) | instskip(NEXT) | instid1(VALU_DEP_1)
	v_mul_i32_i24_e32 v145, v122, v145
	v_add3_u32 v137, v137, v143, v145
	v_add_nc_u32_e32 v143, s6, v83
	s_mov_b32 s6, s23
	ds_load_u16 v143, v143 offset:18930
	s_waitcnt lgkmcnt(0)
	v_bfe_u32 v146, v143, 4, 4
	v_lshrrev_b16 v145, 8, v143
	s_delay_alu instid0(VALU_DEP_2) | instskip(NEXT) | instid1(VALU_DEP_2)
	v_mul_lo_u32 v147, 0x1010101, v146
	v_and_b32_e32 v145, 0xffff, v145
	v_mul_i32_i24_e32 v146, v146, v118
	s_delay_alu instid0(VALU_DEP_2) | instskip(NEXT) | instid1(VALU_DEP_4)
	v_lshrrev_b32_e32 v148, 4, v145
	v_lshrrev_b32_e32 v149, 24, v147
	v_bfe_i32 v150, v147, 16, 8
	s_delay_alu instid0(VALU_DEP_3) | instskip(NEXT) | instid1(VALU_DEP_3)
	v_mad_i32_i24 v146, v148, v119, v146
	v_mul_i32_i24_e32 v149, v121, v149
	s_delay_alu instid0(VALU_DEP_3) | instskip(NEXT) | instid1(VALU_DEP_1)
	v_mul_i32_i24_e32 v150, v122, v150
	v_add3_u32 v146, v146, v149, v150
	v_bfe_u32 v150, v33, 4, 4
	v_lshrrev_b16 v149, 8, v33
	v_and_b32_e32 v33, 15, v33
	s_delay_alu instid0(VALU_DEP_3) | instskip(NEXT) | instid1(VALU_DEP_3)
	v_mul_lo_u32 v151, 0x1010101, v150
	v_and_b32_e32 v149, 0xffff, v149
	v_mul_i32_i24_e32 v150, v150, v118
	s_delay_alu instid0(VALU_DEP_2) | instskip(NEXT) | instid1(VALU_DEP_4)
	v_lshrrev_b32_e32 v152, 4, v149
	v_lshrrev_b32_e32 v153, 24, v151
	v_bfe_i32 v154, v151, 16, 8
	s_delay_alu instid0(VALU_DEP_3) | instskip(NEXT) | instid1(VALU_DEP_3)
	v_mad_i32_i24 v150, v152, v119, v150
	v_mul_i32_i24_e32 v153, v121, v153
	s_delay_alu instid0(VALU_DEP_3) | instskip(NEXT) | instid1(VALU_DEP_1)
	v_mul_i32_i24_e32 v154, v122, v154
	v_add3_u32 v150, v150, v153, v154
	v_lshrrev_b16 v153, 8, v76
	v_bfe_u32 v154, v76, 4, 4
	s_delay_alu instid0(VALU_DEP_2) | instskip(NEXT) | instid1(VALU_DEP_2)
	v_and_b32_e32 v153, 0xffff, v153
	v_mul_i32_i24_e32 v118, v154, v118
	s_delay_alu instid0(VALU_DEP_2) | instskip(NEXT) | instid1(VALU_DEP_1)
	v_lshrrev_b32_e32 v155, 4, v153
	v_mad_i32_i24 v118, v155, v119, v118
	v_mul_lo_u32 v119, 0x1010101, v154
	s_delay_alu instid0(VALU_DEP_1) | instskip(NEXT) | instid1(VALU_DEP_1)
	v_lshrrev_b32_e32 v154, 24, v119
	v_mul_i32_i24_e32 v121, v121, v154
	v_bfe_i32 v154, v119, 16, 8
	v_bfe_i32 v119, v119, 8, 8
	s_delay_alu instid0(VALU_DEP_2) | instskip(NEXT) | instid1(VALU_DEP_1)
	v_mul_i32_i24_e32 v122, v122, v154
	v_add3_u32 v118, v118, v121, v122
	v_bfe_u32 v121, v126, 16, 2
	v_bfe_u32 v122, v126, 24, 2
	v_bfe_u32 v126, v127, 24, 2
	s_delay_alu instid0(VALU_DEP_3) | instskip(NEXT) | instid1(VALU_DEP_3)
	v_mul_i32_i24_e32 v121, v121, v117
	v_mul_i32_i24_e32 v122, v122, v116
	s_delay_alu instid0(VALU_DEP_3) | instskip(NEXT) | instid1(VALU_DEP_2)
	v_mul_i32_i24_e32 v126, v126, v113
	v_add3_u32 v121, v128, v121, v122
	v_bfe_u32 v122, v127, 16, 2
	v_mul_lo_u32 v127, 0x1010101, v152
	s_delay_alu instid0(VALU_DEP_2) | instskip(NEXT) | instid1(VALU_DEP_2)
	v_mul_i32_i24_e32 v122, v122, v107
	v_lshrrev_b32_e32 v128, 24, v127
	s_delay_alu instid0(VALU_DEP_2) | instskip(SKIP_2) | instid1(VALU_DEP_2)
	v_add3_u32 v122, v129, v122, v126
	v_bfe_u32 v126, v30, 16, 2
	v_bfe_u32 v30, v30, 24, 2
	v_mul_i32_i24_e32 v126, v126, v117
	s_delay_alu instid0(VALU_DEP_2) | instskip(NEXT) | instid1(VALU_DEP_1)
	v_mul_i32_i24_e32 v30, v30, v116
	v_add3_u32 v30, v32, v126, v30
	v_bfe_u32 v32, v26, 16, 2
	v_bfe_u32 v26, v26, 24, 2
	s_delay_alu instid0(VALU_DEP_2) | instskip(NEXT) | instid1(VALU_DEP_2)
	v_mul_i32_i24_e32 v32, v32, v107
	v_mul_i32_i24_e32 v26, v26, v113
	s_delay_alu instid0(VALU_DEP_1) | instskip(SKIP_3) | instid1(VALU_DEP_3)
	v_add3_u32 v26, v37, v32, v26
	v_bfe_u32 v32, v38, 16, 2
	v_bfe_u32 v37, v38, 24, 2
	;; [unrolled: 1-line block ×3, first 2 shown]
	v_mul_i32_i24_e32 v32, v32, v117
	s_delay_alu instid0(VALU_DEP_3) | instskip(NEXT) | instid1(VALU_DEP_3)
	v_mul_i32_i24_e32 v37, v37, v116
	v_mul_i32_i24_e32 v38, v38, v113
	s_delay_alu instid0(VALU_DEP_2) | instskip(SKIP_3) | instid1(VALU_DEP_3)
	v_add3_u32 v32, v41, v32, v37
	v_bfe_u32 v37, v42, 16, 2
	v_bfe_u32 v41, v68, 24, 2
	;; [unrolled: 1-line block ×3, first 2 shown]
	v_mul_i32_i24_e32 v37, v37, v107
	s_delay_alu instid0(VALU_DEP_3) | instskip(NEXT) | instid1(VALU_DEP_3)
	v_mul_i32_i24_e32 v41, v41, v116
	v_mul_i32_i24_e32 v42, v42, v113
	s_delay_alu instid0(VALU_DEP_3) | instskip(SKIP_3) | instid1(VALU_DEP_3)
	v_add3_u32 v37, v56, v37, v38
	v_bfe_u32 v38, v68, 16, 2
	v_and_b32_e32 v56, 3, v1
	v_bfe_u32 v68, v31, 8, 2
	v_mul_i32_i24_e32 v38, v38, v117
	s_delay_alu instid0(VALU_DEP_3) | instskip(NEXT) | instid1(VALU_DEP_3)
	v_mul_i32_i24_e32 v56, v56, v114
	v_mul_i32_i24_e32 v68, v68, v112
	s_delay_alu instid0(VALU_DEP_3) | instskip(SKIP_2) | instid1(VALU_DEP_2)
	v_add3_u32 v38, v70, v38, v41
	v_bfe_u32 v41, v57, 16, 2
	v_and_b32_e32 v57, 3, v3
	v_mul_i32_i24_e32 v41, v41, v107
	s_delay_alu instid0(VALU_DEP_2) | instskip(NEXT) | instid1(VALU_DEP_2)
	v_mul_i32_i24_e32 v57, v57, v115
	v_add3_u32 v41, v135, v41, v42
	v_bfe_u32 v42, v124, 8, 2
	s_delay_alu instid0(VALU_DEP_1) | instskip(NEXT) | instid1(VALU_DEP_1)
	v_mul_i32_i24_e32 v42, v42, v112
	v_add3_u32 v42, v121, v56, v42
	v_bfe_u32 v56, v125, 8, 2
	s_delay_alu instid0(VALU_DEP_1) | instskip(NEXT) | instid1(VALU_DEP_1)
	v_mul_i32_i24_e32 v56, v56, v108
	v_add3_u32 v56, v122, v57, v56
	v_ashrrev_i32_e32 v57, s24, v132
	v_mul_lo_u32 v122, 0x1010101, v148
	s_delay_alu instid0(VALU_DEP_2) | instskip(NEXT) | instid1(VALU_DEP_2)
	v_and_b32_e32 v70, 3, v57
	v_lshrrev_b32_e32 v126, 24, v122
	s_delay_alu instid0(VALU_DEP_2) | instskip(NEXT) | instid1(VALU_DEP_1)
	v_mul_i32_i24_e32 v70, v70, v114
	v_add3_u32 v30, v30, v70, v68
	v_ashrrev_i32_e32 v68, s24, v136
	v_bfe_u32 v70, v36, 8, 2
	s_delay_alu instid0(VALU_DEP_2) | instskip(NEXT) | instid1(VALU_DEP_2)
	v_and_b32_e32 v116, 3, v68
	v_mul_i32_i24_e32 v70, v70, v108
	s_delay_alu instid0(VALU_DEP_2) | instskip(NEXT) | instid1(VALU_DEP_1)
	v_mul_i32_i24_e32 v116, v116, v115
	v_add3_u32 v26, v26, v116, v70
	v_ashrrev_i32_e32 v70, s24, v138
	v_bfe_u32 v116, v40, 8, 2
	s_delay_alu instid0(VALU_DEP_2) | instskip(NEXT) | instid1(VALU_DEP_2)
	v_and_b32_e32 v117, 3, v70
	v_mul_i32_i24_e32 v116, v116, v112
	;; [unrolled: 8-line block ×3, first 2 shown]
	s_delay_alu instid0(VALU_DEP_2) | instskip(NEXT) | instid1(VALU_DEP_1)
	v_mul_i32_i24_e32 v121, v121, v115
	v_add3_u32 v37, v37, v121, v117
	v_ashrrev_i32_e32 v117, s24, v134
	s_delay_alu instid0(VALU_DEP_1) | instskip(NEXT) | instid1(VALU_DEP_1)
	v_and_b32_e32 v121, 3, v117
	v_mul_i32_i24_e32 v114, v121, v114
	v_bfe_u32 v121, v69, 8, 2
	s_delay_alu instid0(VALU_DEP_1) | instskip(SKIP_2) | instid1(VALU_DEP_3)
	v_mul_i32_i24_e32 v121, v121, v112
	v_add_nc_u32_e32 v112, v110, v113
	v_bfe_i32 v113, v140, 8, 8
	v_add3_u32 v38, v38, v114, v121
	v_ashrrev_i32_e32 v114, s24, v144
	s_delay_alu instid0(VALU_DEP_4) | instskip(NEXT) | instid1(VALU_DEP_4)
	v_add3_u32 v112, v112, v98, v94
	v_mul_i32_i24_e32 v113, v111, v113
	s_delay_alu instid0(VALU_DEP_3) | instskip(NEXT) | instid1(VALU_DEP_3)
	v_and_b32_e32 v121, 3, v114
	v_mul_i32_i24_e32 v126, v112, v126
	v_mul_i32_i24_e32 v128, v112, v128
	s_delay_alu instid0(VALU_DEP_3) | instskip(SKIP_1) | instid1(VALU_DEP_1)
	v_mul_i32_i24_e32 v115, v121, v115
	v_bfe_u32 v121, v133, 8, 2
	v_mul_i32_i24_e32 v121, v121, v108
	s_delay_alu instid0(VALU_DEP_1) | instskip(SKIP_1) | instid1(VALU_DEP_1)
	v_add3_u32 v41, v41, v115, v121
	v_mul_lo_u32 v115, 0x1010101, v141
	v_lshrrev_b32_e32 v121, 24, v115
	s_delay_alu instid0(VALU_DEP_1) | instskip(NEXT) | instid1(VALU_DEP_1)
	v_mul_i32_i24_e32 v121, v112, v121
	v_add3_u32 v113, v137, v113, v121
	v_bfe_i32 v121, v147, 8, 8
	s_delay_alu instid0(VALU_DEP_1) | instskip(NEXT) | instid1(VALU_DEP_1)
	v_mul_i32_i24_e32 v121, v111, v121
	v_add3_u32 v121, v146, v121, v126
	v_bfe_i32 v126, v151, 8, 8
	s_delay_alu instid0(VALU_DEP_1) | instskip(SKIP_2) | instid1(VALU_DEP_3)
	v_mul_i32_i24_e32 v126, v111, v126
	v_mul_i32_i24_e32 v111, v111, v119
	v_mul_lo_u32 v119, 0x1010101, v155
	v_add3_u32 v126, v150, v126, v128
	s_delay_alu instid0(VALU_DEP_2) | instskip(NEXT) | instid1(VALU_DEP_1)
	v_lshrrev_b32_e32 v128, 24, v119
	v_mul_i32_i24_e32 v112, v112, v128
	s_delay_alu instid0(VALU_DEP_1) | instskip(SKIP_2) | instid1(VALU_DEP_2)
	v_add3_u32 v111, v118, v111, v112
	v_bfe_u32 v112, v124, 16, 2
	v_bfe_u32 v118, v124, 24, 2
	v_mul_i32_i24_e32 v112, v112, v105
	s_delay_alu instid0(VALU_DEP_2) | instskip(NEXT) | instid1(VALU_DEP_1)
	v_mul_i32_i24_e32 v118, v118, v104
	v_add3_u32 v42, v42, v112, v118
	v_bfe_u32 v112, v125, 16, 2
	v_bfe_u32 v118, v125, 24, 2
	s_delay_alu instid0(VALU_DEP_2) | instskip(NEXT) | instid1(VALU_DEP_2)
	v_mul_i32_i24_e32 v112, v112, v109
	v_mul_i32_i24_e32 v118, v118, v110
	s_delay_alu instid0(VALU_DEP_1) | instskip(SKIP_2) | instid1(VALU_DEP_2)
	v_add3_u32 v56, v56, v112, v118
	v_bfe_u32 v112, v31, 16, 2
	v_bfe_u32 v31, v31, 24, 2
	v_mul_i32_i24_e32 v112, v112, v105
	s_delay_alu instid0(VALU_DEP_2) | instskip(NEXT) | instid1(VALU_DEP_1)
	v_mul_i32_i24_e32 v31, v31, v104
	v_add3_u32 v30, v30, v112, v31
	v_bfe_u32 v31, v36, 16, 2
	v_bfe_u32 v36, v36, 24, 2
	s_delay_alu instid0(VALU_DEP_2) | instskip(NEXT) | instid1(VALU_DEP_2)
	v_mul_i32_i24_e32 v31, v31, v109
	v_mul_i32_i24_e32 v36, v36, v110
	s_delay_alu instid0(VALU_DEP_1) | instskip(SKIP_3) | instid1(VALU_DEP_3)
	v_add3_u32 v26, v26, v31, v36
	v_bfe_u32 v31, v40, 16, 2
	v_bfe_u32 v36, v40, 24, 2
	v_add_nc_u32_e32 v40, v108, v106
	v_mul_i32_i24_e32 v31, v31, v105
	s_delay_alu instid0(VALU_DEP_3) | instskip(NEXT) | instid1(VALU_DEP_3)
	v_mul_i32_i24_e32 v36, v36, v104
	v_add3_u32 v40, v40, v103, v99
	s_delay_alu instid0(VALU_DEP_2) | instskip(SKIP_3) | instid1(VALU_DEP_3)
	v_add3_u32 v31, v32, v31, v36
	v_bfe_u32 v32, v45, 16, 2
	v_bfe_u32 v36, v45, 24, 2
	v_bfe_i32 v45, v115, 8, 8
	v_mul_i32_i24_e32 v32, v32, v109
	s_delay_alu instid0(VALU_DEP_3) | instskip(NEXT) | instid1(VALU_DEP_3)
	v_mul_i32_i24_e32 v36, v36, v110
	v_mul_i32_i24_e32 v45, v40, v45
	s_delay_alu instid0(VALU_DEP_2) | instskip(SKIP_3) | instid1(VALU_DEP_3)
	v_add3_u32 v32, v37, v32, v36
	v_bfe_u32 v36, v69, 16, 2
	v_bfe_u32 v37, v69, 24, 2
	v_bfe_i32 v69, v122, 8, 8
	v_mul_i32_i24_e32 v36, v36, v105
	s_delay_alu instid0(VALU_DEP_3) | instskip(NEXT) | instid1(VALU_DEP_3)
	v_mul_i32_i24_e32 v37, v37, v104
	v_mul_i32_i24_e32 v69, v40, v69
	v_bfe_i32 v104, v127, 8, 8
	s_delay_alu instid0(VALU_DEP_3) | instskip(SKIP_2) | instid1(VALU_DEP_4)
	v_add3_u32 v36, v38, v36, v37
	v_bfe_u32 v37, v133, 24, 2
	v_bfe_u32 v38, v133, 16, 2
	v_mul_i32_i24_e32 v104, v40, v104
	s_delay_alu instid0(VALU_DEP_3) | instskip(NEXT) | instid1(VALU_DEP_3)
	v_mul_i32_i24_e32 v37, v37, v110
	v_mul_i32_i24_e32 v38, v38, v109
	s_delay_alu instid0(VALU_DEP_1) | instskip(SKIP_2) | instid1(VALU_DEP_2)
	v_add3_u32 v37, v41, v38, v37
	v_add_nc_u32_e32 v38, v109, v107
	v_bfe_i32 v41, v115, 16, 8
	v_add3_u32 v38, v38, v102, v95
	s_delay_alu instid0(VALU_DEP_1) | instskip(NEXT) | instid1(VALU_DEP_1)
	v_mul_i32_i24_e32 v41, v38, v41
	v_add3_u32 v41, v113, v41, v45
	v_bfe_i32 v45, v122, 16, 8
	s_delay_alu instid0(VALU_DEP_1) | instskip(NEXT) | instid1(VALU_DEP_1)
	v_mul_i32_i24_e32 v45, v38, v45
	v_add3_u32 v45, v121, v45, v69
	v_bfe_i32 v69, v127, 16, 8
	;; [unrolled: 4-line block ×3, first 2 shown]
	s_delay_alu instid0(VALU_DEP_1) | instskip(SKIP_1) | instid1(VALU_DEP_1)
	v_mul_i32_i24_e32 v38, v38, v104
	v_bfe_i32 v104, v119, 8, 8
	v_mul_i32_i24_e32 v40, v40, v104
	v_bfe_u32 v104, v0, 16, 2
	s_delay_alu instid0(VALU_DEP_2) | instskip(SKIP_1) | instid1(VALU_DEP_3)
	v_add3_u32 v38, v111, v38, v40
	v_bfe_u32 v40, v0, 8, 2
	v_mul_i32_i24_e32 v104, v104, v100
	v_bfe_u32 v0, v0, 24, 2
	s_delay_alu instid0(VALU_DEP_4) | instskip(NEXT) | instid1(VALU_DEP_4)
	v_cvt_f32_i32_e32 v38, v38
	v_mul_i32_i24_e32 v40, v40, v101
	s_delay_alu instid0(VALU_DEP_3) | instskip(NEXT) | instid1(VALU_DEP_2)
	v_mul_i32_i24_e32 v0, v0, v96
	v_add3_u32 v40, v42, v40, v104
	v_bfe_u32 v42, v2, 8, 2
	v_bfe_u32 v104, v2, 16, 2
	;; [unrolled: 1-line block ×3, first 2 shown]
	s_delay_alu instid0(VALU_DEP_3) | instskip(NEXT) | instid1(VALU_DEP_3)
	v_mul_i32_i24_e32 v42, v42, v103
	v_mul_i32_i24_e32 v104, v104, v102
	s_delay_alu instid0(VALU_DEP_3) | instskip(NEXT) | instid1(VALU_DEP_2)
	v_mul_i32_i24_e32 v2, v2, v98
	v_add3_u32 v42, v56, v42, v104
	v_bfe_u32 v56, v34, 8, 2
	v_bfe_u32 v104, v34, 16, 2
	;; [unrolled: 1-line block ×3, first 2 shown]
	s_delay_alu instid0(VALU_DEP_3) | instskip(NEXT) | instid1(VALU_DEP_3)
	v_mul_i32_i24_e32 v56, v56, v101
	v_mul_i32_i24_e32 v104, v104, v100
	s_delay_alu instid0(VALU_DEP_3) | instskip(NEXT) | instid1(VALU_DEP_2)
	v_mul_i32_i24_e32 v34, v34, v96
	v_add3_u32 v30, v30, v56, v104
	v_bfe_u32 v56, v39, 8, 2
	v_bfe_u32 v104, v39, 16, 2
	s_delay_alu instid0(VALU_DEP_2) | instskip(NEXT) | instid1(VALU_DEP_2)
	v_mul_i32_i24_e32 v56, v56, v103
	v_mul_i32_i24_e32 v104, v104, v102
	s_delay_alu instid0(VALU_DEP_1) | instskip(SKIP_2) | instid1(VALU_DEP_2)
	v_add3_u32 v26, v26, v56, v104
	v_bfe_u32 v56, v43, 8, 2
	v_bfe_u32 v104, v43, 16, 2
	v_mul_i32_i24_e32 v56, v56, v101
	s_delay_alu instid0(VALU_DEP_2) | instskip(NEXT) | instid1(VALU_DEP_1)
	v_mul_i32_i24_e32 v104, v104, v100
	v_add3_u32 v31, v31, v56, v104
	v_bfe_u32 v56, v63, 8, 2
	v_bfe_u32 v104, v63, 16, 2
	s_delay_alu instid0(VALU_DEP_2) | instskip(NEXT) | instid1(VALU_DEP_2)
	v_mul_i32_i24_e32 v56, v56, v103
	v_mul_i32_i24_e32 v104, v104, v102
	s_delay_alu instid0(VALU_DEP_1) | instskip(SKIP_1) | instid1(VALU_DEP_1)
	v_add3_u32 v32, v32, v56, v104
	v_bfe_u32 v56, v77, 8, 2
	v_mul_i32_i24_e32 v56, v56, v101
	v_bfe_u32 v101, v77, 16, 2
	s_delay_alu instid0(VALU_DEP_1) | instskip(NEXT) | instid1(VALU_DEP_1)
	v_mul_i32_i24_e32 v100, v101, v100
	v_add3_u32 v36, v36, v56, v100
	v_bfe_u32 v56, v139, 8, 2
	v_bfe_u32 v100, v139, 16, 2
	s_delay_alu instid0(VALU_DEP_2) | instskip(NEXT) | instid1(VALU_DEP_2)
	v_mul_i32_i24_e32 v56, v56, v103
	v_mul_i32_i24_e32 v100, v100, v102
	s_delay_alu instid0(VALU_DEP_1) | instskip(SKIP_1) | instid1(VALU_DEP_1)
	v_add3_u32 v37, v37, v56, v100
	v_bfe_u32 v56, v1, 8, 2
	v_mul_i32_i24_e32 v56, v56, v97
	s_delay_alu instid0(VALU_DEP_1) | instskip(SKIP_1) | instid1(VALU_DEP_1)
	v_add3_u32 v0, v40, v0, v56
	v_bfe_u32 v40, v3, 8, 2
	v_mul_i32_i24_e32 v40, v40, v99
	s_delay_alu instid0(VALU_DEP_1) | instskip(SKIP_2) | instid1(VALU_DEP_2)
	v_add3_u32 v2, v42, v2, v40
	v_bfe_u32 v40, v57, 8, 2
	v_and_b32_e32 v42, 15, v149
	v_mul_i32_i24_e32 v40, v40, v97
	s_delay_alu instid0(VALU_DEP_1) | instskip(SKIP_3) | instid1(VALU_DEP_3)
	v_add3_u32 v30, v30, v34, v40
	v_bfe_u32 v34, v39, 24, 2
	v_bfe_u32 v39, v68, 8, 2
	v_lshrrev_b32_e32 v40, 16, v67
	v_mul_i32_i24_e32 v34, v34, v98
	s_delay_alu instid0(VALU_DEP_3) | instskip(NEXT) | instid1(VALU_DEP_1)
	v_mul_i32_i24_e32 v39, v39, v99
	v_add3_u32 v26, v26, v34, v39
	v_bfe_u32 v34, v43, 24, 2
	v_bfe_u32 v39, v70, 8, 2
	s_delay_alu instid0(VALU_DEP_2) | instskip(NEXT) | instid1(VALU_DEP_2)
	v_mul_i32_i24_e32 v34, v34, v96
	v_mul_i32_i24_e32 v39, v39, v97
	s_delay_alu instid0(VALU_DEP_1) | instskip(SKIP_2) | instid1(VALU_DEP_2)
	v_add3_u32 v31, v31, v34, v39
	v_bfe_u32 v34, v63, 24, 2
	v_bfe_u32 v39, v116, 8, 2
	v_mul_i32_i24_e32 v34, v34, v98
	s_delay_alu instid0(VALU_DEP_2) | instskip(NEXT) | instid1(VALU_DEP_1)
	v_mul_i32_i24_e32 v39, v39, v99
	v_add3_u32 v32, v32, v34, v39
	v_bfe_u32 v34, v77, 24, 2
	v_bfe_u32 v39, v117, 8, 2
	s_delay_alu instid0(VALU_DEP_2) | instskip(NEXT) | instid1(VALU_DEP_2)
	v_mul_i32_i24_e32 v34, v34, v96
	v_mul_i32_i24_e32 v39, v39, v97
	s_delay_alu instid0(VALU_DEP_1) | instskip(SKIP_2) | instid1(VALU_DEP_2)
	v_add3_u32 v34, v36, v34, v39
	v_bfe_u32 v36, v139, 24, 2
	v_bfe_u32 v39, v114, 8, 2
	v_mul_i32_i24_e32 v36, v36, v98
	s_delay_alu instid0(VALU_DEP_2) | instskip(NEXT) | instid1(VALU_DEP_1)
	v_mul_i32_i24_e32 v39, v39, v99
	v_add3_u32 v36, v37, v36, v39
	v_bfe_u32 v37, v1, 16, 2
	v_bfe_u32 v1, v1, 24, 2
	v_and_b32_e32 v39, 15, v123
	s_delay_alu instid0(VALU_DEP_3) | instskip(NEXT) | instid1(VALU_DEP_3)
	v_mul_i32_i24_e32 v37, v37, v7
	v_mul_i32_i24_e32 v1, v1, v6
	s_delay_alu instid0(VALU_DEP_1) | instskip(SKIP_3) | instid1(VALU_DEP_3)
	v_add3_u32 v0, v0, v37, v1
	v_bfe_u32 v1, v3, 16, 2
	v_bfe_u32 v3, v3, 24, 2
	v_lshrrev_b32_e32 v37, 16, v130
	v_mul_i32_i24_e32 v1, v1, v95
	s_delay_alu instid0(VALU_DEP_3) | instskip(NEXT) | instid1(VALU_DEP_1)
	v_mul_i32_i24_e32 v3, v3, v94
	v_add3_u32 v3, v2, v1, v3
	v_bfe_u32 v1, v57, 16, 2
	v_bfe_u32 v2, v57, 24, 2
	s_delay_alu instid0(VALU_DEP_2) | instskip(NEXT) | instid1(VALU_DEP_2)
	v_mul_i32_i24_e32 v1, v1, v7
	v_mul_i32_i24_e32 v2, v2, v6
	s_delay_alu instid0(VALU_DEP_1) | instskip(SKIP_2) | instid1(VALU_DEP_2)
	v_add3_u32 v30, v30, v1, v2
	v_bfe_u32 v1, v68, 16, 2
	v_bfe_u32 v2, v68, 24, 2
	v_mul_i32_i24_e32 v1, v1, v95
	s_delay_alu instid0(VALU_DEP_2) | instskip(NEXT) | instid1(VALU_DEP_1)
	v_mul_i32_i24_e32 v2, v2, v94
	v_add3_u32 v26, v26, v1, v2
	v_bfe_u32 v1, v70, 16, 2
	v_bfe_u32 v2, v70, 24, 2
	s_delay_alu instid0(VALU_DEP_2) | instskip(NEXT) | instid1(VALU_DEP_2)
	v_mul_i32_i24_e32 v1, v1, v7
	v_mul_i32_i24_e32 v2, v2, v6
	s_delay_alu instid0(VALU_DEP_1) | instskip(SKIP_2) | instid1(VALU_DEP_2)
	v_add3_u32 v31, v31, v1, v2
	v_bfe_u32 v1, v116, 16, 2
	v_bfe_u32 v2, v116, 24, 2
	v_mul_i32_i24_e32 v1, v1, v95
	s_delay_alu instid0(VALU_DEP_2) | instskip(NEXT) | instid1(VALU_DEP_1)
	v_mul_i32_i24_e32 v2, v2, v94
	v_add3_u32 v32, v32, v1, v2
	v_bfe_u32 v1, v117, 16, 2
	v_bfe_u32 v2, v117, 24, 2
	s_delay_alu instid0(VALU_DEP_2) | instskip(NEXT) | instid1(VALU_DEP_2)
	v_mul_i32_i24_e32 v1, v1, v7
	v_mul_i32_i24_e32 v2, v2, v6
	v_and_b32_e32 v7, 15, v143
	s_delay_alu instid0(VALU_DEP_2) | instskip(SKIP_2) | instid1(VALU_DEP_2)
	v_add3_u32 v6, v34, v1, v2
	v_bfe_u32 v1, v114, 16, 2
	v_bfe_u32 v2, v114, 24, 2
	v_mul_i32_i24_e32 v1, v1, v95
	s_delay_alu instid0(VALU_DEP_2) | instskip(NEXT) | instid1(VALU_DEP_1)
	v_mul_i32_i24_e32 v2, v2, v94
	v_add3_u32 v34, v36, v1, v2
	v_and_b32_e32 v1, 15, v120
	ds_load_b32 v36, v5
	v_add_nc_u32_e32 v5, 4, v5
	v_mul_lo_u32 v0, v0, v1
	s_delay_alu instid0(VALU_DEP_1) | instskip(SKIP_4) | instid1(VALU_DEP_3)
	v_mad_u64_u32 v[1:2], null, v3, v39, v[0:1]
	v_mul_lo_u32 v0, v30, v33
	v_lshrrev_b32_e32 v39, 16, v35
	v_cvt_f32_f16_e32 v33, v40
	v_and_b32_e32 v40, 15, v153
	v_cvt_f32_f16_e32 v30, v39
	v_and_b32_e32 v39, 15, v145
	v_mad_u64_u32 v[2:3], null, v26, v42, v[0:1]
	v_lshrrev_b32_e32 v0, 16, v131
	v_and_b32_e32 v3, 15, v76
	v_cvt_f32_f16_e32 v26, v37
	v_cvt_f32_i32_e32 v42, v69
	s_delay_alu instid0(VALU_DEP_4)
	v_cvt_f32_f16_e32 v37, v0
	v_mul_lo_u32 v0, v31, v7
	v_mul_lo_u32 v3, v6, v3
	v_cvt_f32_i32_e32 v31, v41
	v_cvt_f32_i32_e32 v41, v45
	;; [unrolled: 1-line block ×3, first 2 shown]
	v_mad_u64_u32 v[6:7], null, v32, v39, v[0:1]
	v_mad_u64_u32 v[94:95], null, v34, v40, v[3:4]
	s_delay_alu instid0(VALU_DEP_4)
	v_dual_mul_f32 v0, v26, v31 :: v_dual_mul_f32 v3, v33, v41
	v_mul_f32_e32 v7, v30, v42
	v_mul_f32_e32 v26, v37, v38
	v_cvt_f32_i32_e32 v1, v1
	v_cvt_f32_i32_e32 v6, v6
	;; [unrolled: 1-line block ×3, first 2 shown]
	v_add_nc_u32_e32 v4, 32, v4
	s_delay_alu instid0(VALU_DEP_4)
	v_fma_mix_f32 v0, v130, v1, -v0 op_sel_hi:[1,0,0]
	v_fma_mix_f32 v1, v35, v2, -v7 op_sel_hi:[1,0,0]
	;; [unrolled: 1-line block ×4, first 2 shown]
	s_waitcnt lgkmcnt(0)
	v_fmac_f32_e32 v28, v36, v0
	v_fmac_f32_e32 v90, v36, v1
	;; [unrolled: 1-line block ×4, first 2 shown]
	s_cbranch_scc1 .LBB208_38
; %bb.39:                               ;   in Loop: Header=BB208_7 Depth=1
	s_barrier
	buffer_gl0_inv
.LBB208_40:                             ;   in Loop: Header=BB208_7 Depth=1
	v_dual_mov_b32 v30, v50 :: v_dual_mov_b32 v31, v52
	v_dual_mov_b32 v32, v53 :: v_dual_mov_b32 v33, v54
	v_dual_mov_b32 v38, v25 :: v_dual_mov_b32 v39, v10
	v_dual_mov_b32 v10, v11 :: v_dual_mov_b32 v11, v12
	v_dual_mov_b32 v12, v13 :: v_dual_mov_b32 v13, v14
	v_dual_mov_b32 v14, v15 :: v_dual_mov_b32 v15, v16
	v_dual_mov_b32 v16, v17 :: v_dual_mov_b32 v17, v18
	v_dual_mov_b32 v18, v19 :: v_dual_mov_b32 v19, v20
	v_mov_b32_e32 v20, v21
	s_clause 0x9
	scratch_load_b64 v[41:42], off, off offset:16
	scratch_load_b32 v21, off, off offset:32
	scratch_load_b32 v40, off, off offset:36
	;; [unrolled: 1-line block ×8, first 2 shown]
	scratch_load_b64 v[42:43], off, off offset:24
	s_branch .LBB208_42
.LBB208_41:                             ;   in Loop: Header=BB208_7 Depth=1
	scratch_load_b64 v[41:42], off, off offset:16 ; 8-byte Folded Reload
	v_dual_mov_b32 v30, v50 :: v_dual_mov_b32 v31, v52
	v_dual_mov_b32 v32, v53 :: v_dual_mov_b32 v33, v54
	;; [unrolled: 1-line block ×8, first 2 shown]
	v_mov_b32_e32 v20, v21
	s_clause 0x8
	scratch_load_b64 v[42:43], off, off offset:24
	scratch_load_b32 v21, off, off offset:32
	scratch_load_b32 v40, off, off offset:36
	;; [unrolled: 1-line block ×8, first 2 shown]
.LBB208_42:                             ;   in Loop: Header=BB208_7 Depth=1
	scratch_load_b32 v43, off, off offset:40 ; 4-byte Folded Reload
	s_branch .LBB208_5
.LBB208_43:
	scratch_load_b32 v26, off, off offset:100 ; 4-byte Folded Reload
	v_cvt_f16_f32_e32 v5, v28
	v_cvt_f16_f32_e32 v4, v90
	;; [unrolled: 1-line block ×4, first 2 shown]
.LBB208_44:
	s_mul_i32 s0, s10, s7
	s_waitcnt vmcnt(0)
	v_cmp_gt_i32_e32 vcc_lo, s0, v26
	s_and_saveexec_b32 s0, vcc_lo
	s_cbranch_execz .LBB208_53
; %bb.45:
	v_mul_lo_u32 v1, v26, s9
	v_add_nc_u32_e32 v3, s11, v156
	s_mov_b32 s0, exec_lo
	s_delay_alu instid0(VALU_DEP_1)
	v_cmpx_gt_u32_e64 s9, v3
	s_cbranch_execz .LBB208_47
; %bb.46:
	s_delay_alu instid0(VALU_DEP_3) | instskip(NEXT) | instid1(VALU_DEP_1)
	v_dual_mov_b32 v7, 0 :: v_dual_add_nc_u32 v6, v1, v3
	v_lshlrev_b64 v[6:7], 1, v[6:7]
	s_delay_alu instid0(VALU_DEP_1) | instskip(NEXT) | instid1(VALU_DEP_2)
	v_add_co_u32 v6, vcc_lo, s12, v6
	v_add_co_ci_u32_e32 v7, vcc_lo, s13, v7, vcc_lo
	global_store_b16 v[6:7], v5, off
.LBB208_47:
	s_or_b32 exec_lo, exec_lo, s0
	v_add_nc_u32_e32 v5, 32, v3
	s_mov_b32 s0, exec_lo
	s_delay_alu instid0(VALU_DEP_1)
	v_cmpx_gt_u32_e64 s9, v5
	s_cbranch_execz .LBB208_49
; %bb.48:
	v_dual_mov_b32 v6, 0 :: v_dual_add_nc_u32 v5, v1, v5
	s_delay_alu instid0(VALU_DEP_1) | instskip(NEXT) | instid1(VALU_DEP_1)
	v_lshlrev_b64 v[5:6], 1, v[5:6]
	v_add_co_u32 v5, vcc_lo, s12, v5
	s_delay_alu instid0(VALU_DEP_2)
	v_add_co_ci_u32_e32 v6, vcc_lo, s13, v6, vcc_lo
	global_store_b16 v[5:6], v4, off
.LBB208_49:
	s_or_b32 exec_lo, exec_lo, s0
	v_add_nc_u32_e32 v4, 64, v3
	s_mov_b32 s0, exec_lo
	s_delay_alu instid0(VALU_DEP_1)
	v_cmpx_gt_u32_e64 s9, v4
	s_cbranch_execz .LBB208_51
; %bb.50:
	v_dual_mov_b32 v5, 0 :: v_dual_add_nc_u32 v4, v1, v4
	s_delay_alu instid0(VALU_DEP_1) | instskip(NEXT) | instid1(VALU_DEP_1)
	v_lshlrev_b64 v[4:5], 1, v[4:5]
	v_add_co_u32 v4, vcc_lo, s12, v4
	s_delay_alu instid0(VALU_DEP_2)
	v_add_co_ci_u32_e32 v5, vcc_lo, s13, v5, vcc_lo
	global_store_b16 v[4:5], v0, off
.LBB208_51:
	s_or_b32 exec_lo, exec_lo, s0
	v_add_nc_u32_e32 v0, 0x60, v3
	s_delay_alu instid0(VALU_DEP_1)
	v_cmp_gt_u32_e32 vcc_lo, s9, v0
	s_and_b32 exec_lo, exec_lo, vcc_lo
	s_cbranch_execz .LBB208_53
; %bb.52:
	v_dual_mov_b32 v1, 0 :: v_dual_add_nc_u32 v0, v1, v0
	s_delay_alu instid0(VALU_DEP_1) | instskip(NEXT) | instid1(VALU_DEP_1)
	v_lshlrev_b64 v[0:1], 1, v[0:1]
	v_add_co_u32 v0, vcc_lo, s12, v0
	s_delay_alu instid0(VALU_DEP_2)
	v_add_co_ci_u32_e32 v1, vcc_lo, s13, v1, vcc_lo
	global_store_b16 v[0:1], v2, off
.LBB208_53:
	s_endpgm
	.section	.rodata,"a",@progbits
	.p2align	6, 0x0
	.amdhsa_kernel _ZL8moe_q2_KIN3c104HalfELb1EEvPKvS3_PT_PKiS7_S7_iiiiiii
		.amdhsa_group_segment_fixed_size 23328
		.amdhsa_private_segment_fixed_size 108
		.amdhsa_kernarg_size 76
		.amdhsa_user_sgpr_count 14
		.amdhsa_user_sgpr_dispatch_ptr 0
		.amdhsa_user_sgpr_queue_ptr 0
		.amdhsa_user_sgpr_kernarg_segment_ptr 1
		.amdhsa_user_sgpr_dispatch_id 0
		.amdhsa_user_sgpr_private_segment_size 0
		.amdhsa_wavefront_size32 1
		.amdhsa_uses_dynamic_stack 0
		.amdhsa_enable_private_segment 1
		.amdhsa_system_sgpr_workgroup_id_x 1
		.amdhsa_system_sgpr_workgroup_id_y 1
		.amdhsa_system_sgpr_workgroup_id_z 0
		.amdhsa_system_sgpr_workgroup_info 0
		.amdhsa_system_vgpr_workitem_id 1
		.amdhsa_next_free_vgpr 256
		.amdhsa_next_free_sgpr 30
		.amdhsa_reserve_vcc 1
		.amdhsa_float_round_mode_32 0
		.amdhsa_float_round_mode_16_64 0
		.amdhsa_float_denorm_mode_32 3
		.amdhsa_float_denorm_mode_16_64 3
		.amdhsa_dx10_clamp 1
		.amdhsa_ieee_mode 1
		.amdhsa_fp16_overflow 0
		.amdhsa_workgroup_processor_mode 1
		.amdhsa_memory_ordered 1
		.amdhsa_forward_progress 0
		.amdhsa_shared_vgpr_count 0
		.amdhsa_exception_fp_ieee_invalid_op 0
		.amdhsa_exception_fp_denorm_src 0
		.amdhsa_exception_fp_ieee_div_zero 0
		.amdhsa_exception_fp_ieee_overflow 0
		.amdhsa_exception_fp_ieee_underflow 0
		.amdhsa_exception_fp_ieee_inexact 0
		.amdhsa_exception_int_div_zero 0
	.end_amdhsa_kernel
	.section	.text._ZL8moe_q2_KIN3c104HalfELb1EEvPKvS3_PT_PKiS7_S7_iiiiiii,"axG",@progbits,_ZL8moe_q2_KIN3c104HalfELb1EEvPKvS3_PT_PKiS7_S7_iiiiiii,comdat
.Lfunc_end208:
	.size	_ZL8moe_q2_KIN3c104HalfELb1EEvPKvS3_PT_PKiS7_S7_iiiiiii, .Lfunc_end208-_ZL8moe_q2_KIN3c104HalfELb1EEvPKvS3_PT_PKiS7_S7_iiiiiii
                                        ; -- End function
	.section	.AMDGPU.csdata,"",@progbits
; Kernel info:
; codeLenInByte = 20996
; NumSgprs: 32
; NumVgprs: 256
; ScratchSize: 108
; MemoryBound: 0
; FloatMode: 240
; IeeeMode: 1
; LDSByteSize: 23328 bytes/workgroup (compile time only)
; SGPRBlocks: 3
; VGPRBlocks: 31
; NumSGPRsForWavesPerEU: 32
; NumVGPRsForWavesPerEU: 256
; Occupancy: 5
; WaveLimiterHint : 1
; COMPUTE_PGM_RSRC2:SCRATCH_EN: 1
; COMPUTE_PGM_RSRC2:USER_SGPR: 14
; COMPUTE_PGM_RSRC2:TRAP_HANDLER: 0
; COMPUTE_PGM_RSRC2:TGID_X_EN: 1
; COMPUTE_PGM_RSRC2:TGID_Y_EN: 1
; COMPUTE_PGM_RSRC2:TGID_Z_EN: 0
; COMPUTE_PGM_RSRC2:TIDIG_COMP_CNT: 1
	.section	.text._ZL8moe_q3_KIN3c104HalfELb0EEvPKvS3_PT_PKiS7_S7_iiiiiii,"axG",@progbits,_ZL8moe_q3_KIN3c104HalfELb0EEvPKvS3_PT_PKiS7_S7_iiiiiii,comdat
	.globl	_ZL8moe_q3_KIN3c104HalfELb0EEvPKvS3_PT_PKiS7_S7_iiiiiii ; -- Begin function _ZL8moe_q3_KIN3c104HalfELb0EEvPKvS3_PT_PKiS7_S7_iiiiiii
	.p2align	8
	.type	_ZL8moe_q3_KIN3c104HalfELb0EEvPKvS3_PT_PKiS7_S7_iiiiiii,@function
_ZL8moe_q3_KIN3c104HalfELb0EEvPKvS3_PT_PKiS7_S7_iiiiiii: ; @_ZL8moe_q3_KIN3c104HalfELb0EEvPKvS3_PT_PKiS7_S7_iiiiiii
; %bb.0:
	s_load_b128 s[4:7], s[0:1], 0x18
	s_mov_b32 s2, s15
	s_mov_b32 s3, 0
	s_delay_alu instid0(SALU_CYCLE_1)
	s_lshl_b64 s[8:9], s[2:3], 2
	s_waitcnt lgkmcnt(0)
	s_add_u32 s6, s6, s8
	s_addc_u32 s7, s7, s9
	s_load_b32 s12, s[6:7], 0x0
	s_waitcnt lgkmcnt(0)
	s_cmpk_gt_u32 s12, 0xff
	s_cbranch_scc1 .LBB209_48
; %bb.1:
	s_load_b64 s[6:7], s[0:1], 0x28
	s_lshl_b32 s2, s2, 3
	s_waitcnt lgkmcnt(0)
	s_load_b32 s3, s[6:7], 0x0
	s_waitcnt lgkmcnt(0)
	s_cmp_gt_u32 s2, s3
	s_cbranch_scc1 .LBB209_48
; %bb.2:
	v_bfe_u32 v3, v0, 10, 10
	v_mov_b32_e32 v2, 0
	s_lshl_b32 s20, s14, 7
	s_mov_b32 s21, 0
	s_delay_alu instid0(VALU_DEP_2) | instskip(NEXT) | instid1(VALU_DEP_2)
	v_add_nc_u32_e32 v1, s2, v3
	v_dual_mov_b32 v0, v2 :: v_dual_and_b32 v31, 0x3ff, v0
	s_delay_alu instid0(VALU_DEP_2) | instskip(NEXT) | instid1(VALU_DEP_1)
	v_lshlrev_b64 v[4:5], 2, v[1:2]
	v_add_co_u32 v4, vcc_lo, s4, v4
	s_delay_alu instid0(VALU_DEP_2)
	v_add_co_ci_u32_e32 v5, vcc_lo, s5, v5, vcc_lo
	global_load_b32 v30, v[4:5], off
	s_clause 0x2
	s_load_b64 s[10:11], s[0:1], 0x30
	s_load_b64 s[8:9], s[0:1], 0x10
	s_load_b128 s[4:7], s[0:1], 0x3c
	v_mov_b32_e32 v4, v2
	v_mov_b32_e32 v5, v2
	s_waitcnt lgkmcnt(0)
	s_cmpk_lt_i32 s11, 0x100
	s_cbranch_scc1 .LBB209_39
; %bb.3:
	s_load_b128 s[0:3], s[0:1], 0x0
	s_ashr_i32 s13, s11, 31
	s_mul_i32 s12, s12, s10
	s_lshr_b32 s10, s13, 24
	s_ashr_i32 s14, s5, 31
	s_add_i32 s10, s11, s10
	s_lshr_b32 s13, s14, 27
	s_ashr_i32 s10, s10, 8
	s_add_i32 s5, s5, s13
	s_mul_i32 s13, s10, s20
	s_ashr_i32 s14, s12, 31
	s_ashr_i32 s5, s5, 5
	s_mul_hi_i32 s15, s13, 0x6e
	s_mulk_i32 s13, 0x6e
	v_lshrrev_b32_e32 v32, 4, v31
	v_dual_mov_b32 v136, 0 :: v_dual_lshlrev_b32 v5, 1, v3
	v_lshlrev_b32_e32 v2, 4, v3
	v_lshrrev_b32_e32 v4, 1, v31
	v_dual_mov_b32 v33, 0 :: v_dual_and_b32 v0, 15, v31
	s_waitcnt lgkmcnt(0)
	s_add_u32 s0, s0, s12
	s_addc_u32 s1, s1, s14
	s_add_u32 s22, s0, s13
	s_addc_u32 s23, s1, s15
	s_lshl_b32 s0, s10, 3
	v_add_nc_u32_e32 v9, v32, v5
	v_mad_i32_i24 v34, s10, v3, s0
	s_lshl_b32 s14, s10, 4
	v_and_b32_e32 v35, 1, v31
	v_add_nc_u32_e32 v7, v4, v2
	v_mad_i32_i24 v72, s10, v9, s14
	v_dual_mov_b32 v135, 0 :: v_dual_add_nc_u32 v36, s0, v34
	v_lshlrev_b32_e32 v37, 2, v0
	v_lshlrev_b32_e32 v8, 2, v35
	s_delay_alu instid0(VALU_DEP_4) | instskip(NEXT) | instid1(VALU_DEP_4)
	v_add_nc_u32_e32 v74, s14, v72
	v_add_nc_u32_e32 v38, s0, v36
	v_cmp_lt_u32_e32 vcc_lo, 7, v0
	v_add_nc_u16 v0, v32, v5
	v_and_b32_e32 v5, 0x7f, v7
	v_lshrrev_b32_e32 v7, 2, v7
	v_add_nc_u32_e32 v11, 16, v9
	v_add_nc_u32_e32 v12, 32, v9
	;; [unrolled: 1-line block ×6, first 2 shown]
	v_mul_i32_i24_e32 v67, s10, v5
	v_lshl_or_b32 v5, v5, 3, v8
	v_and_b32_e32 v7, 28, v7
	v_lshlrev_b32_e32 v8, 1, v11
	v_lshlrev_b32_e32 v15, 1, v12
	;; [unrolled: 1-line block ×3, first 2 shown]
	v_add_nc_u32_e32 v44, s0, v40
	v_add_nc_u32_e32 v76, s14, v75
	v_add3_u32 v70, v5, v7, 0x7380
	v_and_b32_e32 v5, 0x3ffc, v8
	v_and_b32_e32 v7, 0x3ffc, v15
	;; [unrolled: 1-line block ×3, first 2 shown]
	v_lshlrev_b32_e32 v15, 1, v14
	v_add_nc_u32_e32 v49, s0, v44
	v_add_nc_u32_e32 v77, s14, v76
	;; [unrolled: 1-line block ×3, first 2 shown]
	v_add3_u32 v17, v8, v37, 0x4200
	v_and_b32_e32 v8, 0x3ffc, v15
	v_add_nc_u32_e32 v54, s0, v49
	v_add_nc_u32_e32 v78, s14, v77
	v_lshlrev_b32_e32 v15, 1, v16
	v_add_nc_u32_e32 v18, 0x60, v9
	v_add3_u32 v19, v8, v37, 0x4200
	v_add_nc_u32_e32 v8, 0x70, v9
	v_add_nc_u32_e32 v59, s0, v54
	;; [unrolled: 1-line block ×3, first 2 shown]
	s_abs_i32 s14, s7
	v_mul_i32_i24_e32 v64, s10, v9
	v_lshlrev_b32_e32 v20, 1, v8
	v_lshlrev_b32_e32 v23, 6, v8
	v_cvt_f32_u32_e32 v8, s14
	v_add_nc_u32_e32 v63, s0, v59
	v_lshlrev_b32_e32 v10, 6, v9
	v_and_b32_e32 v9, 0x3ffc, v15
	v_lshlrev_b32_e32 v15, 1, v18
	v_rcp_iflag_f32_e32 v8, v8
	v_add_nc_u32_e32 v65, s0, v63
	v_cndmask_b32_e64 v41, 0, 1, vcc_lo
	v_add3_u32 v21, v9, v37, 0x4200
	v_and_b32_e32 v9, 0x3ffc, v15
	v_lshlrev_b32_e32 v15, 6, v16
	v_and_b32_e32 v16, 0x3ffc, v20
	v_and_b32_e32 v20, 3, v31
	v_add_nc_u32_e32 v66, s0, v65
	v_add3_u32 v22, v9, v37, 0x4200
	v_dual_mul_f32 v8, 0x4f7ffffe, v8 :: v_dual_lshlrev_b32 v1, 2, v31
	s_delay_alu instid0(VALU_DEP_4)
	v_add_nc_u16 v9, v20, -2
	v_cmp_gt_u32_e32 vcc_lo, 2, v20
	v_add_nc_u32_e32 v68, s0, v66
	v_lshlrev_b32_e32 v24, 2, v3
	v_lshrrev_b32_e32 v80, 3, v31
	v_cvt_u32_f32_e32 v8, v8
	v_cndmask_b32_e32 v9, v9, v20, vcc_lo
	v_add_nc_u32_e32 v69, s0, v68
	v_cmp_lt_u32_e32 vcc_lo, 1, v20
	v_add_nc_u32_e32 v26, v80, v24
	s_sub_i32 s15, 0, s14
	v_and_b32_e32 v9, 0xff, v9
	v_mul_lo_u32 v27, s15, v8
	v_add_nc_u32_e32 v71, s0, v69
	v_and_b32_e32 v6, 7, v31
	v_cndmask_b32_e64 v25, 0, 1, vcc_lo
	v_lshlrev_b32_e32 v83, 2, v9
	v_add_nc_u32_e32 v9, 32, v26
	v_add_nc_u32_e32 v73, s0, v71
	s_lshl_b32 s0, s10, 5
	v_lshlrev_b32_e32 v42, 2, v6
	v_cmp_lt_u32_e32 vcc_lo, 3, v6
	v_lshlrev_b32_e32 v82, 2, v25
	v_and_b32_e32 v6, 0x1ffc, v26
	v_lshlrev_b32_e32 v84, 1, v20
	v_mul_i32_i24_e32 v85, s10, v26
	v_add_nc_u32_e32 v20, 64, v26
	v_and_b32_e32 v25, 0x3ffc, v9
	v_mad_i32_i24 v86, s10, v26, s0
	v_lshlrev_b32_e32 v29, 5, v26
	v_lshlrev_b32_e32 v132, 5, v9
	v_add_nc_u32_e32 v9, 0x60, v26
	v_mul_hi_u32 v26, v8, v27
	s_waitcnt vmcnt(0)
	v_sub_nc_u32_e32 v27, 0, v30
	v_mad_u32_u24 v39, 0x84, v3, v1
	v_add_nc_u32_e32 v87, s0, v86
	v_and_b32_e32 v1, 28, v1
	v_lshl_add_u32 v92, v31, 4, v4
	v_max_i32_e32 v27, v30, v27
	v_and_b32_e32 v89, 0x3ffc, v9
	v_add_nc_u32_e32 v8, v8, v26
	v_add_nc_u32_e32 v88, s0, v87
	v_lshlrev_b32_e32 v134, 5, v9
	v_lshlrev_b32_e32 v95, 2, v32
	v_lshlrev_b32_e32 v96, 3, v31
	v_mul_hi_u32 v94, v27, v8
	v_add_co_u32 v8, s0, s2, v1
	s_delay_alu instid0(VALU_DEP_1)
	v_add_co_ci_u32_e64 v9, null, s3, 0, s0
	v_mul_i32_i24_e32 v43, s10, v3
	v_and_b32_e32 v90, 31, v31
	v_lshlrev_b32_e32 v3, 7, v3
	v_mul_lo_u32 v93, v94, s14
	v_or_b32_e32 v1, v24, v31
	v_add_nc_u32_e32 v24, 32, v31
	v_add3_u32 v26, v89, v42, 0x6300
	v_lshl_or_b32 v89, v90, 2, v3
	v_add_nc_u32_e32 v110, 64, v31
	v_lshl_add_u32 v90, v1, 2, 0x7ba0
	v_lshrrev_b32_e32 v1, 1, v24
	v_sub_nc_u32_e32 v4, v27, v93
	v_add_nc_u32_e32 v27, 1, v94
	v_lshrrev_b16 v0, 1, v0
	v_add_nc_u32_e32 v109, 0x60, v31
	v_lshlrev_b32_e32 v101, 3, v110
	v_subrev_nc_u32_e32 v97, s14, v4
	v_cmp_le_u32_e64 s0, s14, v4
	v_and_b32_e32 v0, 0xffff, v0
	v_lshrrev_b32_e32 v99, 2, v24
	v_and_b32_e32 v28, 0x3ffc, v20
	v_lshrrev_b32_e32 v98, 1, v110
	v_cndmask_b32_e64 v27, v94, v27, s0
	v_cndmask_b32_e64 v4, v4, v97, s0
	v_add3_u32 v94, v95, v96, 0x7380
	v_xor_b32_e32 v95, s7, v30
	v_lshlrev_b32_e32 v0, 2, v0
	v_add_nc_u32_e32 v96, 1, v27
	v_cmp_le_u32_e64 s0, s14, v4
	v_lshrrev_b32_e32 v102, 1, v109
	v_ashrrev_i32_e32 v100, 31, v95
	v_lshl_add_u32 v95, v24, 4, v1
	v_lshrrev_b32_e32 v1, 2, v110
	v_cndmask_b32_e64 v4, v27, v96, s0
	v_lshrrev_b32_e32 v27, 2, v109
	v_and_b32_e32 v97, 0x7c, v99
	v_lshlrev_b32_e32 v99, 3, v24
	v_and_b32_e32 v1, 0x7c, v1
	v_xor_b32_e32 v4, v4, v100
	v_lshlrev_b32_e32 v11, 6, v11
	v_add3_u32 v0, v0, v37, 0x4200
	v_add3_u32 v5, v5, v37, 0x4200
	;; [unrolled: 1-line block ×3, first 2 shown]
	v_sub_nc_u32_e32 v4, v4, v100
	v_add3_u32 v100, v101, v1, 0x7380
	v_lshlrev_b32_e32 v12, 6, v12
	v_lshlrev_b32_e32 v13, 6, v13
	;; [unrolled: 1-line block ×3, first 2 shown]
	v_mul_lo_u32 v101, v4, s5
	v_lshlrev_b32_e32 v18, 6, v18
	v_add3_u32 v16, v16, v37, 0x4200
	v_add3_u32 v6, v6, v42, 0x6300
	v_add3_u32 v25, v25, v42, 0x6300
	v_add3_u32 v28, v28, v42, 0x6300
	v_lshlrev_b32_e32 v20, 5, v20
	v_lshlrev_b32_e32 v91, 5, v31
	v_lshl_add_u32 v98, v110, 4, v98
	v_and_b32_e32 v27, 0x7c, v27
	v_lshlrev_b32_e32 v104, 3, v109
	v_lshl_add_u32 v102, v109, 4, v102
	v_lshrrev_b32_e32 v106, 3, v110
	v_lshrrev_b32_e32 v107, 3, v109
	v_and_b32_e32 v109, 0x1fc, v109
	v_and_b32_e32 v110, 0x1fc, v110
	;; [unrolled: 1-line block ×4, first 2 shown]
	s_movk_i32 s12, 0x2100
	s_movk_i32 s13, 0x3180
	;; [unrolled: 1-line block ×3, first 2 shown]
	v_add3_u32 v97, v99, v97, 0x7380
	v_mad_u32_u24 v99, 0x84, v31, s12
	s_add_u32 s12, s2, 0x90
	v_mad_u32_u24 v103, 0x84, v31, s13
	s_addc_u32 s13, s3, 0
	v_add_nc_u32_e32 v45, 0x420, v39
	v_add_nc_u32_e32 v46, 0x840, v39
	v_add_nc_u32_e32 v47, 0xc60, v39
	v_add_nc_u32_e32 v48, 0x1080, v39
	v_add_nc_u32_e32 v50, 0x14a0, v39
	v_add_nc_u32_e32 v51, 0x18c0, v39
	v_add_nc_u32_e32 v52, 0x1ce0, v39
	v_add_nc_u32_e32 v53, 0x2100, v39
	v_add_nc_u32_e32 v55, 0x2520, v39
	v_add_nc_u32_e32 v56, 0x2940, v39
	v_add_nc_u32_e32 v57, 0x2d60, v39
	v_add_nc_u32_e32 v58, 0x3180, v39
	v_add_nc_u32_e32 v60, 0x35a0, v39
	v_add_nc_u32_e32 v61, 0x39c0, v39
	v_add_nc_u32_e32 v62, 0x3de0, v39
	v_cndmask_b32_e64 v81, 0, 1, vcc_lo
	v_add_nc_u32_e32 v89, 0x77a0, v89
	v_cmp_gt_u32_e32 vcc_lo, 4, v31
	v_mul_u32_u24_e32 v93, 0x84, v31
	v_mad_u32_u24 v96, 0x84, v31, s1
	v_add3_u32 v104, v104, v27, 0x7380
	v_lshrrev_b32_e32 v105, 3, v24
	v_cmp_gt_i32_e64 s0, s4, v4
	v_ashrrev_i32_e32 v108, 31, v101
	s_add_u32 s14, s2, 0x120
	v_add_nc_u32_e32 v113, 0x77a0, v3
	v_add_nc_u32_e32 v114, 0x7ba0, v2
	v_add_nc_u32_e32 v115, 0x6f08, v109
	v_add_nc_u32_e32 v116, 0x6b08, v110
	v_add_nc_u32_e32 v117, 0x6708, v111
	v_add_nc_u32_e32 v118, 0x6308, v112
	v_add_nc_u32_e32 v119, v91, v109
	v_add_nc_u32_e32 v120, v91, v110
	v_add_nc_u32_e32 v121, v91, v111
	v_add_nc_u32_e32 v122, v91, v112
	v_add_nc_u32_e32 v123, v0, v10
	v_add_nc_u32_e32 v124, v5, v11
	v_add_nc_u32_e32 v125, v7, v12
	v_add_nc_u32_e32 v126, v17, v13
	v_add_nc_u32_e32 v127, v19, v14
	v_add_nc_u32_e32 v128, v21, v15
	v_add_nc_u32_e32 v129, v22, v18
	v_add_nc_u32_e32 v130, v16, v23
	v_add_nc_u32_e32 v131, v6, v29
	v_add_nc_u32_e32 v132, v25, v132
	v_add_nc_u32_e32 v133, v28, v20
	v_dual_mov_b32 v134, 0 :: v_dual_add_nc_u32 v137, v26, v134
	s_addc_u32 s15, s3, 0
	s_add_u32 s16, s2, 0x1b0
	s_addc_u32 s17, s3, 0
	s_branch .LBB209_5
.LBB209_4:                              ;   in Loop: Header=BB209_5 Depth=1
	s_add_i32 s21, s21, 2
	s_delay_alu instid0(SALU_CYCLE_1)
	s_cmp_ge_i32 s21, s10
	s_cbranch_scc1 .LBB209_38
.LBB209_5:                              ; =>This Loop Header: Depth=1
                                        ;     Child Loop BB209_12 Depth 2
                                        ;     Child Loop BB209_20 Depth 2
	;; [unrolled: 1-line block ×4, first 2 shown]
	s_mul_i32 s1, s21, 0x6e
	s_mul_hi_u32 s19, s21, 0x6e
	s_add_u32 s18, s22, s1
	s_addc_u32 s19, s23, s19
	s_delay_alu instid0(SALU_CYCLE_1) | instskip(SKIP_2) | instid1(VALU_DEP_3)
	v_mad_u64_u32 v[0:1], null, 0x6e, v32, s[18:19]
	v_mad_u64_u32 v[28:29], null, 0x6e, v81, s[18:19]
	;; [unrolled: 1-line block ×3, first 2 shown]
	v_add_co_u32 v0, s1, v0, v37
	s_delay_alu instid0(VALU_DEP_1) | instskip(NEXT) | instid1(VALU_DEP_2)
	v_add_co_ci_u32_e64 v1, s1, 0, v1, s1
	v_add_co_u32 v0, s1, v0, 32
	s_delay_alu instid0(VALU_DEP_1) | instskip(NEXT) | instid1(VALU_DEP_1)
	v_add_co_ci_u32_e64 v1, s1, 0, v1, s1
	v_mad_u64_u32 v[2:3], null, 0x6e, v43, v[0:1]
	v_mad_u64_u32 v[4:5], null, 0x6e, v34, v[0:1]
	;; [unrolled: 1-line block ×8, first 2 shown]
	s_clause 0x7
	global_load_b32 v148, v[2:3], off
	global_load_b32 v149, v[4:5], off
	;; [unrolled: 1-line block ×8, first 2 shown]
	v_mad_u64_u32 v[14:15], null, 0x6e, v41, s[18:19]
	v_mad_u64_u32 v[2:3], null, 0x6e, v59, v[0:1]
	;; [unrolled: 1-line block ×4, first 2 shown]
	s_delay_alu instid0(VALU_DEP_4) | instskip(NEXT) | instid1(VALU_DEP_1)
	v_add_co_u32 v14, s1, v14, v42
	v_add_co_ci_u32_e64 v15, s1, 0, v15, s1
	v_add_co_u32 v28, s1, 0x60, v28
	v_mad_u64_u32 v[10:11], null, 0x6e, v66, v[0:1]
	v_mad_u64_u32 v[12:13], null, 0x6e, v68, v[0:1]
	;; [unrolled: 1-line block ×6, first 2 shown]
	v_add_co_ci_u32_e64 v29, s1, 0, v29, s1
	v_mad_u64_u32 v[20:21], null, 0x6e, v64, v[14:15]
	v_mad_u64_u32 v[24:25], null, 0x6e, v72, v[14:15]
	;; [unrolled: 1-line block ×9, first 2 shown]
	s_clause 0x8
	global_load_u16 v156, v[0:1], off offset:108
	global_load_b32 v157, v[20:21], off
	global_load_b32 v158, v[24:25], off
	;; [unrolled: 1-line block ×8, first 2 shown]
	v_mad_u64_u32 v[20:21], null, 0x6e, v86, v[28:29]
	v_mad_u64_u32 v[24:25], null, 0x6e, v87, v[28:29]
	;; [unrolled: 1-line block ×3, first 2 shown]
	v_add_co_u32 v0, s1, v14, v83
	s_delay_alu instid0(VALU_DEP_1)
	v_add_co_ci_u32_e64 v1, s1, 0, v15, s1
	s_clause 0xc
	global_load_b32 v28, v[2:3], off
	global_load_b32 v29, v[4:5], off
	;; [unrolled: 1-line block ×8, first 2 shown]
	global_load_b32 v16, v[26:27], off offset:8
	global_load_b32 v17, v[24:25], off offset:8
	;; [unrolled: 1-line block ×3, first 2 shown]
	global_load_b32 v19, v[0:1], off
	global_load_b32 v14, v[14:15], off offset:8
	v_add_co_u32 v0, s1, v20, v83
	s_delay_alu instid0(VALU_DEP_1) | instskip(SKIP_1) | instid1(VALU_DEP_1)
	v_add_co_ci_u32_e64 v1, s1, 0, v21, s1
	v_add_co_u32 v2, s1, v24, v83
	v_add_co_ci_u32_e64 v3, s1, 0, v25, s1
	v_add_co_u32 v4, s1, v26, v83
	s_delay_alu instid0(VALU_DEP_1)
	v_add_co_ci_u32_e64 v5, s1, 0, v27, s1
	s_clause 0x2
	global_load_b32 v0, v[0:1], off
	global_load_b32 v1, v[2:3], off
	;; [unrolled: 1-line block ×3, first 2 shown]
	s_lshl_b32 s18, s21, 8
	s_delay_alu instid0(SALU_CYCLE_1)
	s_cmp_lt_i32 s18, s11
	s_waitcnt vmcnt(24)
	v_cvt_f32_f16_e64 v3, v156
	s_waitcnt vmcnt(23)
	v_not_b32_e32 v4, v157
	s_waitcnt vmcnt(22)
	v_not_b32_e32 v5, v158
	;; [unrolled: 2-line block ×5, first 2 shown]
	ds_store_b32 v39, v148
	ds_store_b32 v45, v149
	;; [unrolled: 1-line block ×8, first 2 shown]
	s_waitcnt vmcnt(15)
	ds_store_b32 v53, v28
	s_waitcnt vmcnt(14)
	ds_store_b32 v55, v29
	s_waitcnt vmcnt(13)
	ds_store_b32 v56, v6
	s_waitcnt vmcnt(12)
	ds_store_b32 v57, v7
	s_waitcnt vmcnt(11)
	ds_store_b32 v58, v10
	s_waitcnt vmcnt(10)
	ds_store_b32 v60, v11
	s_waitcnt vmcnt(9)
	ds_store_b32 v61, v12
	s_waitcnt vmcnt(8)
	ds_store_b32 v62, v13
	ds_store_b32 v70, v3
	ds_store_b32 v123, v4
	;; [unrolled: 1-line block ×6, first 2 shown]
	s_waitcnt vmcnt(7)
	v_ashrrev_i32_e32 v7, v84, v16
	s_waitcnt vmcnt(6)
	v_ashrrev_i32_e32 v6, v84, v17
	;; [unrolled: 2-line block ×5, first 2 shown]
	v_lshlrev_b32_e32 v7, 4, v7
	v_lshlrev_b32_e32 v6, 4, v6
	;; [unrolled: 1-line block ×3, first 2 shown]
	v_and_b32_e32 v3, 0xf0f0f0f, v3
	v_lshlrev_b32_e32 v4, 4, v4
	v_not_b32_e32 v22, v140
	v_not_b32_e32 v23, v141
	;; [unrolled: 1-line block ×3, first 2 shown]
	s_delay_alu instid0(VALU_DEP_4)
	v_and_or_b32 v3, 0x30303030, v4, v3
	ds_store_b32 v128, v22
	s_waitcnt vmcnt(2)
	v_ashrrev_i32_e32 v0, v82, v0
	s_waitcnt vmcnt(1)
	v_ashrrev_i32_e32 v1, v82, v1
	;; [unrolled: 2-line block ×3, first 2 shown]
	v_lshrrev_b32_e32 v4, 16, v3
	ds_store_b32 v129, v23
	v_and_b32_e32 v0, 0xf0f0f0f, v0
	v_and_b32_e32 v1, 0xf0f0f0f, v1
	;; [unrolled: 1-line block ×4, first 2 shown]
	v_lshlrev_b16 v4, 8, v4
	v_and_or_b32 v0, 0x30303030, v5, v0
	v_and_or_b32 v1, 0x30303030, v6, v1
	;; [unrolled: 1-line block ×3, first 2 shown]
	v_and_b32_e32 v5, 0x3f00, v3
	v_lshlrev_b16 v3, 8, v3
	v_lshrrev_b32_e32 v6, 16, v0
	v_lshrrev_b32_e32 v10, 16, v1
	v_and_b32_e32 v7, 0x3f00, v0
	v_lshlrev_b16 v0, 8, v0
	v_lshrrev_b32_e32 v12, 16, v2
	v_add_nc_u16 v3, v3, 0xe000
	v_and_b32_e32 v15, 0x3f00, v6
	v_lshlrev_b16 v6, 8, v6
	v_and_b32_e32 v11, 0x3f00, v1
	v_lshlrev_b16 v1, 8, v1
	;; [unrolled: 2-line block ×4, first 2 shown]
	v_add_nc_u16 v0, v0, 0xe000
	v_and_b32_e32 v17, 0x3f00, v12
	v_lshlrev_b16 v12, 8, v12
	v_add_nc_u16 v4, v4, 0xe000
	v_lshrrev_b16 v3, 8, v3
	v_add_nc_u16 v6, v6, 0xe000
	v_add_nc_u16 v1, v1, 0xe000
	;; [unrolled: 1-line block ×4, first 2 shown]
	v_lshrrev_b16 v0, 8, v0
	v_add_nc_u16 v12, v12, 0xe000
	v_lshrrev_b16 v4, 8, v4
	v_or_b32_e32 v3, v5, v3
	v_lshrrev_b16 v5, 8, v6
	v_lshrrev_b16 v1, 8, v1
	;; [unrolled: 1-line block ×4, first 2 shown]
	v_or_b32_e32 v0, v7, v0
	v_lshrrev_b16 v7, 8, v12
	v_or_b32_e32 v4, v14, v4
	v_or_b32_e32 v5, v15, v5
	;; [unrolled: 1-line block ×6, first 2 shown]
	v_add_nc_u16 v3, v3, 0xe000
	v_add_nc_u16 v4, v4, 0xe000
	;; [unrolled: 1-line block ×8, first 2 shown]
	v_and_b32_e32 v3, 0xffff, v3
	v_lshlrev_b32_e32 v4, 16, v4
	v_and_b32_e32 v0, 0xffff, v0
	v_lshlrev_b32_e32 v5, 16, v5
	;; [unrolled: 2-line block ×4, first 2 shown]
	v_or_b32_e32 v3, v3, v4
	v_or_b32_e32 v0, v0, v5
	v_or_b32_e32 v1, v1, v6
	s_delay_alu instid0(VALU_DEP_4)
	v_or_b32_e32 v2, v2, v7
	ds_store_b32 v130, v24
	ds_store_b32 v131, v3
	;; [unrolled: 1-line block ×5, first 2 shown]
	s_cbranch_scc0 .LBB209_4
; %bb.6:                                ;   in Loop: Header=BB209_5 Depth=1
	s_lshl_b32 s19, s21, 3
	s_delay_alu instid0(SALU_CYCLE_1) | instskip(NEXT) | instid1(VALU_DEP_1)
	v_add_nc_u32_e32 v0, s19, v80
	v_cmp_gt_i32_e64 s1, s5, v0
	s_delay_alu instid0(VALU_DEP_1) | instskip(NEXT) | instid1(SALU_CYCLE_1)
	s_and_b32 s24, s0, s1
	s_and_saveexec_b32 s1, s24
	s_cbranch_execz .LBB209_8
; %bb.7:                                ;   in Loop: Header=BB209_5 Depth=1
	v_add_nc_u32_e32 v2, v101, v0
	s_delay_alu instid0(VALU_DEP_1)
	v_mad_i64_i32 v[0:1], null, v2, 36, v[8:9]
	global_load_b32 v0, v[0:1], off offset:4
	s_waitcnt vmcnt(0)
	ds_store_b32 v89, v0
.LBB209_8:                              ;   in Loop: Header=BB209_5 Depth=1
	s_or_b32 exec_lo, exec_lo, s1
	s_and_saveexec_b32 s24, vcc_lo
	s_cbranch_execz .LBB209_11
; %bb.9:                                ;   in Loop: Header=BB209_5 Depth=1
	v_or_b32_e32 v0, s19, v31
	s_delay_alu instid0(VALU_DEP_1) | instskip(NEXT) | instid1(VALU_DEP_1)
	v_cmp_gt_i32_e64 s1, s5, v0
	s_and_b32 s1, s0, s1
	s_delay_alu instid0(SALU_CYCLE_1)
	s_and_b32 exec_lo, exec_lo, s1
	s_cbranch_execz .LBB209_11
; %bb.10:                               ;   in Loop: Header=BB209_5 Depth=1
	v_add_nc_u32_e32 v2, v101, v0
	s_delay_alu instid0(VALU_DEP_1)
	v_mad_i64_i32 v[0:1], null, v2, 36, s[2:3]
	global_load_b32 v0, v[0:1], off
	s_waitcnt vmcnt(0)
	v_cvt_f32_f16_e32 v0, v0
	ds_store_b32 v90, v0
.LBB209_11:                             ;   in Loop: Header=BB209_5 Depth=1
	s_or_b32 exec_lo, exec_lo, s24
	v_dual_mov_b32 v138, v114 :: v_dual_mov_b32 v139, v113
	s_mov_b32 s26, -2
	s_mov_b32 s1, 0
	s_mov_b32 s24, 0
	s_waitcnt lgkmcnt(0)
	s_barrier
	buffer_gl0_inv
.LBB209_12:                             ;   Parent Loop BB209_5 Depth=1
                                        ; =>  This Inner Loop Header: Depth=2
	ds_load_b128 v[0:3], v139 offset:16
	s_add_i32 s25, s26, 2
	ds_load_b128 v[4:7], v139
	ds_load_b32 v140, v138
	s_and_b32 s27, s25, 0x3ffffff8
	s_lshr_b32 s28, s25, 4
	s_lshl_b32 s29, s27, 2
	s_lshl_b32 s27, s28, 2
	v_add_nc_u32_e32 v148, s29, v93
	v_add_nc_u32_e32 v149, s29, v96
	;; [unrolled: 1-line block ×4, first 2 shown]
	ds_load_2addr_b32 v[12:13], v148 offset1:1
	ds_load_2addr_b32 v[10:11], v148 offset0:6 offset1:7
	ds_load_2addr_b32 v[14:15], v148 offset0:2 offset1:3
	;; [unrolled: 1-line block ×3, first 2 shown]
	ds_load_b32 v142, v18
	v_add_nc_u32_e32 v162, s29, v103
	s_lshl_b32 s28, s28, 3
	v_add_nc_u32_e32 v139, 32, v139
	v_add_lshl_u32 v165, v92, s28, 2
	v_add_lshl_u32 v168, v95, s28, 2
	;; [unrolled: 1-line block ×3, first 2 shown]
	s_waitcnt lgkmcnt(7)
	v_perm_b32 v158, v0, v0, 0x30201
	v_perm_b32 v159, v1, v1, 0x30201
	ds_load_2addr_b32 v[0:1], v149 offset1:1
	v_perm_b32 v145, v2, v2, 0x30201
	v_perm_b32 v141, v3, v3, 0x30201
	s_waitcnt lgkmcnt(7)
	v_perm_b32 v150, v6, v6, 0x30201
	v_add_nc_u32_e32 v6, 0x4208, v165
	v_perm_b32 v151, v4, v4, 0x30201
	v_perm_b32 v152, v5, v5, 0x30201
	;; [unrolled: 1-line block ×3, first 2 shown]
	s_waitcnt lgkmcnt(5)
	v_ashrrev_i32_e32 v153, s25, v12
	v_ashrrev_i32_e32 v154, s25, v13
	v_add_nc_u32_e32 v26, 0x4208, v171
	v_add_lshl_u32 v174, v102, s28, 2
	s_and_b32 s28, s24, -16
	v_bfe_u32 v175, v153, 24, 2
	v_and_b32_e32 v153, 0x3030303, v153
	s_waitcnt lgkmcnt(3)
	v_ashrrev_i32_e32 v14, s25, v14
	s_waitcnt lgkmcnt(2)
	v_ashrrev_i32_e32 v16, s25, v16
	v_ashrrev_i32_e32 v10, s25, v10
	;; [unrolled: 1-line block ×3, first 2 shown]
	v_add_nc_u32_e32 v138, 4, v138
	s_waitcnt lgkmcnt(0)
	v_ashrrev_i32_e32 v155, s25, v0
	v_ashrrev_i32_e32 v156, s25, v1
	ds_load_2addr_b32 v[2:3], v157 offset1:1
	ds_load_2addr_b32 v[0:1], v157 offset0:6 offset1:7
	ds_load_2addr_b32 v[18:19], v157 offset0:2 offset1:3
	s_add_i32 s24, s24, 2
	s_waitcnt lgkmcnt(2)
	v_ashrrev_i32_e32 v160, s25, v2
	v_add_nc_u32_e32 v2, s27, v100
	v_ashrrev_i32_e32 v161, s25, v3
	ds_load_2addr_b32 v[20:21], v162 offset0:2 offset1:3
	ds_load_b32 v143, v2
	ds_load_2addr_b32 v[2:3], v162 offset1:1
	s_waitcnt lgkmcnt(3)
	v_ashrrev_i32_e32 v18, s25, v18
	v_ashrrev_i32_e32 v0, s25, v0
	;; [unrolled: 1-line block ×3, first 2 shown]
	s_waitcnt lgkmcnt(2)
	v_ashrrev_i32_e32 v20, s25, v20
	s_waitcnt lgkmcnt(0)
	v_ashrrev_i32_e32 v163, s25, v2
	v_add_nc_u32_e32 v2, 0x4200, v165
	v_ashrrev_i32_e32 v164, s25, v3
	v_add_nc_u32_e32 v3, 0x4218, v165
	ds_load_2addr_b32 v[4:5], v2 offset1:1
	ds_load_2addr_b32 v[2:3], v3 offset1:1
	;; [unrolled: 1-line block ×3, first 2 shown]
	s_waitcnt lgkmcnt(2)
	v_ashrrev_i32_e32 v166, s1, v4
	v_add_nc_u32_e32 v4, 0x4200, v168
	v_ashrrev_i32_e32 v167, s1, v5
	v_add_nc_u32_e32 v5, 0x4208, v168
	ds_load_2addr_b32 v[6:7], v4 offset1:1
	ds_load_2addr_b32 v[24:25], v5 offset1:1
	ds_load_2addr_b32 v[4:5], v149 offset0:6 offset1:7
	v_lshlrev_b32_e32 v166, 2, v166
	v_lshlrev_b32_e32 v167, 2, v167
	s_waitcnt lgkmcnt(3)
	v_ashrrev_i32_e32 v22, s1, v22
	v_ashrrev_i32_e32 v2, s1, v2
	;; [unrolled: 1-line block ×3, first 2 shown]
	v_and_b32_e32 v166, 0x4040404, v166
	v_and_b32_e32 v167, 0x4040404, v167
	v_lshlrev_b32_e32 v22, 2, v22
	v_lshlrev_b32_e32 v2, 2, v2
	;; [unrolled: 1-line block ×3, first 2 shown]
	v_lshrrev_b32_e32 v176, 24, v166
	v_lshrrev_b32_e32 v177, 16, v166
	;; [unrolled: 1-line block ×4, first 2 shown]
	v_and_b32_e32 v22, 0x4040404, v22
	v_sub_nc_u16 v175, v175, v176
	v_lshrrev_b32_e32 v176, 16, v153
	s_waitcnt lgkmcnt(2)
	v_ashrrev_i32_e32 v169, s1, v6
	v_add_nc_u32_e32 v6, 0x4200, v171
	v_ashrrev_i32_e32 v170, s1, v7
	v_add_nc_u32_e32 v7, 0x4218, v171
	v_sub_nc_u16 v176, v176, v177
	v_lshrrev_b16 v177, 8, v153
	v_sub_nc_u16 v153, v153, v166
	v_lshrrev_b16 v166, 8, v166
	v_lshlrev_b32_e32 v169, 2, v169
	ds_load_2addr_b32 v[12:13], v6 offset1:1
	ds_load_2addr_b32 v[6:7], v7 offset1:1
	;; [unrolled: 1-line block ×3, first 2 shown]
	v_lshlrev_b32_e32 v170, 2, v170
	v_lshlrev_b16 v175, 8, v175
	v_sub_nc_u16 v166, v177, v166
	v_bfe_u32 v177, v154, 24, 2
	v_and_b32_e32 v154, 0x3030303, v154
	v_and_b32_e32 v169, 0x4040404, v169
	;; [unrolled: 1-line block ×3, first 2 shown]
	v_lshlrev_b16 v166, 8, v166
	v_sub_nc_u16 v177, v177, v178
	v_lshrrev_b32_e32 v178, 16, v154
	v_lshrrev_b32_e32 v180, 24, v169
	;; [unrolled: 1-line block ×5, first 2 shown]
	v_sub_nc_u16 v178, v178, v179
	v_lshrrev_b16 v179, 8, v154
	v_sub_nc_u16 v154, v154, v167
	v_lshrrev_b16 v167, 8, v167
	s_waitcnt lgkmcnt(2)
	v_ashrrev_i32_e32 v172, s1, v12
	v_add_nc_u32_e32 v12, 0x4200, v174
	v_ashrrev_i32_e32 v173, s1, v13
	v_add_nc_u32_e32 v13, 0x4208, v174
	v_sub_nc_u16 v167, v179, v167
	v_bfe_u32 v179, v155, 24, 2
	v_and_b32_e32 v155, 0x3030303, v155
	v_lshlrev_b32_e32 v172, 2, v172
	ds_load_2addr_b32 v[146:147], v12 offset1:1
	ds_load_2addr_b32 v[28:29], v13 offset1:1
	ds_load_2addr_b32 v[12:13], v162 offset0:6 offset1:7
	v_lshlrev_b32_e32 v173, 2, v173
	v_sub_nc_u16 v179, v179, v180
	v_lshrrev_b32_e32 v180, 16, v155
	v_and_b32_e32 v172, 0x4040404, v172
	v_lshlrev_b16 v177, 8, v177
	v_and_b32_e32 v173, 0x4040404, v173
	v_lshlrev_b16 v167, 8, v167
	v_sub_nc_u16 v180, v180, v181
	v_lshrrev_b16 v181, 8, v155
	v_sub_nc_u16 v155, v155, v169
	v_lshrrev_b16 v169, 8, v169
	v_lshrrev_b32_e32 v184, 24, v172
	v_lshrrev_b32_e32 v185, 16, v172
	;; [unrolled: 1-line block ×4, first 2 shown]
	v_sub_nc_u16 v169, v181, v169
	v_bfe_u32 v181, v156, 24, 2
	v_and_b32_e32 v156, 0x3030303, v156
	s_waitcnt lgkmcnt(2)
	v_ashrrev_i32_e32 v146, s1, v146
	v_ashrrev_i32_e32 v147, s1, v147
	v_lshlrev_b16 v179, 8, v179
	v_sub_nc_u16 v181, v181, v182
	v_lshrrev_b32_e32 v182, 16, v156
	v_lshlrev_b32_e32 v146, 2, v146
	v_lshlrev_b32_e32 v147, 2, v147
	v_lshlrev_b16 v169, 8, v169
	v_lshlrev_b16 v181, 8, v181
	v_sub_nc_u16 v182, v182, v183
	v_lshrrev_b16 v183, 8, v156
	v_sub_nc_u16 v156, v156, v170
	v_lshrrev_b16 v170, 8, v170
	v_and_b32_e32 v146, 0x4040404, v146
	v_and_b32_e32 v147, 0x4040404, v147
	v_ashrrev_i32_e32 v24, s1, v24
	v_ashrrev_i32_e32 v26, s1, v26
	v_sub_nc_u16 v170, v183, v170
	v_bfe_u32 v183, v160, 24, 2
	v_and_b32_e32 v160, 0x3030303, v160
	v_lshrrev_b32_e32 v188, 24, v146
	v_lshrrev_b32_e32 v189, 16, v146
	;; [unrolled: 1-line block ×3, first 2 shown]
	v_sub_nc_u16 v183, v183, v184
	v_lshrrev_b32_e32 v184, 16, v160
	v_lshrrev_b32_e32 v191, 16, v147
	v_lshlrev_b16 v170, 8, v170
	v_lshlrev_b32_e32 v24, 2, v24
	v_lshlrev_b16 v183, 8, v183
	v_sub_nc_u16 v184, v184, v185
	v_lshrrev_b16 v185, 8, v160
	v_sub_nc_u16 v160, v160, v172
	v_lshrrev_b16 v172, 8, v172
	v_and_b32_e32 v24, 0x4040404, v24
	v_lshlrev_b32_e32 v26, 2, v26
	s_waitcnt lgkmcnt(1)
	v_ashrrev_i32_e32 v28, s1, v28
	v_and_b32_e32 v2, 0x4040404, v2
	v_sub_nc_u16 v172, v185, v172
	v_bfe_u32 v185, v161, 24, 2
	v_and_b32_e32 v161, 0x3030303, v161
	v_and_b32_e32 v26, 0x4040404, v26
	v_lshlrev_b32_e32 v28, 2, v28
	v_lshlrev_b16 v172, 8, v172
	v_sub_nc_u16 v185, v185, v186
	v_lshrrev_b32_e32 v186, 16, v161
	v_ashrrev_i32_e32 v4, s25, v4
	v_and_b32_e32 v28, 0x4040404, v28
	v_ashrrev_i32_e32 v6, s1, v6
	v_lshlrev_b16 v185, 8, v185
	v_sub_nc_u16 v186, v186, v187
	v_lshrrev_b16 v187, 8, v161
	v_sub_nc_u16 v161, v161, v173
	v_lshrrev_b16 v173, 8, v173
	v_lshlrev_b32_e32 v6, 2, v6
	s_waitcnt lgkmcnt(0)
	v_ashrrev_i32_e32 v12, s25, v12
	v_and_b32_e32 v3, 0x4040404, v3
	v_ashrrev_i32_e32 v5, s25, v5
	v_sub_nc_u16 v173, v187, v173
	v_bfe_u32 v187, v163, 24, 2
	v_and_b32_e32 v163, 0x3030303, v163
	v_and_b32_e32 v6, 0x4040404, v6
	v_ashrrev_i32_e32 v7, s1, v7
	v_lshlrev_b16 v173, 8, v173
	v_sub_nc_u16 v187, v187, v188
	v_lshrrev_b32_e32 v188, 16, v163
	v_ashrrev_i32_e32 v13, s25, v13
	v_lshlrev_b32_e32 v7, 2, v7
	s_delay_alu instid0(VALU_DEP_4) | instskip(NEXT) | instid1(VALU_DEP_4)
	v_lshlrev_b16 v187, 8, v187
	v_sub_nc_u16 v188, v188, v189
	v_lshrrev_b16 v189, 8, v163
	v_sub_nc_u16 v163, v163, v146
	v_lshrrev_b16 v146, 8, v146
	v_and_b32_e32 v7, 0x4040404, v7
	s_delay_alu instid0(VALU_DEP_2) | instskip(SKIP_2) | instid1(VALU_DEP_3)
	v_sub_nc_u16 v146, v189, v146
	v_bfe_u32 v189, v164, 24, 2
	v_and_b32_e32 v164, 0x3030303, v164
	v_lshlrev_b16 v146, 8, v146
	s_delay_alu instid0(VALU_DEP_3) | instskip(NEXT) | instid1(VALU_DEP_3)
	v_sub_nc_u16 v189, v189, v190
	v_lshrrev_b32_e32 v190, 16, v164
	s_delay_alu instid0(VALU_DEP_2) | instskip(NEXT) | instid1(VALU_DEP_2)
	v_lshlrev_b16 v189, 8, v189
	v_sub_nc_u16 v190, v190, v191
	v_lshrrev_b16 v191, 8, v164
	v_sub_nc_u16 v164, v164, v147
	v_lshrrev_b16 v147, 8, v147
	s_delay_alu instid0(VALU_DEP_1) | instskip(SKIP_1) | instid1(VALU_DEP_2)
	v_sub_nc_u16 v147, v191, v147
	v_and_b32_e32 v191, 0xff, v176
	v_lshlrev_b16 v147, 8, v147
	s_delay_alu instid0(VALU_DEP_2) | instskip(SKIP_1) | instid1(VALU_DEP_2)
	v_or_b32_e32 v175, v191, v175
	v_and_b32_e32 v191, 0xff, v153
	v_perm_b32 v153, v153, v175, 0x4010c0c
	s_delay_alu instid0(VALU_DEP_2) | instskip(SKIP_1) | instid1(VALU_DEP_2)
	v_or_b32_e32 v166, v191, v166
	v_and_b32_e32 v191, 0xff, v178
	v_perm_b32 v166, v176, v166, 0xc0c0401
	s_delay_alu instid0(VALU_DEP_2) | instskip(SKIP_1) | instid1(VALU_DEP_3)
	v_or_b32_e32 v177, v191, v177
	v_and_b32_e32 v191, 0xff, v154
	v_or_b32_e32 v153, v153, v166
	s_delay_alu instid0(VALU_DEP_3) | instskip(NEXT) | instid1(VALU_DEP_3)
	v_perm_b32 v154, v154, v177, 0x4010c0c
	v_or_b32_e32 v167, v191, v167
	v_and_b32_e32 v191, 0xff, v180
	s_delay_alu instid0(VALU_DEP_4) | instskip(NEXT) | instid1(VALU_DEP_3)
	v_dot4_i32_iu8 v153, v153, v151, 0 neg_lo:[1,1,0]
	v_perm_b32 v167, v178, v167, 0xc0c0401
	s_delay_alu instid0(VALU_DEP_3) | instskip(SKIP_1) | instid1(VALU_DEP_3)
	v_or_b32_e32 v179, v191, v179
	v_and_b32_e32 v191, 0xff, v155
	v_or_b32_e32 v154, v154, v167
	s_delay_alu instid0(VALU_DEP_3) | instskip(NEXT) | instid1(VALU_DEP_3)
	v_perm_b32 v155, v155, v179, 0x4010c0c
	v_or_b32_e32 v169, v191, v169
	v_and_b32_e32 v191, 0xff, v182
	s_delay_alu instid0(VALU_DEP_2) | instskip(NEXT) | instid1(VALU_DEP_2)
	v_perm_b32 v169, v180, v169, 0xc0c0401
	v_or_b32_e32 v181, v191, v181
	v_and_b32_e32 v191, 0xff, v156
	s_delay_alu instid0(VALU_DEP_3) | instskip(NEXT) | instid1(VALU_DEP_3)
	v_or_b32_e32 v155, v155, v169
	v_perm_b32 v156, v156, v181, 0x4010c0c
	s_delay_alu instid0(VALU_DEP_3) | instskip(SKIP_1) | instid1(VALU_DEP_4)
	v_or_b32_e32 v170, v191, v170
	v_and_b32_e32 v191, 0xff, v184
	v_dot4_i32_iu8 v155, v155, v151, 0 neg_lo:[1,1,0]
	s_delay_alu instid0(VALU_DEP_3) | instskip(NEXT) | instid1(VALU_DEP_3)
	v_perm_b32 v170, v182, v170, 0xc0c0401
	v_or_b32_e32 v183, v191, v183
	v_and_b32_e32 v191, 0xff, v160
	s_delay_alu instid0(VALU_DEP_3) | instskip(NEXT) | instid1(VALU_DEP_3)
	v_or_b32_e32 v156, v156, v170
	v_perm_b32 v160, v160, v183, 0x4010c0c
	s_delay_alu instid0(VALU_DEP_3) | instskip(SKIP_1) | instid1(VALU_DEP_2)
	v_or_b32_e32 v172, v191, v172
	v_and_b32_e32 v191, 0xff, v186
	v_perm_b32 v172, v184, v172, 0xc0c0401
	s_delay_alu instid0(VALU_DEP_2) | instskip(SKIP_1) | instid1(VALU_DEP_3)
	v_or_b32_e32 v185, v191, v185
	v_and_b32_e32 v191, 0xff, v161
	v_or_b32_e32 v160, v160, v172
	s_delay_alu instid0(VALU_DEP_3) | instskip(NEXT) | instid1(VALU_DEP_3)
	v_perm_b32 v161, v161, v185, 0x4010c0c
	v_or_b32_e32 v173, v191, v173
	v_and_b32_e32 v191, 0xff, v188
	s_delay_alu instid0(VALU_DEP_4) | instskip(NEXT) | instid1(VALU_DEP_3)
	v_dot4_i32_iu8 v160, v160, v151, 0 neg_lo:[1,1,0]
	v_perm_b32 v173, v186, v173, 0xc0c0401
	s_delay_alu instid0(VALU_DEP_3) | instskip(SKIP_1) | instid1(VALU_DEP_3)
	v_or_b32_e32 v187, v191, v187
	v_and_b32_e32 v191, 0xff, v163
	v_or_b32_e32 v161, v161, v173
	s_delay_alu instid0(VALU_DEP_3) | instskip(NEXT) | instid1(VALU_DEP_3)
	v_perm_b32 v163, v163, v187, 0x4010c0c
	v_or_b32_e32 v146, v191, v146
	v_and_b32_e32 v191, 0xff, v190
	s_delay_alu instid0(VALU_DEP_4) | instskip(NEXT) | instid1(VALU_DEP_3)
	v_dot4_i32_iu8 v160, v161, v152, v160 neg_lo:[1,1,0]
	v_perm_b32 v146, v188, v146, 0xc0c0401
	s_delay_alu instid0(VALU_DEP_3) | instskip(SKIP_1) | instid1(VALU_DEP_3)
	v_or_b32_e32 v189, v191, v189
	v_and_b32_e32 v191, 0xff, v164
	v_or_b32_e32 v146, v163, v146
	s_delay_alu instid0(VALU_DEP_3) | instskip(NEXT) | instid1(VALU_DEP_3)
	v_perm_b32 v164, v164, v189, 0x4010c0c
	v_or_b32_e32 v147, v191, v147
	v_dot4_i32_iu8 v163, v154, v152, v153 neg_lo:[1,1,0]
	s_delay_alu instid0(VALU_DEP_4) | instskip(SKIP_1) | instid1(VALU_DEP_4)
	v_dot4_i32_iu8 v146, v146, v151, 0 neg_lo:[1,1,0]
	v_add_nc_u32_e32 v151, s28, v91
	v_perm_b32 v147, v190, v147, 0xc0c0401
	s_delay_alu instid0(VALU_DEP_1) | instskip(SKIP_2) | instid1(VALU_DEP_3)
	v_or_b32_e32 v147, v164, v147
	v_dot4_i32_iu8 v164, v156, v152, v155 neg_lo:[1,1,0]
	v_add_nc_u32_e32 v156, 0x4218, v174
	v_dot4_i32_iu8 v161, v147, v152, v146 neg_lo:[1,1,0]
	ds_load_2addr_b32 v[146:147], v148 offset0:4 offset1:5
	s_waitcnt lgkmcnt(0)
	v_ashrrev_i32_e32 v166, s25, v146
	v_ashrrev_i32_e32 v167, s25, v147
	ds_load_2addr_b32 v[146:147], v149 offset0:4 offset1:5
	v_add_nc_u32_e32 v149, 0x4218, v168
	s_waitcnt lgkmcnt(0)
	v_ashrrev_i32_e32 v169, s25, v146
	v_ashrrev_i32_e32 v170, s25, v147
	ds_load_2addr_b32 v[146:147], v157 offset0:4 offset1:5
	s_waitcnt lgkmcnt(0)
	v_ashrrev_i32_e32 v172, s25, v146
	v_ashrrev_i32_e32 v173, s25, v147
	ds_load_2addr_b32 v[146:147], v162 offset0:4 offset1:5
	s_waitcnt lgkmcnt(0)
	v_ashrrev_i32_e32 v162, s25, v146
	v_add_nc_u32_e32 v146, 0x4210, v165
	v_ashrrev_i32_e32 v175, s25, v147
	ds_load_2addr_b32 v[146:147], v146 offset1:1
	s_waitcnt lgkmcnt(0)
	v_ashrrev_i32_e32 v165, s1, v146
	v_add3_u32 v146, v111, s26, v151
	v_ashrrev_i32_e32 v176, s1, v147
	v_add_nc_u32_e32 v147, 0x4210, v168
	s_delay_alu instid0(VALU_DEP_4)
	v_lshlrev_b32_e32 v165, 2, v165
	ds_load_u16 v148, v146 offset:26370
	v_add_nc_u32_e32 v146, s27, v97
	ds_load_b32 v146, v146
	ds_load_2addr_b32 v[152:153], v147 offset1:1
	ds_load_2addr_b32 v[154:155], v149 offset1:1
	v_add_nc_u32_e32 v147, 0x4210, v171
	v_and_b32_e32 v165, 0x4040404, v165
	v_lshlrev_b32_e32 v176, 2, v176
	s_delay_alu instid0(VALU_DEP_2) | instskip(SKIP_1) | instid1(VALU_DEP_3)
	v_lshrrev_b32_e32 v179, 24, v165
	v_lshrrev_b32_e32 v180, 16, v165
	v_and_b32_e32 v176, 0x4040404, v176
	s_delay_alu instid0(VALU_DEP_1)
	v_lshrrev_b32_e32 v181, 24, v176
	v_lshrrev_b32_e32 v182, 16, v176
	s_waitcnt lgkmcnt(1)
	v_ashrrev_i32_e32 v168, s1, v152
	v_ashrrev_i32_e32 v177, s1, v153
	ds_load_2addr_b32 v[152:153], v147 offset1:1
	v_add3_u32 v147, v109, s26, v151
	v_lshlrev_b32_e32 v168, 2, v168
	v_lshlrev_b32_e32 v177, 2, v177
	ds_load_u16 v149, v147 offset:28418
	v_add_nc_u32_e32 v147, s27, v104
	v_and_b32_e32 v168, 0x4040404, v168
	v_and_b32_e32 v177, 0x4040404, v177
	s_delay_alu instid0(VALU_DEP_2) | instskip(SKIP_1) | instid1(VALU_DEP_3)
	v_lshrrev_b32_e32 v183, 24, v168
	v_lshrrev_b32_e32 v184, 16, v168
	;; [unrolled: 1-line block ×4, first 2 shown]
	s_waitcnt lgkmcnt(1)
	v_ashrrev_i32_e32 v171, s1, v152
	v_add_nc_u32_e32 v152, 0x4210, v174
	v_bfe_u32 v174, v166, 24, 2
	v_and_b32_e32 v166, 0x3030303, v166
	v_ashrrev_i32_e32 v178, s1, v153
	v_lshlrev_b32_e32 v171, 2, v171
	ds_load_b32 v147, v147
	ds_load_2addr_b32 v[152:153], v152 offset1:1
	ds_load_2addr_b32 v[156:157], v156 offset1:1
	v_sub_nc_u16 v174, v174, v179
	v_lshrrev_b32_e32 v179, 16, v166
	v_lshlrev_b32_e32 v178, 2, v178
	v_and_b32_e32 v171, 0x4040404, v171
	s_delay_alu instid0(VALU_DEP_4) | instskip(NEXT) | instid1(VALU_DEP_4)
	v_lshlrev_b16 v174, 8, v174
	v_sub_nc_u16 v179, v179, v180
	v_lshrrev_b16 v180, 8, v166
	v_sub_nc_u16 v166, v166, v165
	v_lshrrev_b16 v165, 8, v165
	v_lshrrev_b32_e32 v187, 24, v171
	v_lshrrev_b32_e32 v188, 16, v171
	v_and_b32_e32 v178, 0x4040404, v178
	s_delay_alu instid0(VALU_DEP_4) | instskip(SKIP_2) | instid1(VALU_DEP_4)
	v_sub_nc_u16 v165, v180, v165
	v_bfe_u32 v180, v167, 24, 2
	v_and_b32_e32 v167, 0x3030303, v167
	v_lshrrev_b32_e32 v189, 24, v178
	s_waitcnt lgkmcnt(1)
	v_ashrrev_i32_e32 v152, s1, v152
	v_lshrrev_b32_e32 v190, 16, v178
	v_sub_nc_u16 v180, v180, v181
	v_lshrrev_b32_e32 v181, 16, v167
	v_ashrrev_i32_e32 v153, s1, v153
	v_lshlrev_b32_e32 v152, 2, v152
	v_lshlrev_b16 v165, 8, v165
	v_lshlrev_b16 v180, 8, v180
	v_sub_nc_u16 v181, v181, v182
	v_lshrrev_b16 v182, 8, v167
	v_sub_nc_u16 v167, v167, v176
	v_lshrrev_b16 v176, 8, v176
	v_and_b32_e32 v152, 0x4040404, v152
	v_lshlrev_b32_e32 v153, 2, v153
	s_waitcnt lgkmcnt(0)
	v_ashrrev_i32_e32 v156, s1, v156
	v_sub_nc_u16 v176, v182, v176
	v_bfe_u32 v182, v169, 24, 2
	v_and_b32_e32 v169, 0x3030303, v169
	v_lshrrev_b32_e32 v191, 24, v152
	v_lshrrev_b32_e32 v192, 16, v152
	v_and_b32_e32 v153, 0x4040404, v153
	v_sub_nc_u16 v182, v182, v183
	v_lshrrev_b32_e32 v183, 16, v169
	v_lshlrev_b16 v176, 8, v176
	v_lshlrev_b32_e32 v156, 2, v156
	v_lshrrev_b32_e32 v193, 24, v153
	v_lshrrev_b32_e32 v194, 16, v153
	v_sub_nc_u16 v183, v183, v184
	v_lshrrev_b16 v184, 8, v169
	v_sub_nc_u16 v169, v169, v168
	v_lshrrev_b16 v168, 8, v168
	v_lshlrev_b16 v182, 8, v182
	v_and_b32_e32 v156, 0x4040404, v156
	s_delay_alu instid0(VALU_DEP_3) | instskip(SKIP_2) | instid1(VALU_DEP_3)
	v_sub_nc_u16 v168, v184, v168
	v_bfe_u32 v184, v170, 24, 2
	v_and_b32_e32 v170, 0x3030303, v170
	v_lshlrev_b16 v168, 8, v168
	s_delay_alu instid0(VALU_DEP_3) | instskip(NEXT) | instid1(VALU_DEP_3)
	v_sub_nc_u16 v184, v184, v185
	v_lshrrev_b32_e32 v185, 16, v170
	s_delay_alu instid0(VALU_DEP_2) | instskip(NEXT) | instid1(VALU_DEP_2)
	v_lshlrev_b16 v184, 8, v184
	v_sub_nc_u16 v185, v185, v186
	v_lshrrev_b16 v186, 8, v170
	v_sub_nc_u16 v170, v170, v177
	v_lshrrev_b16 v177, 8, v177
	s_delay_alu instid0(VALU_DEP_1) | instskip(SKIP_2) | instid1(VALU_DEP_3)
	v_sub_nc_u16 v177, v186, v177
	v_bfe_u32 v186, v172, 24, 2
	v_and_b32_e32 v172, 0x3030303, v172
	v_lshlrev_b16 v177, 8, v177
	s_delay_alu instid0(VALU_DEP_3) | instskip(NEXT) | instid1(VALU_DEP_3)
	v_sub_nc_u16 v186, v186, v187
	v_lshrrev_b32_e32 v187, 16, v172
	s_delay_alu instid0(VALU_DEP_2) | instskip(NEXT) | instid1(VALU_DEP_2)
	v_lshlrev_b16 v186, 8, v186
	v_sub_nc_u16 v187, v187, v188
	v_lshrrev_b16 v188, 8, v172
	v_sub_nc_u16 v172, v172, v171
	v_lshrrev_b16 v171, 8, v171
	s_delay_alu instid0(VALU_DEP_1) | instskip(SKIP_2) | instid1(VALU_DEP_3)
	v_sub_nc_u16 v171, v188, v171
	v_bfe_u32 v188, v173, 24, 2
	v_and_b32_e32 v173, 0x3030303, v173
	v_lshlrev_b16 v171, 8, v171
	s_delay_alu instid0(VALU_DEP_3) | instskip(NEXT) | instid1(VALU_DEP_3)
	v_sub_nc_u16 v188, v188, v189
	v_lshrrev_b32_e32 v189, 16, v173
	s_delay_alu instid0(VALU_DEP_2) | instskip(NEXT) | instid1(VALU_DEP_2)
	v_lshlrev_b16 v188, 8, v188
	v_sub_nc_u16 v189, v189, v190
	v_lshrrev_b16 v190, 8, v173
	v_sub_nc_u16 v173, v173, v178
	v_lshrrev_b16 v178, 8, v178
	s_delay_alu instid0(VALU_DEP_1) | instskip(SKIP_2) | instid1(VALU_DEP_3)
	v_sub_nc_u16 v178, v190, v178
	v_bfe_u32 v190, v162, 24, 2
	v_and_b32_e32 v162, 0x3030303, v162
	v_lshlrev_b16 v178, 8, v178
	s_delay_alu instid0(VALU_DEP_3) | instskip(NEXT) | instid1(VALU_DEP_3)
	v_sub_nc_u16 v190, v190, v191
	v_lshrrev_b32_e32 v191, 16, v162
	s_delay_alu instid0(VALU_DEP_2) | instskip(NEXT) | instid1(VALU_DEP_2)
	v_lshlrev_b16 v190, 8, v190
	v_sub_nc_u16 v191, v191, v192
	v_lshrrev_b16 v192, 8, v162
	v_sub_nc_u16 v162, v162, v152
	v_lshrrev_b16 v152, 8, v152
	s_delay_alu instid0(VALU_DEP_1) | instskip(SKIP_2) | instid1(VALU_DEP_3)
	v_sub_nc_u16 v152, v192, v152
	v_bfe_u32 v192, v175, 24, 2
	v_and_b32_e32 v175, 0x3030303, v175
	v_lshlrev_b16 v152, 8, v152
	s_delay_alu instid0(VALU_DEP_3) | instskip(NEXT) | instid1(VALU_DEP_3)
	v_sub_nc_u16 v192, v192, v193
	v_lshrrev_b32_e32 v193, 16, v175
	s_delay_alu instid0(VALU_DEP_2) | instskip(NEXT) | instid1(VALU_DEP_2)
	v_lshlrev_b16 v192, 8, v192
	v_sub_nc_u16 v193, v193, v194
	v_lshrrev_b16 v194, 8, v175
	v_sub_nc_u16 v175, v175, v153
	v_lshrrev_b16 v153, 8, v153
	s_delay_alu instid0(VALU_DEP_1) | instskip(SKIP_1) | instid1(VALU_DEP_2)
	v_sub_nc_u16 v153, v194, v153
	v_and_b32_e32 v194, 0xff, v179
	v_lshlrev_b16 v153, 8, v153
	s_delay_alu instid0(VALU_DEP_2) | instskip(SKIP_1) | instid1(VALU_DEP_2)
	v_or_b32_e32 v174, v194, v174
	v_and_b32_e32 v194, 0xff, v166
	v_perm_b32 v166, v166, v174, 0x4010c0c
	s_delay_alu instid0(VALU_DEP_2) | instskip(SKIP_1) | instid1(VALU_DEP_2)
	v_or_b32_e32 v165, v194, v165
	v_and_b32_e32 v194, 0xff, v181
	v_perm_b32 v165, v179, v165, 0xc0c0401
	s_delay_alu instid0(VALU_DEP_2) | instskip(SKIP_1) | instid1(VALU_DEP_3)
	v_or_b32_e32 v180, v194, v180
	v_and_b32_e32 v194, 0xff, v167
	v_or_b32_e32 v165, v166, v165
	s_delay_alu instid0(VALU_DEP_3) | instskip(NEXT) | instid1(VALU_DEP_3)
	v_perm_b32 v167, v167, v180, 0x4010c0c
	v_or_b32_e32 v176, v194, v176
	v_and_b32_e32 v194, 0xff, v183
	s_delay_alu instid0(VALU_DEP_2) | instskip(NEXT) | instid1(VALU_DEP_2)
	v_perm_b32 v174, v181, v176, 0xc0c0401
	v_or_b32_e32 v182, v194, v182
	v_and_b32_e32 v194, 0xff, v169
	s_delay_alu instid0(VALU_DEP_3) | instskip(NEXT) | instid1(VALU_DEP_3)
	v_or_b32_e32 v166, v167, v174
	v_perm_b32 v169, v169, v182, 0x4010c0c
	s_delay_alu instid0(VALU_DEP_3) | instskip(SKIP_1) | instid1(VALU_DEP_2)
	v_or_b32_e32 v168, v194, v168
	v_and_b32_e32 v194, 0xff, v185
	v_perm_b32 v168, v183, v168, 0xc0c0401
	s_delay_alu instid0(VALU_DEP_2) | instskip(SKIP_1) | instid1(VALU_DEP_3)
	v_or_b32_e32 v184, v194, v184
	v_and_b32_e32 v194, 0xff, v170
	v_or_b32_e32 v167, v169, v168
	s_delay_alu instid0(VALU_DEP_3) | instskip(NEXT) | instid1(VALU_DEP_3)
	v_perm_b32 v170, v170, v184, 0x4010c0c
	v_or_b32_e32 v177, v194, v177
	v_and_b32_e32 v194, 0xff, v187
	s_delay_alu instid0(VALU_DEP_2) | instskip(NEXT) | instid1(VALU_DEP_2)
	v_perm_b32 v176, v185, v177, 0xc0c0401
	v_or_b32_e32 v186, v194, v186
	v_and_b32_e32 v194, 0xff, v172
	s_delay_alu instid0(VALU_DEP_3) | instskip(NEXT) | instid1(VALU_DEP_3)
	v_or_b32_e32 v168, v170, v176
	v_perm_b32 v172, v172, v186, 0x4010c0c
	s_delay_alu instid0(VALU_DEP_3) | instskip(SKIP_1) | instid1(VALU_DEP_2)
	v_or_b32_e32 v171, v194, v171
	v_and_b32_e32 v194, 0xff, v189
	v_perm_b32 v171, v187, v171, 0xc0c0401
	s_delay_alu instid0(VALU_DEP_2) | instskip(SKIP_1) | instid1(VALU_DEP_3)
	v_or_b32_e32 v188, v194, v188
	v_and_b32_e32 v194, 0xff, v173
	v_or_b32_e32 v169, v172, v171
	s_delay_alu instid0(VALU_DEP_3) | instskip(NEXT) | instid1(VALU_DEP_3)
	v_perm_b32 v173, v173, v188, 0x4010c0c
	v_or_b32_e32 v178, v194, v178
	v_and_b32_e32 v194, 0xff, v191
	v_lshrrev_b32_e32 v171, 24, v28
	v_lshrrev_b32_e32 v172, 16, v28
	s_delay_alu instid0(VALU_DEP_4) | instskip(NEXT) | instid1(VALU_DEP_4)
	v_perm_b32 v177, v189, v178, 0xc0c0401
	v_or_b32_e32 v190, v194, v190
	v_and_b32_e32 v194, 0xff, v162
	s_delay_alu instid0(VALU_DEP_3) | instskip(NEXT) | instid1(VALU_DEP_3)
	v_or_b32_e32 v170, v173, v177
	v_perm_b32 v162, v162, v190, 0x4010c0c
	s_delay_alu instid0(VALU_DEP_3) | instskip(SKIP_1) | instid1(VALU_DEP_2)
	v_or_b32_e32 v152, v194, v152
	v_and_b32_e32 v194, 0xff, v193
	v_perm_b32 v152, v191, v152, 0xc0c0401
	s_delay_alu instid0(VALU_DEP_2) | instskip(SKIP_1) | instid1(VALU_DEP_3)
	v_or_b32_e32 v192, v194, v192
	v_and_b32_e32 v194, 0xff, v175
	v_or_b32_e32 v152, v162, v152
	s_delay_alu instid0(VALU_DEP_3) | instskip(NEXT) | instid1(VALU_DEP_3)
	v_perm_b32 v175, v175, v192, 0x4010c0c
	v_or_b32_e32 v153, v194, v153
	v_dot4_i32_iu8 v162, v165, v158, 0 neg_lo:[1,1,0]
	v_dot4_i32_iu8 v165, v167, v158, 0 neg_lo:[1,1,0]
	;; [unrolled: 1-line block ×4, first 2 shown]
	v_perm_b32 v153, v193, v153, 0xc0c0401
	v_dot4_i32_iu8 v158, v166, v159, v162 neg_lo:[1,1,0]
	v_dot4_i32_iu8 v162, v168, v159, v165 neg_lo:[1,1,0]
	;; [unrolled: 1-line block ×3, first 2 shown]
	v_lshrrev_b32_e32 v166, 16, v22
	v_or_b32_e32 v153, v175, v153
	v_lshrrev_b32_e32 v167, 24, v24
	v_lshrrev_b32_e32 v168, 16, v24
	;; [unrolled: 1-line block ×4, first 2 shown]
	v_dot4_i32_iu8 v152, v153, v159, v152 neg_lo:[1,1,0]
	v_bfe_u32 v153, v14, 24, 2
	v_lshrrev_b32_e32 v159, 24, v22
	v_and_b32_e32 v14, 0x3030303, v14
	s_delay_alu instid0(VALU_DEP_2) | instskip(NEXT) | instid1(VALU_DEP_2)
	v_sub_nc_u16 v153, v153, v159
	v_lshrrev_b32_e32 v159, 16, v14
	s_delay_alu instid0(VALU_DEP_2) | instskip(NEXT) | instid1(VALU_DEP_2)
	v_lshlrev_b16 v153, 8, v153
	v_sub_nc_u16 v159, v159, v166
	v_lshrrev_b16 v166, 8, v14
	v_sub_nc_u16 v14, v14, v22
	v_lshrrev_b16 v22, 8, v22
	s_delay_alu instid0(VALU_DEP_1) | instskip(SKIP_2) | instid1(VALU_DEP_3)
	v_sub_nc_u16 v22, v166, v22
	v_bfe_u32 v166, v16, 24, 2
	v_and_b32_e32 v16, 0x3030303, v16
	v_lshlrev_b16 v22, 8, v22
	s_delay_alu instid0(VALU_DEP_3) | instskip(NEXT) | instid1(VALU_DEP_3)
	v_sub_nc_u16 v166, v166, v167
	v_lshrrev_b32_e32 v167, 16, v16
	s_delay_alu instid0(VALU_DEP_2) | instskip(NEXT) | instid1(VALU_DEP_2)
	v_lshlrev_b16 v166, 8, v166
	v_sub_nc_u16 v167, v167, v168
	v_lshrrev_b16 v168, 8, v16
	v_sub_nc_u16 v16, v16, v24
	v_lshrrev_b16 v24, 8, v24
	s_delay_alu instid0(VALU_DEP_1) | instskip(SKIP_2) | instid1(VALU_DEP_3)
	v_sub_nc_u16 v24, v168, v24
	v_bfe_u32 v168, v18, 24, 2
	v_and_b32_e32 v18, 0x3030303, v18
	v_lshlrev_b16 v24, 8, v24
	s_delay_alu instid0(VALU_DEP_3) | instskip(NEXT) | instid1(VALU_DEP_3)
	;; [unrolled: 14-line block ×3, first 2 shown]
	v_sub_nc_u16 v170, v170, v171
	v_lshrrev_b32_e32 v171, 16, v20
	s_delay_alu instid0(VALU_DEP_2) | instskip(NEXT) | instid1(VALU_DEP_2)
	v_lshlrev_b16 v170, 8, v170
	v_sub_nc_u16 v171, v171, v172
	v_lshrrev_b16 v172, 8, v20
	v_sub_nc_u16 v20, v20, v28
	v_lshrrev_b16 v28, 8, v28
	s_delay_alu instid0(VALU_DEP_1) | instskip(SKIP_1) | instid1(VALU_DEP_2)
	v_sub_nc_u16 v28, v172, v28
	v_and_b32_e32 v172, 0xff, v159
	v_lshlrev_b16 v28, 8, v28
	s_delay_alu instid0(VALU_DEP_2) | instskip(SKIP_1) | instid1(VALU_DEP_2)
	v_or_b32_e32 v153, v172, v153
	v_and_b32_e32 v172, 0xff, v14
	v_perm_b32 v14, v14, v153, 0x4010c0c
	s_delay_alu instid0(VALU_DEP_2) | instskip(SKIP_1) | instid1(VALU_DEP_2)
	v_or_b32_e32 v22, v172, v22
	v_and_b32_e32 v172, 0xff, v167
	v_perm_b32 v22, v159, v22, 0xc0c0401
	s_delay_alu instid0(VALU_DEP_2) | instskip(SKIP_2) | instid1(VALU_DEP_4)
	v_or_b32_e32 v166, v172, v166
	v_and_b32_e32 v172, 0xff, v16
	v_lshrrev_b32_e32 v159, 16, v6
	v_or_b32_e32 v14, v14, v22
	s_delay_alu instid0(VALU_DEP_4) | instskip(NEXT) | instid1(VALU_DEP_4)
	v_perm_b32 v16, v16, v166, 0x4010c0c
	v_or_b32_e32 v24, v172, v24
	v_and_b32_e32 v172, 0xff, v169
	v_bfe_u32 v22, v10, 24, 2
	v_and_b32_e32 v10, 0x3030303, v10
	v_dot4_i32_iu8 v14, v14, v150, v163 neg_lo:[1,1,0]
	v_perm_b32 v24, v167, v24, 0xc0c0401
	v_or_b32_e32 v168, v172, v168
	v_and_b32_e32 v172, 0xff, v18
	s_delay_alu instid0(VALU_DEP_3) | instskip(NEXT) | instid1(VALU_DEP_3)
	v_or_b32_e32 v16, v16, v24
	v_perm_b32 v18, v18, v168, 0x4010c0c
	s_delay_alu instid0(VALU_DEP_3) | instskip(SKIP_3) | instid1(VALU_DEP_4)
	v_or_b32_e32 v26, v172, v26
	v_lshrrev_b32_e32 v24, 24, v2
	v_and_b32_e32 v172, 0xff, v171
	v_dot4_i32_iu8 v16, v16, v150, v164 neg_lo:[1,1,0]
	v_perm_b32 v26, v169, v26, 0xc0c0401
	s_delay_alu instid0(VALU_DEP_4)
	v_sub_nc_u16 v22, v22, v24
	v_lshrrev_b32_e32 v24, 16, v10
	v_or_b32_e32 v170, v172, v170
	v_and_b32_e32 v172, 0xff, v20
	v_or_b32_e32 v18, v18, v26
	v_lshrrev_b32_e32 v26, 16, v2
	v_lshlrev_b16 v22, 8, v22
	v_perm_b32 v20, v20, v170, 0x4010c0c
	v_or_b32_e32 v28, v172, v28
	v_dot4_i32_iu8 v18, v18, v150, v160 neg_lo:[1,1,0]
	v_sub_nc_u16 v24, v24, v26
	v_lshrrev_b16 v26, 8, v10
	v_sub_nc_u16 v10, v10, v2
	v_lshrrev_b16 v2, 8, v2
	v_perm_b32 v28, v171, v28, 0xc0c0401
	v_lshrrev_b32_e32 v160, 24, v156
	s_delay_alu instid0(VALU_DEP_3) | instskip(SKIP_1) | instid1(VALU_DEP_4)
	v_sub_nc_u16 v2, v26, v2
	v_ashrrev_i32_e32 v26, s1, v154
	v_or_b32_e32 v20, v20, v28
	v_bfe_u32 v28, v4, 24, 2
	v_and_b32_e32 v4, 0x3030303, v4
	v_lshrrev_b32_e32 v154, 24, v6
	v_lshlrev_b32_e32 v26, 2, v26
	v_dot4_i32_iu8 v20, v20, v150, v161 neg_lo:[1,1,0]
	v_lshrrev_b32_e32 v161, 16, v156
	v_lshlrev_b16 v2, 8, v2
	s_delay_alu instid0(VALU_DEP_4) | instskip(NEXT) | instid1(VALU_DEP_1)
	v_and_b32_e32 v26, 0x4040404, v26
	v_lshrrev_b32_e32 v150, 24, v26
	v_lshrrev_b32_e32 v153, 16, v26
	s_delay_alu instid0(VALU_DEP_2) | instskip(SKIP_1) | instid1(VALU_DEP_2)
	v_sub_nc_u16 v28, v28, v150
	v_lshrrev_b32_e32 v150, 16, v4
	v_lshlrev_b16 v28, 8, v28
	s_delay_alu instid0(VALU_DEP_2) | instskip(SKIP_3) | instid1(VALU_DEP_1)
	v_sub_nc_u16 v150, v150, v153
	v_lshrrev_b16 v153, 8, v4
	v_sub_nc_u16 v4, v4, v26
	v_lshrrev_b16 v26, 8, v26
	v_sub_nc_u16 v26, v153, v26
	v_bfe_u32 v153, v0, 24, 2
	v_and_b32_e32 v0, 0x3030303, v0
	s_delay_alu instid0(VALU_DEP_3) | instskip(NEXT) | instid1(VALU_DEP_3)
	v_lshlrev_b16 v26, 8, v26
	v_sub_nc_u16 v153, v153, v154
	s_delay_alu instid0(VALU_DEP_3) | instskip(NEXT) | instid1(VALU_DEP_2)
	v_lshrrev_b32_e32 v154, 16, v0
	v_lshlrev_b16 v153, 8, v153
	s_delay_alu instid0(VALU_DEP_2) | instskip(SKIP_3) | instid1(VALU_DEP_1)
	v_sub_nc_u16 v154, v154, v159
	v_lshrrev_b16 v159, 8, v0
	v_sub_nc_u16 v0, v0, v6
	v_lshrrev_b16 v6, 8, v6
	v_sub_nc_u16 v6, v159, v6
	v_bfe_u32 v159, v12, 24, 2
	v_and_b32_e32 v12, 0x3030303, v12
	s_delay_alu instid0(VALU_DEP_3) | instskip(NEXT) | instid1(VALU_DEP_3)
	v_lshlrev_b16 v6, 8, v6
	v_sub_nc_u16 v159, v159, v160
	s_delay_alu instid0(VALU_DEP_3) | instskip(NEXT) | instid1(VALU_DEP_2)
	v_lshrrev_b32_e32 v160, 16, v12
	v_lshlrev_b16 v159, 8, v159
	s_delay_alu instid0(VALU_DEP_2) | instskip(SKIP_3) | instid1(VALU_DEP_1)
	v_sub_nc_u16 v160, v160, v161
	v_lshrrev_b16 v161, 8, v12
	v_sub_nc_u16 v12, v12, v156
	v_lshrrev_b16 v156, 8, v156
	v_sub_nc_u16 v156, v161, v156
	v_and_b32_e32 v161, 0xff, v24
	s_delay_alu instid0(VALU_DEP_2) | instskip(NEXT) | instid1(VALU_DEP_2)
	v_lshlrev_b16 v156, 8, v156
	v_or_b32_e32 v22, v161, v22
	v_and_b32_e32 v161, 0xff, v10
	s_delay_alu instid0(VALU_DEP_2) | instskip(NEXT) | instid1(VALU_DEP_2)
	v_perm_b32 v10, v10, v22, 0x4010c0c
	v_or_b32_e32 v2, v161, v2
	v_and_b32_e32 v161, 0xff, v150
	s_delay_alu instid0(VALU_DEP_2) | instskip(NEXT) | instid1(VALU_DEP_2)
	v_perm_b32 v2, v24, v2, 0xc0c0401
	v_or_b32_e32 v28, v161, v28
	v_and_b32_e32 v161, 0xff, v4
	s_delay_alu instid0(VALU_DEP_3) | instskip(SKIP_1) | instid1(VALU_DEP_3)
	v_or_b32_e32 v2, v10, v2
	v_ashrrev_i32_e32 v10, s25, v15
	v_or_b32_e32 v26, v161, v26
	v_and_b32_e32 v161, 0xff, v154
	v_ashrrev_i32_e32 v15, s25, v19
	v_ashrrev_i32_e32 v19, s1, v23
	v_perm_b32 v4, v4, v28, 0x4010c0c
	v_perm_b32 v22, v150, v26, 0xc0c0401
	v_or_b32_e32 v153, v161, v153
	v_and_b32_e32 v161, 0xff, v0
	v_lshlrev_b32_e32 v19, 2, v19
	v_ashrrev_i32_e32 v23, s1, v29
	v_or_b32_e32 v4, v4, v22
	v_perm_b32 v0, v0, v153, 0x4010c0c
	v_or_b32_e32 v6, v161, v6
	v_and_b32_e32 v161, 0xff, v160
	v_and_b32_e32 v19, 0x4040404, v19
	v_ashrrev_i32_e32 v22, s1, v27
	v_dot4_i32_iu8 v2, v2, v145, v158 neg_lo:[1,1,0]
	v_perm_b32 v6, v154, v6, 0xc0c0401
	v_or_b32_e32 v159, v161, v159
	v_and_b32_e32 v161, 0xff, v12
	v_lshrrev_b32_e32 v26, 16, v19
	v_lshlrev_b32_e32 v22, 2, v22
	v_or_b32_e32 v0, v0, v6
	v_perm_b32 v12, v12, v159, 0x4010c0c
	v_or_b32_e32 v156, v161, v156
	v_dot4_i32_iu8 v4, v4, v145, v162 neg_lo:[1,1,0]
	v_and_b32_e32 v22, 0x4040404, v22
	v_dot4_i32_iu8 v0, v0, v145, v165 neg_lo:[1,1,0]
	v_lshlrev_b32_e32 v23, 2, v23
	v_perm_b32 v24, v160, v156, 0xc0c0401
	s_delay_alu instid0(VALU_DEP_4) | instskip(NEXT) | instid1(VALU_DEP_3)
	v_lshrrev_b32_e32 v29, 24, v22
	v_and_b32_e32 v23, 0x4040404, v23
	s_delay_alu instid0(VALU_DEP_3)
	v_or_b32_e32 v6, v12, v24
	v_ashrrev_i32_e32 v12, s25, v17
	v_ashrrev_i32_e32 v17, s25, v21
	;; [unrolled: 1-line block ×3, first 2 shown]
	v_bfe_u32 v24, v10, 24, 2
	v_lshrrev_b32_e32 v25, 24, v19
	v_and_b32_e32 v10, 0x3030303, v10
	v_dot4_i32_iu8 v6, v6, v145, v152 neg_lo:[1,1,0]
	v_lshlrev_b32_e32 v21, 2, v21
	v_lshrrev_b32_e32 v145, 16, v22
	v_sub_nc_u16 v24, v24, v25
	v_lshrrev_b32_e32 v25, 16, v10
	v_lshrrev_b32_e32 v150, 24, v23
	v_and_b32_e32 v21, 0x4040404, v21
	v_lshrrev_b32_e32 v152, 16, v23
	v_lshlrev_b16 v24, 8, v24
	v_sub_nc_u16 v25, v25, v26
	v_lshrrev_b16 v26, 8, v10
	v_sub_nc_u16 v10, v10, v19
	v_lshrrev_b16 v19, 8, v19
	v_lshrrev_b32_e32 v27, 24, v21
	v_lshrrev_b32_e32 v28, 16, v21
	s_delay_alu instid0(VALU_DEP_3) | instskip(SKIP_2) | instid1(VALU_DEP_3)
	v_sub_nc_u16 v19, v26, v19
	v_bfe_u32 v26, v12, 24, 2
	v_and_b32_e32 v12, 0x3030303, v12
	v_lshlrev_b16 v19, 8, v19
	s_delay_alu instid0(VALU_DEP_3) | instskip(NEXT) | instid1(VALU_DEP_3)
	v_sub_nc_u16 v26, v26, v27
	v_lshrrev_b32_e32 v27, 16, v12
	s_delay_alu instid0(VALU_DEP_2) | instskip(NEXT) | instid1(VALU_DEP_2)
	v_lshlrev_b16 v26, 8, v26
	v_sub_nc_u16 v27, v27, v28
	v_lshrrev_b16 v28, 8, v12
	v_sub_nc_u16 v12, v12, v21
	v_lshrrev_b16 v21, 8, v21
	s_delay_alu instid0(VALU_DEP_1) | instskip(SKIP_2) | instid1(VALU_DEP_3)
	v_sub_nc_u16 v21, v28, v21
	v_bfe_u32 v28, v15, 24, 2
	v_and_b32_e32 v15, 0x3030303, v15
	v_lshlrev_b16 v21, 8, v21
	s_delay_alu instid0(VALU_DEP_3) | instskip(NEXT) | instid1(VALU_DEP_3)
	v_sub_nc_u16 v28, v28, v29
	v_lshrrev_b32_e32 v29, 16, v15
	s_delay_alu instid0(VALU_DEP_2) | instskip(NEXT) | instid1(VALU_DEP_2)
	v_lshlrev_b16 v28, 8, v28
	v_sub_nc_u16 v29, v29, v145
	v_lshrrev_b16 v145, 8, v15
	v_sub_nc_u16 v15, v15, v22
	v_lshrrev_b16 v22, 8, v22
	s_delay_alu instid0(VALU_DEP_1) | instskip(SKIP_2) | instid1(VALU_DEP_3)
	v_sub_nc_u16 v22, v145, v22
	v_bfe_u32 v145, v17, 24, 2
	v_and_b32_e32 v17, 0x3030303, v17
	v_lshlrev_b16 v22, 8, v22
	s_delay_alu instid0(VALU_DEP_3) | instskip(NEXT) | instid1(VALU_DEP_3)
	v_sub_nc_u16 v145, v145, v150
	v_lshrrev_b32_e32 v150, 16, v17
	s_delay_alu instid0(VALU_DEP_2) | instskip(NEXT) | instid1(VALU_DEP_2)
	v_lshlrev_b16 v145, 8, v145
	v_sub_nc_u16 v150, v150, v152
	v_lshrrev_b16 v152, 8, v17
	v_sub_nc_u16 v17, v17, v23
	v_lshrrev_b16 v23, 8, v23
	s_delay_alu instid0(VALU_DEP_1) | instskip(SKIP_1) | instid1(VALU_DEP_2)
	v_sub_nc_u16 v23, v152, v23
	v_and_b32_e32 v152, 0xff, v25
	v_lshlrev_b16 v23, 8, v23
	s_delay_alu instid0(VALU_DEP_2) | instskip(SKIP_1) | instid1(VALU_DEP_2)
	v_or_b32_e32 v24, v152, v24
	v_and_b32_e32 v152, 0xff, v10
	v_perm_b32 v10, v10, v24, 0x4010c0c
	s_delay_alu instid0(VALU_DEP_2) | instskip(SKIP_2) | instid1(VALU_DEP_3)
	v_or_b32_e32 v19, v152, v19
	v_and_b32_e32 v152, 0xff, v27
	v_lshrrev_b32_e32 v24, 16, v7
	v_perm_b32 v19, v25, v19, 0xc0c0401
	s_delay_alu instid0(VALU_DEP_3) | instskip(SKIP_1) | instid1(VALU_DEP_3)
	v_or_b32_e32 v26, v152, v26
	v_and_b32_e32 v152, 0xff, v12
	v_or_b32_e32 v10, v10, v19
	s_delay_alu instid0(VALU_DEP_3) | instskip(NEXT) | instid1(VALU_DEP_3)
	v_perm_b32 v12, v12, v26, 0x4010c0c
	v_or_b32_e32 v21, v152, v21
	v_and_b32_e32 v152, 0xff, v29
	v_lshrrev_b32_e32 v19, 24, v3
	v_dot4_i32_iu8 v10, v10, v144, v14 neg_lo:[1,1,0]
	s_delay_alu instid0(VALU_DEP_4) | instskip(NEXT) | instid1(VALU_DEP_4)
	v_perm_b32 v21, v27, v21, 0xc0c0401
	v_or_b32_e32 v28, v152, v28
	v_and_b32_e32 v152, 0xff, v15
	s_delay_alu instid0(VALU_DEP_3) | instskip(NEXT) | instid1(VALU_DEP_3)
	v_or_b32_e32 v12, v12, v21
	v_perm_b32 v15, v15, v28, 0x4010c0c
	s_delay_alu instid0(VALU_DEP_3) | instskip(SKIP_1) | instid1(VALU_DEP_4)
	v_or_b32_e32 v22, v152, v22
	v_and_b32_e32 v152, 0xff, v150
	v_dot4_i32_iu8 v12, v12, v144, v16 neg_lo:[1,1,0]
	v_ashrrev_i32_e32 v16, s1, v155
	s_delay_alu instid0(VALU_DEP_4) | instskip(NEXT) | instid1(VALU_DEP_4)
	v_perm_b32 v22, v29, v22, 0xc0c0401
	v_or_b32_e32 v145, v152, v145
	v_and_b32_e32 v152, 0xff, v17
	s_delay_alu instid0(VALU_DEP_4) | instskip(NEXT) | instid1(VALU_DEP_4)
	v_lshlrev_b32_e32 v16, 2, v16
	v_or_b32_e32 v15, v15, v22
	s_delay_alu instid0(VALU_DEP_4) | instskip(NEXT) | instid1(VALU_DEP_4)
	v_perm_b32 v17, v17, v145, 0x4010c0c
	v_or_b32_e32 v23, v152, v23
	s_delay_alu instid0(VALU_DEP_4) | instskip(NEXT) | instid1(VALU_DEP_4)
	v_and_b32_e32 v16, 0x4040404, v16
	v_dot4_i32_iu8 v14, v15, v144, v18 neg_lo:[1,1,0]
	v_bfe_u32 v18, v11, 24, 2
	s_delay_alu instid0(VALU_DEP_4)
	v_perm_b32 v23, v150, v23, 0xc0c0401
	v_and_b32_e32 v11, 0x3030303, v11
	v_lshrrev_b32_e32 v21, 24, v16
	v_lshrrev_b32_e32 v22, 16, v16
	v_sub_nc_u16 v18, v18, v19
	v_or_b32_e32 v17, v17, v23
	v_lshrrev_b32_e32 v19, 16, v11
	v_lshrrev_b32_e32 v23, 24, v7
	s_delay_alu instid0(VALU_DEP_4) | instskip(NEXT) | instid1(VALU_DEP_4)
	v_lshlrev_b16 v18, 8, v18
	v_dot4_i32_iu8 v15, v17, v144, v20 neg_lo:[1,1,0]
	v_lshrrev_b32_e32 v20, 16, v3
	v_ashrrev_i32_e32 v17, s1, v157
	s_add_i32 s1, s1, 1
	s_cmp_lt_u32 s25, 6
	s_delay_alu instid0(VALU_DEP_2) | instskip(SKIP_4) | instid1(VALU_DEP_2)
	v_sub_nc_u16 v19, v19, v20
	v_lshrrev_b16 v20, 8, v11
	v_sub_nc_u16 v11, v11, v3
	v_lshrrev_b16 v3, 8, v3
	v_lshlrev_b32_e32 v17, 2, v17
	v_sub_nc_u16 v3, v20, v3
	v_bfe_u32 v20, v5, 24, 2
	v_and_b32_e32 v5, 0x3030303, v5
	s_delay_alu instid0(VALU_DEP_4) | instskip(NEXT) | instid1(VALU_DEP_4)
	v_and_b32_e32 v17, 0x4040404, v17
	v_lshlrev_b16 v3, 8, v3
	s_delay_alu instid0(VALU_DEP_4) | instskip(NEXT) | instid1(VALU_DEP_4)
	v_sub_nc_u16 v20, v20, v21
	v_lshrrev_b32_e32 v21, 16, v5
	s_delay_alu instid0(VALU_DEP_4) | instskip(SKIP_1) | instid1(VALU_DEP_4)
	v_lshrrev_b32_e32 v25, 24, v17
	v_lshrrev_b32_e32 v26, 16, v17
	v_lshlrev_b16 v20, 8, v20
	s_delay_alu instid0(VALU_DEP_4) | instskip(SKIP_3) | instid1(VALU_DEP_1)
	v_sub_nc_u16 v21, v21, v22
	v_lshrrev_b16 v22, 8, v5
	v_sub_nc_u16 v5, v5, v16
	v_lshrrev_b16 v16, 8, v16
	v_sub_nc_u16 v16, v22, v16
	v_bfe_u32 v22, v1, 24, 2
	v_and_b32_e32 v1, 0x3030303, v1
	s_delay_alu instid0(VALU_DEP_3) | instskip(NEXT) | instid1(VALU_DEP_3)
	v_lshlrev_b16 v16, 8, v16
	v_sub_nc_u16 v22, v22, v23
	s_delay_alu instid0(VALU_DEP_3) | instskip(NEXT) | instid1(VALU_DEP_2)
	v_lshrrev_b32_e32 v23, 16, v1
	v_lshlrev_b16 v22, 8, v22
	s_delay_alu instid0(VALU_DEP_2) | instskip(SKIP_3) | instid1(VALU_DEP_1)
	v_sub_nc_u16 v23, v23, v24
	v_lshrrev_b16 v24, 8, v1
	v_sub_nc_u16 v1, v1, v7
	v_lshrrev_b16 v7, 8, v7
	v_sub_nc_u16 v7, v24, v7
	v_bfe_u32 v24, v13, 24, 2
	v_and_b32_e32 v13, 0x3030303, v13
	s_delay_alu instid0(VALU_DEP_3) | instskip(NEXT) | instid1(VALU_DEP_3)
	v_lshlrev_b16 v7, 8, v7
	v_sub_nc_u16 v24, v24, v25
	s_delay_alu instid0(VALU_DEP_3) | instskip(NEXT) | instid1(VALU_DEP_2)
	v_lshrrev_b32_e32 v25, 16, v13
	v_lshlrev_b16 v24, 8, v24
	s_delay_alu instid0(VALU_DEP_2) | instskip(SKIP_3) | instid1(VALU_DEP_1)
	v_sub_nc_u16 v25, v25, v26
	v_lshrrev_b16 v26, 8, v13
	v_sub_nc_u16 v13, v13, v17
	v_lshrrev_b16 v17, 8, v17
	v_sub_nc_u16 v17, v26, v17
	v_and_b32_e32 v26, 0xff, v19
	s_delay_alu instid0(VALU_DEP_2) | instskip(NEXT) | instid1(VALU_DEP_2)
	v_lshlrev_b16 v17, 8, v17
	v_or_b32_e32 v18, v26, v18
	v_and_b32_e32 v26, 0xff, v11
	s_delay_alu instid0(VALU_DEP_2) | instskip(NEXT) | instid1(VALU_DEP_2)
	v_perm_b32 v11, v11, v18, 0x4010c0c
	v_or_b32_e32 v3, v26, v3
	v_and_b32_e32 v26, 0xff, v21
	s_delay_alu instid0(VALU_DEP_2) | instskip(NEXT) | instid1(VALU_DEP_2)
	v_perm_b32 v3, v19, v3, 0xc0c0401
	v_or_b32_e32 v20, v26, v20
	v_and_b32_e32 v26, 0xff, v5
	s_delay_alu instid0(VALU_DEP_3) | instskip(NEXT) | instid1(VALU_DEP_3)
	v_or_b32_e32 v3, v11, v3
	v_perm_b32 v5, v5, v20, 0x4010c0c
	s_delay_alu instid0(VALU_DEP_3) | instskip(SKIP_1) | instid1(VALU_DEP_4)
	v_or_b32_e32 v16, v26, v16
	v_and_b32_e32 v26, 0xff, v23
	v_dot4_i32_iu8 v11, v3, v141, v2 neg_lo:[1,1,0]
	v_add3_u32 v2, v112, s26, v151
	v_add3_u32 v3, v110, s26, v151
	s_delay_alu instid0(VALU_DEP_4)
	v_or_b32_e32 v22, v26, v22
	v_and_b32_e32 v26, 0xff, v1
	ds_load_u16 v2, v2 offset:25346
	ds_load_u16 v3, v3 offset:27394
	v_perm_b32 v16, v21, v16, 0xc0c0401
	v_perm_b32 v1, v1, v22, 0x4010c0c
	v_or_b32_e32 v7, v26, v7
	v_and_b32_e32 v26, 0xff, v25
	s_mov_b32 s26, s25
	v_or_b32_e32 v5, v5, v16
	s_delay_alu instid0(VALU_DEP_3) | instskip(NEXT) | instid1(VALU_DEP_3)
	v_perm_b32 v7, v23, v7, 0xc0c0401
	v_or_b32_e32 v24, v26, v24
	v_and_b32_e32 v26, 0xff, v13
	s_delay_alu instid0(VALU_DEP_3) | instskip(NEXT) | instid1(VALU_DEP_3)
	v_or_b32_e32 v1, v1, v7
	v_perm_b32 v13, v13, v24, 0x4010c0c
	s_delay_alu instid0(VALU_DEP_3) | instskip(NEXT) | instid1(VALU_DEP_3)
	v_or_b32_e32 v17, v26, v17
	v_dot4_i32_iu8 v16, v1, v141, v0 neg_lo:[1,1,0]
	v_lshrrev_b16 v1, 8, v148
	s_delay_alu instid0(VALU_DEP_3)
	v_perm_b32 v17, v25, v17, 0xc0c0401
	s_waitcnt lgkmcnt(0)
	v_lshrrev_b16 v0, 8, v3
	v_bfe_i32 v3, v3, 0, 8
	v_bfe_i32 v20, v1, 0, 8
	v_or_b32_e32 v7, v13, v17
	v_dot4_i32_iu8 v13, v5, v141, v4 neg_lo:[1,1,0]
	v_lshrrev_b16 v4, 8, v2
	v_bfe_i32 v2, v2, 0, 8
	v_bfe_i32 v5, v148, 0, 8
	;; [unrolled: 1-line block ×5, first 2 shown]
	v_mul_lo_u32 v0, v10, v2
	v_mul_lo_u32 v1, v12, v5
	v_dot4_i32_iu8 v7, v7, v141, v6 neg_lo:[1,1,0]
	v_lshrrev_b16 v6, 8, v149
	v_mul_lo_u32 v2, v14, v3
	v_mul_lo_u32 v3, v15, v17
	s_delay_alu instid0(VALU_DEP_3) | instskip(SKIP_1) | instid1(VALU_DEP_4)
	v_bfe_i32 v21, v6, 0, 8
	v_mad_u64_u32 v[4:5], null, v11, v18, v[0:1]
	v_mad_u64_u32 v[5:6], null, v13, v20, v[1:2]
	s_delay_alu instid0(VALU_DEP_4) | instskip(SKIP_1) | instid1(VALU_DEP_4)
	v_mad_u64_u32 v[0:1], null, v16, v19, v[2:3]
	v_mul_f32_e32 v6, v140, v146
	v_mad_u64_u32 v[1:2], null, v7, v21, v[3:4]
	v_mul_f32_e32 v2, v140, v142
	v_mul_f32_e32 v3, v140, v143
	v_mul_f32_e32 v7, v140, v147
	v_cvt_f32_i32_e32 v4, v4
	v_cvt_f32_i32_e32 v5, v5
	;; [unrolled: 1-line block ×4, first 2 shown]
	s_delay_alu instid0(VALU_DEP_4) | instskip(NEXT) | instid1(VALU_DEP_3)
	v_fmac_f32_e32 v33, v2, v4
	v_dual_fmac_f32 v134, v6, v5 :: v_dual_fmac_f32 v135, v3, v0
	s_delay_alu instid0(VALU_DEP_3)
	v_fmac_f32_e32 v136, v7, v1
	s_cbranch_scc1 .LBB209_12
; %bb.13:                               ;   in Loop: Header=BB209_5 Depth=1
	s_or_b32 s1, s18, 0x80
	s_delay_alu instid0(SALU_CYCLE_1)
	s_cmp_ge_i32 s1, s11
	s_barrier
	buffer_gl0_inv
	s_cbranch_scc1 .LBB209_4
; %bb.14:                               ;   in Loop: Header=BB209_5 Depth=1
	v_add_nc_u32_e32 v0, s19, v105
	s_delay_alu instid0(VALU_DEP_1) | instskip(NEXT) | instid1(VALU_DEP_1)
	v_cmp_gt_i32_e64 s1, s5, v0
	s_and_b32 s24, s0, s1
	s_delay_alu instid0(SALU_CYCLE_1)
	s_and_saveexec_b32 s1, s24
	s_cbranch_execz .LBB209_16
; %bb.15:                               ;   in Loop: Header=BB209_5 Depth=1
	v_add_nc_u32_e32 v2, v101, v0
	s_delay_alu instid0(VALU_DEP_1)
	v_mad_i64_i32 v[0:1], null, v2, 36, v[8:9]
	global_load_b32 v0, v[0:1], off offset:4
	s_waitcnt vmcnt(0)
	ds_store_b32 v89, v0
.LBB209_16:                             ;   in Loop: Header=BB209_5 Depth=1
	s_or_b32 exec_lo, exec_lo, s1
	s_and_saveexec_b32 s24, vcc_lo
	s_cbranch_execz .LBB209_19
; %bb.17:                               ;   in Loop: Header=BB209_5 Depth=1
	v_or_b32_e32 v0, s19, v31
	s_delay_alu instid0(VALU_DEP_1) | instskip(NEXT) | instid1(VALU_DEP_1)
	v_or_b32_e32 v1, 4, v0
	v_cmp_gt_i32_e64 s1, s5, v1
	s_delay_alu instid0(VALU_DEP_1) | instskip(NEXT) | instid1(SALU_CYCLE_1)
	s_and_b32 s1, s0, s1
	s_and_b32 exec_lo, exec_lo, s1
	s_cbranch_execz .LBB209_19
; %bb.18:                               ;   in Loop: Header=BB209_5 Depth=1
	v_ashrrev_i32_e32 v1, 31, v0
	v_add_co_u32 v2, s1, v101, v0
	s_delay_alu instid0(VALU_DEP_1) | instskip(NEXT) | instid1(VALU_DEP_2)
	v_add_co_ci_u32_e64 v3, s1, v108, v1, s1
	v_mad_u64_u32 v[0:1], null, v2, 36, s[12:13]
	s_delay_alu instid0(VALU_DEP_1)
	v_mad_i32_i24 v1, v3, 36, v1
	global_load_b32 v0, v[0:1], off
	s_waitcnt vmcnt(0)
	v_cvt_f32_f16_e32 v0, v0
	ds_store_b32 v90, v0
.LBB209_19:                             ;   in Loop: Header=BB209_5 Depth=1
	s_or_b32 exec_lo, exec_lo, s24
	v_dual_mov_b32 v138, v113 :: v_dual_mov_b32 v139, v114
	s_mov_b32 s1, 8
	s_mov_b32 s24, 0
	;; [unrolled: 1-line block ×3, first 2 shown]
	s_waitcnt lgkmcnt(0)
	s_barrier
	buffer_gl0_inv
.LBB209_20:                             ;   Parent Loop BB209_5 Depth=1
                                        ; =>  This Inner Loop Header: Depth=2
	s_add_i32 s26, s24, 8
	ds_load_b128 v[4:7], v138
	ds_load_b128 v[0:3], v138 offset:16
	s_and_b32 s28, s26, 0x3ffffff8
	s_lshr_b32 s27, s26, 4
	s_lshl_b32 s28, s28, 2
	s_lshl_b32 s29, s27, 2
	v_add_nc_u32_e32 v147, s28, v93
	v_add_nc_u32_e32 v148, s28, v96
	;; [unrolled: 1-line block ×4, first 2 shown]
	s_lshl_b32 s27, s27, 3
	ds_load_2addr_b32 v[12:13], v147 offset1:1
	ds_load_2addr_b32 v[18:19], v148 offset1:1
	ds_load_2addr_b32 v[10:11], v147 offset0:6 offset1:7
	ds_load_2addr_b32 v[14:15], v147 offset0:2 offset1:3
	;; [unrolled: 1-line block ×3, first 2 shown]
	ds_load_b32 v141, v20
	v_add_nc_u32_e32 v161, s28, v103
	v_add_lshl_u32 v164, v92, s27, 2
	v_add_lshl_u32 v167, v95, s27, 2
	;; [unrolled: 1-line block ×4, first 2 shown]
	s_and_b32 s27, s1, -16
	s_waitcnt lgkmcnt(7)
	v_perm_b32 v150, v6, v6, 0x30201
	s_waitcnt lgkmcnt(6)
	v_perm_b32 v157, v0, v0, 0x30201
	v_perm_b32 v158, v1, v1, 0x30201
	v_perm_b32 v144, v2, v2, 0x30201
	v_perm_b32 v140, v3, v3, 0x30201
	v_add_nc_u32_e32 v6, 0x4208, v164
	v_perm_b32 v149, v4, v4, 0x30201
	v_perm_b32 v151, v5, v5, 0x30201
	;; [unrolled: 1-line block ×3, first 2 shown]
	s_waitcnt lgkmcnt(5)
	v_ashrrev_i32_e32 v152, s24, v12
	s_waitcnt lgkmcnt(4)
	v_ashrrev_i32_e32 v154, s24, v18
	v_ashrrev_i32_e32 v155, s24, v19
	ds_load_2addr_b32 v[2:3], v156 offset1:1
	ds_load_2addr_b32 v[0:1], v156 offset0:6 offset1:7
	ds_load_2addr_b32 v[18:19], v156 offset0:2 offset1:3
	v_ashrrev_i32_e32 v153, s24, v13
	v_bfe_u32 v174, v152, 24, 2
	v_and_b32_e32 v152, 0x3030303, v152
	v_add_nc_u32_e32 v26, 0x4208, v170
	s_waitcnt lgkmcnt(5)
	v_ashrrev_i32_e32 v14, s24, v14
	s_waitcnt lgkmcnt(4)
	v_ashrrev_i32_e32 v16, s24, v16
	v_ashrrev_i32_e32 v10, s24, v10
	;; [unrolled: 1-line block ×3, first 2 shown]
	v_add_nc_u32_e32 v138, 32, v138
	s_add_i32 s1, s1, 2
	s_waitcnt lgkmcnt(2)
	v_ashrrev_i32_e32 v159, s24, v2
	v_add_nc_u32_e32 v2, s29, v100
	v_ashrrev_i32_e32 v160, s24, v3
	ds_load_2addr_b32 v[20:21], v161 offset0:2 offset1:3
	ds_load_b32 v142, v2
	ds_load_2addr_b32 v[2:3], v161 offset1:1
	s_waitcnt lgkmcnt(3)
	v_ashrrev_i32_e32 v18, s24, v18
	v_ashrrev_i32_e32 v0, s24, v0
	;; [unrolled: 1-line block ×3, first 2 shown]
	s_waitcnt lgkmcnt(2)
	v_ashrrev_i32_e32 v20, s24, v20
	s_waitcnt lgkmcnt(0)
	v_ashrrev_i32_e32 v162, s24, v2
	v_add_nc_u32_e32 v2, 0x4200, v164
	v_ashrrev_i32_e32 v163, s24, v3
	v_add_nc_u32_e32 v3, 0x4218, v164
	ds_load_2addr_b32 v[4:5], v2 offset1:1
	ds_load_2addr_b32 v[2:3], v3 offset1:1
	;; [unrolled: 1-line block ×3, first 2 shown]
	s_waitcnt lgkmcnt(2)
	v_ashrrev_i32_e32 v165, s25, v4
	v_add_nc_u32_e32 v4, 0x4200, v167
	v_ashrrev_i32_e32 v166, s25, v5
	v_add_nc_u32_e32 v5, 0x4208, v167
	ds_load_2addr_b32 v[6:7], v4 offset1:1
	ds_load_2addr_b32 v[24:25], v5 offset1:1
	ds_load_2addr_b32 v[4:5], v148 offset0:6 offset1:7
	v_lshlrev_b32_e32 v165, 2, v165
	v_lshlrev_b32_e32 v166, 2, v166
	s_waitcnt lgkmcnt(3)
	v_ashrrev_i32_e32 v22, s25, v22
	v_ashrrev_i32_e32 v2, s25, v2
	;; [unrolled: 1-line block ×3, first 2 shown]
	v_and_b32_e32 v165, 0x4040404, v165
	v_and_b32_e32 v166, 0x4040404, v166
	v_lshlrev_b32_e32 v22, 2, v22
	v_lshlrev_b32_e32 v2, 2, v2
	;; [unrolled: 1-line block ×3, first 2 shown]
	v_lshrrev_b32_e32 v175, 24, v165
	v_lshrrev_b32_e32 v176, 16, v165
	v_lshrrev_b32_e32 v177, 24, v166
	v_lshrrev_b32_e32 v178, 16, v166
	v_and_b32_e32 v22, 0x4040404, v22
	v_sub_nc_u16 v174, v174, v175
	v_lshrrev_b32_e32 v175, 16, v152
	s_waitcnt lgkmcnt(2)
	v_ashrrev_i32_e32 v168, s25, v6
	v_add_nc_u32_e32 v6, 0x4200, v170
	v_ashrrev_i32_e32 v169, s25, v7
	v_add_nc_u32_e32 v7, 0x4218, v170
	v_sub_nc_u16 v175, v175, v176
	v_lshrrev_b16 v176, 8, v152
	v_sub_nc_u16 v152, v152, v165
	v_lshrrev_b16 v165, 8, v165
	v_lshlrev_b32_e32 v168, 2, v168
	ds_load_2addr_b32 v[12:13], v6 offset1:1
	ds_load_2addr_b32 v[6:7], v7 offset1:1
	;; [unrolled: 1-line block ×3, first 2 shown]
	v_lshlrev_b32_e32 v169, 2, v169
	v_lshlrev_b16 v174, 8, v174
	v_sub_nc_u16 v165, v176, v165
	v_bfe_u32 v176, v153, 24, 2
	v_and_b32_e32 v153, 0x3030303, v153
	v_and_b32_e32 v168, 0x4040404, v168
	;; [unrolled: 1-line block ×3, first 2 shown]
	v_lshlrev_b16 v165, 8, v165
	v_sub_nc_u16 v176, v176, v177
	v_lshrrev_b32_e32 v177, 16, v153
	v_lshrrev_b32_e32 v179, 24, v168
	;; [unrolled: 1-line block ×5, first 2 shown]
	v_sub_nc_u16 v177, v177, v178
	v_lshrrev_b16 v178, 8, v153
	v_sub_nc_u16 v153, v153, v166
	v_lshrrev_b16 v166, 8, v166
	s_waitcnt lgkmcnt(2)
	v_ashrrev_i32_e32 v171, s25, v12
	v_add_nc_u32_e32 v12, 0x4200, v173
	v_ashrrev_i32_e32 v172, s25, v13
	v_add_nc_u32_e32 v13, 0x4208, v173
	v_sub_nc_u16 v166, v178, v166
	v_bfe_u32 v178, v154, 24, 2
	v_and_b32_e32 v154, 0x3030303, v154
	v_lshlrev_b32_e32 v171, 2, v171
	ds_load_2addr_b32 v[145:146], v12 offset1:1
	ds_load_2addr_b32 v[28:29], v13 offset1:1
	ds_load_2addr_b32 v[12:13], v161 offset0:6 offset1:7
	v_lshlrev_b32_e32 v172, 2, v172
	v_sub_nc_u16 v178, v178, v179
	v_lshrrev_b32_e32 v179, 16, v154
	v_and_b32_e32 v171, 0x4040404, v171
	v_lshlrev_b16 v176, 8, v176
	v_and_b32_e32 v172, 0x4040404, v172
	v_lshlrev_b16 v166, 8, v166
	v_sub_nc_u16 v179, v179, v180
	v_lshrrev_b16 v180, 8, v154
	v_sub_nc_u16 v154, v154, v168
	v_lshrrev_b16 v168, 8, v168
	v_lshrrev_b32_e32 v183, 24, v171
	v_lshrrev_b32_e32 v184, 16, v171
	;; [unrolled: 1-line block ×4, first 2 shown]
	v_sub_nc_u16 v168, v180, v168
	v_bfe_u32 v180, v155, 24, 2
	v_and_b32_e32 v155, 0x3030303, v155
	s_waitcnt lgkmcnt(2)
	v_ashrrev_i32_e32 v145, s25, v145
	v_ashrrev_i32_e32 v146, s25, v146
	v_lshlrev_b16 v178, 8, v178
	v_sub_nc_u16 v180, v180, v181
	v_lshrrev_b32_e32 v181, 16, v155
	v_lshlrev_b32_e32 v145, 2, v145
	v_lshlrev_b32_e32 v146, 2, v146
	v_lshlrev_b16 v168, 8, v168
	v_lshlrev_b16 v180, 8, v180
	v_sub_nc_u16 v181, v181, v182
	v_lshrrev_b16 v182, 8, v155
	v_sub_nc_u16 v155, v155, v169
	v_lshrrev_b16 v169, 8, v169
	v_and_b32_e32 v145, 0x4040404, v145
	v_and_b32_e32 v146, 0x4040404, v146
	v_ashrrev_i32_e32 v24, s25, v24
	v_ashrrev_i32_e32 v26, s25, v26
	v_sub_nc_u16 v169, v182, v169
	v_bfe_u32 v182, v159, 24, 2
	v_and_b32_e32 v159, 0x3030303, v159
	v_lshrrev_b32_e32 v187, 24, v145
	v_lshrrev_b32_e32 v188, 16, v145
	;; [unrolled: 1-line block ×3, first 2 shown]
	v_sub_nc_u16 v182, v182, v183
	v_lshrrev_b32_e32 v183, 16, v159
	v_lshrrev_b32_e32 v190, 16, v146
	v_lshlrev_b16 v169, 8, v169
	v_lshlrev_b32_e32 v24, 2, v24
	v_lshlrev_b16 v182, 8, v182
	v_sub_nc_u16 v183, v183, v184
	v_lshrrev_b16 v184, 8, v159
	v_sub_nc_u16 v159, v159, v171
	v_lshrrev_b16 v171, 8, v171
	v_and_b32_e32 v24, 0x4040404, v24
	v_lshlrev_b32_e32 v26, 2, v26
	s_waitcnt lgkmcnt(1)
	v_ashrrev_i32_e32 v28, s25, v28
	v_and_b32_e32 v2, 0x4040404, v2
	v_sub_nc_u16 v171, v184, v171
	v_bfe_u32 v184, v160, 24, 2
	v_and_b32_e32 v160, 0x3030303, v160
	v_and_b32_e32 v26, 0x4040404, v26
	v_lshlrev_b32_e32 v28, 2, v28
	v_lshlrev_b16 v171, 8, v171
	v_sub_nc_u16 v184, v184, v185
	v_lshrrev_b32_e32 v185, 16, v160
	v_ashrrev_i32_e32 v4, s24, v4
	v_and_b32_e32 v28, 0x4040404, v28
	v_ashrrev_i32_e32 v6, s25, v6
	v_lshlrev_b16 v184, 8, v184
	v_sub_nc_u16 v185, v185, v186
	v_lshrrev_b16 v186, 8, v160
	v_sub_nc_u16 v160, v160, v172
	v_lshrrev_b16 v172, 8, v172
	v_lshlrev_b32_e32 v6, 2, v6
	s_waitcnt lgkmcnt(0)
	v_ashrrev_i32_e32 v12, s24, v12
	v_and_b32_e32 v3, 0x4040404, v3
	v_ashrrev_i32_e32 v5, s24, v5
	v_sub_nc_u16 v172, v186, v172
	v_bfe_u32 v186, v162, 24, 2
	v_and_b32_e32 v162, 0x3030303, v162
	v_and_b32_e32 v6, 0x4040404, v6
	v_ashrrev_i32_e32 v7, s25, v7
	v_lshlrev_b16 v172, 8, v172
	v_sub_nc_u16 v186, v186, v187
	v_lshrrev_b32_e32 v187, 16, v162
	v_ashrrev_i32_e32 v13, s24, v13
	v_lshlrev_b32_e32 v7, 2, v7
	s_delay_alu instid0(VALU_DEP_4) | instskip(NEXT) | instid1(VALU_DEP_4)
	v_lshlrev_b16 v186, 8, v186
	v_sub_nc_u16 v187, v187, v188
	v_lshrrev_b16 v188, 8, v162
	v_sub_nc_u16 v162, v162, v145
	v_lshrrev_b16 v145, 8, v145
	v_and_b32_e32 v7, 0x4040404, v7
	s_delay_alu instid0(VALU_DEP_2) | instskip(SKIP_2) | instid1(VALU_DEP_3)
	v_sub_nc_u16 v145, v188, v145
	v_bfe_u32 v188, v163, 24, 2
	v_and_b32_e32 v163, 0x3030303, v163
	v_lshlrev_b16 v145, 8, v145
	s_delay_alu instid0(VALU_DEP_3) | instskip(NEXT) | instid1(VALU_DEP_3)
	v_sub_nc_u16 v188, v188, v189
	v_lshrrev_b32_e32 v189, 16, v163
	s_delay_alu instid0(VALU_DEP_2) | instskip(NEXT) | instid1(VALU_DEP_2)
	v_lshlrev_b16 v188, 8, v188
	v_sub_nc_u16 v189, v189, v190
	v_lshrrev_b16 v190, 8, v163
	v_sub_nc_u16 v163, v163, v146
	v_lshrrev_b16 v146, 8, v146
	s_delay_alu instid0(VALU_DEP_1) | instskip(SKIP_1) | instid1(VALU_DEP_2)
	v_sub_nc_u16 v146, v190, v146
	v_and_b32_e32 v190, 0xff, v175
	v_lshlrev_b16 v146, 8, v146
	s_delay_alu instid0(VALU_DEP_2) | instskip(SKIP_1) | instid1(VALU_DEP_2)
	v_or_b32_e32 v174, v190, v174
	v_and_b32_e32 v190, 0xff, v152
	v_perm_b32 v152, v152, v174, 0x4010c0c
	s_delay_alu instid0(VALU_DEP_2) | instskip(SKIP_1) | instid1(VALU_DEP_2)
	v_or_b32_e32 v165, v190, v165
	v_and_b32_e32 v190, 0xff, v177
	v_perm_b32 v165, v175, v165, 0xc0c0401
	s_delay_alu instid0(VALU_DEP_2) | instskip(SKIP_1) | instid1(VALU_DEP_3)
	v_or_b32_e32 v176, v190, v176
	v_and_b32_e32 v190, 0xff, v153
	v_or_b32_e32 v152, v152, v165
	s_delay_alu instid0(VALU_DEP_3) | instskip(NEXT) | instid1(VALU_DEP_3)
	v_perm_b32 v153, v153, v176, 0x4010c0c
	v_or_b32_e32 v166, v190, v166
	v_and_b32_e32 v190, 0xff, v179
	s_delay_alu instid0(VALU_DEP_4) | instskip(NEXT) | instid1(VALU_DEP_3)
	v_dot4_i32_iu8 v152, v152, v149, 0 neg_lo:[1,1,0]
	v_perm_b32 v166, v177, v166, 0xc0c0401
	s_delay_alu instid0(VALU_DEP_3) | instskip(SKIP_1) | instid1(VALU_DEP_3)
	v_or_b32_e32 v178, v190, v178
	v_and_b32_e32 v190, 0xff, v154
	v_or_b32_e32 v153, v153, v166
	s_delay_alu instid0(VALU_DEP_3) | instskip(NEXT) | instid1(VALU_DEP_3)
	v_perm_b32 v154, v154, v178, 0x4010c0c
	v_or_b32_e32 v168, v190, v168
	v_and_b32_e32 v190, 0xff, v181
	s_delay_alu instid0(VALU_DEP_2) | instskip(NEXT) | instid1(VALU_DEP_2)
	v_perm_b32 v168, v179, v168, 0xc0c0401
	v_or_b32_e32 v180, v190, v180
	v_and_b32_e32 v190, 0xff, v155
	s_delay_alu instid0(VALU_DEP_3) | instskip(NEXT) | instid1(VALU_DEP_3)
	v_or_b32_e32 v154, v154, v168
	v_perm_b32 v155, v155, v180, 0x4010c0c
	s_delay_alu instid0(VALU_DEP_3) | instskip(SKIP_1) | instid1(VALU_DEP_4)
	v_or_b32_e32 v169, v190, v169
	v_and_b32_e32 v190, 0xff, v183
	v_dot4_i32_iu8 v154, v154, v149, 0 neg_lo:[1,1,0]
	s_delay_alu instid0(VALU_DEP_3) | instskip(NEXT) | instid1(VALU_DEP_3)
	v_perm_b32 v169, v181, v169, 0xc0c0401
	v_or_b32_e32 v182, v190, v182
	v_and_b32_e32 v190, 0xff, v159
	s_delay_alu instid0(VALU_DEP_3) | instskip(NEXT) | instid1(VALU_DEP_3)
	v_or_b32_e32 v155, v155, v169
	v_perm_b32 v159, v159, v182, 0x4010c0c
	s_delay_alu instid0(VALU_DEP_3) | instskip(SKIP_1) | instid1(VALU_DEP_2)
	v_or_b32_e32 v171, v190, v171
	v_and_b32_e32 v190, 0xff, v185
	v_perm_b32 v171, v183, v171, 0xc0c0401
	s_delay_alu instid0(VALU_DEP_2) | instskip(SKIP_1) | instid1(VALU_DEP_3)
	v_or_b32_e32 v184, v190, v184
	v_and_b32_e32 v190, 0xff, v160
	v_or_b32_e32 v159, v159, v171
	s_delay_alu instid0(VALU_DEP_3) | instskip(NEXT) | instid1(VALU_DEP_3)
	v_perm_b32 v160, v160, v184, 0x4010c0c
	v_or_b32_e32 v172, v190, v172
	v_and_b32_e32 v190, 0xff, v187
	s_delay_alu instid0(VALU_DEP_4) | instskip(NEXT) | instid1(VALU_DEP_3)
	v_dot4_i32_iu8 v159, v159, v149, 0 neg_lo:[1,1,0]
	v_perm_b32 v172, v185, v172, 0xc0c0401
	s_delay_alu instid0(VALU_DEP_3) | instskip(SKIP_1) | instid1(VALU_DEP_3)
	v_or_b32_e32 v186, v190, v186
	v_and_b32_e32 v190, 0xff, v162
	v_or_b32_e32 v160, v160, v172
	s_delay_alu instid0(VALU_DEP_3) | instskip(NEXT) | instid1(VALU_DEP_3)
	v_perm_b32 v162, v162, v186, 0x4010c0c
	v_or_b32_e32 v145, v190, v145
	v_and_b32_e32 v190, 0xff, v189
	s_delay_alu instid0(VALU_DEP_4) | instskip(NEXT) | instid1(VALU_DEP_3)
	v_dot4_i32_iu8 v159, v160, v151, v159 neg_lo:[1,1,0]
	v_perm_b32 v145, v187, v145, 0xc0c0401
	s_delay_alu instid0(VALU_DEP_3) | instskip(SKIP_1) | instid1(VALU_DEP_3)
	v_or_b32_e32 v188, v190, v188
	v_and_b32_e32 v190, 0xff, v163
	v_or_b32_e32 v145, v162, v145
	s_delay_alu instid0(VALU_DEP_3) | instskip(NEXT) | instid1(VALU_DEP_3)
	v_perm_b32 v163, v163, v188, 0x4010c0c
	v_or_b32_e32 v146, v190, v146
	v_dot4_i32_iu8 v162, v153, v151, v152 neg_lo:[1,1,0]
	v_add_nc_u32_e32 v153, 0x4210, v173
	v_dot4_i32_iu8 v145, v145, v149, 0 neg_lo:[1,1,0]
	v_add_nc_u32_e32 v149, s24, v91
	v_perm_b32 v146, v189, v146, 0xc0c0401
	s_delay_alu instid0(VALU_DEP_1) | instskip(SKIP_2) | instid1(VALU_DEP_3)
	v_or_b32_e32 v146, v163, v146
	v_dot4_i32_iu8 v163, v155, v151, v154 neg_lo:[1,1,0]
	v_add_nc_u32_e32 v155, 0x4218, v173
	v_dot4_i32_iu8 v160, v146, v151, v145 neg_lo:[1,1,0]
	ds_load_2addr_b32 v[145:146], v147 offset0:4 offset1:5
	v_add_nc_u32_e32 v147, 0x4210, v167
	v_add_nc_u32_e32 v151, 0x4218, v167
	s_waitcnt lgkmcnt(0)
	v_ashrrev_i32_e32 v165, s24, v145
	v_ashrrev_i32_e32 v166, s24, v146
	ds_load_2addr_b32 v[145:146], v148 offset0:4 offset1:5
	v_bfe_u32 v173, v165, 24, 2
	v_and_b32_e32 v165, 0x3030303, v165
	s_waitcnt lgkmcnt(0)
	v_ashrrev_i32_e32 v168, s24, v145
	v_ashrrev_i32_e32 v169, s24, v146
	ds_load_2addr_b32 v[145:146], v156 offset0:4 offset1:5
	s_waitcnt lgkmcnt(0)
	v_ashrrev_i32_e32 v171, s24, v145
	v_ashrrev_i32_e32 v172, s24, v146
	ds_load_2addr_b32 v[145:146], v161 offset0:4 offset1:5
	s_waitcnt lgkmcnt(0)
	v_ashrrev_i32_e32 v161, s24, v145
	v_add_nc_u32_e32 v145, 0x4210, v164
	v_ashrrev_i32_e32 v174, s24, v146
	ds_load_2addr_b32 v[145:146], v145 offset1:1
	s_waitcnt lgkmcnt(0)
	v_ashrrev_i32_e32 v164, s25, v145
	v_add3_u32 v145, v117, s27, v149
	v_ashrrev_i32_e32 v175, s25, v146
	s_delay_alu instid0(VALU_DEP_3)
	v_lshlrev_b32_e32 v164, 2, v164
	ds_load_u16 v146, v145
	v_add_nc_u32_e32 v145, s29, v97
	ds_load_b32 v145, v145
	ds_load_2addr_b32 v[147:148], v147 offset1:1
	ds_load_2addr_b32 v[151:152], v151 offset1:1
	v_and_b32_e32 v164, 0x4040404, v164
	v_lshlrev_b32_e32 v175, 2, v175
	s_delay_alu instid0(VALU_DEP_2) | instskip(SKIP_1) | instid1(VALU_DEP_3)
	v_lshrrev_b32_e32 v178, 24, v164
	v_lshrrev_b32_e32 v179, 16, v164
	v_and_b32_e32 v175, 0x4040404, v175
	s_delay_alu instid0(VALU_DEP_3) | instskip(SKIP_1) | instid1(VALU_DEP_3)
	v_sub_nc_u16 v173, v173, v178
	v_lshrrev_b32_e32 v178, 16, v165
	v_lshrrev_b32_e32 v180, 24, v175
	;; [unrolled: 1-line block ×3, first 2 shown]
	s_delay_alu instid0(VALU_DEP_4) | instskip(NEXT) | instid1(VALU_DEP_4)
	v_lshlrev_b16 v173, 8, v173
	v_sub_nc_u16 v178, v178, v179
	v_lshrrev_b16 v179, 8, v165
	v_sub_nc_u16 v165, v165, v164
	v_lshrrev_b16 v164, 8, v164
	s_waitcnt lgkmcnt(1)
	v_ashrrev_i32_e32 v167, s25, v147
	v_add_nc_u32_e32 v147, 0x4210, v170
	v_ashrrev_i32_e32 v176, s25, v148
	v_sub_nc_u16 v164, v179, v164
	v_bfe_u32 v179, v166, 24, 2
	v_and_b32_e32 v166, 0x3030303, v166
	v_lshlrev_b32_e32 v167, 2, v167
	ds_load_2addr_b32 v[147:148], v147 offset1:1
	v_lshlrev_b32_e32 v176, 2, v176
	v_sub_nc_u16 v179, v179, v180
	v_lshrrev_b32_e32 v180, 16, v166
	v_and_b32_e32 v167, 0x4040404, v167
	v_lshlrev_b16 v164, 8, v164
	v_and_b32_e32 v176, 0x4040404, v176
	v_lshlrev_b16 v179, 8, v179
	v_sub_nc_u16 v180, v180, v181
	v_lshrrev_b16 v181, 8, v166
	v_sub_nc_u16 v166, v166, v175
	v_lshrrev_b16 v175, 8, v175
	v_lshrrev_b32_e32 v182, 24, v167
	v_lshrrev_b32_e32 v183, 16, v167
	;; [unrolled: 1-line block ×4, first 2 shown]
	v_sub_nc_u16 v175, v181, v175
	v_bfe_u32 v181, v168, 24, 2
	v_and_b32_e32 v168, 0x3030303, v168
	s_waitcnt lgkmcnt(0)
	v_ashrrev_i32_e32 v170, s25, v147
	v_add3_u32 v147, v115, s27, v149
	v_sub_nc_u16 v181, v181, v182
	v_lshrrev_b32_e32 v182, 16, v168
	v_ashrrev_i32_e32 v177, s25, v148
	v_lshlrev_b32_e32 v170, 2, v170
	ds_load_u16 v148, v147
	v_add_nc_u32_e32 v147, s29, v104
	v_sub_nc_u16 v182, v182, v183
	v_lshrrev_b16 v183, 8, v168
	v_sub_nc_u16 v168, v168, v167
	v_lshrrev_b16 v167, 8, v167
	v_and_b32_e32 v170, 0x4040404, v170
	ds_load_b32 v147, v147
	ds_load_2addr_b32 v[153:154], v153 offset1:1
	ds_load_2addr_b32 v[155:156], v155 offset1:1
	v_lshlrev_b32_e32 v177, 2, v177
	v_lshlrev_b16 v175, 8, v175
	v_sub_nc_u16 v167, v183, v167
	v_bfe_u32 v183, v169, 24, 2
	v_and_b32_e32 v169, 0x3030303, v169
	v_lshrrev_b32_e32 v186, 24, v170
	v_lshrrev_b32_e32 v187, 16, v170
	v_and_b32_e32 v177, 0x4040404, v177
	v_sub_nc_u16 v183, v183, v184
	v_lshrrev_b32_e32 v184, 16, v169
	v_lshlrev_b16 v181, 8, v181
	v_lshlrev_b16 v167, 8, v167
	v_lshrrev_b32_e32 v188, 24, v177
	v_lshrrev_b32_e32 v189, 16, v177
	v_sub_nc_u16 v184, v184, v185
	v_lshrrev_b16 v185, 8, v169
	v_sub_nc_u16 v169, v169, v176
	v_lshrrev_b16 v176, 8, v176
	s_waitcnt lgkmcnt(1)
	v_ashrrev_i32_e32 v153, s25, v153
	v_ashrrev_i32_e32 v154, s25, v154
	v_lshlrev_b16 v183, 8, v183
	s_waitcnt lgkmcnt(0)
	v_ashrrev_i32_e32 v155, s25, v155
	v_sub_nc_u16 v176, v185, v176
	v_bfe_u32 v185, v171, 24, 2
	v_and_b32_e32 v171, 0x3030303, v171
	v_lshlrev_b32_e32 v153, 2, v153
	v_lshlrev_b32_e32 v154, 2, v154
	v_lshlrev_b16 v176, 8, v176
	v_sub_nc_u16 v185, v185, v186
	v_lshrrev_b32_e32 v186, 16, v171
	v_and_b32_e32 v153, 0x4040404, v153
	v_and_b32_e32 v154, 0x4040404, v154
	v_lshlrev_b32_e32 v155, 2, v155
	v_lshlrev_b16 v185, 8, v185
	v_sub_nc_u16 v186, v186, v187
	v_lshrrev_b16 v187, 8, v171
	v_sub_nc_u16 v171, v171, v170
	v_lshrrev_b16 v170, 8, v170
	v_lshrrev_b32_e32 v190, 24, v153
	v_lshrrev_b32_e32 v191, 16, v153
	;; [unrolled: 1-line block ×4, first 2 shown]
	v_sub_nc_u16 v170, v187, v170
	v_bfe_u32 v187, v172, 24, 2
	v_and_b32_e32 v172, 0x3030303, v172
	v_and_b32_e32 v155, 0x4040404, v155
	s_delay_alu instid0(VALU_DEP_4) | instskip(NEXT) | instid1(VALU_DEP_4)
	v_lshlrev_b16 v170, 8, v170
	v_sub_nc_u16 v187, v187, v188
	s_delay_alu instid0(VALU_DEP_4) | instskip(NEXT) | instid1(VALU_DEP_2)
	v_lshrrev_b32_e32 v188, 16, v172
	v_lshlrev_b16 v187, 8, v187
	s_delay_alu instid0(VALU_DEP_2) | instskip(SKIP_3) | instid1(VALU_DEP_1)
	v_sub_nc_u16 v188, v188, v189
	v_lshrrev_b16 v189, 8, v172
	v_sub_nc_u16 v172, v172, v177
	v_lshrrev_b16 v177, 8, v177
	v_sub_nc_u16 v177, v189, v177
	v_bfe_u32 v189, v161, 24, 2
	v_and_b32_e32 v161, 0x3030303, v161
	s_delay_alu instid0(VALU_DEP_3) | instskip(NEXT) | instid1(VALU_DEP_3)
	v_lshlrev_b16 v177, 8, v177
	v_sub_nc_u16 v189, v189, v190
	s_delay_alu instid0(VALU_DEP_3) | instskip(NEXT) | instid1(VALU_DEP_2)
	v_lshrrev_b32_e32 v190, 16, v161
	v_lshlrev_b16 v189, 8, v189
	s_delay_alu instid0(VALU_DEP_2) | instskip(SKIP_3) | instid1(VALU_DEP_1)
	v_sub_nc_u16 v190, v190, v191
	v_lshrrev_b16 v191, 8, v161
	v_sub_nc_u16 v161, v161, v153
	v_lshrrev_b16 v153, 8, v153
	v_sub_nc_u16 v153, v191, v153
	v_bfe_u32 v191, v174, 24, 2
	v_and_b32_e32 v174, 0x3030303, v174
	s_delay_alu instid0(VALU_DEP_3) | instskip(NEXT) | instid1(VALU_DEP_3)
	v_lshlrev_b16 v153, 8, v153
	v_sub_nc_u16 v191, v191, v192
	s_delay_alu instid0(VALU_DEP_3) | instskip(NEXT) | instid1(VALU_DEP_2)
	v_lshrrev_b32_e32 v192, 16, v174
	v_lshlrev_b16 v191, 8, v191
	s_delay_alu instid0(VALU_DEP_2) | instskip(SKIP_3) | instid1(VALU_DEP_1)
	v_sub_nc_u16 v192, v192, v193
	v_lshrrev_b16 v193, 8, v174
	v_sub_nc_u16 v174, v174, v154
	v_lshrrev_b16 v154, 8, v154
	v_sub_nc_u16 v154, v193, v154
	v_and_b32_e32 v193, 0xff, v178
	s_delay_alu instid0(VALU_DEP_2) | instskip(NEXT) | instid1(VALU_DEP_2)
	v_lshlrev_b16 v154, 8, v154
	v_or_b32_e32 v173, v193, v173
	v_and_b32_e32 v193, 0xff, v165
	s_delay_alu instid0(VALU_DEP_2) | instskip(NEXT) | instid1(VALU_DEP_2)
	v_perm_b32 v165, v165, v173, 0x4010c0c
	v_or_b32_e32 v164, v193, v164
	v_and_b32_e32 v193, 0xff, v180
	s_delay_alu instid0(VALU_DEP_2) | instskip(NEXT) | instid1(VALU_DEP_2)
	v_perm_b32 v164, v178, v164, 0xc0c0401
	v_or_b32_e32 v179, v193, v179
	v_and_b32_e32 v193, 0xff, v166
	s_delay_alu instid0(VALU_DEP_3) | instskip(NEXT) | instid1(VALU_DEP_3)
	v_or_b32_e32 v164, v165, v164
	v_perm_b32 v166, v166, v179, 0x4010c0c
	s_delay_alu instid0(VALU_DEP_3) | instskip(SKIP_1) | instid1(VALU_DEP_2)
	v_or_b32_e32 v175, v193, v175
	v_and_b32_e32 v193, 0xff, v182
	v_perm_b32 v173, v180, v175, 0xc0c0401
	s_delay_alu instid0(VALU_DEP_2) | instskip(SKIP_1) | instid1(VALU_DEP_3)
	v_or_b32_e32 v181, v193, v181
	v_and_b32_e32 v193, 0xff, v168
	v_or_b32_e32 v165, v166, v173
	s_delay_alu instid0(VALU_DEP_3) | instskip(NEXT) | instid1(VALU_DEP_3)
	v_perm_b32 v168, v168, v181, 0x4010c0c
	v_or_b32_e32 v167, v193, v167
	v_and_b32_e32 v193, 0xff, v184
	s_delay_alu instid0(VALU_DEP_2) | instskip(NEXT) | instid1(VALU_DEP_2)
	v_perm_b32 v167, v182, v167, 0xc0c0401
	v_or_b32_e32 v183, v193, v183
	v_and_b32_e32 v193, 0xff, v169
	s_delay_alu instid0(VALU_DEP_3) | instskip(NEXT) | instid1(VALU_DEP_3)
	v_or_b32_e32 v166, v168, v167
	v_perm_b32 v169, v169, v183, 0x4010c0c
	s_delay_alu instid0(VALU_DEP_3) | instskip(SKIP_1) | instid1(VALU_DEP_2)
	v_or_b32_e32 v176, v193, v176
	v_and_b32_e32 v193, 0xff, v186
	v_perm_b32 v175, v184, v176, 0xc0c0401
	s_delay_alu instid0(VALU_DEP_2) | instskip(SKIP_1) | instid1(VALU_DEP_3)
	v_or_b32_e32 v185, v193, v185
	v_and_b32_e32 v193, 0xff, v171
	v_or_b32_e32 v167, v169, v175
	s_delay_alu instid0(VALU_DEP_3) | instskip(NEXT) | instid1(VALU_DEP_3)
	v_perm_b32 v171, v171, v185, 0x4010c0c
	v_or_b32_e32 v170, v193, v170
	v_and_b32_e32 v193, 0xff, v188
	s_delay_alu instid0(VALU_DEP_2) | instskip(NEXT) | instid1(VALU_DEP_2)
	v_perm_b32 v170, v186, v170, 0xc0c0401
	v_or_b32_e32 v187, v193, v187
	v_and_b32_e32 v193, 0xff, v172
	s_delay_alu instid0(VALU_DEP_3) | instskip(NEXT) | instid1(VALU_DEP_3)
	v_or_b32_e32 v168, v171, v170
	v_perm_b32 v172, v172, v187, 0x4010c0c
	s_delay_alu instid0(VALU_DEP_3) | instskip(SKIP_3) | instid1(VALU_DEP_4)
	v_or_b32_e32 v177, v193, v177
	v_and_b32_e32 v193, 0xff, v190
	v_lshrrev_b32_e32 v170, 24, v28
	v_lshrrev_b32_e32 v171, 16, v28
	v_perm_b32 v176, v188, v177, 0xc0c0401
	s_delay_alu instid0(VALU_DEP_4) | instskip(SKIP_1) | instid1(VALU_DEP_3)
	v_or_b32_e32 v189, v193, v189
	v_and_b32_e32 v193, 0xff, v161
	v_or_b32_e32 v169, v172, v176
	s_delay_alu instid0(VALU_DEP_3) | instskip(NEXT) | instid1(VALU_DEP_3)
	v_perm_b32 v161, v161, v189, 0x4010c0c
	v_or_b32_e32 v153, v193, v153
	v_and_b32_e32 v193, 0xff, v192
	s_delay_alu instid0(VALU_DEP_2) | instskip(NEXT) | instid1(VALU_DEP_2)
	v_perm_b32 v153, v190, v153, 0xc0c0401
	v_or_b32_e32 v191, v193, v191
	v_and_b32_e32 v193, 0xff, v174
	s_delay_alu instid0(VALU_DEP_3) | instskip(NEXT) | instid1(VALU_DEP_3)
	v_or_b32_e32 v153, v161, v153
	v_perm_b32 v174, v174, v191, 0x4010c0c
	s_delay_alu instid0(VALU_DEP_3)
	v_or_b32_e32 v154, v193, v154
	v_dot4_i32_iu8 v161, v164, v157, 0 neg_lo:[1,1,0]
	v_dot4_i32_iu8 v164, v166, v157, 0 neg_lo:[1,1,0]
	;; [unrolled: 1-line block ×4, first 2 shown]
	v_perm_b32 v154, v192, v154, 0xc0c0401
	v_dot4_i32_iu8 v157, v165, v158, v161 neg_lo:[1,1,0]
	v_dot4_i32_iu8 v161, v167, v158, v164 neg_lo:[1,1,0]
	;; [unrolled: 1-line block ×3, first 2 shown]
	v_lshrrev_b32_e32 v165, 16, v22
	v_or_b32_e32 v154, v174, v154
	v_lshrrev_b32_e32 v166, 24, v24
	v_lshrrev_b32_e32 v167, 16, v24
	;; [unrolled: 1-line block ×4, first 2 shown]
	v_dot4_i32_iu8 v153, v154, v158, v153 neg_lo:[1,1,0]
	v_bfe_u32 v154, v14, 24, 2
	v_lshrrev_b32_e32 v158, 24, v22
	v_and_b32_e32 v14, 0x3030303, v14
	s_delay_alu instid0(VALU_DEP_2) | instskip(NEXT) | instid1(VALU_DEP_2)
	v_sub_nc_u16 v154, v154, v158
	v_lshrrev_b32_e32 v158, 16, v14
	s_delay_alu instid0(VALU_DEP_2) | instskip(NEXT) | instid1(VALU_DEP_2)
	v_lshlrev_b16 v154, 8, v154
	v_sub_nc_u16 v158, v158, v165
	v_lshrrev_b16 v165, 8, v14
	v_sub_nc_u16 v14, v14, v22
	v_lshrrev_b16 v22, 8, v22
	s_delay_alu instid0(VALU_DEP_1) | instskip(SKIP_2) | instid1(VALU_DEP_3)
	v_sub_nc_u16 v22, v165, v22
	v_bfe_u32 v165, v16, 24, 2
	v_and_b32_e32 v16, 0x3030303, v16
	v_lshlrev_b16 v22, 8, v22
	s_delay_alu instid0(VALU_DEP_3) | instskip(NEXT) | instid1(VALU_DEP_3)
	v_sub_nc_u16 v165, v165, v166
	v_lshrrev_b32_e32 v166, 16, v16
	s_delay_alu instid0(VALU_DEP_2) | instskip(NEXT) | instid1(VALU_DEP_2)
	v_lshlrev_b16 v165, 8, v165
	v_sub_nc_u16 v166, v166, v167
	v_lshrrev_b16 v167, 8, v16
	v_sub_nc_u16 v16, v16, v24
	v_lshrrev_b16 v24, 8, v24
	s_delay_alu instid0(VALU_DEP_1) | instskip(SKIP_2) | instid1(VALU_DEP_3)
	v_sub_nc_u16 v24, v167, v24
	v_bfe_u32 v167, v18, 24, 2
	v_and_b32_e32 v18, 0x3030303, v18
	v_lshlrev_b16 v24, 8, v24
	s_delay_alu instid0(VALU_DEP_3) | instskip(NEXT) | instid1(VALU_DEP_3)
	v_sub_nc_u16 v167, v167, v168
	v_lshrrev_b32_e32 v168, 16, v18
	s_delay_alu instid0(VALU_DEP_2) | instskip(NEXT) | instid1(VALU_DEP_2)
	v_lshlrev_b16 v167, 8, v167
	v_sub_nc_u16 v168, v168, v169
	v_lshrrev_b16 v169, 8, v18
	v_sub_nc_u16 v18, v18, v26
	v_lshrrev_b16 v26, 8, v26
	s_delay_alu instid0(VALU_DEP_1) | instskip(SKIP_2) | instid1(VALU_DEP_3)
	v_sub_nc_u16 v26, v169, v26
	v_bfe_u32 v169, v20, 24, 2
	v_and_b32_e32 v20, 0x3030303, v20
	v_lshlrev_b16 v26, 8, v26
	s_delay_alu instid0(VALU_DEP_3) | instskip(NEXT) | instid1(VALU_DEP_3)
	v_sub_nc_u16 v169, v169, v170
	v_lshrrev_b32_e32 v170, 16, v20
	s_delay_alu instid0(VALU_DEP_2) | instskip(NEXT) | instid1(VALU_DEP_2)
	v_lshlrev_b16 v169, 8, v169
	v_sub_nc_u16 v170, v170, v171
	v_lshrrev_b16 v171, 8, v20
	v_sub_nc_u16 v20, v20, v28
	v_lshrrev_b16 v28, 8, v28
	s_delay_alu instid0(VALU_DEP_1) | instskip(SKIP_1) | instid1(VALU_DEP_2)
	v_sub_nc_u16 v28, v171, v28
	v_and_b32_e32 v171, 0xff, v158
	v_lshlrev_b16 v28, 8, v28
	s_delay_alu instid0(VALU_DEP_2) | instskip(SKIP_1) | instid1(VALU_DEP_2)
	v_or_b32_e32 v154, v171, v154
	v_and_b32_e32 v171, 0xff, v14
	v_perm_b32 v14, v14, v154, 0x4010c0c
	s_delay_alu instid0(VALU_DEP_2) | instskip(SKIP_2) | instid1(VALU_DEP_3)
	v_or_b32_e32 v22, v171, v22
	v_and_b32_e32 v171, 0xff, v166
	v_lshrrev_b32_e32 v154, 24, v6
	v_perm_b32 v22, v158, v22, 0xc0c0401
	s_delay_alu instid0(VALU_DEP_3) | instskip(SKIP_2) | instid1(VALU_DEP_4)
	v_or_b32_e32 v165, v171, v165
	v_and_b32_e32 v171, 0xff, v16
	v_lshrrev_b32_e32 v158, 16, v6
	v_or_b32_e32 v14, v14, v22
	s_delay_alu instid0(VALU_DEP_4) | instskip(NEXT) | instid1(VALU_DEP_4)
	v_perm_b32 v16, v16, v165, 0x4010c0c
	v_or_b32_e32 v24, v171, v24
	v_and_b32_e32 v171, 0xff, v168
	v_bfe_u32 v22, v10, 24, 2
	v_and_b32_e32 v10, 0x3030303, v10
	v_dot4_i32_iu8 v14, v14, v150, v162 neg_lo:[1,1,0]
	v_perm_b32 v24, v166, v24, 0xc0c0401
	v_or_b32_e32 v167, v171, v167
	v_and_b32_e32 v171, 0xff, v18
	s_delay_alu instid0(VALU_DEP_3) | instskip(NEXT) | instid1(VALU_DEP_3)
	v_or_b32_e32 v16, v16, v24
	v_perm_b32 v18, v18, v167, 0x4010c0c
	s_delay_alu instid0(VALU_DEP_3) | instskip(SKIP_3) | instid1(VALU_DEP_4)
	v_or_b32_e32 v26, v171, v26
	v_lshrrev_b32_e32 v24, 24, v2
	v_and_b32_e32 v171, 0xff, v170
	v_dot4_i32_iu8 v16, v16, v150, v163 neg_lo:[1,1,0]
	v_perm_b32 v26, v168, v26, 0xc0c0401
	s_delay_alu instid0(VALU_DEP_4)
	v_sub_nc_u16 v22, v22, v24
	v_lshrrev_b32_e32 v24, 16, v10
	v_or_b32_e32 v169, v171, v169
	v_and_b32_e32 v171, 0xff, v20
	v_or_b32_e32 v18, v18, v26
	v_lshrrev_b32_e32 v26, 16, v2
	v_lshlrev_b16 v22, 8, v22
	v_perm_b32 v20, v20, v169, 0x4010c0c
	v_or_b32_e32 v28, v171, v28
	v_dot4_i32_iu8 v18, v18, v150, v159 neg_lo:[1,1,0]
	v_sub_nc_u16 v24, v24, v26
	v_lshrrev_b16 v26, 8, v10
	v_sub_nc_u16 v10, v10, v2
	v_lshrrev_b16 v2, 8, v2
	v_perm_b32 v28, v170, v28, 0xc0c0401
	v_lshrrev_b32_e32 v159, 24, v155
	s_delay_alu instid0(VALU_DEP_3) | instskip(SKIP_1) | instid1(VALU_DEP_4)
	v_sub_nc_u16 v2, v26, v2
	v_ashrrev_i32_e32 v26, s25, v151
	v_or_b32_e32 v20, v20, v28
	v_bfe_u32 v28, v4, 24, 2
	v_and_b32_e32 v4, 0x3030303, v4
	v_lshlrev_b16 v2, 8, v2
	v_lshlrev_b32_e32 v26, 2, v26
	v_dot4_i32_iu8 v20, v20, v150, v160 neg_lo:[1,1,0]
	v_lshrrev_b32_e32 v160, 16, v155
	s_delay_alu instid0(VALU_DEP_3) | instskip(NEXT) | instid1(VALU_DEP_1)
	v_and_b32_e32 v26, 0x4040404, v26
	v_lshrrev_b32_e32 v150, 24, v26
	v_lshrrev_b32_e32 v151, 16, v26
	s_delay_alu instid0(VALU_DEP_2) | instskip(SKIP_1) | instid1(VALU_DEP_2)
	v_sub_nc_u16 v28, v28, v150
	v_lshrrev_b32_e32 v150, 16, v4
	v_lshlrev_b16 v28, 8, v28
	s_delay_alu instid0(VALU_DEP_2) | instskip(SKIP_3) | instid1(VALU_DEP_1)
	v_sub_nc_u16 v150, v150, v151
	v_lshrrev_b16 v151, 8, v4
	v_sub_nc_u16 v4, v4, v26
	v_lshrrev_b16 v26, 8, v26
	v_sub_nc_u16 v26, v151, v26
	v_bfe_u32 v151, v0, 24, 2
	v_and_b32_e32 v0, 0x3030303, v0
	s_delay_alu instid0(VALU_DEP_3) | instskip(NEXT) | instid1(VALU_DEP_3)
	v_lshlrev_b16 v26, 8, v26
	v_sub_nc_u16 v151, v151, v154
	s_delay_alu instid0(VALU_DEP_3) | instskip(NEXT) | instid1(VALU_DEP_2)
	v_lshrrev_b32_e32 v154, 16, v0
	v_lshlrev_b16 v151, 8, v151
	s_delay_alu instid0(VALU_DEP_2) | instskip(SKIP_3) | instid1(VALU_DEP_1)
	v_sub_nc_u16 v154, v154, v158
	v_lshrrev_b16 v158, 8, v0
	v_sub_nc_u16 v0, v0, v6
	v_lshrrev_b16 v6, 8, v6
	v_sub_nc_u16 v6, v158, v6
	v_bfe_u32 v158, v12, 24, 2
	v_and_b32_e32 v12, 0x3030303, v12
	s_delay_alu instid0(VALU_DEP_3) | instskip(NEXT) | instid1(VALU_DEP_3)
	v_lshlrev_b16 v6, 8, v6
	v_sub_nc_u16 v158, v158, v159
	s_delay_alu instid0(VALU_DEP_3) | instskip(NEXT) | instid1(VALU_DEP_2)
	v_lshrrev_b32_e32 v159, 16, v12
	v_lshlrev_b16 v158, 8, v158
	s_delay_alu instid0(VALU_DEP_2) | instskip(SKIP_3) | instid1(VALU_DEP_1)
	v_sub_nc_u16 v159, v159, v160
	v_lshrrev_b16 v160, 8, v12
	v_sub_nc_u16 v12, v12, v155
	v_lshrrev_b16 v155, 8, v155
	v_sub_nc_u16 v155, v160, v155
	v_and_b32_e32 v160, 0xff, v24
	s_delay_alu instid0(VALU_DEP_2) | instskip(NEXT) | instid1(VALU_DEP_2)
	v_lshlrev_b16 v155, 8, v155
	v_or_b32_e32 v22, v160, v22
	v_and_b32_e32 v160, 0xff, v10
	s_delay_alu instid0(VALU_DEP_2) | instskip(NEXT) | instid1(VALU_DEP_2)
	v_perm_b32 v10, v10, v22, 0x4010c0c
	v_or_b32_e32 v2, v160, v2
	v_and_b32_e32 v160, 0xff, v150
	s_delay_alu instid0(VALU_DEP_2) | instskip(NEXT) | instid1(VALU_DEP_2)
	v_perm_b32 v2, v24, v2, 0xc0c0401
	v_or_b32_e32 v28, v160, v28
	v_and_b32_e32 v160, 0xff, v4
	s_delay_alu instid0(VALU_DEP_3) | instskip(SKIP_1) | instid1(VALU_DEP_3)
	v_or_b32_e32 v2, v10, v2
	v_ashrrev_i32_e32 v10, s24, v15
	v_or_b32_e32 v26, v160, v26
	v_and_b32_e32 v160, 0xff, v154
	v_ashrrev_i32_e32 v15, s24, v19
	v_ashrrev_i32_e32 v19, s25, v23
	v_perm_b32 v4, v4, v28, 0x4010c0c
	v_perm_b32 v22, v150, v26, 0xc0c0401
	v_or_b32_e32 v151, v160, v151
	v_and_b32_e32 v160, 0xff, v0
	v_lshlrev_b32_e32 v19, 2, v19
	v_ashrrev_i32_e32 v23, s25, v29
	v_or_b32_e32 v4, v4, v22
	v_perm_b32 v0, v0, v151, 0x4010c0c
	v_or_b32_e32 v6, v160, v6
	v_and_b32_e32 v160, 0xff, v159
	v_and_b32_e32 v19, 0x4040404, v19
	v_ashrrev_i32_e32 v22, s25, v27
	v_dot4_i32_iu8 v2, v2, v144, v157 neg_lo:[1,1,0]
	v_perm_b32 v6, v154, v6, 0xc0c0401
	v_or_b32_e32 v158, v160, v158
	v_and_b32_e32 v160, 0xff, v12
	v_lshrrev_b32_e32 v26, 16, v19
	v_lshlrev_b32_e32 v22, 2, v22
	v_or_b32_e32 v0, v0, v6
	v_perm_b32 v12, v12, v158, 0x4010c0c
	v_or_b32_e32 v155, v160, v155
	v_dot4_i32_iu8 v4, v4, v144, v161 neg_lo:[1,1,0]
	v_and_b32_e32 v22, 0x4040404, v22
	v_dot4_i32_iu8 v0, v0, v144, v164 neg_lo:[1,1,0]
	v_lshlrev_b32_e32 v23, 2, v23
	v_perm_b32 v24, v159, v155, 0xc0c0401
	s_delay_alu instid0(VALU_DEP_4) | instskip(NEXT) | instid1(VALU_DEP_3)
	v_lshrrev_b32_e32 v29, 24, v22
	v_and_b32_e32 v23, 0x4040404, v23
	s_delay_alu instid0(VALU_DEP_3)
	v_or_b32_e32 v6, v12, v24
	v_ashrrev_i32_e32 v12, s24, v17
	v_ashrrev_i32_e32 v17, s24, v21
	;; [unrolled: 1-line block ×3, first 2 shown]
	v_bfe_u32 v24, v10, 24, 2
	v_lshrrev_b32_e32 v25, 24, v19
	v_and_b32_e32 v10, 0x3030303, v10
	v_dot4_i32_iu8 v6, v6, v144, v153 neg_lo:[1,1,0]
	v_lshlrev_b32_e32 v21, 2, v21
	v_lshrrev_b32_e32 v144, 16, v22
	v_sub_nc_u16 v24, v24, v25
	v_lshrrev_b32_e32 v25, 16, v10
	v_lshrrev_b32_e32 v150, 24, v23
	v_and_b32_e32 v21, 0x4040404, v21
	v_lshrrev_b32_e32 v151, 16, v23
	v_lshlrev_b16 v24, 8, v24
	v_sub_nc_u16 v25, v25, v26
	v_lshrrev_b16 v26, 8, v10
	v_sub_nc_u16 v10, v10, v19
	v_lshrrev_b16 v19, 8, v19
	v_lshrrev_b32_e32 v27, 24, v21
	v_lshrrev_b32_e32 v28, 16, v21
	s_add_i32 s24, s24, 2
	s_delay_alu instid0(VALU_DEP_3) | instskip(SKIP_2) | instid1(VALU_DEP_3)
	v_sub_nc_u16 v19, v26, v19
	v_bfe_u32 v26, v12, 24, 2
	v_and_b32_e32 v12, 0x3030303, v12
	v_lshlrev_b16 v19, 8, v19
	s_delay_alu instid0(VALU_DEP_3) | instskip(NEXT) | instid1(VALU_DEP_3)
	v_sub_nc_u16 v26, v26, v27
	v_lshrrev_b32_e32 v27, 16, v12
	s_delay_alu instid0(VALU_DEP_2) | instskip(NEXT) | instid1(VALU_DEP_2)
	v_lshlrev_b16 v26, 8, v26
	v_sub_nc_u16 v27, v27, v28
	v_lshrrev_b16 v28, 8, v12
	v_sub_nc_u16 v12, v12, v21
	v_lshrrev_b16 v21, 8, v21
	s_delay_alu instid0(VALU_DEP_1) | instskip(SKIP_2) | instid1(VALU_DEP_3)
	v_sub_nc_u16 v21, v28, v21
	v_bfe_u32 v28, v15, 24, 2
	v_and_b32_e32 v15, 0x3030303, v15
	v_lshlrev_b16 v21, 8, v21
	s_delay_alu instid0(VALU_DEP_3) | instskip(NEXT) | instid1(VALU_DEP_3)
	v_sub_nc_u16 v28, v28, v29
	v_lshrrev_b32_e32 v29, 16, v15
	s_delay_alu instid0(VALU_DEP_2) | instskip(NEXT) | instid1(VALU_DEP_2)
	v_lshlrev_b16 v28, 8, v28
	v_sub_nc_u16 v29, v29, v144
	v_lshrrev_b16 v144, 8, v15
	v_sub_nc_u16 v15, v15, v22
	v_lshrrev_b16 v22, 8, v22
	s_delay_alu instid0(VALU_DEP_1) | instskip(SKIP_2) | instid1(VALU_DEP_3)
	v_sub_nc_u16 v22, v144, v22
	v_bfe_u32 v144, v17, 24, 2
	v_and_b32_e32 v17, 0x3030303, v17
	v_lshlrev_b16 v22, 8, v22
	s_delay_alu instid0(VALU_DEP_3) | instskip(NEXT) | instid1(VALU_DEP_3)
	v_sub_nc_u16 v144, v144, v150
	v_lshrrev_b32_e32 v150, 16, v17
	s_delay_alu instid0(VALU_DEP_2) | instskip(NEXT) | instid1(VALU_DEP_2)
	v_lshlrev_b16 v144, 8, v144
	v_sub_nc_u16 v150, v150, v151
	v_lshrrev_b16 v151, 8, v17
	v_sub_nc_u16 v17, v17, v23
	v_lshrrev_b16 v23, 8, v23
	s_delay_alu instid0(VALU_DEP_1) | instskip(SKIP_1) | instid1(VALU_DEP_2)
	v_sub_nc_u16 v23, v151, v23
	v_and_b32_e32 v151, 0xff, v25
	v_lshlrev_b16 v23, 8, v23
	s_delay_alu instid0(VALU_DEP_2) | instskip(SKIP_1) | instid1(VALU_DEP_2)
	v_or_b32_e32 v24, v151, v24
	v_and_b32_e32 v151, 0xff, v10
	v_perm_b32 v10, v10, v24, 0x4010c0c
	s_delay_alu instid0(VALU_DEP_2) | instskip(SKIP_2) | instid1(VALU_DEP_3)
	v_or_b32_e32 v19, v151, v19
	v_and_b32_e32 v151, 0xff, v27
	v_lshrrev_b32_e32 v24, 16, v7
	v_perm_b32 v19, v25, v19, 0xc0c0401
	s_delay_alu instid0(VALU_DEP_3) | instskip(SKIP_1) | instid1(VALU_DEP_3)
	v_or_b32_e32 v26, v151, v26
	v_and_b32_e32 v151, 0xff, v12
	v_or_b32_e32 v10, v10, v19
	s_delay_alu instid0(VALU_DEP_3) | instskip(NEXT) | instid1(VALU_DEP_3)
	v_perm_b32 v12, v12, v26, 0x4010c0c
	v_or_b32_e32 v21, v151, v21
	v_and_b32_e32 v151, 0xff, v29
	v_lshrrev_b32_e32 v19, 24, v3
	v_dot4_i32_iu8 v10, v10, v143, v14 neg_lo:[1,1,0]
	s_delay_alu instid0(VALU_DEP_4) | instskip(NEXT) | instid1(VALU_DEP_4)
	v_perm_b32 v21, v27, v21, 0xc0c0401
	v_or_b32_e32 v28, v151, v28
	v_and_b32_e32 v151, 0xff, v15
	s_delay_alu instid0(VALU_DEP_3) | instskip(NEXT) | instid1(VALU_DEP_3)
	v_or_b32_e32 v12, v12, v21
	v_perm_b32 v15, v15, v28, 0x4010c0c
	s_delay_alu instid0(VALU_DEP_3) | instskip(SKIP_1) | instid1(VALU_DEP_4)
	v_or_b32_e32 v22, v151, v22
	v_and_b32_e32 v151, 0xff, v150
	v_dot4_i32_iu8 v12, v12, v143, v16 neg_lo:[1,1,0]
	v_ashrrev_i32_e32 v16, s25, v152
	s_delay_alu instid0(VALU_DEP_4) | instskip(NEXT) | instid1(VALU_DEP_4)
	v_perm_b32 v22, v29, v22, 0xc0c0401
	v_or_b32_e32 v144, v151, v144
	v_and_b32_e32 v151, 0xff, v17
	s_delay_alu instid0(VALU_DEP_4) | instskip(NEXT) | instid1(VALU_DEP_4)
	v_lshlrev_b32_e32 v16, 2, v16
	v_or_b32_e32 v15, v15, v22
	s_delay_alu instid0(VALU_DEP_4) | instskip(NEXT) | instid1(VALU_DEP_4)
	v_perm_b32 v17, v17, v144, 0x4010c0c
	v_or_b32_e32 v23, v151, v23
	s_delay_alu instid0(VALU_DEP_4) | instskip(NEXT) | instid1(VALU_DEP_4)
	v_and_b32_e32 v16, 0x4040404, v16
	v_dot4_i32_iu8 v14, v15, v143, v18 neg_lo:[1,1,0]
	v_bfe_u32 v18, v11, 24, 2
	s_delay_alu instid0(VALU_DEP_4)
	v_perm_b32 v23, v150, v23, 0xc0c0401
	v_and_b32_e32 v11, 0x3030303, v11
	v_lshrrev_b32_e32 v21, 24, v16
	v_lshrrev_b32_e32 v22, 16, v16
	v_sub_nc_u16 v18, v18, v19
	v_or_b32_e32 v17, v17, v23
	v_lshrrev_b32_e32 v19, 16, v11
	v_lshrrev_b32_e32 v23, 24, v7
	s_delay_alu instid0(VALU_DEP_4) | instskip(NEXT) | instid1(VALU_DEP_4)
	v_lshlrev_b16 v18, 8, v18
	v_dot4_i32_iu8 v15, v17, v143, v20 neg_lo:[1,1,0]
	v_lshrrev_b32_e32 v20, 16, v3
	v_ashrrev_i32_e32 v17, s25, v156
	s_add_i32 s25, s25, 1
	s_cmp_lt_u32 s26, 14
	s_delay_alu instid0(VALU_DEP_2) | instskip(SKIP_4) | instid1(VALU_DEP_2)
	v_sub_nc_u16 v19, v19, v20
	v_lshrrev_b16 v20, 8, v11
	v_sub_nc_u16 v11, v11, v3
	v_lshrrev_b16 v3, 8, v3
	v_lshlrev_b32_e32 v17, 2, v17
	v_sub_nc_u16 v3, v20, v3
	v_bfe_u32 v20, v5, 24, 2
	v_and_b32_e32 v5, 0x3030303, v5
	s_delay_alu instid0(VALU_DEP_4) | instskip(NEXT) | instid1(VALU_DEP_4)
	v_and_b32_e32 v17, 0x4040404, v17
	v_lshlrev_b16 v3, 8, v3
	s_delay_alu instid0(VALU_DEP_4) | instskip(NEXT) | instid1(VALU_DEP_4)
	v_sub_nc_u16 v20, v20, v21
	v_lshrrev_b32_e32 v21, 16, v5
	s_delay_alu instid0(VALU_DEP_4) | instskip(SKIP_1) | instid1(VALU_DEP_4)
	v_lshrrev_b32_e32 v25, 24, v17
	v_lshrrev_b32_e32 v26, 16, v17
	v_lshlrev_b16 v20, 8, v20
	s_delay_alu instid0(VALU_DEP_4) | instskip(SKIP_3) | instid1(VALU_DEP_1)
	v_sub_nc_u16 v21, v21, v22
	v_lshrrev_b16 v22, 8, v5
	v_sub_nc_u16 v5, v5, v16
	v_lshrrev_b16 v16, 8, v16
	v_sub_nc_u16 v16, v22, v16
	v_bfe_u32 v22, v1, 24, 2
	v_and_b32_e32 v1, 0x3030303, v1
	s_delay_alu instid0(VALU_DEP_3) | instskip(NEXT) | instid1(VALU_DEP_3)
	v_lshlrev_b16 v16, 8, v16
	v_sub_nc_u16 v22, v22, v23
	s_delay_alu instid0(VALU_DEP_3) | instskip(NEXT) | instid1(VALU_DEP_2)
	v_lshrrev_b32_e32 v23, 16, v1
	v_lshlrev_b16 v22, 8, v22
	s_delay_alu instid0(VALU_DEP_2) | instskip(SKIP_3) | instid1(VALU_DEP_1)
	v_sub_nc_u16 v23, v23, v24
	v_lshrrev_b16 v24, 8, v1
	v_sub_nc_u16 v1, v1, v7
	v_lshrrev_b16 v7, 8, v7
	v_sub_nc_u16 v7, v24, v7
	v_bfe_u32 v24, v13, 24, 2
	v_and_b32_e32 v13, 0x3030303, v13
	s_delay_alu instid0(VALU_DEP_3) | instskip(NEXT) | instid1(VALU_DEP_3)
	v_lshlrev_b16 v7, 8, v7
	v_sub_nc_u16 v24, v24, v25
	s_delay_alu instid0(VALU_DEP_3) | instskip(NEXT) | instid1(VALU_DEP_2)
	v_lshrrev_b32_e32 v25, 16, v13
	v_lshlrev_b16 v24, 8, v24
	s_delay_alu instid0(VALU_DEP_2) | instskip(SKIP_3) | instid1(VALU_DEP_1)
	v_sub_nc_u16 v25, v25, v26
	v_lshrrev_b16 v26, 8, v13
	v_sub_nc_u16 v13, v13, v17
	v_lshrrev_b16 v17, 8, v17
	v_sub_nc_u16 v17, v26, v17
	v_and_b32_e32 v26, 0xff, v19
	s_delay_alu instid0(VALU_DEP_2) | instskip(NEXT) | instid1(VALU_DEP_2)
	v_lshlrev_b16 v17, 8, v17
	v_or_b32_e32 v18, v26, v18
	v_and_b32_e32 v26, 0xff, v11
	s_delay_alu instid0(VALU_DEP_2) | instskip(NEXT) | instid1(VALU_DEP_2)
	v_perm_b32 v11, v11, v18, 0x4010c0c
	v_or_b32_e32 v3, v26, v3
	v_and_b32_e32 v26, 0xff, v21
	s_delay_alu instid0(VALU_DEP_2) | instskip(NEXT) | instid1(VALU_DEP_2)
	v_perm_b32 v3, v19, v3, 0xc0c0401
	v_or_b32_e32 v20, v26, v20
	v_and_b32_e32 v26, 0xff, v5
	s_delay_alu instid0(VALU_DEP_3) | instskip(SKIP_1) | instid1(VALU_DEP_3)
	v_or_b32_e32 v3, v11, v3
	v_add3_u32 v11, v118, s27, v149
	v_or_b32_e32 v16, v26, v16
	v_and_b32_e32 v26, 0xff, v23
	v_perm_b32 v5, v5, v20, 0x4010c0c
	s_delay_alu instid0(VALU_DEP_3) | instskip(NEXT) | instid1(VALU_DEP_3)
	v_perm_b32 v16, v21, v16, 0xc0c0401
	v_or_b32_e32 v22, v26, v22
	v_and_b32_e32 v26, 0xff, v1
	s_delay_alu instid0(VALU_DEP_3) | instskip(NEXT) | instid1(VALU_DEP_3)
	v_or_b32_e32 v5, v5, v16
	v_perm_b32 v1, v1, v22, 0x4010c0c
	s_delay_alu instid0(VALU_DEP_3)
	v_or_b32_e32 v7, v26, v7
	v_and_b32_e32 v26, 0xff, v25
	v_dot4_i32_iu8 v16, v3, v140, v2 neg_lo:[1,1,0]
	v_dot4_i32_iu8 v18, v5, v140, v4 neg_lo:[1,1,0]
	v_bfe_i32 v4, v146, 0, 8
	v_perm_b32 v7, v23, v7, 0xc0c0401
	v_or_b32_e32 v24, v26, v24
	v_and_b32_e32 v26, 0xff, v13
	v_bfe_i32 v5, v148, 0, 8
	s_delay_alu instid0(VALU_DEP_4) | instskip(NEXT) | instid1(VALU_DEP_4)
	v_or_b32_e32 v1, v1, v7
	v_perm_b32 v13, v13, v24, 0x4010c0c
	s_delay_alu instid0(VALU_DEP_4) | instskip(NEXT) | instid1(VALU_DEP_3)
	v_or_b32_e32 v17, v26, v17
	v_dot4_i32_iu8 v19, v1, v140, v0 neg_lo:[1,1,0]
	s_delay_alu instid0(VALU_DEP_2) | instskip(NEXT) | instid1(VALU_DEP_1)
	v_perm_b32 v17, v25, v17, 0xc0c0401
	v_or_b32_e32 v7, v13, v17
	v_add3_u32 v13, v116, s27, v149
	ds_load_u16 v11, v11
	ds_load_u16 v13, v13
	ds_load_b32 v17, v139
	v_dot4_i32_iu8 v7, v7, v140, v6 neg_lo:[1,1,0]
	v_add_nc_u32_e32 v139, 4, v139
	s_waitcnt lgkmcnt(2)
	v_bfe_i32 v1, v11, 0, 8
	s_waitcnt lgkmcnt(1)
	v_lshrrev_b16 v0, 8, v13
	v_bfe_i32 v3, v13, 0, 8
	v_lshrrev_b16 v2, 8, v11
	s_delay_alu instid0(VALU_DEP_3) | instskip(SKIP_1) | instid1(VALU_DEP_3)
	v_bfe_i32 v13, v0, 0, 8
	v_lshrrev_b16 v0, 8, v146
	v_bfe_i32 v11, v2, 0, 8
	v_lshrrev_b16 v2, 8, v148
	s_delay_alu instid0(VALU_DEP_3) | instskip(SKIP_2) | instid1(VALU_DEP_4)
	v_bfe_i32 v20, v0, 0, 8
	v_mul_lo_u32 v0, v10, v1
	v_mul_lo_u32 v1, v12, v4
	v_bfe_i32 v21, v2, 0, 8
	v_mul_lo_u32 v2, v14, v3
	v_mul_lo_u32 v3, v15, v5
	s_delay_alu instid0(VALU_DEP_4) | instskip(NEXT) | instid1(VALU_DEP_3)
	v_mad_u64_u32 v[4:5], null, v16, v11, v[0:1]
	v_mad_u64_u32 v[5:6], null, v18, v20, v[1:2]
	s_delay_alu instid0(VALU_DEP_3) | instskip(SKIP_2) | instid1(VALU_DEP_4)
	v_mad_u64_u32 v[0:1], null, v19, v13, v[2:3]
	s_waitcnt lgkmcnt(0)
	v_mul_f32_e32 v6, v17, v145
	v_mad_u64_u32 v[1:2], null, v7, v21, v[3:4]
	v_mul_f32_e32 v2, v17, v141
	v_mul_f32_e32 v3, v17, v142
	;; [unrolled: 1-line block ×3, first 2 shown]
	v_cvt_f32_i32_e32 v4, v4
	v_cvt_f32_i32_e32 v5, v5
	;; [unrolled: 1-line block ×4, first 2 shown]
	s_delay_alu instid0(VALU_DEP_4) | instskip(NEXT) | instid1(VALU_DEP_3)
	v_fmac_f32_e32 v33, v2, v4
	v_dual_fmac_f32 v134, v6, v5 :: v_dual_fmac_f32 v135, v3, v0
	s_delay_alu instid0(VALU_DEP_3)
	v_fmac_f32_e32 v136, v7, v1
	s_cbranch_scc1 .LBB209_20
; %bb.21:                               ;   in Loop: Header=BB209_5 Depth=1
	s_or_b32 s1, s18, 0x100
	s_delay_alu instid0(SALU_CYCLE_1)
	s_cmp_ge_i32 s1, s11
	s_barrier
	buffer_gl0_inv
	s_cbranch_scc1 .LBB209_4
; %bb.22:                               ;   in Loop: Header=BB209_5 Depth=1
	v_add_nc_u32_e32 v0, s19, v106
	s_delay_alu instid0(VALU_DEP_1) | instskip(NEXT) | instid1(VALU_DEP_1)
	v_cmp_gt_i32_e64 s1, s5, v0
	s_and_b32 s24, s0, s1
	s_delay_alu instid0(SALU_CYCLE_1)
	s_and_saveexec_b32 s1, s24
	s_cbranch_execz .LBB209_24
; %bb.23:                               ;   in Loop: Header=BB209_5 Depth=1
	v_add_nc_u32_e32 v2, v101, v0
	s_delay_alu instid0(VALU_DEP_1)
	v_mad_i64_i32 v[0:1], null, v2, 36, v[8:9]
	global_load_b32 v0, v[0:1], off offset:4
	s_waitcnt vmcnt(0)
	ds_store_b32 v89, v0
.LBB209_24:                             ;   in Loop: Header=BB209_5 Depth=1
	s_or_b32 exec_lo, exec_lo, s1
	s_and_saveexec_b32 s24, vcc_lo
	s_cbranch_execz .LBB209_27
; %bb.25:                               ;   in Loop: Header=BB209_5 Depth=1
	v_or_b32_e32 v0, s19, v31
	s_delay_alu instid0(VALU_DEP_1) | instskip(NEXT) | instid1(VALU_DEP_1)
	v_or_b32_e32 v1, 8, v0
	v_cmp_gt_i32_e64 s1, s5, v1
	s_delay_alu instid0(VALU_DEP_1) | instskip(NEXT) | instid1(SALU_CYCLE_1)
	s_and_b32 s1, s0, s1
	s_and_b32 exec_lo, exec_lo, s1
	s_cbranch_execz .LBB209_27
; %bb.26:                               ;   in Loop: Header=BB209_5 Depth=1
	v_ashrrev_i32_e32 v1, 31, v0
	v_add_co_u32 v2, s1, v101, v0
	s_delay_alu instid0(VALU_DEP_1) | instskip(NEXT) | instid1(VALU_DEP_2)
	v_add_co_ci_u32_e64 v3, s1, v108, v1, s1
	v_mad_u64_u32 v[0:1], null, v2, 36, s[14:15]
	s_delay_alu instid0(VALU_DEP_1)
	v_mad_i32_i24 v1, v3, 36, v1
	global_load_b32 v0, v[0:1], off
	s_waitcnt vmcnt(0)
	v_cvt_f32_f16_e32 v0, v0
	ds_store_b32 v90, v0
.LBB209_27:                             ;   in Loop: Header=BB209_5 Depth=1
	s_or_b32 exec_lo, exec_lo, s24
	v_dual_mov_b32 v138, v113 :: v_dual_mov_b32 v139, v114
	s_mov_b32 s1, 16
	s_mov_b32 s27, 14
	;; [unrolled: 1-line block ×3, first 2 shown]
	s_waitcnt lgkmcnt(0)
	s_barrier
	buffer_gl0_inv
.LBB209_28:                             ;   Parent Loop BB209_5 Depth=1
                                        ; =>  This Inner Loop Header: Depth=2
	s_add_i32 s25, s27, 2
	ds_load_b128 v[4:7], v138
	ds_load_b128 v[0:3], v138 offset:16
	s_and_b32 s29, s25, 0x3ffffff8
	s_lshr_b32 s28, s25, 4
	s_lshl_b32 s29, s29, 2
	s_lshl_b32 s30, s28, 2
	v_add_nc_u32_e32 v147, s29, v93
	v_add_nc_u32_e32 v148, s29, v96
	v_add_nc_u32_e32 v158, s29, v99
	v_add_nc_u32_e32 v20, s30, v94
	s_add_i32 s26, s27, -14
	ds_load_2addr_b32 v[12:13], v147 offset1:1
	ds_load_2addr_b32 v[18:19], v148 offset1:1
	ds_load_2addr_b32 v[10:11], v147 offset0:6 offset1:7
	ds_load_2addr_b32 v[14:15], v147 offset0:2 offset1:3
	;; [unrolled: 1-line block ×3, first 2 shown]
	ds_load_b32 v141, v20
	v_add_nc_u32_e32 v161, s29, v103
	s_lshl_b32 s28, s28, 3
	v_add_nc_u32_e32 v138, 32, v138
	v_add_lshl_u32 v164, v92, s28, 2
	v_add_lshl_u32 v167, v95, s28, 2
	;; [unrolled: 1-line block ×3, first 2 shown]
	s_waitcnt lgkmcnt(7)
	v_perm_b32 v149, v6, v6, 0x30201
	s_waitcnt lgkmcnt(6)
	v_perm_b32 v156, v0, v0, 0x30201
	v_perm_b32 v157, v1, v1, 0x30201
	;; [unrolled: 1-line block ×4, first 2 shown]
	v_add_nc_u32_e32 v6, 0x4208, v164
	v_perm_b32 v150, v4, v4, 0x30201
	v_perm_b32 v151, v5, v5, 0x30201
	s_waitcnt lgkmcnt(5)
	v_ashrrev_i32_e32 v152, s26, v12
	s_waitcnt lgkmcnt(4)
	v_ashrrev_i32_e32 v154, s26, v18
	v_ashrrev_i32_e32 v155, s26, v19
	ds_load_2addr_b32 v[2:3], v158 offset1:1
	ds_load_2addr_b32 v[0:1], v158 offset0:6 offset1:7
	ds_load_2addr_b32 v[18:19], v158 offset0:2 offset1:3
	v_perm_b32 v143, v7, v7, 0x30201
	v_bfe_u32 v174, v152, 24, 2
	v_and_b32_e32 v152, 0x3030303, v152
	v_ashrrev_i32_e32 v153, s26, v13
	v_add_nc_u32_e32 v26, 0x4208, v170
	v_add_lshl_u32 v173, v102, s28, 2
	s_and_b32 s28, s1, -16
	s_waitcnt lgkmcnt(5)
	v_ashrrev_i32_e32 v14, s26, v14
	s_add_i32 s27, s27, s28
	s_waitcnt lgkmcnt(4)
	v_ashrrev_i32_e32 v16, s26, v16
	v_ashrrev_i32_e32 v10, s26, v10
	v_ashrrev_i32_e32 v11, s26, v11
	s_add_i32 s1, s1, 2
	s_waitcnt lgkmcnt(2)
	v_ashrrev_i32_e32 v159, s26, v2
	v_add_nc_u32_e32 v2, s30, v100
	v_ashrrev_i32_e32 v160, s26, v3
	ds_load_2addr_b32 v[20:21], v161 offset0:2 offset1:3
	ds_load_b32 v142, v2
	ds_load_2addr_b32 v[2:3], v161 offset1:1
	s_waitcnt lgkmcnt(3)
	v_ashrrev_i32_e32 v18, s26, v18
	v_ashrrev_i32_e32 v0, s26, v0
	;; [unrolled: 1-line block ×3, first 2 shown]
	s_waitcnt lgkmcnt(2)
	v_ashrrev_i32_e32 v20, s26, v20
	s_waitcnt lgkmcnt(0)
	v_ashrrev_i32_e32 v162, s26, v2
	v_add_nc_u32_e32 v2, 0x4200, v164
	v_ashrrev_i32_e32 v163, s26, v3
	v_add_nc_u32_e32 v3, 0x4218, v164
	ds_load_2addr_b32 v[4:5], v2 offset1:1
	ds_load_2addr_b32 v[2:3], v3 offset1:1
	;; [unrolled: 1-line block ×3, first 2 shown]
	s_waitcnt lgkmcnt(2)
	v_ashrrev_i32_e32 v165, s24, v4
	v_add_nc_u32_e32 v4, 0x4200, v167
	v_ashrrev_i32_e32 v166, s24, v5
	v_add_nc_u32_e32 v5, 0x4208, v167
	ds_load_2addr_b32 v[6:7], v4 offset1:1
	ds_load_2addr_b32 v[24:25], v5 offset1:1
	ds_load_2addr_b32 v[4:5], v148 offset0:6 offset1:7
	v_lshlrev_b32_e32 v165, 2, v165
	v_lshlrev_b32_e32 v166, 2, v166
	s_waitcnt lgkmcnt(3)
	v_ashrrev_i32_e32 v22, s24, v22
	v_ashrrev_i32_e32 v2, s24, v2
	;; [unrolled: 1-line block ×3, first 2 shown]
	v_and_b32_e32 v165, 0x4040404, v165
	v_and_b32_e32 v166, 0x4040404, v166
	v_lshlrev_b32_e32 v22, 2, v22
	v_lshlrev_b32_e32 v2, 2, v2
	;; [unrolled: 1-line block ×3, first 2 shown]
	v_lshrrev_b32_e32 v175, 24, v165
	v_lshrrev_b32_e32 v176, 16, v165
	;; [unrolled: 1-line block ×4, first 2 shown]
	v_and_b32_e32 v22, 0x4040404, v22
	v_sub_nc_u16 v174, v174, v175
	v_lshrrev_b32_e32 v175, 16, v152
	s_waitcnt lgkmcnt(2)
	v_ashrrev_i32_e32 v168, s24, v6
	v_add_nc_u32_e32 v6, 0x4200, v170
	v_ashrrev_i32_e32 v169, s24, v7
	v_add_nc_u32_e32 v7, 0x4218, v170
	v_sub_nc_u16 v175, v175, v176
	v_lshrrev_b16 v176, 8, v152
	v_sub_nc_u16 v152, v152, v165
	v_lshrrev_b16 v165, 8, v165
	v_lshlrev_b32_e32 v168, 2, v168
	ds_load_2addr_b32 v[12:13], v6 offset1:1
	ds_load_2addr_b32 v[6:7], v7 offset1:1
	;; [unrolled: 1-line block ×3, first 2 shown]
	v_lshlrev_b32_e32 v169, 2, v169
	v_lshlrev_b16 v174, 8, v174
	v_sub_nc_u16 v165, v176, v165
	v_bfe_u32 v176, v153, 24, 2
	v_and_b32_e32 v153, 0x3030303, v153
	v_and_b32_e32 v168, 0x4040404, v168
	;; [unrolled: 1-line block ×3, first 2 shown]
	v_lshlrev_b16 v165, 8, v165
	v_sub_nc_u16 v176, v176, v177
	v_lshrrev_b32_e32 v177, 16, v153
	v_lshrrev_b32_e32 v179, 24, v168
	;; [unrolled: 1-line block ×5, first 2 shown]
	v_sub_nc_u16 v177, v177, v178
	v_lshrrev_b16 v178, 8, v153
	v_sub_nc_u16 v153, v153, v166
	v_lshrrev_b16 v166, 8, v166
	s_waitcnt lgkmcnt(2)
	v_ashrrev_i32_e32 v171, s24, v12
	v_add_nc_u32_e32 v12, 0x4200, v173
	v_ashrrev_i32_e32 v172, s24, v13
	v_add_nc_u32_e32 v13, 0x4208, v173
	v_sub_nc_u16 v166, v178, v166
	v_bfe_u32 v178, v154, 24, 2
	v_and_b32_e32 v154, 0x3030303, v154
	v_lshlrev_b32_e32 v171, 2, v171
	ds_load_2addr_b32 v[145:146], v12 offset1:1
	ds_load_2addr_b32 v[28:29], v13 offset1:1
	ds_load_2addr_b32 v[12:13], v161 offset0:6 offset1:7
	v_lshlrev_b32_e32 v172, 2, v172
	v_sub_nc_u16 v178, v178, v179
	v_lshrrev_b32_e32 v179, 16, v154
	v_and_b32_e32 v171, 0x4040404, v171
	v_lshlrev_b16 v176, 8, v176
	v_and_b32_e32 v172, 0x4040404, v172
	v_lshlrev_b16 v166, 8, v166
	v_sub_nc_u16 v179, v179, v180
	v_lshrrev_b16 v180, 8, v154
	v_sub_nc_u16 v154, v154, v168
	v_lshrrev_b16 v168, 8, v168
	v_lshrrev_b32_e32 v183, 24, v171
	v_lshrrev_b32_e32 v184, 16, v171
	;; [unrolled: 1-line block ×4, first 2 shown]
	v_sub_nc_u16 v168, v180, v168
	v_bfe_u32 v180, v155, 24, 2
	v_and_b32_e32 v155, 0x3030303, v155
	s_waitcnt lgkmcnt(2)
	v_ashrrev_i32_e32 v145, s24, v145
	v_ashrrev_i32_e32 v146, s24, v146
	v_lshlrev_b16 v178, 8, v178
	v_sub_nc_u16 v180, v180, v181
	v_lshrrev_b32_e32 v181, 16, v155
	v_lshlrev_b32_e32 v145, 2, v145
	v_lshlrev_b32_e32 v146, 2, v146
	v_lshlrev_b16 v168, 8, v168
	v_lshlrev_b16 v180, 8, v180
	v_sub_nc_u16 v181, v181, v182
	v_lshrrev_b16 v182, 8, v155
	v_sub_nc_u16 v155, v155, v169
	v_lshrrev_b16 v169, 8, v169
	v_and_b32_e32 v145, 0x4040404, v145
	v_and_b32_e32 v146, 0x4040404, v146
	v_ashrrev_i32_e32 v24, s24, v24
	v_ashrrev_i32_e32 v26, s24, v26
	v_sub_nc_u16 v169, v182, v169
	v_bfe_u32 v182, v159, 24, 2
	v_and_b32_e32 v159, 0x3030303, v159
	v_lshrrev_b32_e32 v187, 24, v145
	v_lshrrev_b32_e32 v188, 16, v145
	;; [unrolled: 1-line block ×3, first 2 shown]
	v_sub_nc_u16 v182, v182, v183
	v_lshrrev_b32_e32 v183, 16, v159
	v_lshrrev_b32_e32 v190, 16, v146
	v_lshlrev_b16 v169, 8, v169
	v_lshlrev_b32_e32 v24, 2, v24
	v_lshlrev_b16 v182, 8, v182
	v_sub_nc_u16 v183, v183, v184
	v_lshrrev_b16 v184, 8, v159
	v_sub_nc_u16 v159, v159, v171
	v_lshrrev_b16 v171, 8, v171
	v_and_b32_e32 v24, 0x4040404, v24
	v_lshlrev_b32_e32 v26, 2, v26
	s_waitcnt lgkmcnt(1)
	v_ashrrev_i32_e32 v28, s24, v28
	v_and_b32_e32 v2, 0x4040404, v2
	v_sub_nc_u16 v171, v184, v171
	v_bfe_u32 v184, v160, 24, 2
	v_and_b32_e32 v160, 0x3030303, v160
	v_and_b32_e32 v26, 0x4040404, v26
	v_lshlrev_b32_e32 v28, 2, v28
	v_lshlrev_b16 v171, 8, v171
	v_sub_nc_u16 v184, v184, v185
	v_lshrrev_b32_e32 v185, 16, v160
	v_ashrrev_i32_e32 v4, s26, v4
	v_and_b32_e32 v28, 0x4040404, v28
	v_ashrrev_i32_e32 v6, s24, v6
	v_lshlrev_b16 v184, 8, v184
	v_sub_nc_u16 v185, v185, v186
	v_lshrrev_b16 v186, 8, v160
	v_sub_nc_u16 v160, v160, v172
	v_lshrrev_b16 v172, 8, v172
	v_lshlrev_b32_e32 v6, 2, v6
	s_waitcnt lgkmcnt(0)
	v_ashrrev_i32_e32 v12, s26, v12
	v_and_b32_e32 v3, 0x4040404, v3
	v_ashrrev_i32_e32 v5, s26, v5
	v_sub_nc_u16 v172, v186, v172
	v_bfe_u32 v186, v162, 24, 2
	v_and_b32_e32 v162, 0x3030303, v162
	v_and_b32_e32 v6, 0x4040404, v6
	v_ashrrev_i32_e32 v7, s24, v7
	v_lshlrev_b16 v172, 8, v172
	v_sub_nc_u16 v186, v186, v187
	v_lshrrev_b32_e32 v187, 16, v162
	v_ashrrev_i32_e32 v13, s26, v13
	v_lshlrev_b32_e32 v7, 2, v7
	s_delay_alu instid0(VALU_DEP_4) | instskip(NEXT) | instid1(VALU_DEP_4)
	v_lshlrev_b16 v186, 8, v186
	v_sub_nc_u16 v187, v187, v188
	v_lshrrev_b16 v188, 8, v162
	v_sub_nc_u16 v162, v162, v145
	v_lshrrev_b16 v145, 8, v145
	v_and_b32_e32 v7, 0x4040404, v7
	s_delay_alu instid0(VALU_DEP_2) | instskip(SKIP_2) | instid1(VALU_DEP_3)
	v_sub_nc_u16 v145, v188, v145
	v_bfe_u32 v188, v163, 24, 2
	v_and_b32_e32 v163, 0x3030303, v163
	v_lshlrev_b16 v145, 8, v145
	s_delay_alu instid0(VALU_DEP_3) | instskip(NEXT) | instid1(VALU_DEP_3)
	v_sub_nc_u16 v188, v188, v189
	v_lshrrev_b32_e32 v189, 16, v163
	s_delay_alu instid0(VALU_DEP_2) | instskip(NEXT) | instid1(VALU_DEP_2)
	v_lshlrev_b16 v188, 8, v188
	v_sub_nc_u16 v189, v189, v190
	v_lshrrev_b16 v190, 8, v163
	v_sub_nc_u16 v163, v163, v146
	v_lshrrev_b16 v146, 8, v146
	s_delay_alu instid0(VALU_DEP_1) | instskip(SKIP_1) | instid1(VALU_DEP_2)
	v_sub_nc_u16 v146, v190, v146
	v_and_b32_e32 v190, 0xff, v175
	v_lshlrev_b16 v146, 8, v146
	s_delay_alu instid0(VALU_DEP_2) | instskip(SKIP_1) | instid1(VALU_DEP_2)
	v_or_b32_e32 v174, v190, v174
	v_and_b32_e32 v190, 0xff, v152
	v_perm_b32 v152, v152, v174, 0x4010c0c
	s_delay_alu instid0(VALU_DEP_2) | instskip(SKIP_1) | instid1(VALU_DEP_2)
	v_or_b32_e32 v165, v190, v165
	v_and_b32_e32 v190, 0xff, v177
	v_perm_b32 v165, v175, v165, 0xc0c0401
	s_delay_alu instid0(VALU_DEP_2) | instskip(SKIP_1) | instid1(VALU_DEP_3)
	v_or_b32_e32 v176, v190, v176
	v_and_b32_e32 v190, 0xff, v153
	v_or_b32_e32 v152, v152, v165
	s_delay_alu instid0(VALU_DEP_3) | instskip(NEXT) | instid1(VALU_DEP_3)
	v_perm_b32 v153, v153, v176, 0x4010c0c
	v_or_b32_e32 v166, v190, v166
	v_and_b32_e32 v190, 0xff, v179
	s_delay_alu instid0(VALU_DEP_4) | instskip(NEXT) | instid1(VALU_DEP_3)
	v_dot4_i32_iu8 v152, v152, v150, 0 neg_lo:[1,1,0]
	v_perm_b32 v166, v177, v166, 0xc0c0401
	s_delay_alu instid0(VALU_DEP_3) | instskip(SKIP_1) | instid1(VALU_DEP_3)
	v_or_b32_e32 v178, v190, v178
	v_and_b32_e32 v190, 0xff, v154
	v_or_b32_e32 v153, v153, v166
	s_delay_alu instid0(VALU_DEP_3) | instskip(NEXT) | instid1(VALU_DEP_3)
	v_perm_b32 v154, v154, v178, 0x4010c0c
	v_or_b32_e32 v168, v190, v168
	v_and_b32_e32 v190, 0xff, v181
	s_delay_alu instid0(VALU_DEP_2) | instskip(NEXT) | instid1(VALU_DEP_2)
	v_perm_b32 v168, v179, v168, 0xc0c0401
	v_or_b32_e32 v180, v190, v180
	v_and_b32_e32 v190, 0xff, v155
	s_delay_alu instid0(VALU_DEP_3) | instskip(NEXT) | instid1(VALU_DEP_3)
	v_or_b32_e32 v154, v154, v168
	v_perm_b32 v155, v155, v180, 0x4010c0c
	s_delay_alu instid0(VALU_DEP_3) | instskip(SKIP_1) | instid1(VALU_DEP_4)
	v_or_b32_e32 v169, v190, v169
	v_and_b32_e32 v190, 0xff, v183
	v_dot4_i32_iu8 v154, v154, v150, 0 neg_lo:[1,1,0]
	s_delay_alu instid0(VALU_DEP_3) | instskip(NEXT) | instid1(VALU_DEP_3)
	v_perm_b32 v169, v181, v169, 0xc0c0401
	v_or_b32_e32 v182, v190, v182
	v_and_b32_e32 v190, 0xff, v159
	s_delay_alu instid0(VALU_DEP_3) | instskip(NEXT) | instid1(VALU_DEP_3)
	v_or_b32_e32 v155, v155, v169
	v_perm_b32 v159, v159, v182, 0x4010c0c
	s_delay_alu instid0(VALU_DEP_3) | instskip(SKIP_1) | instid1(VALU_DEP_2)
	v_or_b32_e32 v171, v190, v171
	v_and_b32_e32 v190, 0xff, v185
	v_perm_b32 v171, v183, v171, 0xc0c0401
	s_delay_alu instid0(VALU_DEP_2) | instskip(SKIP_1) | instid1(VALU_DEP_3)
	v_or_b32_e32 v184, v190, v184
	v_and_b32_e32 v190, 0xff, v160
	v_or_b32_e32 v159, v159, v171
	s_delay_alu instid0(VALU_DEP_3) | instskip(NEXT) | instid1(VALU_DEP_3)
	v_perm_b32 v160, v160, v184, 0x4010c0c
	v_or_b32_e32 v172, v190, v172
	v_and_b32_e32 v190, 0xff, v187
	s_delay_alu instid0(VALU_DEP_4) | instskip(NEXT) | instid1(VALU_DEP_3)
	v_dot4_i32_iu8 v159, v159, v150, 0 neg_lo:[1,1,0]
	v_perm_b32 v172, v185, v172, 0xc0c0401
	s_delay_alu instid0(VALU_DEP_3) | instskip(SKIP_1) | instid1(VALU_DEP_3)
	v_or_b32_e32 v186, v190, v186
	v_and_b32_e32 v190, 0xff, v162
	v_or_b32_e32 v160, v160, v172
	s_delay_alu instid0(VALU_DEP_3) | instskip(NEXT) | instid1(VALU_DEP_3)
	v_perm_b32 v162, v162, v186, 0x4010c0c
	v_or_b32_e32 v145, v190, v145
	v_and_b32_e32 v190, 0xff, v189
	s_delay_alu instid0(VALU_DEP_4) | instskip(NEXT) | instid1(VALU_DEP_3)
	v_dot4_i32_iu8 v159, v160, v151, v159 neg_lo:[1,1,0]
	v_perm_b32 v145, v187, v145, 0xc0c0401
	s_delay_alu instid0(VALU_DEP_3) | instskip(SKIP_1) | instid1(VALU_DEP_3)
	v_or_b32_e32 v188, v190, v188
	v_and_b32_e32 v190, 0xff, v163
	v_or_b32_e32 v145, v162, v145
	s_delay_alu instid0(VALU_DEP_3) | instskip(NEXT) | instid1(VALU_DEP_3)
	v_perm_b32 v163, v163, v188, 0x4010c0c
	v_or_b32_e32 v146, v190, v146
	v_dot4_i32_iu8 v162, v153, v151, v152 neg_lo:[1,1,0]
	v_add_nc_u32_e32 v152, 0x4210, v173
	v_dot4_i32_iu8 v145, v145, v150, 0 neg_lo:[1,1,0]
	v_add_nc_u32_e32 v150, 0x4218, v167
	v_perm_b32 v146, v189, v146, 0xc0c0401
	s_delay_alu instid0(VALU_DEP_1) | instskip(SKIP_2) | instid1(VALU_DEP_3)
	v_or_b32_e32 v146, v163, v146
	v_dot4_i32_iu8 v163, v155, v151, v154 neg_lo:[1,1,0]
	v_add_nc_u32_e32 v154, 0x4218, v173
	v_dot4_i32_iu8 v160, v146, v151, v145 neg_lo:[1,1,0]
	ds_load_2addr_b32 v[145:146], v147 offset0:4 offset1:5
	v_add_nc_u32_e32 v147, 0x4210, v167
	s_waitcnt lgkmcnt(0)
	v_ashrrev_i32_e32 v165, s26, v145
	v_ashrrev_i32_e32 v166, s26, v146
	ds_load_2addr_b32 v[145:146], v148 offset0:4 offset1:5
	v_bfe_u32 v173, v165, 24, 2
	v_and_b32_e32 v165, 0x3030303, v165
	s_waitcnt lgkmcnt(0)
	v_ashrrev_i32_e32 v168, s26, v145
	v_ashrrev_i32_e32 v169, s26, v146
	ds_load_2addr_b32 v[145:146], v158 offset0:4 offset1:5
	s_waitcnt lgkmcnt(0)
	v_ashrrev_i32_e32 v158, s26, v145
	v_ashrrev_i32_e32 v171, s26, v146
	ds_load_2addr_b32 v[145:146], v161 offset0:4 offset1:5
	s_waitcnt lgkmcnt(0)
	v_ashrrev_i32_e32 v161, s26, v145
	v_add_nc_u32_e32 v145, 0x4210, v164
	v_ashrrev_i32_e32 v172, s26, v146
	ds_load_2addr_b32 v[145:146], v145 offset1:1
	s_waitcnt lgkmcnt(0)
	v_ashrrev_i32_e32 v164, s24, v145
	v_add_nc_u32_e32 v145, s27, v121
	v_ashrrev_i32_e32 v174, s24, v146
	s_delay_alu instid0(VALU_DEP_3)
	v_lshlrev_b32_e32 v164, 2, v164
	ds_load_u16 v146, v145 offset:26354
	v_add_nc_u32_e32 v145, s30, v97
	ds_load_b32 v145, v145
	ds_load_2addr_b32 v[147:148], v147 offset1:1
	ds_load_2addr_b32 v[150:151], v150 offset1:1
	v_and_b32_e32 v164, 0x4040404, v164
	v_lshlrev_b32_e32 v174, 2, v174
	s_delay_alu instid0(VALU_DEP_2) | instskip(SKIP_1) | instid1(VALU_DEP_3)
	v_lshrrev_b32_e32 v177, 24, v164
	v_lshrrev_b32_e32 v178, 16, v164
	v_and_b32_e32 v174, 0x4040404, v174
	s_delay_alu instid0(VALU_DEP_3) | instskip(SKIP_1) | instid1(VALU_DEP_3)
	v_sub_nc_u16 v173, v173, v177
	v_lshrrev_b32_e32 v177, 16, v165
	v_lshrrev_b32_e32 v179, 24, v174
	;; [unrolled: 1-line block ×3, first 2 shown]
	s_delay_alu instid0(VALU_DEP_4) | instskip(NEXT) | instid1(VALU_DEP_4)
	v_lshlrev_b16 v173, 8, v173
	v_sub_nc_u16 v177, v177, v178
	v_lshrrev_b16 v178, 8, v165
	v_sub_nc_u16 v165, v165, v164
	v_lshrrev_b16 v164, 8, v164
	s_waitcnt lgkmcnt(1)
	v_ashrrev_i32_e32 v167, s24, v147
	v_add_nc_u32_e32 v147, 0x4210, v170
	v_ashrrev_i32_e32 v175, s24, v148
	v_sub_nc_u16 v164, v178, v164
	v_bfe_u32 v178, v166, 24, 2
	v_and_b32_e32 v166, 0x3030303, v166
	v_lshlrev_b32_e32 v167, 2, v167
	ds_load_2addr_b32 v[147:148], v147 offset1:1
	v_lshlrev_b32_e32 v175, 2, v175
	v_sub_nc_u16 v178, v178, v179
	v_lshrrev_b32_e32 v179, 16, v166
	v_and_b32_e32 v167, 0x4040404, v167
	v_lshlrev_b16 v164, 8, v164
	v_and_b32_e32 v175, 0x4040404, v175
	v_lshlrev_b16 v178, 8, v178
	v_sub_nc_u16 v179, v179, v180
	v_lshrrev_b16 v180, 8, v166
	v_sub_nc_u16 v166, v166, v174
	v_lshrrev_b16 v174, 8, v174
	v_lshrrev_b32_e32 v181, 24, v167
	v_lshrrev_b32_e32 v182, 16, v167
	;; [unrolled: 1-line block ×4, first 2 shown]
	v_sub_nc_u16 v174, v180, v174
	v_bfe_u32 v180, v168, 24, 2
	v_and_b32_e32 v168, 0x3030303, v168
	s_waitcnt lgkmcnt(0)
	v_ashrrev_i32_e32 v170, s24, v147
	v_add_nc_u32_e32 v147, s27, v119
	v_sub_nc_u16 v180, v180, v181
	v_lshrrev_b32_e32 v181, 16, v168
	v_ashrrev_i32_e32 v176, s24, v148
	v_lshlrev_b32_e32 v170, 2, v170
	ds_load_u16 v148, v147 offset:28402
	v_add_nc_u32_e32 v147, s30, v104
	v_sub_nc_u16 v181, v181, v182
	v_lshrrev_b16 v182, 8, v168
	v_sub_nc_u16 v168, v168, v167
	v_lshrrev_b16 v167, 8, v167
	v_and_b32_e32 v170, 0x4040404, v170
	ds_load_b32 v147, v147
	ds_load_2addr_b32 v[152:153], v152 offset1:1
	ds_load_2addr_b32 v[154:155], v154 offset1:1
	v_lshlrev_b32_e32 v176, 2, v176
	v_lshlrev_b16 v174, 8, v174
	v_sub_nc_u16 v167, v182, v167
	v_bfe_u32 v182, v169, 24, 2
	v_and_b32_e32 v169, 0x3030303, v169
	v_lshrrev_b32_e32 v185, 24, v170
	v_lshrrev_b32_e32 v186, 16, v170
	v_and_b32_e32 v176, 0x4040404, v176
	v_sub_nc_u16 v182, v182, v183
	v_lshrrev_b32_e32 v183, 16, v169
	v_lshlrev_b16 v180, 8, v180
	v_lshlrev_b16 v167, 8, v167
	v_lshrrev_b32_e32 v187, 24, v176
	v_lshrrev_b32_e32 v188, 16, v176
	v_sub_nc_u16 v183, v183, v184
	v_lshrrev_b16 v184, 8, v169
	v_sub_nc_u16 v169, v169, v175
	v_lshrrev_b16 v175, 8, v175
	s_waitcnt lgkmcnt(1)
	v_ashrrev_i32_e32 v152, s24, v152
	v_ashrrev_i32_e32 v153, s24, v153
	v_lshlrev_b16 v182, 8, v182
	s_waitcnt lgkmcnt(0)
	v_ashrrev_i32_e32 v154, s24, v154
	v_sub_nc_u16 v175, v184, v175
	v_bfe_u32 v184, v158, 24, 2
	v_and_b32_e32 v158, 0x3030303, v158
	v_lshlrev_b32_e32 v152, 2, v152
	v_lshlrev_b32_e32 v153, 2, v153
	v_lshlrev_b16 v175, 8, v175
	v_sub_nc_u16 v184, v184, v185
	v_lshrrev_b32_e32 v185, 16, v158
	v_and_b32_e32 v152, 0x4040404, v152
	v_and_b32_e32 v153, 0x4040404, v153
	v_lshlrev_b32_e32 v154, 2, v154
	v_lshlrev_b16 v184, 8, v184
	v_sub_nc_u16 v185, v185, v186
	v_lshrrev_b16 v186, 8, v158
	v_sub_nc_u16 v158, v158, v170
	v_lshrrev_b16 v170, 8, v170
	v_lshrrev_b32_e32 v189, 24, v152
	v_lshrrev_b32_e32 v190, 16, v152
	;; [unrolled: 1-line block ×4, first 2 shown]
	v_sub_nc_u16 v170, v186, v170
	v_bfe_u32 v186, v171, 24, 2
	v_and_b32_e32 v171, 0x3030303, v171
	v_and_b32_e32 v154, 0x4040404, v154
	s_delay_alu instid0(VALU_DEP_4) | instskip(NEXT) | instid1(VALU_DEP_4)
	v_lshlrev_b16 v170, 8, v170
	v_sub_nc_u16 v186, v186, v187
	s_delay_alu instid0(VALU_DEP_4) | instskip(NEXT) | instid1(VALU_DEP_2)
	v_lshrrev_b32_e32 v187, 16, v171
	v_lshlrev_b16 v186, 8, v186
	s_delay_alu instid0(VALU_DEP_2) | instskip(SKIP_3) | instid1(VALU_DEP_1)
	v_sub_nc_u16 v187, v187, v188
	v_lshrrev_b16 v188, 8, v171
	v_sub_nc_u16 v171, v171, v176
	v_lshrrev_b16 v176, 8, v176
	v_sub_nc_u16 v176, v188, v176
	v_bfe_u32 v188, v161, 24, 2
	v_and_b32_e32 v161, 0x3030303, v161
	s_delay_alu instid0(VALU_DEP_3) | instskip(NEXT) | instid1(VALU_DEP_3)
	v_lshlrev_b16 v176, 8, v176
	v_sub_nc_u16 v188, v188, v189
	s_delay_alu instid0(VALU_DEP_3) | instskip(NEXT) | instid1(VALU_DEP_2)
	v_lshrrev_b32_e32 v189, 16, v161
	v_lshlrev_b16 v188, 8, v188
	s_delay_alu instid0(VALU_DEP_2) | instskip(SKIP_3) | instid1(VALU_DEP_1)
	v_sub_nc_u16 v189, v189, v190
	v_lshrrev_b16 v190, 8, v161
	v_sub_nc_u16 v161, v161, v152
	v_lshrrev_b16 v152, 8, v152
	v_sub_nc_u16 v152, v190, v152
	v_bfe_u32 v190, v172, 24, 2
	v_and_b32_e32 v172, 0x3030303, v172
	s_delay_alu instid0(VALU_DEP_3) | instskip(NEXT) | instid1(VALU_DEP_3)
	v_lshlrev_b16 v152, 8, v152
	v_sub_nc_u16 v190, v190, v191
	s_delay_alu instid0(VALU_DEP_3) | instskip(NEXT) | instid1(VALU_DEP_2)
	v_lshrrev_b32_e32 v191, 16, v172
	v_lshlrev_b16 v190, 8, v190
	s_delay_alu instid0(VALU_DEP_2) | instskip(SKIP_3) | instid1(VALU_DEP_1)
	v_sub_nc_u16 v191, v191, v192
	v_lshrrev_b16 v192, 8, v172
	v_sub_nc_u16 v172, v172, v153
	v_lshrrev_b16 v153, 8, v153
	v_sub_nc_u16 v153, v192, v153
	v_and_b32_e32 v192, 0xff, v177
	s_delay_alu instid0(VALU_DEP_2) | instskip(NEXT) | instid1(VALU_DEP_2)
	v_lshlrev_b16 v153, 8, v153
	v_or_b32_e32 v173, v192, v173
	v_and_b32_e32 v192, 0xff, v165
	s_delay_alu instid0(VALU_DEP_2) | instskip(NEXT) | instid1(VALU_DEP_2)
	v_perm_b32 v165, v165, v173, 0x4010c0c
	v_or_b32_e32 v164, v192, v164
	v_and_b32_e32 v192, 0xff, v179
	s_delay_alu instid0(VALU_DEP_2) | instskip(NEXT) | instid1(VALU_DEP_2)
	v_perm_b32 v164, v177, v164, 0xc0c0401
	v_or_b32_e32 v178, v192, v178
	v_and_b32_e32 v192, 0xff, v166
	s_delay_alu instid0(VALU_DEP_3) | instskip(NEXT) | instid1(VALU_DEP_3)
	v_or_b32_e32 v164, v165, v164
	v_perm_b32 v166, v166, v178, 0x4010c0c
	s_delay_alu instid0(VALU_DEP_3) | instskip(SKIP_1) | instid1(VALU_DEP_2)
	v_or_b32_e32 v174, v192, v174
	v_and_b32_e32 v192, 0xff, v181
	v_perm_b32 v173, v179, v174, 0xc0c0401
	s_delay_alu instid0(VALU_DEP_2) | instskip(SKIP_1) | instid1(VALU_DEP_3)
	v_or_b32_e32 v180, v192, v180
	v_and_b32_e32 v192, 0xff, v168
	v_or_b32_e32 v165, v166, v173
	s_delay_alu instid0(VALU_DEP_3) | instskip(NEXT) | instid1(VALU_DEP_3)
	v_perm_b32 v168, v168, v180, 0x4010c0c
	v_or_b32_e32 v167, v192, v167
	v_and_b32_e32 v192, 0xff, v183
	s_delay_alu instid0(VALU_DEP_2) | instskip(NEXT) | instid1(VALU_DEP_2)
	v_perm_b32 v167, v181, v167, 0xc0c0401
	v_or_b32_e32 v182, v192, v182
	v_and_b32_e32 v192, 0xff, v169
	s_delay_alu instid0(VALU_DEP_3) | instskip(NEXT) | instid1(VALU_DEP_3)
	v_or_b32_e32 v166, v168, v167
	v_perm_b32 v169, v169, v182, 0x4010c0c
	s_delay_alu instid0(VALU_DEP_3) | instskip(SKIP_1) | instid1(VALU_DEP_2)
	v_or_b32_e32 v175, v192, v175
	v_and_b32_e32 v192, 0xff, v185
	v_perm_b32 v174, v183, v175, 0xc0c0401
	s_delay_alu instid0(VALU_DEP_2) | instskip(SKIP_1) | instid1(VALU_DEP_3)
	v_or_b32_e32 v184, v192, v184
	v_and_b32_e32 v192, 0xff, v158
	v_or_b32_e32 v167, v169, v174
	s_delay_alu instid0(VALU_DEP_3) | instskip(NEXT) | instid1(VALU_DEP_3)
	v_perm_b32 v158, v158, v184, 0x4010c0c
	v_or_b32_e32 v170, v192, v170
	v_and_b32_e32 v192, 0xff, v187
	v_lshrrev_b32_e32 v169, 24, v28
	s_delay_alu instid0(VALU_DEP_3) | instskip(NEXT) | instid1(VALU_DEP_3)
	v_perm_b32 v170, v185, v170, 0xc0c0401
	v_or_b32_e32 v186, v192, v186
	v_and_b32_e32 v192, 0xff, v171
	s_delay_alu instid0(VALU_DEP_3) | instskip(NEXT) | instid1(VALU_DEP_3)
	v_or_b32_e32 v158, v158, v170
	v_perm_b32 v171, v171, v186, 0x4010c0c
	s_delay_alu instid0(VALU_DEP_3) | instskip(SKIP_3) | instid1(VALU_DEP_4)
	v_or_b32_e32 v176, v192, v176
	v_and_b32_e32 v192, 0xff, v189
	v_lshrrev_b32_e32 v170, 16, v28
	v_dot4_i32_iu8 v158, v158, v156, 0 neg_lo:[1,1,0]
	v_perm_b32 v175, v187, v176, 0xc0c0401
	s_delay_alu instid0(VALU_DEP_4) | instskip(SKIP_1) | instid1(VALU_DEP_3)
	v_or_b32_e32 v188, v192, v188
	v_and_b32_e32 v192, 0xff, v161
	v_or_b32_e32 v168, v171, v175
	s_delay_alu instid0(VALU_DEP_3) | instskip(NEXT) | instid1(VALU_DEP_3)
	v_perm_b32 v161, v161, v188, 0x4010c0c
	v_or_b32_e32 v152, v192, v152
	v_and_b32_e32 v192, 0xff, v191
	s_delay_alu instid0(VALU_DEP_4) | instskip(SKIP_1) | instid1(VALU_DEP_4)
	v_dot4_i32_iu8 v158, v168, v157, v158 neg_lo:[1,1,0]
	v_lshrrev_b32_e32 v168, 16, v26
	v_perm_b32 v152, v189, v152, 0xc0c0401
	s_delay_alu instid0(VALU_DEP_4) | instskip(SKIP_1) | instid1(VALU_DEP_3)
	v_or_b32_e32 v190, v192, v190
	v_and_b32_e32 v192, 0xff, v172
	v_or_b32_e32 v152, v161, v152
	s_delay_alu instid0(VALU_DEP_3) | instskip(NEXT) | instid1(VALU_DEP_3)
	v_perm_b32 v172, v172, v190, 0x4010c0c
	v_or_b32_e32 v153, v192, v153
	v_dot4_i32_iu8 v161, v164, v156, 0 neg_lo:[1,1,0]
	v_dot4_i32_iu8 v164, v166, v156, 0 neg_lo:[1,1,0]
	;; [unrolled: 1-line block ×3, first 2 shown]
	v_lshrrev_b32_e32 v166, 16, v24
	v_perm_b32 v153, v191, v153, 0xc0c0401
	v_dot4_i32_iu8 v156, v165, v157, v161 neg_lo:[1,1,0]
	v_dot4_i32_iu8 v161, v167, v157, v164 neg_lo:[1,1,0]
	v_lshrrev_b32_e32 v164, 16, v22
	v_lshrrev_b32_e32 v165, 24, v24
	v_or_b32_e32 v153, v172, v153
	v_lshrrev_b32_e32 v167, 24, v26
	s_delay_alu instid0(VALU_DEP_2) | instskip(SKIP_3) | instid1(VALU_DEP_2)
	v_dot4_i32_iu8 v152, v153, v157, v152 neg_lo:[1,1,0]
	v_bfe_u32 v153, v14, 24, 2
	v_lshrrev_b32_e32 v157, 24, v22
	v_and_b32_e32 v14, 0x3030303, v14
	v_sub_nc_u16 v153, v153, v157
	s_delay_alu instid0(VALU_DEP_2) | instskip(NEXT) | instid1(VALU_DEP_2)
	v_lshrrev_b32_e32 v157, 16, v14
	v_lshlrev_b16 v153, 8, v153
	s_delay_alu instid0(VALU_DEP_2) | instskip(SKIP_3) | instid1(VALU_DEP_1)
	v_sub_nc_u16 v157, v157, v164
	v_lshrrev_b16 v164, 8, v14
	v_sub_nc_u16 v14, v14, v22
	v_lshrrev_b16 v22, 8, v22
	v_sub_nc_u16 v22, v164, v22
	v_bfe_u32 v164, v16, 24, 2
	v_and_b32_e32 v16, 0x3030303, v16
	s_delay_alu instid0(VALU_DEP_3) | instskip(NEXT) | instid1(VALU_DEP_3)
	v_lshlrev_b16 v22, 8, v22
	v_sub_nc_u16 v164, v164, v165
	s_delay_alu instid0(VALU_DEP_3) | instskip(NEXT) | instid1(VALU_DEP_2)
	v_lshrrev_b32_e32 v165, 16, v16
	v_lshlrev_b16 v164, 8, v164
	s_delay_alu instid0(VALU_DEP_2) | instskip(SKIP_3) | instid1(VALU_DEP_1)
	v_sub_nc_u16 v165, v165, v166
	v_lshrrev_b16 v166, 8, v16
	v_sub_nc_u16 v16, v16, v24
	v_lshrrev_b16 v24, 8, v24
	v_sub_nc_u16 v24, v166, v24
	v_bfe_u32 v166, v18, 24, 2
	v_and_b32_e32 v18, 0x3030303, v18
	s_delay_alu instid0(VALU_DEP_3) | instskip(NEXT) | instid1(VALU_DEP_3)
	v_lshlrev_b16 v24, 8, v24
	v_sub_nc_u16 v166, v166, v167
	s_delay_alu instid0(VALU_DEP_3) | instskip(NEXT) | instid1(VALU_DEP_2)
	;; [unrolled: 14-line block ×3, first 2 shown]
	v_lshrrev_b32_e32 v169, 16, v20
	v_lshlrev_b16 v168, 8, v168
	s_delay_alu instid0(VALU_DEP_2) | instskip(SKIP_3) | instid1(VALU_DEP_1)
	v_sub_nc_u16 v169, v169, v170
	v_lshrrev_b16 v170, 8, v20
	v_sub_nc_u16 v20, v20, v28
	v_lshrrev_b16 v28, 8, v28
	v_sub_nc_u16 v28, v170, v28
	v_and_b32_e32 v170, 0xff, v157
	s_delay_alu instid0(VALU_DEP_2) | instskip(NEXT) | instid1(VALU_DEP_2)
	v_lshlrev_b16 v28, 8, v28
	v_or_b32_e32 v153, v170, v153
	v_and_b32_e32 v170, 0xff, v14
	s_delay_alu instid0(VALU_DEP_2) | instskip(NEXT) | instid1(VALU_DEP_2)
	v_perm_b32 v14, v14, v153, 0x4010c0c
	v_or_b32_e32 v22, v170, v22
	v_and_b32_e32 v170, 0xff, v165
	v_lshrrev_b32_e32 v153, 24, v6
	s_delay_alu instid0(VALU_DEP_3) | instskip(NEXT) | instid1(VALU_DEP_3)
	v_perm_b32 v22, v157, v22, 0xc0c0401
	v_or_b32_e32 v164, v170, v164
	v_and_b32_e32 v170, 0xff, v16
	v_lshrrev_b32_e32 v157, 16, v6
	s_delay_alu instid0(VALU_DEP_4) | instskip(NEXT) | instid1(VALU_DEP_4)
	v_or_b32_e32 v14, v14, v22
	v_perm_b32 v16, v16, v164, 0x4010c0c
	s_delay_alu instid0(VALU_DEP_4)
	v_or_b32_e32 v24, v170, v24
	v_and_b32_e32 v170, 0xff, v167
	v_bfe_u32 v22, v10, 24, 2
	v_and_b32_e32 v10, 0x3030303, v10
	v_dot4_i32_iu8 v14, v14, v149, v162 neg_lo:[1,1,0]
	v_perm_b32 v24, v165, v24, 0xc0c0401
	v_or_b32_e32 v166, v170, v166
	v_and_b32_e32 v170, 0xff, v18
	s_delay_alu instid0(VALU_DEP_3) | instskip(NEXT) | instid1(VALU_DEP_3)
	v_or_b32_e32 v16, v16, v24
	v_perm_b32 v18, v18, v166, 0x4010c0c
	s_delay_alu instid0(VALU_DEP_3) | instskip(SKIP_3) | instid1(VALU_DEP_4)
	v_or_b32_e32 v26, v170, v26
	v_lshrrev_b32_e32 v24, 24, v2
	v_and_b32_e32 v170, 0xff, v169
	v_dot4_i32_iu8 v16, v16, v149, v163 neg_lo:[1,1,0]
	v_perm_b32 v26, v167, v26, 0xc0c0401
	s_delay_alu instid0(VALU_DEP_4)
	v_sub_nc_u16 v22, v22, v24
	v_lshrrev_b32_e32 v24, 16, v10
	v_or_b32_e32 v168, v170, v168
	v_and_b32_e32 v170, 0xff, v20
	v_or_b32_e32 v18, v18, v26
	v_lshrrev_b32_e32 v26, 16, v2
	v_lshlrev_b16 v22, 8, v22
	v_perm_b32 v20, v20, v168, 0x4010c0c
	v_or_b32_e32 v28, v170, v28
	v_dot4_i32_iu8 v18, v18, v149, v159 neg_lo:[1,1,0]
	v_sub_nc_u16 v24, v24, v26
	v_lshrrev_b16 v26, 8, v10
	v_sub_nc_u16 v10, v10, v2
	v_lshrrev_b16 v2, 8, v2
	v_perm_b32 v28, v169, v28, 0xc0c0401
	v_lshrrev_b32_e32 v159, 24, v154
	s_delay_alu instid0(VALU_DEP_3) | instskip(SKIP_1) | instid1(VALU_DEP_4)
	v_sub_nc_u16 v2, v26, v2
	v_ashrrev_i32_e32 v26, s24, v150
	v_or_b32_e32 v20, v20, v28
	v_bfe_u32 v28, v4, 24, 2
	v_and_b32_e32 v4, 0x3030303, v4
	v_lshlrev_b16 v2, 8, v2
	v_lshlrev_b32_e32 v26, 2, v26
	v_dot4_i32_iu8 v20, v20, v149, v160 neg_lo:[1,1,0]
	v_lshrrev_b32_e32 v160, 16, v154
	s_delay_alu instid0(VALU_DEP_3) | instskip(NEXT) | instid1(VALU_DEP_1)
	v_and_b32_e32 v26, 0x4040404, v26
	v_lshrrev_b32_e32 v149, 24, v26
	v_lshrrev_b32_e32 v150, 16, v26
	s_delay_alu instid0(VALU_DEP_2) | instskip(SKIP_1) | instid1(VALU_DEP_2)
	v_sub_nc_u16 v28, v28, v149
	v_lshrrev_b32_e32 v149, 16, v4
	v_lshlrev_b16 v28, 8, v28
	s_delay_alu instid0(VALU_DEP_2) | instskip(SKIP_3) | instid1(VALU_DEP_1)
	v_sub_nc_u16 v149, v149, v150
	v_lshrrev_b16 v150, 8, v4
	v_sub_nc_u16 v4, v4, v26
	v_lshrrev_b16 v26, 8, v26
	v_sub_nc_u16 v26, v150, v26
	v_bfe_u32 v150, v0, 24, 2
	v_and_b32_e32 v0, 0x3030303, v0
	s_delay_alu instid0(VALU_DEP_3) | instskip(NEXT) | instid1(VALU_DEP_3)
	v_lshlrev_b16 v26, 8, v26
	v_sub_nc_u16 v150, v150, v153
	s_delay_alu instid0(VALU_DEP_3) | instskip(NEXT) | instid1(VALU_DEP_2)
	v_lshrrev_b32_e32 v153, 16, v0
	v_lshlrev_b16 v150, 8, v150
	s_delay_alu instid0(VALU_DEP_2) | instskip(SKIP_3) | instid1(VALU_DEP_1)
	v_sub_nc_u16 v153, v153, v157
	v_lshrrev_b16 v157, 8, v0
	v_sub_nc_u16 v0, v0, v6
	v_lshrrev_b16 v6, 8, v6
	v_sub_nc_u16 v6, v157, v6
	v_bfe_u32 v157, v12, 24, 2
	v_and_b32_e32 v12, 0x3030303, v12
	s_delay_alu instid0(VALU_DEP_3) | instskip(NEXT) | instid1(VALU_DEP_3)
	v_lshlrev_b16 v6, 8, v6
	v_sub_nc_u16 v157, v157, v159
	s_delay_alu instid0(VALU_DEP_3) | instskip(NEXT) | instid1(VALU_DEP_2)
	v_lshrrev_b32_e32 v159, 16, v12
	v_lshlrev_b16 v157, 8, v157
	s_delay_alu instid0(VALU_DEP_2) | instskip(SKIP_3) | instid1(VALU_DEP_1)
	v_sub_nc_u16 v159, v159, v160
	v_lshrrev_b16 v160, 8, v12
	v_sub_nc_u16 v12, v12, v154
	v_lshrrev_b16 v154, 8, v154
	v_sub_nc_u16 v154, v160, v154
	v_and_b32_e32 v160, 0xff, v24
	s_delay_alu instid0(VALU_DEP_2) | instskip(NEXT) | instid1(VALU_DEP_2)
	v_lshlrev_b16 v154, 8, v154
	v_or_b32_e32 v22, v160, v22
	v_and_b32_e32 v160, 0xff, v10
	s_delay_alu instid0(VALU_DEP_2) | instskip(NEXT) | instid1(VALU_DEP_2)
	v_perm_b32 v10, v10, v22, 0x4010c0c
	v_or_b32_e32 v2, v160, v2
	v_and_b32_e32 v160, 0xff, v149
	s_delay_alu instid0(VALU_DEP_2) | instskip(NEXT) | instid1(VALU_DEP_2)
	v_perm_b32 v2, v24, v2, 0xc0c0401
	v_or_b32_e32 v28, v160, v28
	v_and_b32_e32 v160, 0xff, v4
	s_delay_alu instid0(VALU_DEP_3) | instskip(SKIP_1) | instid1(VALU_DEP_3)
	v_or_b32_e32 v2, v10, v2
	v_ashrrev_i32_e32 v10, s26, v15
	v_or_b32_e32 v26, v160, v26
	v_and_b32_e32 v160, 0xff, v153
	v_ashrrev_i32_e32 v15, s26, v19
	v_ashrrev_i32_e32 v19, s24, v23
	v_perm_b32 v4, v4, v28, 0x4010c0c
	v_perm_b32 v22, v149, v26, 0xc0c0401
	v_or_b32_e32 v150, v160, v150
	v_and_b32_e32 v160, 0xff, v0
	v_lshlrev_b32_e32 v19, 2, v19
	v_ashrrev_i32_e32 v23, s24, v29
	v_or_b32_e32 v4, v4, v22
	v_perm_b32 v0, v0, v150, 0x4010c0c
	v_or_b32_e32 v6, v160, v6
	v_and_b32_e32 v160, 0xff, v159
	v_and_b32_e32 v19, 0x4040404, v19
	v_ashrrev_i32_e32 v22, s24, v27
	v_dot4_i32_iu8 v2, v2, v144, v156 neg_lo:[1,1,0]
	v_perm_b32 v6, v153, v6, 0xc0c0401
	v_or_b32_e32 v157, v160, v157
	v_and_b32_e32 v160, 0xff, v12
	v_lshrrev_b32_e32 v26, 16, v19
	v_lshlrev_b32_e32 v22, 2, v22
	v_or_b32_e32 v0, v0, v6
	v_perm_b32 v12, v12, v157, 0x4010c0c
	v_or_b32_e32 v154, v160, v154
	v_dot4_i32_iu8 v4, v4, v144, v161 neg_lo:[1,1,0]
	v_and_b32_e32 v22, 0x4040404, v22
	v_dot4_i32_iu8 v0, v0, v144, v158 neg_lo:[1,1,0]
	v_lshlrev_b32_e32 v23, 2, v23
	v_perm_b32 v24, v159, v154, 0xc0c0401
	s_delay_alu instid0(VALU_DEP_4) | instskip(NEXT) | instid1(VALU_DEP_3)
	v_lshrrev_b32_e32 v29, 24, v22
	v_and_b32_e32 v23, 0x4040404, v23
	s_delay_alu instid0(VALU_DEP_3)
	v_or_b32_e32 v6, v12, v24
	v_ashrrev_i32_e32 v12, s26, v17
	v_ashrrev_i32_e32 v17, s26, v21
	;; [unrolled: 1-line block ×3, first 2 shown]
	v_bfe_u32 v24, v10, 24, 2
	v_lshrrev_b32_e32 v25, 24, v19
	v_and_b32_e32 v10, 0x3030303, v10
	v_dot4_i32_iu8 v6, v6, v144, v152 neg_lo:[1,1,0]
	v_lshlrev_b32_e32 v21, 2, v21
	v_lshrrev_b32_e32 v144, 16, v22
	v_sub_nc_u16 v24, v24, v25
	v_lshrrev_b32_e32 v25, 16, v10
	v_lshrrev_b32_e32 v149, 24, v23
	v_and_b32_e32 v21, 0x4040404, v21
	v_lshrrev_b32_e32 v150, 16, v23
	v_lshlrev_b16 v24, 8, v24
	v_sub_nc_u16 v25, v25, v26
	v_lshrrev_b16 v26, 8, v10
	v_sub_nc_u16 v10, v10, v19
	v_lshrrev_b16 v19, 8, v19
	v_lshrrev_b32_e32 v27, 24, v21
	v_lshrrev_b32_e32 v28, 16, v21
	s_delay_alu instid0(VALU_DEP_3) | instskip(SKIP_2) | instid1(VALU_DEP_3)
	v_sub_nc_u16 v19, v26, v19
	v_bfe_u32 v26, v12, 24, 2
	v_and_b32_e32 v12, 0x3030303, v12
	v_lshlrev_b16 v19, 8, v19
	s_delay_alu instid0(VALU_DEP_3) | instskip(NEXT) | instid1(VALU_DEP_3)
	v_sub_nc_u16 v26, v26, v27
	v_lshrrev_b32_e32 v27, 16, v12
	s_delay_alu instid0(VALU_DEP_2) | instskip(NEXT) | instid1(VALU_DEP_2)
	v_lshlrev_b16 v26, 8, v26
	v_sub_nc_u16 v27, v27, v28
	v_lshrrev_b16 v28, 8, v12
	v_sub_nc_u16 v12, v12, v21
	v_lshrrev_b16 v21, 8, v21
	s_delay_alu instid0(VALU_DEP_1) | instskip(SKIP_2) | instid1(VALU_DEP_3)
	v_sub_nc_u16 v21, v28, v21
	v_bfe_u32 v28, v15, 24, 2
	v_and_b32_e32 v15, 0x3030303, v15
	v_lshlrev_b16 v21, 8, v21
	s_delay_alu instid0(VALU_DEP_3) | instskip(NEXT) | instid1(VALU_DEP_3)
	v_sub_nc_u16 v28, v28, v29
	v_lshrrev_b32_e32 v29, 16, v15
	s_delay_alu instid0(VALU_DEP_2) | instskip(NEXT) | instid1(VALU_DEP_2)
	v_lshlrev_b16 v28, 8, v28
	v_sub_nc_u16 v29, v29, v144
	v_lshrrev_b16 v144, 8, v15
	v_sub_nc_u16 v15, v15, v22
	v_lshrrev_b16 v22, 8, v22
	s_delay_alu instid0(VALU_DEP_1) | instskip(SKIP_2) | instid1(VALU_DEP_3)
	v_sub_nc_u16 v22, v144, v22
	v_bfe_u32 v144, v17, 24, 2
	v_and_b32_e32 v17, 0x3030303, v17
	v_lshlrev_b16 v22, 8, v22
	s_delay_alu instid0(VALU_DEP_3) | instskip(NEXT) | instid1(VALU_DEP_3)
	v_sub_nc_u16 v144, v144, v149
	v_lshrrev_b32_e32 v149, 16, v17
	s_delay_alu instid0(VALU_DEP_2) | instskip(NEXT) | instid1(VALU_DEP_2)
	v_lshlrev_b16 v144, 8, v144
	v_sub_nc_u16 v149, v149, v150
	v_lshrrev_b16 v150, 8, v17
	v_sub_nc_u16 v17, v17, v23
	v_lshrrev_b16 v23, 8, v23
	s_delay_alu instid0(VALU_DEP_1) | instskip(SKIP_1) | instid1(VALU_DEP_2)
	v_sub_nc_u16 v23, v150, v23
	v_and_b32_e32 v150, 0xff, v25
	v_lshlrev_b16 v23, 8, v23
	s_delay_alu instid0(VALU_DEP_2) | instskip(SKIP_1) | instid1(VALU_DEP_2)
	v_or_b32_e32 v24, v150, v24
	v_and_b32_e32 v150, 0xff, v10
	v_perm_b32 v10, v10, v24, 0x4010c0c
	s_delay_alu instid0(VALU_DEP_2) | instskip(SKIP_2) | instid1(VALU_DEP_3)
	v_or_b32_e32 v19, v150, v19
	v_and_b32_e32 v150, 0xff, v27
	v_lshrrev_b32_e32 v24, 16, v7
	v_perm_b32 v19, v25, v19, 0xc0c0401
	s_delay_alu instid0(VALU_DEP_3) | instskip(SKIP_1) | instid1(VALU_DEP_3)
	v_or_b32_e32 v26, v150, v26
	v_and_b32_e32 v150, 0xff, v12
	v_or_b32_e32 v10, v10, v19
	s_delay_alu instid0(VALU_DEP_3) | instskip(NEXT) | instid1(VALU_DEP_3)
	v_perm_b32 v12, v12, v26, 0x4010c0c
	v_or_b32_e32 v21, v150, v21
	v_and_b32_e32 v150, 0xff, v29
	v_lshrrev_b32_e32 v19, 24, v3
	v_dot4_i32_iu8 v10, v10, v143, v14 neg_lo:[1,1,0]
	s_delay_alu instid0(VALU_DEP_4) | instskip(NEXT) | instid1(VALU_DEP_4)
	v_perm_b32 v21, v27, v21, 0xc0c0401
	v_or_b32_e32 v28, v150, v28
	v_and_b32_e32 v150, 0xff, v15
	s_delay_alu instid0(VALU_DEP_3) | instskip(NEXT) | instid1(VALU_DEP_3)
	v_or_b32_e32 v12, v12, v21
	v_perm_b32 v15, v15, v28, 0x4010c0c
	s_delay_alu instid0(VALU_DEP_3) | instskip(SKIP_1) | instid1(VALU_DEP_4)
	v_or_b32_e32 v22, v150, v22
	v_and_b32_e32 v150, 0xff, v149
	v_dot4_i32_iu8 v12, v12, v143, v16 neg_lo:[1,1,0]
	v_ashrrev_i32_e32 v16, s24, v151
	s_delay_alu instid0(VALU_DEP_4) | instskip(NEXT) | instid1(VALU_DEP_4)
	v_perm_b32 v22, v29, v22, 0xc0c0401
	v_or_b32_e32 v144, v150, v144
	v_and_b32_e32 v150, 0xff, v17
	s_delay_alu instid0(VALU_DEP_4) | instskip(NEXT) | instid1(VALU_DEP_4)
	v_lshlrev_b32_e32 v16, 2, v16
	v_or_b32_e32 v15, v15, v22
	s_delay_alu instid0(VALU_DEP_4) | instskip(NEXT) | instid1(VALU_DEP_4)
	v_perm_b32 v17, v17, v144, 0x4010c0c
	v_or_b32_e32 v23, v150, v23
	s_delay_alu instid0(VALU_DEP_4) | instskip(NEXT) | instid1(VALU_DEP_4)
	v_and_b32_e32 v16, 0x4040404, v16
	v_dot4_i32_iu8 v14, v15, v143, v18 neg_lo:[1,1,0]
	v_bfe_u32 v18, v11, 24, 2
	s_delay_alu instid0(VALU_DEP_4)
	v_perm_b32 v23, v149, v23, 0xc0c0401
	v_and_b32_e32 v11, 0x3030303, v11
	v_lshrrev_b32_e32 v21, 24, v16
	v_lshrrev_b32_e32 v22, 16, v16
	v_sub_nc_u16 v18, v18, v19
	v_or_b32_e32 v17, v17, v23
	v_lshrrev_b32_e32 v19, 16, v11
	v_lshrrev_b32_e32 v23, 24, v7
	s_delay_alu instid0(VALU_DEP_4) | instskip(NEXT) | instid1(VALU_DEP_4)
	v_lshlrev_b16 v18, 8, v18
	v_dot4_i32_iu8 v15, v17, v143, v20 neg_lo:[1,1,0]
	v_lshrrev_b32_e32 v20, 16, v3
	v_ashrrev_i32_e32 v17, s24, v155
	s_add_i32 s24, s24, 1
	s_cmp_lt_u32 s25, 22
	s_delay_alu instid0(VALU_DEP_2) | instskip(SKIP_4) | instid1(VALU_DEP_2)
	v_sub_nc_u16 v19, v19, v20
	v_lshrrev_b16 v20, 8, v11
	v_sub_nc_u16 v11, v11, v3
	v_lshrrev_b16 v3, 8, v3
	v_lshlrev_b32_e32 v17, 2, v17
	v_sub_nc_u16 v3, v20, v3
	v_bfe_u32 v20, v5, 24, 2
	v_and_b32_e32 v5, 0x3030303, v5
	s_delay_alu instid0(VALU_DEP_4) | instskip(NEXT) | instid1(VALU_DEP_4)
	v_and_b32_e32 v17, 0x4040404, v17
	v_lshlrev_b16 v3, 8, v3
	s_delay_alu instid0(VALU_DEP_4) | instskip(NEXT) | instid1(VALU_DEP_4)
	v_sub_nc_u16 v20, v20, v21
	v_lshrrev_b32_e32 v21, 16, v5
	s_delay_alu instid0(VALU_DEP_4) | instskip(SKIP_1) | instid1(VALU_DEP_4)
	v_lshrrev_b32_e32 v25, 24, v17
	v_lshrrev_b32_e32 v26, 16, v17
	v_lshlrev_b16 v20, 8, v20
	s_delay_alu instid0(VALU_DEP_4) | instskip(SKIP_3) | instid1(VALU_DEP_1)
	v_sub_nc_u16 v21, v21, v22
	v_lshrrev_b16 v22, 8, v5
	v_sub_nc_u16 v5, v5, v16
	v_lshrrev_b16 v16, 8, v16
	v_sub_nc_u16 v16, v22, v16
	v_bfe_u32 v22, v1, 24, 2
	v_and_b32_e32 v1, 0x3030303, v1
	s_delay_alu instid0(VALU_DEP_3) | instskip(NEXT) | instid1(VALU_DEP_3)
	v_lshlrev_b16 v16, 8, v16
	v_sub_nc_u16 v22, v22, v23
	s_delay_alu instid0(VALU_DEP_3) | instskip(NEXT) | instid1(VALU_DEP_2)
	v_lshrrev_b32_e32 v23, 16, v1
	v_lshlrev_b16 v22, 8, v22
	s_delay_alu instid0(VALU_DEP_2) | instskip(SKIP_3) | instid1(VALU_DEP_1)
	v_sub_nc_u16 v23, v23, v24
	v_lshrrev_b16 v24, 8, v1
	v_sub_nc_u16 v1, v1, v7
	v_lshrrev_b16 v7, 8, v7
	v_sub_nc_u16 v7, v24, v7
	v_bfe_u32 v24, v13, 24, 2
	v_and_b32_e32 v13, 0x3030303, v13
	s_delay_alu instid0(VALU_DEP_3) | instskip(NEXT) | instid1(VALU_DEP_3)
	v_lshlrev_b16 v7, 8, v7
	v_sub_nc_u16 v24, v24, v25
	s_delay_alu instid0(VALU_DEP_3) | instskip(NEXT) | instid1(VALU_DEP_2)
	v_lshrrev_b32_e32 v25, 16, v13
	v_lshlrev_b16 v24, 8, v24
	s_delay_alu instid0(VALU_DEP_2) | instskip(SKIP_3) | instid1(VALU_DEP_1)
	v_sub_nc_u16 v25, v25, v26
	v_lshrrev_b16 v26, 8, v13
	v_sub_nc_u16 v13, v13, v17
	v_lshrrev_b16 v17, 8, v17
	v_sub_nc_u16 v17, v26, v17
	v_and_b32_e32 v26, 0xff, v19
	s_delay_alu instid0(VALU_DEP_2) | instskip(NEXT) | instid1(VALU_DEP_2)
	v_lshlrev_b16 v17, 8, v17
	v_or_b32_e32 v18, v26, v18
	v_and_b32_e32 v26, 0xff, v11
	s_delay_alu instid0(VALU_DEP_2) | instskip(NEXT) | instid1(VALU_DEP_2)
	v_perm_b32 v11, v11, v18, 0x4010c0c
	v_or_b32_e32 v3, v26, v3
	v_and_b32_e32 v26, 0xff, v21
	s_delay_alu instid0(VALU_DEP_2) | instskip(NEXT) | instid1(VALU_DEP_2)
	v_perm_b32 v3, v19, v3, 0xc0c0401
	v_or_b32_e32 v20, v26, v20
	v_and_b32_e32 v26, 0xff, v5
	s_delay_alu instid0(VALU_DEP_3) | instskip(SKIP_1) | instid1(VALU_DEP_3)
	v_or_b32_e32 v3, v11, v3
	v_add_nc_u32_e32 v11, s27, v122
	v_or_b32_e32 v16, v26, v16
	v_and_b32_e32 v26, 0xff, v23
	v_perm_b32 v5, v5, v20, 0x4010c0c
	s_delay_alu instid0(VALU_DEP_3) | instskip(NEXT) | instid1(VALU_DEP_3)
	v_perm_b32 v16, v21, v16, 0xc0c0401
	v_or_b32_e32 v22, v26, v22
	v_and_b32_e32 v26, 0xff, v1
	s_delay_alu instid0(VALU_DEP_3) | instskip(NEXT) | instid1(VALU_DEP_3)
	v_or_b32_e32 v5, v5, v16
	v_perm_b32 v1, v1, v22, 0x4010c0c
	s_delay_alu instid0(VALU_DEP_3) | instskip(SKIP_1) | instid1(VALU_DEP_4)
	v_or_b32_e32 v7, v26, v7
	v_and_b32_e32 v26, 0xff, v25
	v_dot4_i32_iu8 v18, v5, v140, v4 neg_lo:[1,1,0]
	s_delay_alu instid0(VALU_DEP_3) | instskip(NEXT) | instid1(VALU_DEP_3)
	v_perm_b32 v7, v23, v7, 0xc0c0401
	v_or_b32_e32 v24, v26, v24
	v_and_b32_e32 v26, 0xff, v13
	s_delay_alu instid0(VALU_DEP_3)
	v_or_b32_e32 v1, v1, v7
	v_add_nc_u32_e32 v7, s27, v120
	ds_load_u16 v11, v11 offset:25330
	ds_load_u16 v7, v7 offset:27378
	v_or_b32_e32 v17, v26, v17
	v_perm_b32 v13, v13, v24, 0x4010c0c
	v_dot4_i32_iu8 v19, v1, v140, v0 neg_lo:[1,1,0]
	v_lshrrev_b16 v0, 8, v146
	v_lshrrev_b16 v1, 8, v148
	v_perm_b32 v17, v25, v17, 0xc0c0401
	ds_load_b32 v16, v139
	v_add_nc_u32_e32 v139, 4, v139
	v_bfe_i32 v20, v0, 0, 8
	v_bfe_i32 v21, v1, 0, 8
	v_or_b32_e32 v13, v13, v17
	v_dot4_i32_iu8 v17, v3, v140, v2 neg_lo:[1,1,0]
	s_mov_b32 s27, s25
	s_delay_alu instid0(VALU_DEP_2)
	v_dot4_i32_iu8 v13, v13, v140, v6 neg_lo:[1,1,0]
	s_waitcnt lgkmcnt(2)
	v_lshrrev_b16 v2, 8, v11
	s_waitcnt lgkmcnt(1)
	v_lshrrev_b16 v3, 8, v7
	v_bfe_i32 v4, v11, 0, 8
	v_bfe_i32 v5, v7, 0, 8
	;; [unrolled: 1-line block ×4, first 2 shown]
	s_delay_alu instid0(VALU_DEP_4) | instskip(SKIP_2) | instid1(VALU_DEP_4)
	v_mul_lo_u32 v0, v10, v4
	v_bfe_i32 v11, v3, 0, 8
	v_bfe_i32 v3, v148, 0, 8
	v_mul_lo_u32 v1, v12, v2
	v_mul_lo_u32 v2, v14, v5
	s_delay_alu instid0(VALU_DEP_3) | instskip(NEXT) | instid1(VALU_DEP_3)
	v_mul_lo_u32 v3, v15, v3
	v_mad_u64_u32 v[4:5], null, v17, v7, v[0:1]
	s_delay_alu instid0(VALU_DEP_3) | instskip(NEXT) | instid1(VALU_DEP_3)
	v_mad_u64_u32 v[5:6], null, v18, v20, v[1:2]
	v_mad_u64_u32 v[0:1], null, v19, v11, v[2:3]
	s_waitcnt lgkmcnt(0)
	v_mul_f32_e32 v6, v16, v145
	v_mul_f32_e32 v7, v16, v147
	v_mad_u64_u32 v[1:2], null, v13, v21, v[3:4]
	v_mul_f32_e32 v2, v16, v141
	v_mul_f32_e32 v3, v16, v142
	v_cvt_f32_i32_e32 v4, v4
	v_cvt_f32_i32_e32 v5, v5
	;; [unrolled: 1-line block ×4, first 2 shown]
	s_delay_alu instid0(VALU_DEP_4) | instskip(NEXT) | instid1(VALU_DEP_3)
	v_fmac_f32_e32 v33, v2, v4
	v_dual_fmac_f32 v134, v6, v5 :: v_dual_fmac_f32 v135, v3, v0
	s_delay_alu instid0(VALU_DEP_3)
	v_fmac_f32_e32 v136, v7, v1
	s_cbranch_scc1 .LBB209_28
; %bb.29:                               ;   in Loop: Header=BB209_5 Depth=1
	s_or_b32 s1, s18, 0x180
	s_delay_alu instid0(SALU_CYCLE_1)
	s_cmp_ge_i32 s1, s11
	s_barrier
	buffer_gl0_inv
	s_cbranch_scc1 .LBB209_4
; %bb.30:                               ;   in Loop: Header=BB209_5 Depth=1
	v_add_nc_u32_e32 v0, s19, v107
	s_delay_alu instid0(VALU_DEP_1) | instskip(NEXT) | instid1(VALU_DEP_1)
	v_cmp_gt_i32_e64 s1, s5, v0
	s_and_b32 s18, s0, s1
	s_delay_alu instid0(SALU_CYCLE_1)
	s_and_saveexec_b32 s1, s18
	s_cbranch_execz .LBB209_32
; %bb.31:                               ;   in Loop: Header=BB209_5 Depth=1
	v_add_nc_u32_e32 v2, v101, v0
	s_delay_alu instid0(VALU_DEP_1)
	v_mad_i64_i32 v[0:1], null, v2, 36, v[8:9]
	global_load_b32 v0, v[0:1], off offset:4
	s_waitcnt vmcnt(0)
	ds_store_b32 v89, v0
.LBB209_32:                             ;   in Loop: Header=BB209_5 Depth=1
	s_or_b32 exec_lo, exec_lo, s1
	s_and_saveexec_b32 s18, vcc_lo
	s_cbranch_execz .LBB209_35
; %bb.33:                               ;   in Loop: Header=BB209_5 Depth=1
	v_or_b32_e32 v0, s19, v31
	s_delay_alu instid0(VALU_DEP_1) | instskip(NEXT) | instid1(VALU_DEP_1)
	v_or_b32_e32 v1, 12, v0
	v_cmp_gt_i32_e64 s1, s5, v1
	s_delay_alu instid0(VALU_DEP_1) | instskip(NEXT) | instid1(SALU_CYCLE_1)
	s_and_b32 s1, s0, s1
	s_and_b32 exec_lo, exec_lo, s1
	s_cbranch_execz .LBB209_35
; %bb.34:                               ;   in Loop: Header=BB209_5 Depth=1
	v_ashrrev_i32_e32 v1, 31, v0
	v_add_co_u32 v2, s1, v101, v0
	s_delay_alu instid0(VALU_DEP_1) | instskip(NEXT) | instid1(VALU_DEP_2)
	v_add_co_ci_u32_e64 v3, s1, v108, v1, s1
	v_mad_u64_u32 v[0:1], null, v2, 36, s[16:17]
	s_delay_alu instid0(VALU_DEP_1)
	v_mad_i32_i24 v1, v3, 36, v1
	global_load_b32 v0, v[0:1], off
	s_waitcnt vmcnt(0)
	v_cvt_f32_f16_e32 v0, v0
	ds_store_b32 v90, v0
.LBB209_35:                             ;   in Loop: Header=BB209_5 Depth=1
	s_or_b32 exec_lo, exec_lo, s18
	v_dual_mov_b32 v138, v113 :: v_dual_mov_b32 v139, v114
	s_mov_b32 s1, 24
	s_mov_b32 s25, 22
	s_mov_b32 s18, 4
	s_waitcnt lgkmcnt(0)
	s_barrier
	buffer_gl0_inv
.LBB209_36:                             ;   Parent Loop BB209_5 Depth=1
                                        ; =>  This Inner Loop Header: Depth=2
	s_add_i32 s19, s25, 2
	ds_load_b128 v[4:7], v138
	ds_load_b128 v[0:3], v138 offset:16
	s_and_b32 s27, s19, 0x3ffffff8
	s_lshr_b32 s26, s19, 4
	s_lshl_b32 s27, s27, 2
	s_lshl_b32 s28, s26, 2
	v_add_nc_u32_e32 v147, s27, v93
	v_add_nc_u32_e32 v148, s27, v96
	;; [unrolled: 1-line block ×4, first 2 shown]
	s_sub_i32 s24, s25, 22
	ds_load_2addr_b32 v[12:13], v147 offset1:1
	ds_load_2addr_b32 v[18:19], v148 offset1:1
	ds_load_2addr_b32 v[10:11], v147 offset0:6 offset1:7
	ds_load_2addr_b32 v[14:15], v147 offset0:2 offset1:3
	;; [unrolled: 1-line block ×3, first 2 shown]
	ds_load_b32 v141, v20
	v_add_nc_u32_e32 v161, s27, v103
	s_lshl_b32 s26, s26, 3
	v_add_nc_u32_e32 v138, 32, v138
	v_add_lshl_u32 v164, v92, s26, 2
	v_add_lshl_u32 v167, v95, s26, 2
	;; [unrolled: 1-line block ×3, first 2 shown]
	s_waitcnt lgkmcnt(7)
	v_perm_b32 v149, v6, v6, 0x30201
	s_waitcnt lgkmcnt(6)
	v_perm_b32 v156, v0, v0, 0x30201
	v_perm_b32 v157, v1, v1, 0x30201
	;; [unrolled: 1-line block ×4, first 2 shown]
	v_add_nc_u32_e32 v6, 0x4208, v164
	v_perm_b32 v150, v4, v4, 0x30201
	v_perm_b32 v151, v5, v5, 0x30201
	s_waitcnt lgkmcnt(5)
	v_ashrrev_i32_e32 v152, s24, v12
	s_waitcnt lgkmcnt(4)
	v_ashrrev_i32_e32 v154, s24, v18
	v_ashrrev_i32_e32 v155, s24, v19
	ds_load_2addr_b32 v[2:3], v158 offset1:1
	ds_load_2addr_b32 v[0:1], v158 offset0:6 offset1:7
	ds_load_2addr_b32 v[18:19], v158 offset0:2 offset1:3
	v_perm_b32 v143, v7, v7, 0x30201
	v_bfe_u32 v174, v152, 24, 2
	v_and_b32_e32 v152, 0x3030303, v152
	v_ashrrev_i32_e32 v153, s24, v13
	v_add_nc_u32_e32 v26, 0x4208, v170
	v_add_lshl_u32 v173, v102, s26, 2
	s_and_b32 s26, s1, -16
	s_waitcnt lgkmcnt(5)
	v_ashrrev_i32_e32 v14, s24, v14
	s_add_i32 s25, s25, s26
	s_waitcnt lgkmcnt(4)
	v_ashrrev_i32_e32 v16, s24, v16
	v_ashrrev_i32_e32 v10, s24, v10
	;; [unrolled: 1-line block ×3, first 2 shown]
	s_add_i32 s1, s1, 2
	s_waitcnt lgkmcnt(2)
	v_ashrrev_i32_e32 v159, s24, v2
	v_add_nc_u32_e32 v2, s28, v100
	v_ashrrev_i32_e32 v160, s24, v3
	ds_load_2addr_b32 v[20:21], v161 offset0:2 offset1:3
	ds_load_b32 v142, v2
	ds_load_2addr_b32 v[2:3], v161 offset1:1
	s_waitcnt lgkmcnt(3)
	v_ashrrev_i32_e32 v18, s24, v18
	v_ashrrev_i32_e32 v0, s24, v0
	;; [unrolled: 1-line block ×3, first 2 shown]
	s_waitcnt lgkmcnt(2)
	v_ashrrev_i32_e32 v20, s24, v20
	s_waitcnt lgkmcnt(0)
	v_ashrrev_i32_e32 v162, s24, v2
	v_add_nc_u32_e32 v2, 0x4200, v164
	v_ashrrev_i32_e32 v163, s24, v3
	v_add_nc_u32_e32 v3, 0x4218, v164
	ds_load_2addr_b32 v[4:5], v2 offset1:1
	ds_load_2addr_b32 v[2:3], v3 offset1:1
	ds_load_2addr_b32 v[22:23], v6 offset1:1
	s_waitcnt lgkmcnt(2)
	v_ashrrev_i32_e32 v165, s18, v4
	v_add_nc_u32_e32 v4, 0x4200, v167
	v_ashrrev_i32_e32 v166, s18, v5
	v_add_nc_u32_e32 v5, 0x4208, v167
	ds_load_2addr_b32 v[6:7], v4 offset1:1
	ds_load_2addr_b32 v[24:25], v5 offset1:1
	ds_load_2addr_b32 v[4:5], v148 offset0:6 offset1:7
	v_lshlrev_b32_e32 v165, 2, v165
	v_lshlrev_b32_e32 v166, 2, v166
	s_waitcnt lgkmcnt(3)
	v_ashrrev_i32_e32 v22, s18, v22
	v_ashrrev_i32_e32 v2, s18, v2
	;; [unrolled: 1-line block ×3, first 2 shown]
	v_and_b32_e32 v165, 0x4040404, v165
	v_and_b32_e32 v166, 0x4040404, v166
	v_lshlrev_b32_e32 v22, 2, v22
	v_lshlrev_b32_e32 v2, 2, v2
	;; [unrolled: 1-line block ×3, first 2 shown]
	v_lshrrev_b32_e32 v175, 24, v165
	v_lshrrev_b32_e32 v176, 16, v165
	v_lshrrev_b32_e32 v177, 24, v166
	v_lshrrev_b32_e32 v178, 16, v166
	v_and_b32_e32 v22, 0x4040404, v22
	v_sub_nc_u16 v174, v174, v175
	v_lshrrev_b32_e32 v175, 16, v152
	s_waitcnt lgkmcnt(2)
	v_ashrrev_i32_e32 v168, s18, v6
	v_add_nc_u32_e32 v6, 0x4200, v170
	v_ashrrev_i32_e32 v169, s18, v7
	v_add_nc_u32_e32 v7, 0x4218, v170
	v_sub_nc_u16 v175, v175, v176
	v_lshrrev_b16 v176, 8, v152
	v_sub_nc_u16 v152, v152, v165
	v_lshrrev_b16 v165, 8, v165
	v_lshlrev_b32_e32 v168, 2, v168
	ds_load_2addr_b32 v[12:13], v6 offset1:1
	ds_load_2addr_b32 v[6:7], v7 offset1:1
	;; [unrolled: 1-line block ×3, first 2 shown]
	v_lshlrev_b32_e32 v169, 2, v169
	v_lshlrev_b16 v174, 8, v174
	v_sub_nc_u16 v165, v176, v165
	v_bfe_u32 v176, v153, 24, 2
	v_and_b32_e32 v153, 0x3030303, v153
	v_and_b32_e32 v168, 0x4040404, v168
	v_and_b32_e32 v169, 0x4040404, v169
	v_lshlrev_b16 v165, 8, v165
	v_sub_nc_u16 v176, v176, v177
	v_lshrrev_b32_e32 v177, 16, v153
	v_lshrrev_b32_e32 v179, 24, v168
	;; [unrolled: 1-line block ×5, first 2 shown]
	v_sub_nc_u16 v177, v177, v178
	v_lshrrev_b16 v178, 8, v153
	v_sub_nc_u16 v153, v153, v166
	v_lshrrev_b16 v166, 8, v166
	s_waitcnt lgkmcnt(2)
	v_ashrrev_i32_e32 v171, s18, v12
	v_add_nc_u32_e32 v12, 0x4200, v173
	v_ashrrev_i32_e32 v172, s18, v13
	v_add_nc_u32_e32 v13, 0x4208, v173
	v_sub_nc_u16 v166, v178, v166
	v_bfe_u32 v178, v154, 24, 2
	v_and_b32_e32 v154, 0x3030303, v154
	v_lshlrev_b32_e32 v171, 2, v171
	ds_load_2addr_b32 v[145:146], v12 offset1:1
	ds_load_2addr_b32 v[28:29], v13 offset1:1
	ds_load_2addr_b32 v[12:13], v161 offset0:6 offset1:7
	v_lshlrev_b32_e32 v172, 2, v172
	v_sub_nc_u16 v178, v178, v179
	v_lshrrev_b32_e32 v179, 16, v154
	v_and_b32_e32 v171, 0x4040404, v171
	v_lshlrev_b16 v176, 8, v176
	v_and_b32_e32 v172, 0x4040404, v172
	v_lshlrev_b16 v166, 8, v166
	v_sub_nc_u16 v179, v179, v180
	v_lshrrev_b16 v180, 8, v154
	v_sub_nc_u16 v154, v154, v168
	v_lshrrev_b16 v168, 8, v168
	v_lshrrev_b32_e32 v183, 24, v171
	v_lshrrev_b32_e32 v184, 16, v171
	;; [unrolled: 1-line block ×4, first 2 shown]
	v_sub_nc_u16 v168, v180, v168
	v_bfe_u32 v180, v155, 24, 2
	v_and_b32_e32 v155, 0x3030303, v155
	s_waitcnt lgkmcnt(2)
	v_ashrrev_i32_e32 v145, s18, v145
	v_ashrrev_i32_e32 v146, s18, v146
	v_lshlrev_b16 v178, 8, v178
	v_sub_nc_u16 v180, v180, v181
	v_lshrrev_b32_e32 v181, 16, v155
	v_lshlrev_b32_e32 v145, 2, v145
	v_lshlrev_b32_e32 v146, 2, v146
	v_lshlrev_b16 v168, 8, v168
	v_lshlrev_b16 v180, 8, v180
	v_sub_nc_u16 v181, v181, v182
	v_lshrrev_b16 v182, 8, v155
	v_sub_nc_u16 v155, v155, v169
	v_lshrrev_b16 v169, 8, v169
	v_and_b32_e32 v145, 0x4040404, v145
	v_and_b32_e32 v146, 0x4040404, v146
	v_ashrrev_i32_e32 v24, s18, v24
	v_ashrrev_i32_e32 v26, s18, v26
	v_sub_nc_u16 v169, v182, v169
	v_bfe_u32 v182, v159, 24, 2
	v_and_b32_e32 v159, 0x3030303, v159
	v_lshrrev_b32_e32 v187, 24, v145
	v_lshrrev_b32_e32 v188, 16, v145
	;; [unrolled: 1-line block ×3, first 2 shown]
	v_sub_nc_u16 v182, v182, v183
	v_lshrrev_b32_e32 v183, 16, v159
	v_lshrrev_b32_e32 v190, 16, v146
	v_lshlrev_b16 v169, 8, v169
	v_lshlrev_b32_e32 v24, 2, v24
	v_lshlrev_b16 v182, 8, v182
	v_sub_nc_u16 v183, v183, v184
	v_lshrrev_b16 v184, 8, v159
	v_sub_nc_u16 v159, v159, v171
	v_lshrrev_b16 v171, 8, v171
	v_and_b32_e32 v24, 0x4040404, v24
	v_lshlrev_b32_e32 v26, 2, v26
	s_waitcnt lgkmcnt(1)
	v_ashrrev_i32_e32 v28, s18, v28
	v_and_b32_e32 v2, 0x4040404, v2
	v_sub_nc_u16 v171, v184, v171
	v_bfe_u32 v184, v160, 24, 2
	v_and_b32_e32 v160, 0x3030303, v160
	v_and_b32_e32 v26, 0x4040404, v26
	v_lshlrev_b32_e32 v28, 2, v28
	v_lshlrev_b16 v171, 8, v171
	v_sub_nc_u16 v184, v184, v185
	v_lshrrev_b32_e32 v185, 16, v160
	v_ashrrev_i32_e32 v4, s24, v4
	v_and_b32_e32 v28, 0x4040404, v28
	v_ashrrev_i32_e32 v6, s18, v6
	v_lshlrev_b16 v184, 8, v184
	v_sub_nc_u16 v185, v185, v186
	v_lshrrev_b16 v186, 8, v160
	v_sub_nc_u16 v160, v160, v172
	v_lshrrev_b16 v172, 8, v172
	v_lshlrev_b32_e32 v6, 2, v6
	s_waitcnt lgkmcnt(0)
	v_ashrrev_i32_e32 v12, s24, v12
	v_and_b32_e32 v3, 0x4040404, v3
	v_ashrrev_i32_e32 v5, s24, v5
	v_sub_nc_u16 v172, v186, v172
	v_bfe_u32 v186, v162, 24, 2
	v_and_b32_e32 v162, 0x3030303, v162
	v_and_b32_e32 v6, 0x4040404, v6
	v_ashrrev_i32_e32 v7, s18, v7
	v_lshlrev_b16 v172, 8, v172
	v_sub_nc_u16 v186, v186, v187
	v_lshrrev_b32_e32 v187, 16, v162
	v_ashrrev_i32_e32 v13, s24, v13
	v_lshlrev_b32_e32 v7, 2, v7
	s_delay_alu instid0(VALU_DEP_4) | instskip(NEXT) | instid1(VALU_DEP_4)
	v_lshlrev_b16 v186, 8, v186
	v_sub_nc_u16 v187, v187, v188
	v_lshrrev_b16 v188, 8, v162
	v_sub_nc_u16 v162, v162, v145
	v_lshrrev_b16 v145, 8, v145
	v_and_b32_e32 v7, 0x4040404, v7
	s_delay_alu instid0(VALU_DEP_2) | instskip(SKIP_2) | instid1(VALU_DEP_3)
	v_sub_nc_u16 v145, v188, v145
	v_bfe_u32 v188, v163, 24, 2
	v_and_b32_e32 v163, 0x3030303, v163
	v_lshlrev_b16 v145, 8, v145
	s_delay_alu instid0(VALU_DEP_3) | instskip(NEXT) | instid1(VALU_DEP_3)
	v_sub_nc_u16 v188, v188, v189
	v_lshrrev_b32_e32 v189, 16, v163
	s_delay_alu instid0(VALU_DEP_2) | instskip(NEXT) | instid1(VALU_DEP_2)
	v_lshlrev_b16 v188, 8, v188
	v_sub_nc_u16 v189, v189, v190
	v_lshrrev_b16 v190, 8, v163
	v_sub_nc_u16 v163, v163, v146
	v_lshrrev_b16 v146, 8, v146
	s_delay_alu instid0(VALU_DEP_1) | instskip(SKIP_1) | instid1(VALU_DEP_2)
	v_sub_nc_u16 v146, v190, v146
	v_and_b32_e32 v190, 0xff, v175
	v_lshlrev_b16 v146, 8, v146
	s_delay_alu instid0(VALU_DEP_2) | instskip(SKIP_1) | instid1(VALU_DEP_2)
	v_or_b32_e32 v174, v190, v174
	v_and_b32_e32 v190, 0xff, v152
	v_perm_b32 v152, v152, v174, 0x4010c0c
	s_delay_alu instid0(VALU_DEP_2) | instskip(SKIP_1) | instid1(VALU_DEP_2)
	v_or_b32_e32 v165, v190, v165
	v_and_b32_e32 v190, 0xff, v177
	v_perm_b32 v165, v175, v165, 0xc0c0401
	s_delay_alu instid0(VALU_DEP_2) | instskip(SKIP_1) | instid1(VALU_DEP_3)
	v_or_b32_e32 v176, v190, v176
	v_and_b32_e32 v190, 0xff, v153
	v_or_b32_e32 v152, v152, v165
	s_delay_alu instid0(VALU_DEP_3) | instskip(NEXT) | instid1(VALU_DEP_3)
	v_perm_b32 v153, v153, v176, 0x4010c0c
	v_or_b32_e32 v166, v190, v166
	v_and_b32_e32 v190, 0xff, v179
	s_delay_alu instid0(VALU_DEP_4) | instskip(NEXT) | instid1(VALU_DEP_3)
	v_dot4_i32_iu8 v152, v152, v150, 0 neg_lo:[1,1,0]
	v_perm_b32 v166, v177, v166, 0xc0c0401
	s_delay_alu instid0(VALU_DEP_3) | instskip(SKIP_1) | instid1(VALU_DEP_3)
	v_or_b32_e32 v178, v190, v178
	v_and_b32_e32 v190, 0xff, v154
	v_or_b32_e32 v153, v153, v166
	s_delay_alu instid0(VALU_DEP_3) | instskip(NEXT) | instid1(VALU_DEP_3)
	v_perm_b32 v154, v154, v178, 0x4010c0c
	v_or_b32_e32 v168, v190, v168
	v_and_b32_e32 v190, 0xff, v181
	s_delay_alu instid0(VALU_DEP_2) | instskip(NEXT) | instid1(VALU_DEP_2)
	v_perm_b32 v168, v179, v168, 0xc0c0401
	v_or_b32_e32 v180, v190, v180
	v_and_b32_e32 v190, 0xff, v155
	s_delay_alu instid0(VALU_DEP_3) | instskip(NEXT) | instid1(VALU_DEP_3)
	v_or_b32_e32 v154, v154, v168
	v_perm_b32 v155, v155, v180, 0x4010c0c
	s_delay_alu instid0(VALU_DEP_3) | instskip(SKIP_1) | instid1(VALU_DEP_4)
	v_or_b32_e32 v169, v190, v169
	v_and_b32_e32 v190, 0xff, v183
	v_dot4_i32_iu8 v154, v154, v150, 0 neg_lo:[1,1,0]
	s_delay_alu instid0(VALU_DEP_3) | instskip(NEXT) | instid1(VALU_DEP_3)
	v_perm_b32 v169, v181, v169, 0xc0c0401
	v_or_b32_e32 v182, v190, v182
	v_and_b32_e32 v190, 0xff, v159
	s_delay_alu instid0(VALU_DEP_3) | instskip(NEXT) | instid1(VALU_DEP_3)
	v_or_b32_e32 v155, v155, v169
	v_perm_b32 v159, v159, v182, 0x4010c0c
	s_delay_alu instid0(VALU_DEP_3) | instskip(SKIP_1) | instid1(VALU_DEP_2)
	v_or_b32_e32 v171, v190, v171
	v_and_b32_e32 v190, 0xff, v185
	v_perm_b32 v171, v183, v171, 0xc0c0401
	s_delay_alu instid0(VALU_DEP_2) | instskip(SKIP_1) | instid1(VALU_DEP_3)
	v_or_b32_e32 v184, v190, v184
	v_and_b32_e32 v190, 0xff, v160
	v_or_b32_e32 v159, v159, v171
	s_delay_alu instid0(VALU_DEP_3) | instskip(NEXT) | instid1(VALU_DEP_3)
	v_perm_b32 v160, v160, v184, 0x4010c0c
	v_or_b32_e32 v172, v190, v172
	v_and_b32_e32 v190, 0xff, v187
	s_delay_alu instid0(VALU_DEP_4) | instskip(NEXT) | instid1(VALU_DEP_3)
	v_dot4_i32_iu8 v159, v159, v150, 0 neg_lo:[1,1,0]
	v_perm_b32 v172, v185, v172, 0xc0c0401
	s_delay_alu instid0(VALU_DEP_3) | instskip(SKIP_1) | instid1(VALU_DEP_3)
	v_or_b32_e32 v186, v190, v186
	v_and_b32_e32 v190, 0xff, v162
	v_or_b32_e32 v160, v160, v172
	s_delay_alu instid0(VALU_DEP_3) | instskip(NEXT) | instid1(VALU_DEP_3)
	v_perm_b32 v162, v162, v186, 0x4010c0c
	v_or_b32_e32 v145, v190, v145
	v_and_b32_e32 v190, 0xff, v189
	s_delay_alu instid0(VALU_DEP_4) | instskip(NEXT) | instid1(VALU_DEP_3)
	v_dot4_i32_iu8 v159, v160, v151, v159 neg_lo:[1,1,0]
	v_perm_b32 v145, v187, v145, 0xc0c0401
	s_delay_alu instid0(VALU_DEP_3) | instskip(SKIP_1) | instid1(VALU_DEP_3)
	v_or_b32_e32 v188, v190, v188
	v_and_b32_e32 v190, 0xff, v163
	v_or_b32_e32 v145, v162, v145
	s_delay_alu instid0(VALU_DEP_3) | instskip(NEXT) | instid1(VALU_DEP_3)
	v_perm_b32 v163, v163, v188, 0x4010c0c
	v_or_b32_e32 v146, v190, v146
	v_dot4_i32_iu8 v162, v153, v151, v152 neg_lo:[1,1,0]
	v_add_nc_u32_e32 v152, 0x4210, v173
	v_dot4_i32_iu8 v145, v145, v150, 0 neg_lo:[1,1,0]
	v_add_nc_u32_e32 v150, 0x4218, v167
	v_perm_b32 v146, v189, v146, 0xc0c0401
	s_delay_alu instid0(VALU_DEP_1) | instskip(SKIP_2) | instid1(VALU_DEP_3)
	v_or_b32_e32 v146, v163, v146
	v_dot4_i32_iu8 v163, v155, v151, v154 neg_lo:[1,1,0]
	v_add_nc_u32_e32 v154, 0x4218, v173
	v_dot4_i32_iu8 v160, v146, v151, v145 neg_lo:[1,1,0]
	ds_load_2addr_b32 v[145:146], v147 offset0:4 offset1:5
	v_add_nc_u32_e32 v147, 0x4210, v167
	s_waitcnt lgkmcnt(0)
	v_ashrrev_i32_e32 v165, s24, v145
	v_ashrrev_i32_e32 v166, s24, v146
	ds_load_2addr_b32 v[145:146], v148 offset0:4 offset1:5
	v_bfe_u32 v173, v165, 24, 2
	v_and_b32_e32 v165, 0x3030303, v165
	s_waitcnt lgkmcnt(0)
	v_ashrrev_i32_e32 v168, s24, v145
	v_ashrrev_i32_e32 v169, s24, v146
	ds_load_2addr_b32 v[145:146], v158 offset0:4 offset1:5
	s_waitcnt lgkmcnt(0)
	v_ashrrev_i32_e32 v158, s24, v145
	v_ashrrev_i32_e32 v171, s24, v146
	ds_load_2addr_b32 v[145:146], v161 offset0:4 offset1:5
	s_waitcnt lgkmcnt(0)
	v_ashrrev_i32_e32 v161, s24, v145
	v_add_nc_u32_e32 v145, 0x4210, v164
	v_ashrrev_i32_e32 v172, s24, v146
	ds_load_2addr_b32 v[145:146], v145 offset1:1
	s_waitcnt lgkmcnt(0)
	v_ashrrev_i32_e32 v164, s18, v145
	v_add_nc_u32_e32 v145, s25, v121
	v_ashrrev_i32_e32 v174, s18, v146
	s_delay_alu instid0(VALU_DEP_3)
	v_lshlrev_b32_e32 v164, 2, v164
	ds_load_u16 v146, v145 offset:26354
	v_add_nc_u32_e32 v145, s28, v97
	ds_load_b32 v145, v145
	ds_load_2addr_b32 v[147:148], v147 offset1:1
	ds_load_2addr_b32 v[150:151], v150 offset1:1
	v_and_b32_e32 v164, 0x4040404, v164
	v_lshlrev_b32_e32 v174, 2, v174
	s_delay_alu instid0(VALU_DEP_2) | instskip(SKIP_1) | instid1(VALU_DEP_3)
	v_lshrrev_b32_e32 v177, 24, v164
	v_lshrrev_b32_e32 v178, 16, v164
	v_and_b32_e32 v174, 0x4040404, v174
	s_delay_alu instid0(VALU_DEP_3) | instskip(SKIP_1) | instid1(VALU_DEP_3)
	v_sub_nc_u16 v173, v173, v177
	v_lshrrev_b32_e32 v177, 16, v165
	v_lshrrev_b32_e32 v179, 24, v174
	;; [unrolled: 1-line block ×3, first 2 shown]
	s_delay_alu instid0(VALU_DEP_4) | instskip(NEXT) | instid1(VALU_DEP_4)
	v_lshlrev_b16 v173, 8, v173
	v_sub_nc_u16 v177, v177, v178
	v_lshrrev_b16 v178, 8, v165
	v_sub_nc_u16 v165, v165, v164
	v_lshrrev_b16 v164, 8, v164
	s_waitcnt lgkmcnt(1)
	v_ashrrev_i32_e32 v167, s18, v147
	v_add_nc_u32_e32 v147, 0x4210, v170
	v_ashrrev_i32_e32 v175, s18, v148
	v_sub_nc_u16 v164, v178, v164
	v_bfe_u32 v178, v166, 24, 2
	v_and_b32_e32 v166, 0x3030303, v166
	v_lshlrev_b32_e32 v167, 2, v167
	ds_load_2addr_b32 v[147:148], v147 offset1:1
	v_lshlrev_b32_e32 v175, 2, v175
	v_sub_nc_u16 v178, v178, v179
	v_lshrrev_b32_e32 v179, 16, v166
	v_and_b32_e32 v167, 0x4040404, v167
	v_lshlrev_b16 v164, 8, v164
	v_and_b32_e32 v175, 0x4040404, v175
	v_lshlrev_b16 v178, 8, v178
	v_sub_nc_u16 v179, v179, v180
	v_lshrrev_b16 v180, 8, v166
	v_sub_nc_u16 v166, v166, v174
	v_lshrrev_b16 v174, 8, v174
	v_lshrrev_b32_e32 v181, 24, v167
	v_lshrrev_b32_e32 v182, 16, v167
	;; [unrolled: 1-line block ×4, first 2 shown]
	v_sub_nc_u16 v174, v180, v174
	v_bfe_u32 v180, v168, 24, 2
	v_and_b32_e32 v168, 0x3030303, v168
	s_waitcnt lgkmcnt(0)
	v_ashrrev_i32_e32 v170, s18, v147
	v_add_nc_u32_e32 v147, s25, v119
	v_sub_nc_u16 v180, v180, v181
	v_lshrrev_b32_e32 v181, 16, v168
	v_ashrrev_i32_e32 v176, s18, v148
	v_lshlrev_b32_e32 v170, 2, v170
	ds_load_u16 v148, v147 offset:28402
	v_add_nc_u32_e32 v147, s28, v104
	v_sub_nc_u16 v181, v181, v182
	v_lshrrev_b16 v182, 8, v168
	v_sub_nc_u16 v168, v168, v167
	v_lshrrev_b16 v167, 8, v167
	v_and_b32_e32 v170, 0x4040404, v170
	ds_load_b32 v147, v147
	ds_load_2addr_b32 v[152:153], v152 offset1:1
	ds_load_2addr_b32 v[154:155], v154 offset1:1
	v_lshlrev_b32_e32 v176, 2, v176
	v_lshlrev_b16 v174, 8, v174
	v_sub_nc_u16 v167, v182, v167
	v_bfe_u32 v182, v169, 24, 2
	v_and_b32_e32 v169, 0x3030303, v169
	v_lshrrev_b32_e32 v185, 24, v170
	v_lshrrev_b32_e32 v186, 16, v170
	v_and_b32_e32 v176, 0x4040404, v176
	v_sub_nc_u16 v182, v182, v183
	v_lshrrev_b32_e32 v183, 16, v169
	v_lshlrev_b16 v180, 8, v180
	v_lshlrev_b16 v167, 8, v167
	v_lshrrev_b32_e32 v187, 24, v176
	v_lshrrev_b32_e32 v188, 16, v176
	v_sub_nc_u16 v183, v183, v184
	v_lshrrev_b16 v184, 8, v169
	v_sub_nc_u16 v169, v169, v175
	v_lshrrev_b16 v175, 8, v175
	s_waitcnt lgkmcnt(1)
	v_ashrrev_i32_e32 v152, s18, v152
	v_ashrrev_i32_e32 v153, s18, v153
	v_lshlrev_b16 v182, 8, v182
	s_waitcnt lgkmcnt(0)
	v_ashrrev_i32_e32 v154, s18, v154
	v_sub_nc_u16 v175, v184, v175
	v_bfe_u32 v184, v158, 24, 2
	v_and_b32_e32 v158, 0x3030303, v158
	v_lshlrev_b32_e32 v152, 2, v152
	v_lshlrev_b32_e32 v153, 2, v153
	v_lshlrev_b16 v175, 8, v175
	v_sub_nc_u16 v184, v184, v185
	v_lshrrev_b32_e32 v185, 16, v158
	v_and_b32_e32 v152, 0x4040404, v152
	v_and_b32_e32 v153, 0x4040404, v153
	v_lshlrev_b32_e32 v154, 2, v154
	v_lshlrev_b16 v184, 8, v184
	v_sub_nc_u16 v185, v185, v186
	v_lshrrev_b16 v186, 8, v158
	v_sub_nc_u16 v158, v158, v170
	v_lshrrev_b16 v170, 8, v170
	v_lshrrev_b32_e32 v189, 24, v152
	v_lshrrev_b32_e32 v190, 16, v152
	;; [unrolled: 1-line block ×4, first 2 shown]
	v_sub_nc_u16 v170, v186, v170
	v_bfe_u32 v186, v171, 24, 2
	v_and_b32_e32 v171, 0x3030303, v171
	v_and_b32_e32 v154, 0x4040404, v154
	s_delay_alu instid0(VALU_DEP_4) | instskip(NEXT) | instid1(VALU_DEP_4)
	v_lshlrev_b16 v170, 8, v170
	v_sub_nc_u16 v186, v186, v187
	s_delay_alu instid0(VALU_DEP_4) | instskip(NEXT) | instid1(VALU_DEP_2)
	v_lshrrev_b32_e32 v187, 16, v171
	v_lshlrev_b16 v186, 8, v186
	s_delay_alu instid0(VALU_DEP_2) | instskip(SKIP_3) | instid1(VALU_DEP_1)
	v_sub_nc_u16 v187, v187, v188
	v_lshrrev_b16 v188, 8, v171
	v_sub_nc_u16 v171, v171, v176
	v_lshrrev_b16 v176, 8, v176
	v_sub_nc_u16 v176, v188, v176
	v_bfe_u32 v188, v161, 24, 2
	v_and_b32_e32 v161, 0x3030303, v161
	s_delay_alu instid0(VALU_DEP_3) | instskip(NEXT) | instid1(VALU_DEP_3)
	v_lshlrev_b16 v176, 8, v176
	v_sub_nc_u16 v188, v188, v189
	s_delay_alu instid0(VALU_DEP_3) | instskip(NEXT) | instid1(VALU_DEP_2)
	v_lshrrev_b32_e32 v189, 16, v161
	v_lshlrev_b16 v188, 8, v188
	s_delay_alu instid0(VALU_DEP_2) | instskip(SKIP_3) | instid1(VALU_DEP_1)
	v_sub_nc_u16 v189, v189, v190
	v_lshrrev_b16 v190, 8, v161
	v_sub_nc_u16 v161, v161, v152
	v_lshrrev_b16 v152, 8, v152
	v_sub_nc_u16 v152, v190, v152
	v_bfe_u32 v190, v172, 24, 2
	v_and_b32_e32 v172, 0x3030303, v172
	s_delay_alu instid0(VALU_DEP_3) | instskip(NEXT) | instid1(VALU_DEP_3)
	v_lshlrev_b16 v152, 8, v152
	v_sub_nc_u16 v190, v190, v191
	s_delay_alu instid0(VALU_DEP_3) | instskip(NEXT) | instid1(VALU_DEP_2)
	v_lshrrev_b32_e32 v191, 16, v172
	v_lshlrev_b16 v190, 8, v190
	s_delay_alu instid0(VALU_DEP_2) | instskip(SKIP_3) | instid1(VALU_DEP_1)
	v_sub_nc_u16 v191, v191, v192
	v_lshrrev_b16 v192, 8, v172
	v_sub_nc_u16 v172, v172, v153
	v_lshrrev_b16 v153, 8, v153
	v_sub_nc_u16 v153, v192, v153
	v_and_b32_e32 v192, 0xff, v177
	s_delay_alu instid0(VALU_DEP_2) | instskip(NEXT) | instid1(VALU_DEP_2)
	v_lshlrev_b16 v153, 8, v153
	v_or_b32_e32 v173, v192, v173
	v_and_b32_e32 v192, 0xff, v165
	s_delay_alu instid0(VALU_DEP_2) | instskip(NEXT) | instid1(VALU_DEP_2)
	v_perm_b32 v165, v165, v173, 0x4010c0c
	v_or_b32_e32 v164, v192, v164
	v_and_b32_e32 v192, 0xff, v179
	s_delay_alu instid0(VALU_DEP_2) | instskip(NEXT) | instid1(VALU_DEP_2)
	v_perm_b32 v164, v177, v164, 0xc0c0401
	v_or_b32_e32 v178, v192, v178
	v_and_b32_e32 v192, 0xff, v166
	s_delay_alu instid0(VALU_DEP_3) | instskip(NEXT) | instid1(VALU_DEP_3)
	v_or_b32_e32 v164, v165, v164
	v_perm_b32 v166, v166, v178, 0x4010c0c
	s_delay_alu instid0(VALU_DEP_3) | instskip(SKIP_1) | instid1(VALU_DEP_2)
	v_or_b32_e32 v174, v192, v174
	v_and_b32_e32 v192, 0xff, v181
	v_perm_b32 v173, v179, v174, 0xc0c0401
	s_delay_alu instid0(VALU_DEP_2) | instskip(SKIP_1) | instid1(VALU_DEP_3)
	v_or_b32_e32 v180, v192, v180
	v_and_b32_e32 v192, 0xff, v168
	v_or_b32_e32 v165, v166, v173
	s_delay_alu instid0(VALU_DEP_3) | instskip(NEXT) | instid1(VALU_DEP_3)
	v_perm_b32 v168, v168, v180, 0x4010c0c
	v_or_b32_e32 v167, v192, v167
	v_and_b32_e32 v192, 0xff, v183
	s_delay_alu instid0(VALU_DEP_2) | instskip(NEXT) | instid1(VALU_DEP_2)
	v_perm_b32 v167, v181, v167, 0xc0c0401
	v_or_b32_e32 v182, v192, v182
	v_and_b32_e32 v192, 0xff, v169
	s_delay_alu instid0(VALU_DEP_3) | instskip(NEXT) | instid1(VALU_DEP_3)
	v_or_b32_e32 v166, v168, v167
	v_perm_b32 v169, v169, v182, 0x4010c0c
	s_delay_alu instid0(VALU_DEP_3) | instskip(SKIP_1) | instid1(VALU_DEP_2)
	v_or_b32_e32 v175, v192, v175
	v_and_b32_e32 v192, 0xff, v185
	v_perm_b32 v174, v183, v175, 0xc0c0401
	s_delay_alu instid0(VALU_DEP_2) | instskip(SKIP_1) | instid1(VALU_DEP_3)
	v_or_b32_e32 v184, v192, v184
	v_and_b32_e32 v192, 0xff, v158
	v_or_b32_e32 v167, v169, v174
	s_delay_alu instid0(VALU_DEP_3) | instskip(NEXT) | instid1(VALU_DEP_3)
	v_perm_b32 v158, v158, v184, 0x4010c0c
	v_or_b32_e32 v170, v192, v170
	v_and_b32_e32 v192, 0xff, v187
	v_lshrrev_b32_e32 v169, 24, v28
	s_delay_alu instid0(VALU_DEP_3) | instskip(NEXT) | instid1(VALU_DEP_3)
	v_perm_b32 v170, v185, v170, 0xc0c0401
	v_or_b32_e32 v186, v192, v186
	v_and_b32_e32 v192, 0xff, v171
	s_delay_alu instid0(VALU_DEP_3) | instskip(NEXT) | instid1(VALU_DEP_3)
	v_or_b32_e32 v158, v158, v170
	v_perm_b32 v171, v171, v186, 0x4010c0c
	s_delay_alu instid0(VALU_DEP_3) | instskip(SKIP_3) | instid1(VALU_DEP_4)
	v_or_b32_e32 v176, v192, v176
	v_and_b32_e32 v192, 0xff, v189
	v_lshrrev_b32_e32 v170, 16, v28
	v_dot4_i32_iu8 v158, v158, v156, 0 neg_lo:[1,1,0]
	v_perm_b32 v175, v187, v176, 0xc0c0401
	s_delay_alu instid0(VALU_DEP_4) | instskip(SKIP_1) | instid1(VALU_DEP_3)
	v_or_b32_e32 v188, v192, v188
	v_and_b32_e32 v192, 0xff, v161
	v_or_b32_e32 v168, v171, v175
	s_delay_alu instid0(VALU_DEP_3) | instskip(NEXT) | instid1(VALU_DEP_3)
	v_perm_b32 v161, v161, v188, 0x4010c0c
	v_or_b32_e32 v152, v192, v152
	v_and_b32_e32 v192, 0xff, v191
	s_delay_alu instid0(VALU_DEP_4) | instskip(SKIP_1) | instid1(VALU_DEP_4)
	v_dot4_i32_iu8 v158, v168, v157, v158 neg_lo:[1,1,0]
	v_lshrrev_b32_e32 v168, 16, v26
	v_perm_b32 v152, v189, v152, 0xc0c0401
	s_delay_alu instid0(VALU_DEP_4) | instskip(SKIP_1) | instid1(VALU_DEP_3)
	v_or_b32_e32 v190, v192, v190
	v_and_b32_e32 v192, 0xff, v172
	v_or_b32_e32 v152, v161, v152
	s_delay_alu instid0(VALU_DEP_3) | instskip(NEXT) | instid1(VALU_DEP_3)
	v_perm_b32 v172, v172, v190, 0x4010c0c
	v_or_b32_e32 v153, v192, v153
	v_dot4_i32_iu8 v161, v164, v156, 0 neg_lo:[1,1,0]
	v_dot4_i32_iu8 v164, v166, v156, 0 neg_lo:[1,1,0]
	;; [unrolled: 1-line block ×3, first 2 shown]
	v_lshrrev_b32_e32 v166, 16, v24
	v_perm_b32 v153, v191, v153, 0xc0c0401
	v_dot4_i32_iu8 v156, v165, v157, v161 neg_lo:[1,1,0]
	v_dot4_i32_iu8 v161, v167, v157, v164 neg_lo:[1,1,0]
	v_lshrrev_b32_e32 v164, 16, v22
	v_lshrrev_b32_e32 v165, 24, v24
	v_or_b32_e32 v153, v172, v153
	v_lshrrev_b32_e32 v167, 24, v26
	s_delay_alu instid0(VALU_DEP_2) | instskip(SKIP_3) | instid1(VALU_DEP_2)
	v_dot4_i32_iu8 v152, v153, v157, v152 neg_lo:[1,1,0]
	v_bfe_u32 v153, v14, 24, 2
	v_lshrrev_b32_e32 v157, 24, v22
	v_and_b32_e32 v14, 0x3030303, v14
	v_sub_nc_u16 v153, v153, v157
	s_delay_alu instid0(VALU_DEP_2) | instskip(NEXT) | instid1(VALU_DEP_2)
	v_lshrrev_b32_e32 v157, 16, v14
	v_lshlrev_b16 v153, 8, v153
	s_delay_alu instid0(VALU_DEP_2) | instskip(SKIP_3) | instid1(VALU_DEP_1)
	v_sub_nc_u16 v157, v157, v164
	v_lshrrev_b16 v164, 8, v14
	v_sub_nc_u16 v14, v14, v22
	v_lshrrev_b16 v22, 8, v22
	v_sub_nc_u16 v22, v164, v22
	v_bfe_u32 v164, v16, 24, 2
	v_and_b32_e32 v16, 0x3030303, v16
	s_delay_alu instid0(VALU_DEP_3) | instskip(NEXT) | instid1(VALU_DEP_3)
	v_lshlrev_b16 v22, 8, v22
	v_sub_nc_u16 v164, v164, v165
	s_delay_alu instid0(VALU_DEP_3) | instskip(NEXT) | instid1(VALU_DEP_2)
	v_lshrrev_b32_e32 v165, 16, v16
	v_lshlrev_b16 v164, 8, v164
	s_delay_alu instid0(VALU_DEP_2) | instskip(SKIP_3) | instid1(VALU_DEP_1)
	v_sub_nc_u16 v165, v165, v166
	v_lshrrev_b16 v166, 8, v16
	v_sub_nc_u16 v16, v16, v24
	v_lshrrev_b16 v24, 8, v24
	v_sub_nc_u16 v24, v166, v24
	v_bfe_u32 v166, v18, 24, 2
	v_and_b32_e32 v18, 0x3030303, v18
	s_delay_alu instid0(VALU_DEP_3) | instskip(NEXT) | instid1(VALU_DEP_3)
	v_lshlrev_b16 v24, 8, v24
	v_sub_nc_u16 v166, v166, v167
	s_delay_alu instid0(VALU_DEP_3) | instskip(NEXT) | instid1(VALU_DEP_2)
	;; [unrolled: 14-line block ×3, first 2 shown]
	v_lshrrev_b32_e32 v169, 16, v20
	v_lshlrev_b16 v168, 8, v168
	s_delay_alu instid0(VALU_DEP_2) | instskip(SKIP_3) | instid1(VALU_DEP_1)
	v_sub_nc_u16 v169, v169, v170
	v_lshrrev_b16 v170, 8, v20
	v_sub_nc_u16 v20, v20, v28
	v_lshrrev_b16 v28, 8, v28
	v_sub_nc_u16 v28, v170, v28
	v_and_b32_e32 v170, 0xff, v157
	s_delay_alu instid0(VALU_DEP_2) | instskip(NEXT) | instid1(VALU_DEP_2)
	v_lshlrev_b16 v28, 8, v28
	v_or_b32_e32 v153, v170, v153
	v_and_b32_e32 v170, 0xff, v14
	s_delay_alu instid0(VALU_DEP_2) | instskip(NEXT) | instid1(VALU_DEP_2)
	v_perm_b32 v14, v14, v153, 0x4010c0c
	v_or_b32_e32 v22, v170, v22
	v_and_b32_e32 v170, 0xff, v165
	v_lshrrev_b32_e32 v153, 24, v6
	s_delay_alu instid0(VALU_DEP_3) | instskip(NEXT) | instid1(VALU_DEP_3)
	v_perm_b32 v22, v157, v22, 0xc0c0401
	v_or_b32_e32 v164, v170, v164
	v_and_b32_e32 v170, 0xff, v16
	v_lshrrev_b32_e32 v157, 16, v6
	s_delay_alu instid0(VALU_DEP_4) | instskip(NEXT) | instid1(VALU_DEP_4)
	v_or_b32_e32 v14, v14, v22
	v_perm_b32 v16, v16, v164, 0x4010c0c
	s_delay_alu instid0(VALU_DEP_4)
	v_or_b32_e32 v24, v170, v24
	v_and_b32_e32 v170, 0xff, v167
	v_bfe_u32 v22, v10, 24, 2
	v_and_b32_e32 v10, 0x3030303, v10
	v_dot4_i32_iu8 v14, v14, v149, v162 neg_lo:[1,1,0]
	v_perm_b32 v24, v165, v24, 0xc0c0401
	v_or_b32_e32 v166, v170, v166
	v_and_b32_e32 v170, 0xff, v18
	s_delay_alu instid0(VALU_DEP_3) | instskip(NEXT) | instid1(VALU_DEP_3)
	v_or_b32_e32 v16, v16, v24
	v_perm_b32 v18, v18, v166, 0x4010c0c
	s_delay_alu instid0(VALU_DEP_3) | instskip(SKIP_3) | instid1(VALU_DEP_4)
	v_or_b32_e32 v26, v170, v26
	v_lshrrev_b32_e32 v24, 24, v2
	v_and_b32_e32 v170, 0xff, v169
	v_dot4_i32_iu8 v16, v16, v149, v163 neg_lo:[1,1,0]
	v_perm_b32 v26, v167, v26, 0xc0c0401
	s_delay_alu instid0(VALU_DEP_4)
	v_sub_nc_u16 v22, v22, v24
	v_lshrrev_b32_e32 v24, 16, v10
	v_or_b32_e32 v168, v170, v168
	v_and_b32_e32 v170, 0xff, v20
	v_or_b32_e32 v18, v18, v26
	v_lshrrev_b32_e32 v26, 16, v2
	v_lshlrev_b16 v22, 8, v22
	v_perm_b32 v20, v20, v168, 0x4010c0c
	v_or_b32_e32 v28, v170, v28
	v_dot4_i32_iu8 v18, v18, v149, v159 neg_lo:[1,1,0]
	v_sub_nc_u16 v24, v24, v26
	v_lshrrev_b16 v26, 8, v10
	v_sub_nc_u16 v10, v10, v2
	v_lshrrev_b16 v2, 8, v2
	v_perm_b32 v28, v169, v28, 0xc0c0401
	v_lshrrev_b32_e32 v159, 24, v154
	s_delay_alu instid0(VALU_DEP_3) | instskip(SKIP_1) | instid1(VALU_DEP_4)
	v_sub_nc_u16 v2, v26, v2
	v_ashrrev_i32_e32 v26, s18, v150
	v_or_b32_e32 v20, v20, v28
	v_bfe_u32 v28, v4, 24, 2
	v_and_b32_e32 v4, 0x3030303, v4
	v_lshlrev_b16 v2, 8, v2
	v_lshlrev_b32_e32 v26, 2, v26
	v_dot4_i32_iu8 v20, v20, v149, v160 neg_lo:[1,1,0]
	v_lshrrev_b32_e32 v160, 16, v154
	s_delay_alu instid0(VALU_DEP_3) | instskip(NEXT) | instid1(VALU_DEP_1)
	v_and_b32_e32 v26, 0x4040404, v26
	v_lshrrev_b32_e32 v149, 24, v26
	v_lshrrev_b32_e32 v150, 16, v26
	s_delay_alu instid0(VALU_DEP_2) | instskip(SKIP_1) | instid1(VALU_DEP_2)
	v_sub_nc_u16 v28, v28, v149
	v_lshrrev_b32_e32 v149, 16, v4
	v_lshlrev_b16 v28, 8, v28
	s_delay_alu instid0(VALU_DEP_2) | instskip(SKIP_3) | instid1(VALU_DEP_1)
	v_sub_nc_u16 v149, v149, v150
	v_lshrrev_b16 v150, 8, v4
	v_sub_nc_u16 v4, v4, v26
	v_lshrrev_b16 v26, 8, v26
	v_sub_nc_u16 v26, v150, v26
	v_bfe_u32 v150, v0, 24, 2
	v_and_b32_e32 v0, 0x3030303, v0
	s_delay_alu instid0(VALU_DEP_3) | instskip(NEXT) | instid1(VALU_DEP_3)
	v_lshlrev_b16 v26, 8, v26
	v_sub_nc_u16 v150, v150, v153
	s_delay_alu instid0(VALU_DEP_3) | instskip(NEXT) | instid1(VALU_DEP_2)
	v_lshrrev_b32_e32 v153, 16, v0
	v_lshlrev_b16 v150, 8, v150
	s_delay_alu instid0(VALU_DEP_2) | instskip(SKIP_3) | instid1(VALU_DEP_1)
	v_sub_nc_u16 v153, v153, v157
	v_lshrrev_b16 v157, 8, v0
	v_sub_nc_u16 v0, v0, v6
	v_lshrrev_b16 v6, 8, v6
	v_sub_nc_u16 v6, v157, v6
	v_bfe_u32 v157, v12, 24, 2
	v_and_b32_e32 v12, 0x3030303, v12
	s_delay_alu instid0(VALU_DEP_3) | instskip(NEXT) | instid1(VALU_DEP_3)
	v_lshlrev_b16 v6, 8, v6
	v_sub_nc_u16 v157, v157, v159
	s_delay_alu instid0(VALU_DEP_3) | instskip(NEXT) | instid1(VALU_DEP_2)
	v_lshrrev_b32_e32 v159, 16, v12
	v_lshlrev_b16 v157, 8, v157
	s_delay_alu instid0(VALU_DEP_2) | instskip(SKIP_3) | instid1(VALU_DEP_1)
	v_sub_nc_u16 v159, v159, v160
	v_lshrrev_b16 v160, 8, v12
	v_sub_nc_u16 v12, v12, v154
	v_lshrrev_b16 v154, 8, v154
	v_sub_nc_u16 v154, v160, v154
	v_and_b32_e32 v160, 0xff, v24
	s_delay_alu instid0(VALU_DEP_2) | instskip(NEXT) | instid1(VALU_DEP_2)
	v_lshlrev_b16 v154, 8, v154
	v_or_b32_e32 v22, v160, v22
	v_and_b32_e32 v160, 0xff, v10
	s_delay_alu instid0(VALU_DEP_2) | instskip(NEXT) | instid1(VALU_DEP_2)
	v_perm_b32 v10, v10, v22, 0x4010c0c
	v_or_b32_e32 v2, v160, v2
	v_and_b32_e32 v160, 0xff, v149
	s_delay_alu instid0(VALU_DEP_2) | instskip(NEXT) | instid1(VALU_DEP_2)
	v_perm_b32 v2, v24, v2, 0xc0c0401
	v_or_b32_e32 v28, v160, v28
	v_and_b32_e32 v160, 0xff, v4
	s_delay_alu instid0(VALU_DEP_3) | instskip(SKIP_1) | instid1(VALU_DEP_3)
	v_or_b32_e32 v2, v10, v2
	v_ashrrev_i32_e32 v10, s24, v15
	v_or_b32_e32 v26, v160, v26
	v_and_b32_e32 v160, 0xff, v153
	v_ashrrev_i32_e32 v15, s24, v19
	v_ashrrev_i32_e32 v19, s18, v23
	v_perm_b32 v4, v4, v28, 0x4010c0c
	v_perm_b32 v22, v149, v26, 0xc0c0401
	v_or_b32_e32 v150, v160, v150
	v_and_b32_e32 v160, 0xff, v0
	v_lshlrev_b32_e32 v19, 2, v19
	v_ashrrev_i32_e32 v23, s18, v29
	v_or_b32_e32 v4, v4, v22
	v_perm_b32 v0, v0, v150, 0x4010c0c
	v_or_b32_e32 v6, v160, v6
	v_and_b32_e32 v160, 0xff, v159
	v_and_b32_e32 v19, 0x4040404, v19
	v_ashrrev_i32_e32 v22, s18, v27
	v_dot4_i32_iu8 v2, v2, v144, v156 neg_lo:[1,1,0]
	v_perm_b32 v6, v153, v6, 0xc0c0401
	v_or_b32_e32 v157, v160, v157
	v_and_b32_e32 v160, 0xff, v12
	v_lshrrev_b32_e32 v26, 16, v19
	v_lshlrev_b32_e32 v22, 2, v22
	v_or_b32_e32 v0, v0, v6
	v_perm_b32 v12, v12, v157, 0x4010c0c
	v_or_b32_e32 v154, v160, v154
	v_dot4_i32_iu8 v4, v4, v144, v161 neg_lo:[1,1,0]
	v_and_b32_e32 v22, 0x4040404, v22
	v_dot4_i32_iu8 v0, v0, v144, v158 neg_lo:[1,1,0]
	v_lshlrev_b32_e32 v23, 2, v23
	v_perm_b32 v24, v159, v154, 0xc0c0401
	s_delay_alu instid0(VALU_DEP_4) | instskip(NEXT) | instid1(VALU_DEP_3)
	v_lshrrev_b32_e32 v29, 24, v22
	v_and_b32_e32 v23, 0x4040404, v23
	s_delay_alu instid0(VALU_DEP_3)
	v_or_b32_e32 v6, v12, v24
	v_ashrrev_i32_e32 v12, s24, v17
	v_ashrrev_i32_e32 v17, s24, v21
	v_ashrrev_i32_e32 v21, s18, v25
	v_bfe_u32 v24, v10, 24, 2
	v_lshrrev_b32_e32 v25, 24, v19
	v_and_b32_e32 v10, 0x3030303, v10
	v_dot4_i32_iu8 v6, v6, v144, v152 neg_lo:[1,1,0]
	v_lshlrev_b32_e32 v21, 2, v21
	v_lshrrev_b32_e32 v144, 16, v22
	v_sub_nc_u16 v24, v24, v25
	v_lshrrev_b32_e32 v25, 16, v10
	v_lshrrev_b32_e32 v149, 24, v23
	v_and_b32_e32 v21, 0x4040404, v21
	v_lshrrev_b32_e32 v150, 16, v23
	v_lshlrev_b16 v24, 8, v24
	v_sub_nc_u16 v25, v25, v26
	v_lshrrev_b16 v26, 8, v10
	v_sub_nc_u16 v10, v10, v19
	v_lshrrev_b16 v19, 8, v19
	v_lshrrev_b32_e32 v27, 24, v21
	v_lshrrev_b32_e32 v28, 16, v21
	s_delay_alu instid0(VALU_DEP_3) | instskip(SKIP_2) | instid1(VALU_DEP_3)
	v_sub_nc_u16 v19, v26, v19
	v_bfe_u32 v26, v12, 24, 2
	v_and_b32_e32 v12, 0x3030303, v12
	v_lshlrev_b16 v19, 8, v19
	s_delay_alu instid0(VALU_DEP_3) | instskip(NEXT) | instid1(VALU_DEP_3)
	v_sub_nc_u16 v26, v26, v27
	v_lshrrev_b32_e32 v27, 16, v12
	s_delay_alu instid0(VALU_DEP_2) | instskip(NEXT) | instid1(VALU_DEP_2)
	v_lshlrev_b16 v26, 8, v26
	v_sub_nc_u16 v27, v27, v28
	v_lshrrev_b16 v28, 8, v12
	v_sub_nc_u16 v12, v12, v21
	v_lshrrev_b16 v21, 8, v21
	s_delay_alu instid0(VALU_DEP_1) | instskip(SKIP_2) | instid1(VALU_DEP_3)
	v_sub_nc_u16 v21, v28, v21
	v_bfe_u32 v28, v15, 24, 2
	v_and_b32_e32 v15, 0x3030303, v15
	v_lshlrev_b16 v21, 8, v21
	s_delay_alu instid0(VALU_DEP_3) | instskip(NEXT) | instid1(VALU_DEP_3)
	v_sub_nc_u16 v28, v28, v29
	v_lshrrev_b32_e32 v29, 16, v15
	s_delay_alu instid0(VALU_DEP_2) | instskip(NEXT) | instid1(VALU_DEP_2)
	v_lshlrev_b16 v28, 8, v28
	v_sub_nc_u16 v29, v29, v144
	v_lshrrev_b16 v144, 8, v15
	v_sub_nc_u16 v15, v15, v22
	v_lshrrev_b16 v22, 8, v22
	s_delay_alu instid0(VALU_DEP_1) | instskip(SKIP_2) | instid1(VALU_DEP_3)
	v_sub_nc_u16 v22, v144, v22
	v_bfe_u32 v144, v17, 24, 2
	v_and_b32_e32 v17, 0x3030303, v17
	v_lshlrev_b16 v22, 8, v22
	s_delay_alu instid0(VALU_DEP_3) | instskip(NEXT) | instid1(VALU_DEP_3)
	v_sub_nc_u16 v144, v144, v149
	v_lshrrev_b32_e32 v149, 16, v17
	s_delay_alu instid0(VALU_DEP_2) | instskip(NEXT) | instid1(VALU_DEP_2)
	v_lshlrev_b16 v144, 8, v144
	v_sub_nc_u16 v149, v149, v150
	v_lshrrev_b16 v150, 8, v17
	v_sub_nc_u16 v17, v17, v23
	v_lshrrev_b16 v23, 8, v23
	s_delay_alu instid0(VALU_DEP_1) | instskip(SKIP_1) | instid1(VALU_DEP_2)
	v_sub_nc_u16 v23, v150, v23
	v_and_b32_e32 v150, 0xff, v25
	v_lshlrev_b16 v23, 8, v23
	s_delay_alu instid0(VALU_DEP_2) | instskip(SKIP_1) | instid1(VALU_DEP_2)
	v_or_b32_e32 v24, v150, v24
	v_and_b32_e32 v150, 0xff, v10
	v_perm_b32 v10, v10, v24, 0x4010c0c
	s_delay_alu instid0(VALU_DEP_2) | instskip(SKIP_2) | instid1(VALU_DEP_3)
	v_or_b32_e32 v19, v150, v19
	v_and_b32_e32 v150, 0xff, v27
	v_lshrrev_b32_e32 v24, 16, v7
	v_perm_b32 v19, v25, v19, 0xc0c0401
	s_delay_alu instid0(VALU_DEP_3) | instskip(SKIP_1) | instid1(VALU_DEP_3)
	v_or_b32_e32 v26, v150, v26
	v_and_b32_e32 v150, 0xff, v12
	v_or_b32_e32 v10, v10, v19
	s_delay_alu instid0(VALU_DEP_3) | instskip(NEXT) | instid1(VALU_DEP_3)
	v_perm_b32 v12, v12, v26, 0x4010c0c
	v_or_b32_e32 v21, v150, v21
	v_and_b32_e32 v150, 0xff, v29
	v_lshrrev_b32_e32 v19, 24, v3
	v_dot4_i32_iu8 v10, v10, v143, v14 neg_lo:[1,1,0]
	s_delay_alu instid0(VALU_DEP_4) | instskip(NEXT) | instid1(VALU_DEP_4)
	v_perm_b32 v21, v27, v21, 0xc0c0401
	v_or_b32_e32 v28, v150, v28
	v_and_b32_e32 v150, 0xff, v15
	s_delay_alu instid0(VALU_DEP_3) | instskip(NEXT) | instid1(VALU_DEP_3)
	v_or_b32_e32 v12, v12, v21
	v_perm_b32 v15, v15, v28, 0x4010c0c
	s_delay_alu instid0(VALU_DEP_3) | instskip(SKIP_1) | instid1(VALU_DEP_4)
	v_or_b32_e32 v22, v150, v22
	v_and_b32_e32 v150, 0xff, v149
	v_dot4_i32_iu8 v12, v12, v143, v16 neg_lo:[1,1,0]
	v_ashrrev_i32_e32 v16, s18, v151
	s_delay_alu instid0(VALU_DEP_4) | instskip(NEXT) | instid1(VALU_DEP_4)
	v_perm_b32 v22, v29, v22, 0xc0c0401
	v_or_b32_e32 v144, v150, v144
	v_and_b32_e32 v150, 0xff, v17
	s_delay_alu instid0(VALU_DEP_4) | instskip(NEXT) | instid1(VALU_DEP_4)
	v_lshlrev_b32_e32 v16, 2, v16
	v_or_b32_e32 v15, v15, v22
	s_delay_alu instid0(VALU_DEP_4) | instskip(NEXT) | instid1(VALU_DEP_4)
	v_perm_b32 v17, v17, v144, 0x4010c0c
	v_or_b32_e32 v23, v150, v23
	s_delay_alu instid0(VALU_DEP_4) | instskip(NEXT) | instid1(VALU_DEP_4)
	v_and_b32_e32 v16, 0x4040404, v16
	v_dot4_i32_iu8 v14, v15, v143, v18 neg_lo:[1,1,0]
	v_bfe_u32 v18, v11, 24, 2
	s_delay_alu instid0(VALU_DEP_4)
	v_perm_b32 v23, v149, v23, 0xc0c0401
	v_and_b32_e32 v11, 0x3030303, v11
	v_lshrrev_b32_e32 v21, 24, v16
	v_lshrrev_b32_e32 v22, 16, v16
	v_sub_nc_u16 v18, v18, v19
	v_or_b32_e32 v17, v17, v23
	v_lshrrev_b32_e32 v19, 16, v11
	v_lshrrev_b32_e32 v23, 24, v7
	s_delay_alu instid0(VALU_DEP_4) | instskip(NEXT) | instid1(VALU_DEP_4)
	v_lshlrev_b16 v18, 8, v18
	v_dot4_i32_iu8 v15, v17, v143, v20 neg_lo:[1,1,0]
	v_lshrrev_b32_e32 v20, 16, v3
	v_ashrrev_i32_e32 v17, s18, v155
	s_add_i32 s18, s18, 1
	s_cmp_lt_u32 s19, 30
	s_delay_alu instid0(VALU_DEP_2) | instskip(SKIP_4) | instid1(VALU_DEP_2)
	v_sub_nc_u16 v19, v19, v20
	v_lshrrev_b16 v20, 8, v11
	v_sub_nc_u16 v11, v11, v3
	v_lshrrev_b16 v3, 8, v3
	v_lshlrev_b32_e32 v17, 2, v17
	v_sub_nc_u16 v3, v20, v3
	v_bfe_u32 v20, v5, 24, 2
	v_and_b32_e32 v5, 0x3030303, v5
	s_delay_alu instid0(VALU_DEP_4) | instskip(NEXT) | instid1(VALU_DEP_4)
	v_and_b32_e32 v17, 0x4040404, v17
	v_lshlrev_b16 v3, 8, v3
	s_delay_alu instid0(VALU_DEP_4) | instskip(NEXT) | instid1(VALU_DEP_4)
	v_sub_nc_u16 v20, v20, v21
	v_lshrrev_b32_e32 v21, 16, v5
	s_delay_alu instid0(VALU_DEP_4) | instskip(SKIP_1) | instid1(VALU_DEP_4)
	v_lshrrev_b32_e32 v25, 24, v17
	v_lshrrev_b32_e32 v26, 16, v17
	v_lshlrev_b16 v20, 8, v20
	s_delay_alu instid0(VALU_DEP_4) | instskip(SKIP_3) | instid1(VALU_DEP_1)
	v_sub_nc_u16 v21, v21, v22
	v_lshrrev_b16 v22, 8, v5
	v_sub_nc_u16 v5, v5, v16
	v_lshrrev_b16 v16, 8, v16
	v_sub_nc_u16 v16, v22, v16
	v_bfe_u32 v22, v1, 24, 2
	v_and_b32_e32 v1, 0x3030303, v1
	s_delay_alu instid0(VALU_DEP_3) | instskip(NEXT) | instid1(VALU_DEP_3)
	v_lshlrev_b16 v16, 8, v16
	v_sub_nc_u16 v22, v22, v23
	s_delay_alu instid0(VALU_DEP_3) | instskip(NEXT) | instid1(VALU_DEP_2)
	v_lshrrev_b32_e32 v23, 16, v1
	v_lshlrev_b16 v22, 8, v22
	s_delay_alu instid0(VALU_DEP_2) | instskip(SKIP_3) | instid1(VALU_DEP_1)
	v_sub_nc_u16 v23, v23, v24
	v_lshrrev_b16 v24, 8, v1
	v_sub_nc_u16 v1, v1, v7
	v_lshrrev_b16 v7, 8, v7
	v_sub_nc_u16 v7, v24, v7
	v_bfe_u32 v24, v13, 24, 2
	v_and_b32_e32 v13, 0x3030303, v13
	s_delay_alu instid0(VALU_DEP_3) | instskip(NEXT) | instid1(VALU_DEP_3)
	v_lshlrev_b16 v7, 8, v7
	v_sub_nc_u16 v24, v24, v25
	s_delay_alu instid0(VALU_DEP_3) | instskip(NEXT) | instid1(VALU_DEP_2)
	v_lshrrev_b32_e32 v25, 16, v13
	v_lshlrev_b16 v24, 8, v24
	s_delay_alu instid0(VALU_DEP_2) | instskip(SKIP_3) | instid1(VALU_DEP_1)
	v_sub_nc_u16 v25, v25, v26
	v_lshrrev_b16 v26, 8, v13
	v_sub_nc_u16 v13, v13, v17
	v_lshrrev_b16 v17, 8, v17
	v_sub_nc_u16 v17, v26, v17
	v_and_b32_e32 v26, 0xff, v19
	s_delay_alu instid0(VALU_DEP_2) | instskip(NEXT) | instid1(VALU_DEP_2)
	v_lshlrev_b16 v17, 8, v17
	v_or_b32_e32 v18, v26, v18
	v_and_b32_e32 v26, 0xff, v11
	s_delay_alu instid0(VALU_DEP_2) | instskip(NEXT) | instid1(VALU_DEP_2)
	v_perm_b32 v11, v11, v18, 0x4010c0c
	v_or_b32_e32 v3, v26, v3
	v_and_b32_e32 v26, 0xff, v21
	s_delay_alu instid0(VALU_DEP_2) | instskip(NEXT) | instid1(VALU_DEP_2)
	v_perm_b32 v3, v19, v3, 0xc0c0401
	v_or_b32_e32 v20, v26, v20
	v_and_b32_e32 v26, 0xff, v5
	s_delay_alu instid0(VALU_DEP_3) | instskip(SKIP_1) | instid1(VALU_DEP_3)
	v_or_b32_e32 v3, v11, v3
	v_add_nc_u32_e32 v11, s25, v122
	v_or_b32_e32 v16, v26, v16
	v_and_b32_e32 v26, 0xff, v23
	v_perm_b32 v5, v5, v20, 0x4010c0c
	s_delay_alu instid0(VALU_DEP_3) | instskip(NEXT) | instid1(VALU_DEP_3)
	v_perm_b32 v16, v21, v16, 0xc0c0401
	v_or_b32_e32 v22, v26, v22
	v_and_b32_e32 v26, 0xff, v1
	s_delay_alu instid0(VALU_DEP_3) | instskip(NEXT) | instid1(VALU_DEP_3)
	v_or_b32_e32 v5, v5, v16
	v_perm_b32 v1, v1, v22, 0x4010c0c
	s_delay_alu instid0(VALU_DEP_3) | instskip(SKIP_1) | instid1(VALU_DEP_4)
	v_or_b32_e32 v7, v26, v7
	v_and_b32_e32 v26, 0xff, v25
	v_dot4_i32_iu8 v18, v5, v140, v4 neg_lo:[1,1,0]
	s_delay_alu instid0(VALU_DEP_3) | instskip(NEXT) | instid1(VALU_DEP_3)
	v_perm_b32 v7, v23, v7, 0xc0c0401
	v_or_b32_e32 v24, v26, v24
	v_and_b32_e32 v26, 0xff, v13
	s_delay_alu instid0(VALU_DEP_3)
	v_or_b32_e32 v1, v1, v7
	v_add_nc_u32_e32 v7, s25, v120
	ds_load_u16 v11, v11 offset:25330
	ds_load_u16 v7, v7 offset:27378
	v_or_b32_e32 v17, v26, v17
	v_perm_b32 v13, v13, v24, 0x4010c0c
	v_dot4_i32_iu8 v19, v1, v140, v0 neg_lo:[1,1,0]
	v_lshrrev_b16 v0, 8, v146
	v_lshrrev_b16 v1, 8, v148
	v_perm_b32 v17, v25, v17, 0xc0c0401
	ds_load_b32 v16, v139
	v_add_nc_u32_e32 v139, 4, v139
	v_bfe_i32 v20, v0, 0, 8
	v_bfe_i32 v21, v1, 0, 8
	v_or_b32_e32 v13, v13, v17
	v_dot4_i32_iu8 v17, v3, v140, v2 neg_lo:[1,1,0]
	s_mov_b32 s25, s19
	s_delay_alu instid0(VALU_DEP_2)
	v_dot4_i32_iu8 v13, v13, v140, v6 neg_lo:[1,1,0]
	s_waitcnt lgkmcnt(2)
	v_lshrrev_b16 v2, 8, v11
	s_waitcnt lgkmcnt(1)
	v_lshrrev_b16 v3, 8, v7
	v_bfe_i32 v4, v11, 0, 8
	v_bfe_i32 v5, v7, 0, 8
	;; [unrolled: 1-line block ×4, first 2 shown]
	s_delay_alu instid0(VALU_DEP_4) | instskip(SKIP_2) | instid1(VALU_DEP_4)
	v_mul_lo_u32 v0, v10, v4
	v_bfe_i32 v11, v3, 0, 8
	v_bfe_i32 v3, v148, 0, 8
	v_mul_lo_u32 v1, v12, v2
	v_mul_lo_u32 v2, v14, v5
	s_delay_alu instid0(VALU_DEP_3) | instskip(NEXT) | instid1(VALU_DEP_3)
	v_mul_lo_u32 v3, v15, v3
	v_mad_u64_u32 v[4:5], null, v17, v7, v[0:1]
	s_delay_alu instid0(VALU_DEP_3) | instskip(NEXT) | instid1(VALU_DEP_3)
	v_mad_u64_u32 v[5:6], null, v18, v20, v[1:2]
	v_mad_u64_u32 v[0:1], null, v19, v11, v[2:3]
	s_waitcnt lgkmcnt(0)
	v_mul_f32_e32 v6, v16, v145
	v_mul_f32_e32 v7, v16, v147
	v_mad_u64_u32 v[1:2], null, v13, v21, v[3:4]
	v_mul_f32_e32 v2, v16, v141
	v_mul_f32_e32 v3, v16, v142
	v_cvt_f32_i32_e32 v4, v4
	v_cvt_f32_i32_e32 v5, v5
	;; [unrolled: 1-line block ×4, first 2 shown]
	s_delay_alu instid0(VALU_DEP_4) | instskip(NEXT) | instid1(VALU_DEP_3)
	v_fmac_f32_e32 v33, v2, v4
	v_dual_fmac_f32 v134, v6, v5 :: v_dual_fmac_f32 v135, v3, v0
	s_delay_alu instid0(VALU_DEP_3)
	v_fmac_f32_e32 v136, v7, v1
	s_cbranch_scc1 .LBB209_36
; %bb.37:                               ;   in Loop: Header=BB209_5 Depth=1
	s_barrier
	buffer_gl0_inv
	s_branch .LBB209_4
.LBB209_38:
	v_cvt_f16_f32_e32 v5, v33
	v_cvt_f16_f32_e64 v4, v134
	v_cvt_f16_f32_e64 v0, v135
	;; [unrolled: 1-line block ×3, first 2 shown]
.LBB209_39:
	s_mul_i32 s0, s7, s4
	s_waitcnt vmcnt(0)
	v_cmp_gt_i32_e32 vcc_lo, s0, v30
	s_and_saveexec_b32 s0, vcc_lo
	s_cbranch_execz .LBB209_48
; %bb.40:
	v_mul_lo_u32 v1, v30, s6
	v_add_nc_u32_e32 v3, s20, v31
	s_mov_b32 s0, exec_lo
	s_delay_alu instid0(VALU_DEP_1)
	v_cmpx_gt_u32_e64 s6, v3
	s_cbranch_execz .LBB209_42
; %bb.41:
	s_delay_alu instid0(VALU_DEP_3) | instskip(NEXT) | instid1(VALU_DEP_1)
	v_dual_mov_b32 v7, 0 :: v_dual_add_nc_u32 v6, v1, v3
	v_lshlrev_b64 v[6:7], 1, v[6:7]
	s_delay_alu instid0(VALU_DEP_1) | instskip(NEXT) | instid1(VALU_DEP_2)
	v_add_co_u32 v6, vcc_lo, s8, v6
	v_add_co_ci_u32_e32 v7, vcc_lo, s9, v7, vcc_lo
	global_store_b16 v[6:7], v5, off
.LBB209_42:
	s_or_b32 exec_lo, exec_lo, s0
	v_add_nc_u32_e32 v5, 32, v3
	s_mov_b32 s0, exec_lo
	s_delay_alu instid0(VALU_DEP_1)
	v_cmpx_gt_u32_e64 s6, v5
	s_cbranch_execz .LBB209_44
; %bb.43:
	v_dual_mov_b32 v6, 0 :: v_dual_add_nc_u32 v5, v1, v5
	s_delay_alu instid0(VALU_DEP_1) | instskip(NEXT) | instid1(VALU_DEP_1)
	v_lshlrev_b64 v[5:6], 1, v[5:6]
	v_add_co_u32 v5, vcc_lo, s8, v5
	s_delay_alu instid0(VALU_DEP_2)
	v_add_co_ci_u32_e32 v6, vcc_lo, s9, v6, vcc_lo
	global_store_b16 v[5:6], v4, off
.LBB209_44:
	s_or_b32 exec_lo, exec_lo, s0
	v_add_nc_u32_e32 v4, 64, v3
	s_mov_b32 s0, exec_lo
	s_delay_alu instid0(VALU_DEP_1)
	v_cmpx_gt_u32_e64 s6, v4
	s_cbranch_execz .LBB209_46
; %bb.45:
	v_dual_mov_b32 v5, 0 :: v_dual_add_nc_u32 v4, v1, v4
	s_delay_alu instid0(VALU_DEP_1) | instskip(NEXT) | instid1(VALU_DEP_1)
	v_lshlrev_b64 v[4:5], 1, v[4:5]
	v_add_co_u32 v4, vcc_lo, s8, v4
	s_delay_alu instid0(VALU_DEP_2)
	v_add_co_ci_u32_e32 v5, vcc_lo, s9, v5, vcc_lo
	global_store_b16 v[4:5], v0, off
.LBB209_46:
	s_or_b32 exec_lo, exec_lo, s0
	v_add_nc_u32_e32 v0, 0x60, v3
	s_delay_alu instid0(VALU_DEP_1)
	v_cmp_gt_u32_e32 vcc_lo, s6, v0
	s_and_b32 exec_lo, exec_lo, vcc_lo
	s_cbranch_execz .LBB209_48
; %bb.47:
	v_dual_mov_b32 v1, 0 :: v_dual_add_nc_u32 v0, v1, v0
	s_delay_alu instid0(VALU_DEP_1) | instskip(NEXT) | instid1(VALU_DEP_1)
	v_lshlrev_b64 v[0:1], 1, v[0:1]
	v_add_co_u32 v0, vcc_lo, s8, v0
	s_delay_alu instid0(VALU_DEP_2)
	v_add_co_ci_u32_e32 v1, vcc_lo, s9, v1, vcc_lo
	global_store_b16 v[0:1], v2, off
.LBB209_48:
	s_nop 0
	s_sendmsg sendmsg(MSG_DEALLOC_VGPRS)
	s_endpgm
	.section	.rodata,"a",@progbits
	.p2align	6, 0x0
	.amdhsa_kernel _ZL8moe_q3_KIN3c104HalfELb0EEvPKvS3_PT_PKiS7_S7_iiiiiii
		.amdhsa_group_segment_fixed_size 31776
		.amdhsa_private_segment_fixed_size 0
		.amdhsa_kernarg_size 76
		.amdhsa_user_sgpr_count 14
		.amdhsa_user_sgpr_dispatch_ptr 0
		.amdhsa_user_sgpr_queue_ptr 0
		.amdhsa_user_sgpr_kernarg_segment_ptr 1
		.amdhsa_user_sgpr_dispatch_id 0
		.amdhsa_user_sgpr_private_segment_size 0
		.amdhsa_wavefront_size32 1
		.amdhsa_uses_dynamic_stack 0
		.amdhsa_enable_private_segment 0
		.amdhsa_system_sgpr_workgroup_id_x 1
		.amdhsa_system_sgpr_workgroup_id_y 1
		.amdhsa_system_sgpr_workgroup_id_z 0
		.amdhsa_system_sgpr_workgroup_info 0
		.amdhsa_system_vgpr_workitem_id 1
		.amdhsa_next_free_vgpr 195
		.amdhsa_next_free_sgpr 31
		.amdhsa_reserve_vcc 1
		.amdhsa_float_round_mode_32 0
		.amdhsa_float_round_mode_16_64 0
		.amdhsa_float_denorm_mode_32 3
		.amdhsa_float_denorm_mode_16_64 3
		.amdhsa_dx10_clamp 1
		.amdhsa_ieee_mode 1
		.amdhsa_fp16_overflow 0
		.amdhsa_workgroup_processor_mode 1
		.amdhsa_memory_ordered 1
		.amdhsa_forward_progress 0
		.amdhsa_shared_vgpr_count 0
		.amdhsa_exception_fp_ieee_invalid_op 0
		.amdhsa_exception_fp_denorm_src 0
		.amdhsa_exception_fp_ieee_div_zero 0
		.amdhsa_exception_fp_ieee_overflow 0
		.amdhsa_exception_fp_ieee_underflow 0
		.amdhsa_exception_fp_ieee_inexact 0
		.amdhsa_exception_int_div_zero 0
	.end_amdhsa_kernel
	.section	.text._ZL8moe_q3_KIN3c104HalfELb0EEvPKvS3_PT_PKiS7_S7_iiiiiii,"axG",@progbits,_ZL8moe_q3_KIN3c104HalfELb0EEvPKvS3_PT_PKiS7_S7_iiiiiii,comdat
.Lfunc_end209:
	.size	_ZL8moe_q3_KIN3c104HalfELb0EEvPKvS3_PT_PKiS7_S7_iiiiiii, .Lfunc_end209-_ZL8moe_q3_KIN3c104HalfELb0EEvPKvS3_PT_PKiS7_S7_iiiiiii
                                        ; -- End function
	.section	.AMDGPU.csdata,"",@progbits
; Kernel info:
; codeLenInByte = 33576
; NumSgprs: 33
; NumVgprs: 195
; ScratchSize: 0
; MemoryBound: 0
; FloatMode: 240
; IeeeMode: 1
; LDSByteSize: 31776 bytes/workgroup (compile time only)
; SGPRBlocks: 4
; VGPRBlocks: 24
; NumSGPRsForWavesPerEU: 33
; NumVGPRsForWavesPerEU: 195
; Occupancy: 7
; WaveLimiterHint : 1
; COMPUTE_PGM_RSRC2:SCRATCH_EN: 0
; COMPUTE_PGM_RSRC2:USER_SGPR: 14
; COMPUTE_PGM_RSRC2:TRAP_HANDLER: 0
; COMPUTE_PGM_RSRC2:TGID_X_EN: 1
; COMPUTE_PGM_RSRC2:TGID_Y_EN: 1
; COMPUTE_PGM_RSRC2:TGID_Z_EN: 0
; COMPUTE_PGM_RSRC2:TIDIG_COMP_CNT: 1
	.section	.text._ZL8moe_q3_KIN3c104HalfELb1EEvPKvS3_PT_PKiS7_S7_iiiiiii,"axG",@progbits,_ZL8moe_q3_KIN3c104HalfELb1EEvPKvS3_PT_PKiS7_S7_iiiiiii,comdat
	.globl	_ZL8moe_q3_KIN3c104HalfELb1EEvPKvS3_PT_PKiS7_S7_iiiiiii ; -- Begin function _ZL8moe_q3_KIN3c104HalfELb1EEvPKvS3_PT_PKiS7_S7_iiiiiii
	.p2align	8
	.type	_ZL8moe_q3_KIN3c104HalfELb1EEvPKvS3_PT_PKiS7_S7_iiiiiii,@function
_ZL8moe_q3_KIN3c104HalfELb1EEvPKvS3_PT_PKiS7_S7_iiiiiii: ; @_ZL8moe_q3_KIN3c104HalfELb1EEvPKvS3_PT_PKiS7_S7_iiiiiii
; %bb.0:
	s_load_b128 s[4:7], s[0:1], 0x18
	s_mov_b32 s2, s15
	s_mov_b32 s3, 0
	s_delay_alu instid0(SALU_CYCLE_1)
	s_lshl_b64 s[8:9], s[2:3], 2
	s_waitcnt lgkmcnt(0)
	s_add_u32 s6, s6, s8
	s_addc_u32 s7, s7, s9
	s_load_b32 s15, s[6:7], 0x0
	s_waitcnt lgkmcnt(0)
	s_cmpk_gt_u32 s15, 0xff
	s_cbranch_scc1 .LBB210_48
; %bb.1:
	s_load_b64 s[6:7], s[0:1], 0x28
	s_lshl_b32 s2, s2, 3
	s_waitcnt lgkmcnt(0)
	s_load_b32 s3, s[6:7], 0x0
	s_waitcnt lgkmcnt(0)
	s_cmp_gt_u32 s2, s3
	s_cbranch_scc1 .LBB210_48
; %bb.2:
	v_bfe_u32 v3, v0, 10, 10
	v_mov_b32_e32 v2, 0
	s_mov_b32 s22, 0
	s_delay_alu instid0(VALU_DEP_2) | instskip(NEXT) | instid1(VALU_DEP_2)
	v_add_nc_u32_e32 v1, s2, v3
	v_dual_mov_b32 v0, v2 :: v_dual_and_b32 v47, 0x3ff, v0
	s_delay_alu instid0(VALU_DEP_2) | instskip(NEXT) | instid1(VALU_DEP_1)
	v_lshlrev_b64 v[4:5], 2, v[1:2]
	v_add_co_u32 v4, vcc_lo, s4, v4
	s_delay_alu instid0(VALU_DEP_2)
	v_add_co_ci_u32_e32 v5, vcc_lo, s5, v5, vcc_lo
	global_load_b32 v46, v[4:5], off
	s_clause 0x1
	s_load_b256 s[4:11], s[0:1], 0x30
	s_load_b64 s[12:13], s[0:1], 0x10
	v_mov_b32_e32 v4, v2
	v_mov_b32_e32 v5, v2
	s_waitcnt lgkmcnt(0)
	s_lshl_b32 s11, s14, 7
	s_cmpk_lt_i32 s5, 0x100
	s_cbranch_scc1 .LBB210_39
; %bb.3:
	s_load_b128 s[0:3], s[0:1], 0x0
	s_ashr_i32 s14, s5, 31
	s_mul_i32 s15, s15, s4
	s_lshr_b32 s4, s14, 24
	s_ashr_i32 s16, s8, 31
	s_add_i32 s4, s5, s4
	s_lshr_b32 s14, s16, 27
	s_ashr_i32 s4, s4, 8
	s_add_i32 s8, s8, s14
	s_mul_i32 s14, s4, s11
	s_ashr_i32 s16, s15, 31
	s_ashr_i32 s8, s8, 5
	s_mul_hi_i32 s17, s14, 0x6e
	s_mulk_i32 s14, 0x6e
	v_dual_mov_b32 v49, 0 :: v_dual_add_nc_u32 v2, 8, v3
	v_dual_mov_b32 v135, 0 :: v_dual_lshlrev_b32 v0, 2, v47
	v_add_nc_u32_e32 v5, 16, v3
	v_and_b32_e32 v40, 3, v47
	s_waitcnt lgkmcnt(0)
	s_add_u32 s0, s0, s15
	s_addc_u32 s1, s1, s16
	s_add_u32 s23, s0, s14
	s_addc_u32 s24, s1, s17
	s_not_b32 s0, s11
	v_and_b32_e32 v1, 15, v47
	s_add_i32 s0, s0, s6
	v_lshlrev_b32_e32 v6, 4, v3
	v_min_i32_e32 v4, s0, v3
	v_min_i32_e32 v2, s0, v2
	v_lshrrev_b32_e32 v7, 1, v47
	v_lshrrev_b32_e32 v48, 4, v47
	v_lshlrev_b32_e32 v50, 2, v1
	v_mul_lo_u32 v51, v4, s4
	v_mad_u64_u32 v[8:9], null, 0x84, v4, v[0:1]
	v_min_i32_e32 v4, s0, v5
	v_add_nc_u32_e32 v5, 24, v3
	v_mul_lo_u32 v52, v2, s4
	v_mad_u64_u32 v[9:10], null, 0x84, v2, v[0:1]
	v_add_nc_u32_e32 v2, 32, v3
	s_delay_alu instid0(VALU_DEP_4)
	v_min_i32_e32 v5, s0, v5
	v_mul_lo_u32 v53, v4, s4
	v_mad_u64_u32 v[10:11], null, 0x84, v4, v[0:1]
	v_add_nc_u32_e32 v4, 40, v3
	v_min_i32_e32 v2, s0, v2
	v_mul_lo_u32 v54, v5, s4
	v_mad_u64_u32 v[11:12], null, 0x84, v5, v[0:1]
	v_dual_mov_b32 v136, 0 :: v_dual_add_nc_u32 v5, 48, v3
	v_min_i32_e32 v4, s0, v4
	v_mul_lo_u32 v55, v2, s4
	v_mad_u64_u32 v[12:13], null, 0x84, v2, v[0:1]
	v_add_nc_u32_e32 v2, 56, v3
	v_min_i32_e32 v5, s0, v5
	v_mad_u64_u32 v[13:14], null, 0x84, v4, v[0:1]
	v_mul_lo_u32 v56, v4, s4
	s_delay_alu instid0(VALU_DEP_4)
	v_min_i32_e32 v2, s0, v2
	v_add_nc_u32_e32 v4, 64, v3
	v_mul_lo_u32 v57, v5, s4
	v_mad_u64_u32 v[14:15], null, 0x84, v5, v[0:1]
	v_add_nc_u32_e32 v5, 0x48, v3
	v_mul_lo_u32 v58, v2, s4
	v_min_i32_e32 v4, s0, v4
	v_mad_u64_u32 v[15:16], null, 0x84, v2, v[0:1]
	s_delay_alu instid0(VALU_DEP_4) | instskip(SKIP_4) | instid1(VALU_DEP_4)
	v_min_i32_e32 v2, s0, v5
	v_add_nc_u32_e32 v5, 0x50, v3
	v_add_nc_u32_e32 v18, v7, v6
	v_mul_lo_u32 v59, v4, s4
	v_mad_u64_u32 v[16:17], null, 0x84, v4, v[0:1]
	v_min_i32_e32 v4, s0, v5
	v_add_nc_u32_e32 v5, 0x58, v3
	v_and_b32_e32 v19, 0x7f, v18
	v_mul_lo_u32 v60, v2, s4
	v_mad_u64_u32 v[17:18], null, 0x84, v2, v[0:1]
	s_delay_alu instid0(VALU_DEP_4) | instskip(SKIP_4) | instid1(VALU_DEP_4)
	v_min_i32_e32 v2, s0, v5
	v_add_nc_u32_e32 v5, 0x60, v3
	v_min_i32_e32 v25, s0, v19
	v_mul_lo_u32 v61, v4, s4
	v_mad_u64_u32 v[18:19], null, 0x84, v4, v[0:1]
	v_min_i32_e32 v4, s0, v5
	v_add_nc_u32_e32 v5, 0x68, v3
	v_ashrrev_i32_e32 v21, 31, v25
	v_mul_lo_u32 v62, v2, s4
	v_mad_u64_u32 v[19:20], null, 0x84, v2, v[0:1]
	s_delay_alu instid0(VALU_DEP_4) | instskip(SKIP_4) | instid1(VALU_DEP_4)
	v_min_i32_e32 v2, s0, v5
	v_add_nc_u32_e32 v5, 0x70, v3
	v_lshrrev_b32_e32 v22, 28, v21
	v_mul_lo_u32 v63, v4, s4
	v_mad_u64_u32 v[20:21], null, 0x84, v4, v[0:1]
	v_min_i32_e32 v4, s0, v5
	v_add_nc_u32_e32 v5, 0x78, v3
	v_lshl_add_u32 v26, v3, 1, v48
	v_add_nc_u32_e32 v23, v25, v22
	v_mul_lo_u32 v64, v2, s4
	v_mad_u64_u32 v[21:22], null, 0x84, v2, v[0:1]
	v_min_i32_e32 v2, s0, v5
	v_min_i32_e32 v27, s0, v26
	v_ashrrev_i32_e32 v5, 4, v23
	v_mad_u64_u32 v[22:23], null, 0x84, v4, v[0:1]
	s_delay_alu instid0(VALU_DEP_4)
	v_mul_lo_u32 v67, v2, s4
	v_mad_u64_u32 v[23:24], null, 0x84, v2, v[0:1]
	v_lshrrev_b32_e32 v2, 31, v27
	v_add_nc_u32_e32 v28, 16, v26
	v_add_nc_u32_e32 v29, 32, v26
	v_cmp_lt_u32_e32 vcc_lo, 7, v1
	v_add_nc_u32_e32 v33, 0x50, v26
	v_add_lshl_u32 v2, v27, v2, 1
	v_min_i32_e32 v24, s0, v28
	v_add_nc_u32_e32 v35, 0x60, v26
	v_lshlrev_b32_e32 v39, 2, v3
	v_min_i32_e32 v33, s0, v33
	v_and_b32_e32 v1, -4, v2
	v_min_i32_e32 v2, s0, v29
	v_add_nc_u32_e32 v29, 48, v26
	v_lshrrev_b32_e32 v28, 31, v24
	v_mul_lo_u32 v72, v24, s4
	v_lshlrev_b32_e32 v32, 6, v24
	v_lshrrev_b32_e32 v36, 31, v33
	v_min_i32_e32 v29, s0, v29
	v_add_lshl_u32 v28, v24, v28, 1
	v_lshrrev_b32_e32 v77, 3, v47
	v_and_b32_e32 v66, 1, v47
	v_cndmask_b32_e64 v69, 0, 1, vcc_lo
	v_lshrrev_b32_e32 v24, 31, v29
	v_cmp_gt_u32_e32 vcc_lo, 2, v40
	v_add_nc_u32_e32 v41, v77, v39
	v_mul_lo_u32 v65, v4, s4
	v_lshlrev_b32_e32 v4, 2, v5
	v_add_lshl_u32 v24, v29, v24, 1
	v_lshlrev_b32_e32 v5, 2, v66
	v_min_i32_e32 v43, s0, v41
	v_add_nc_u32_e32 v45, 32, v41
	v_mul_lo_u32 v68, v25, s4
	v_and_b32_e32 v24, -4, v24
	v_add3_u32 v4, v4, v5, 0x7380
	v_ashrrev_i32_e32 v44, 31, v43
	v_lshlrev_b32_e32 v5, 3, v25
	v_and_b32_e32 v25, 7, v47
	v_add3_u32 v37, v24, v50, 0x4200
	v_min_i32_e32 v24, s0, v35
	v_add_lshl_u32 v35, v33, v36, 1
	v_lshrrev_b32_e32 v44, 30, v44
	v_min_i32_e32 v45, s0, v45
	s_abs_i32 s1, s10
	v_lshrrev_b32_e32 v36, 31, v24
	v_mul_lo_u32 v78, v24, s4
	v_lshlrev_b32_e32 v42, 6, v24
	v_lshlrev_b32_e32 v83, 1, v40
	;; [unrolled: 1-line block ×3, first 2 shown]
	v_add_lshl_u32 v36, v24, v36, 1
	v_add_nc_u16 v24, v40, -2
	v_add_nc_u32_e32 v31, 64, v26
	v_add_nc_u32_e32 v26, 0x70, v26
	v_and_b32_e32 v0, 28, v0
	s_delay_alu instid0(VALU_DEP_4)
	v_dual_cndmask_b32 v24, v24, v40 :: v_dual_lshlrev_b32 v3, 7, v3
	v_cmp_lt_u32_e32 vcc_lo, 1, v40
	v_cvt_f32_u32_e32 v40, s1
	v_min_i32_e32 v31, s0, v31
	v_min_i32_e32 v26, s0, v26
	v_and_b32_e32 v24, 0xff, v24
	v_cndmask_b32_e64 v81, 0, 1, vcc_lo
	v_cmp_lt_u32_e32 vcc_lo, 3, v25
	v_ashrrev_i32_e32 v25, 31, v45
	v_rcp_iflag_f32_e32 v40, v40
	v_lshlrev_b32_e32 v82, 2, v24
	v_add_nc_u32_e32 v24, v43, v44
	v_add_nc_u32_e32 v44, 64, v41
	v_lshrrev_b32_e32 v25, 30, v25
	v_add_nc_u32_e32 v41, 0x60, v41
	v_or_b32_e32 v39, v39, v47
	v_and_b32_e32 v24, -4, v24
	v_min_i32_e32 v44, s0, v44
	v_add_nc_u32_e32 v25, v45, v25
	v_min_i32_e32 v41, s0, v41
	v_mul_f32_e32 v40, 0x4f7ffffe, v40
	v_add3_u32 v131, v24, v70, 0x6300
	v_ashrrev_i32_e32 v85, 31, v44
	v_and_b32_e32 v25, -4, v25
	v_ashrrev_i32_e32 v86, 31, v41
	v_cvt_u32_f32_e32 v40, v40
	s_sub_i32 s0, 0, s1
	v_lshrrev_b32_e32 v24, 30, v85
	v_add3_u32 v132, v25, v70, 0x6300
	v_lshrrev_b32_e32 v25, 30, v86
	v_mul_lo_u32 v88, s0, v40
	v_lshlrev_b32_e32 v96, 2, v48
	v_add_nc_u32_e32 v24, v44, v24
	v_lshlrev_b32_e32 v98, 3, v47
	v_add_nc_u32_e32 v25, v41, v25
	v_lshl_add_u32 v91, v47, 4, v7
	v_lshrrev_b32_e32 v30, 31, v2
	v_and_b32_e32 v24, -4, v24
	v_mul_hi_u32 v88, v40, v88
	v_lshrrev_b32_e32 v34, 31, v31
	v_lshrrev_b32_e32 v38, 31, v26
	v_add_nc_u32_e32 v108, 0x60, v47
	v_add3_u32 v133, v24, v70, 0x6300
	v_and_b32_e32 v24, -4, v25
	v_and_b32_e32 v25, 31, v47
	v_add_lshl_u32 v30, v2, v30, 1
	v_add_nc_u32_e32 v40, v40, v88
	v_add_lshl_u32 v34, v31, v34, 1
	v_add3_u32 v134, v24, v70, 0x6300
	s_waitcnt vmcnt(0)
	v_sub_nc_u32_e32 v24, 0, v46
	v_lshl_or_b32 v89, v25, 2, v3
	v_add_lshl_u32 v38, v26, v38, 1
	v_and_b32_e32 v28, -4, v28
	v_and_b32_e32 v30, -4, v30
	v_max_i32_e32 v93, v46, v24
	v_add_co_u32 v24, s0, s2, v0
	v_add_nc_u32_e32 v88, 0x77a0, v89
	v_lshl_add_u32 v89, v39, 2, 0x7ba0
	s_delay_alu instid0(VALU_DEP_4) | instskip(SKIP_4) | instid1(VALU_DEP_4)
	v_mul_hi_u32 v0, v93, v40
	v_add_nc_u32_e32 v39, 32, v47
	v_add_co_ci_u32_e64 v25, null, s3, 0, s0
	v_add_nc_u32_e32 v40, 64, v47
	v_and_b32_e32 v34, -4, v34
	v_lshrrev_b32_e32 v95, 1, v39
	v_lshlrev_b32_e32 v99, 3, v39
	v_mul_lo_u32 v94, v0, s1
	v_lshrrev_b32_e32 v100, 2, v40
	v_and_b32_e32 v35, -4, v35
	v_and_b32_e32 v36, -4, v36
	;; [unrolled: 1-line block ×3, first 2 shown]
	v_lshrrev_b32_e32 v101, 1, v108
	v_mul_lo_u32 v71, v27, s4
	v_add3_u32 v1, v1, v50, 0x4200
	v_sub_nc_u32_e32 v7, v93, v94
	v_add3_u32 v93, v96, v98, 0x7380
	v_add_nc_u32_e32 v96, 1, v0
	v_lshl_add_u32 v94, v39, 4, v95
	v_lshrrev_b32_e32 v95, 2, v39
	v_subrev_nc_u32_e32 v98, s1, v7
	v_cmp_le_u32_e64 s0, s1, v7
	v_lshlrev_b32_e32 v27, 6, v27
	v_add3_u32 v28, v28, v50, 0x4200
	v_mul_lo_u32 v73, v2, s4
	v_add3_u32 v30, v30, v50, 0x4200
	v_cndmask_b32_e64 v0, v0, v96, s0
	v_cndmask_b32_e64 v7, v7, v98, s0
	v_and_b32_e32 v96, 0x7c, v95
	v_xor_b32_e32 v95, s10, v46
	v_lshlrev_b32_e32 v2, 6, v2
	v_add_nc_u32_e32 v98, 1, v0
	v_cmp_le_u32_e64 s0, s1, v7
	v_add3_u32 v96, v99, v96, 0x7380
	v_ashrrev_i32_e32 v102, 31, v95
	v_and_b32_e32 v7, 0x7c, v100
	v_lshlrev_b32_e32 v99, 3, v40
	v_cndmask_b32_e64 v0, v0, v98, s0
	v_lshrrev_b32_e32 v100, 2, v108
	v_mul_lo_u32 v74, v29, s4
	v_lshlrev_b32_e32 v29, 6, v29
	v_add3_u32 v99, v99, v7, 0x7380
	v_xor_b32_e32 v0, v0, v102
	v_and_b32_e32 v7, 0x7c, v100
	v_mul_lo_u32 v75, v31, s4
	v_add3_u32 v34, v34, v50, 0x4200
	v_lshlrev_b32_e32 v31, 6, v31
	v_sub_nc_u32_e32 v0, v0, v102
	v_mul_lo_u32 v76, v33, s4
	v_add3_u32 v35, v35, v50, 0x4200
	v_lshlrev_b32_e32 v33, 6, v33
	v_add3_u32 v36, v36, v50, 0x4200
	v_mul_lo_u32 v100, v0, s8
	v_mul_lo_u32 v79, v26, s4
	v_add3_u32 v38, v38, v50, 0x4200
	v_lshlrev_b32_e32 v26, 6, v26
	v_mul_lo_u32 v84, v43, s4
	v_lshlrev_b32_e32 v43, 5, v43
	v_mul_lo_u32 v85, v45, s4
	;; [unrolled: 2-line block ×4, first 2 shown]
	v_lshlrev_b32_e32 v41, 5, v41
	v_lshlrev_b32_e32 v90, 5, v47
	v_lshrrev_b32_e32 v97, 1, v40
	v_lshlrev_b32_e32 v103, 3, v108
	v_lshl_add_u32 v101, v108, 4, v101
	v_lshrrev_b32_e32 v106, 3, v108
	v_and_b32_e32 v108, 0x1fc, v108
	v_and_b32_e32 v109, 0x1fc, v40
	;; [unrolled: 1-line block ×4, first 2 shown]
	s_movk_i32 s0, 0x2100
	s_movk_i32 s6, 0x1080
	v_mad_u32_u24 v98, 0x84, v47, s0
	s_movk_i32 s0, 0x3180
	s_add_u32 s14, s2, 0x90
	s_addc_u32 s15, s3, 0
	v_cndmask_b32_e64 v80, 0, 1, vcc_lo
	v_lshlrev_b32_e32 v81, 2, v81
	v_cmp_gt_u32_e32 vcc_lo, 4, v47
	v_mul_u32_u24_e32 v92, 0x84, v47
	v_mad_u32_u24 v95, 0x84, v47, s6
	v_lshl_add_u32 v97, v40, 4, v97
	v_mad_u32_u24 v102, 0x84, v47, s0
	v_add3_u32 v103, v103, v7, 0x7380
	v_lshrrev_b32_e32 v104, 3, v39
	v_lshrrev_b32_e32 v105, 3, v40
	v_cmp_gt_i32_e64 s0, s7, v0
	v_ashrrev_i32_e32 v107, 31, v100
	s_add_u32 s16, s2, 0x120
	v_add_nc_u32_e32 v112, 0x77a0, v3
	v_add_nc_u32_e32 v113, 0x7ba0, v6
	;; [unrolled: 1-line block ×22, first 2 shown]
	v_dual_mov_b32 v134, 0 :: v_dual_add_nc_u32 v137, v134, v41
	s_addc_u32 s17, s3, 0
	s_add_u32 s18, s2, 0x1b0
	s_addc_u32 s19, s3, 0
	s_branch .LBB210_5
.LBB210_4:                              ;   in Loop: Header=BB210_5 Depth=1
	s_add_i32 s22, s22, 2
	s_delay_alu instid0(SALU_CYCLE_1)
	s_cmp_ge_i32 s22, s4
	s_cbranch_scc1 .LBB210_38
.LBB210_5:                              ; =>This Loop Header: Depth=1
                                        ;     Child Loop BB210_12 Depth 2
                                        ;     Child Loop BB210_20 Depth 2
	;; [unrolled: 1-line block ×4, first 2 shown]
	s_mul_i32 s1, s22, 0x6e
	s_mul_hi_u32 s6, s22, 0x6e
	s_add_u32 s20, s23, s1
	s_addc_u32 s21, s24, s6
	s_lshl_b32 s6, s22, 8
	v_mad_u64_u32 v[0:1], null, 0x6e, v48, s[20:21]
	v_mad_u64_u32 v[44:45], null, 0x6e, v80, s[20:21]
	v_mad_i64_i32 v[36:37], null, 0x6e, v68, s[20:21]
	s_cmp_lt_i32 s6, s5
	s_delay_alu instid0(VALU_DEP_3) | instskip(NEXT) | instid1(VALU_DEP_1)
	v_add_co_u32 v0, s1, v0, v50
	v_add_co_ci_u32_e64 v1, s1, 0, v1, s1
	s_delay_alu instid0(VALU_DEP_2) | instskip(NEXT) | instid1(VALU_DEP_1)
	v_add_co_u32 v0, s1, v0, 32
	v_add_co_ci_u32_e64 v1, s1, 0, v1, s1
	s_delay_alu instid0(VALU_DEP_1)
	v_mad_i64_i32 v[2:3], null, 0x6e, v51, v[0:1]
	v_mad_i64_i32 v[4:5], null, 0x6e, v52, v[0:1]
	;; [unrolled: 1-line block ×8, first 2 shown]
	s_clause 0x7
	global_load_b32 v148, v[2:3], off
	global_load_b32 v149, v[4:5], off
	;; [unrolled: 1-line block ×8, first 2 shown]
	v_mad_u64_u32 v[30:31], null, 0x6e, v69, s[20:21]
	v_mad_i64_i32 v[2:3], null, 0x6e, v59, v[0:1]
	v_mad_i64_i32 v[4:5], null, 0x6e, v60, v[0:1]
	;; [unrolled: 1-line block ×3, first 2 shown]
	s_delay_alu instid0(VALU_DEP_4) | instskip(NEXT) | instid1(VALU_DEP_1)
	v_add_co_u32 v30, s1, v30, v70
	v_add_co_ci_u32_e64 v31, s1, 0, v31, s1
	v_add_co_u32 v44, s1, 0x60, v44
	v_mad_i64_i32 v[26:27], null, 0x6e, v62, v[0:1]
	v_mad_i64_i32 v[28:29], null, 0x6e, v63, v[0:1]
	;; [unrolled: 1-line block ×5, first 2 shown]
	v_mad_u64_u32 v[0:1], null, 0x6e, v66, v[36:37]
	v_add_co_ci_u32_e64 v45, s1, 0, v45, s1
	v_mad_i64_i32 v[36:37], null, 0x6e, v71, v[30:31]
	v_mad_i64_i32 v[40:41], null, 0x6e, v72, v[30:31]
	;; [unrolled: 1-line block ×9, first 2 shown]
	s_clause 0x8
	global_load_u16 v156, v[0:1], off offset:108
	global_load_b32 v157, v[36:37], off
	global_load_b32 v158, v[40:41], off
	;; [unrolled: 1-line block ×8, first 2 shown]
	v_mad_i64_i32 v[36:37], null, 0x6e, v85, v[44:45]
	v_mad_i64_i32 v[40:41], null, 0x6e, v86, v[44:45]
	;; [unrolled: 1-line block ×3, first 2 shown]
	v_add_co_u32 v0, s1, v30, v82
	s_delay_alu instid0(VALU_DEP_1)
	v_add_co_ci_u32_e64 v1, s1, 0, v31, s1
	s_clause 0xc
	global_load_b32 v44, v[2:3], off
	global_load_b32 v45, v[4:5], off
	;; [unrolled: 1-line block ×8, first 2 shown]
	global_load_b32 v32, v[42:43], off offset:8
	global_load_b32 v33, v[40:41], off offset:8
	;; [unrolled: 1-line block ×3, first 2 shown]
	global_load_b32 v35, v[0:1], off
	global_load_b32 v30, v[30:31], off offset:8
	v_add_co_u32 v0, s1, v36, v82
	s_delay_alu instid0(VALU_DEP_1) | instskip(SKIP_1) | instid1(VALU_DEP_1)
	v_add_co_ci_u32_e64 v1, s1, 0, v37, s1
	v_add_co_u32 v2, s1, v40, v82
	v_add_co_ci_u32_e64 v3, s1, 0, v41, s1
	v_add_co_u32 v4, s1, v42, v82
	s_delay_alu instid0(VALU_DEP_1)
	v_add_co_ci_u32_e64 v5, s1, 0, v43, s1
	s_clause 0x2
	global_load_b32 v0, v[0:1], off
	global_load_b32 v1, v[2:3], off
	;; [unrolled: 1-line block ×3, first 2 shown]
	s_waitcnt vmcnt(24)
	v_cvt_f32_f16_e64 v3, v156
	s_waitcnt vmcnt(23)
	v_not_b32_e32 v4, v157
	s_waitcnt vmcnt(22)
	v_not_b32_e32 v5, v158
	;; [unrolled: 2-line block ×5, first 2 shown]
	ds_store_b32 v8, v148
	ds_store_b32 v9, v149
	;; [unrolled: 1-line block ×8, first 2 shown]
	s_waitcnt vmcnt(15)
	ds_store_b32 v16, v44
	s_waitcnt vmcnt(14)
	ds_store_b32 v17, v45
	;; [unrolled: 2-line block ×8, first 2 shown]
	ds_store_b32 v122, v3
	ds_store_b32 v123, v4
	;; [unrolled: 1-line block ×6, first 2 shown]
	s_waitcnt vmcnt(7)
	v_ashrrev_i32_e32 v7, v83, v32
	s_waitcnt vmcnt(6)
	v_ashrrev_i32_e32 v6, v83, v33
	s_waitcnt vmcnt(5)
	v_ashrrev_i32_e32 v5, v83, v34
	s_waitcnt vmcnt(4)
	v_ashrrev_i32_e32 v3, v81, v35
	s_waitcnt vmcnt(3)
	v_ashrrev_i32_e32 v4, v83, v30
	v_lshlrev_b32_e32 v7, 4, v7
	v_lshlrev_b32_e32 v6, 4, v6
	;; [unrolled: 1-line block ×3, first 2 shown]
	v_and_b32_e32 v3, 0xf0f0f0f, v3
	v_lshlrev_b32_e32 v4, 4, v4
	v_not_b32_e32 v38, v140
	v_not_b32_e32 v39, v141
	;; [unrolled: 1-line block ×3, first 2 shown]
	s_delay_alu instid0(VALU_DEP_4)
	v_and_or_b32 v3, 0x30303030, v4, v3
	ds_store_b32 v128, v38
	s_waitcnt vmcnt(2)
	v_ashrrev_i32_e32 v0, v81, v0
	s_waitcnt vmcnt(1)
	v_ashrrev_i32_e32 v1, v81, v1
	;; [unrolled: 2-line block ×3, first 2 shown]
	v_lshrrev_b32_e32 v4, 16, v3
	ds_store_b32 v129, v39
	v_and_b32_e32 v0, 0xf0f0f0f, v0
	v_and_b32_e32 v1, 0xf0f0f0f, v1
	;; [unrolled: 1-line block ×4, first 2 shown]
	v_lshlrev_b16 v4, 8, v4
	v_and_or_b32 v0, 0x30303030, v5, v0
	v_and_or_b32 v1, 0x30303030, v6, v1
	;; [unrolled: 1-line block ×3, first 2 shown]
	v_and_b32_e32 v5, 0x3f00, v3
	v_lshlrev_b16 v3, 8, v3
	v_lshrrev_b32_e32 v6, 16, v0
	v_lshrrev_b32_e32 v26, 16, v1
	v_and_b32_e32 v7, 0x3f00, v0
	v_lshlrev_b16 v0, 8, v0
	v_lshrrev_b32_e32 v28, 16, v2
	v_add_nc_u16 v3, v3, 0xe000
	v_and_b32_e32 v31, 0x3f00, v6
	v_lshlrev_b16 v6, 8, v6
	v_and_b32_e32 v27, 0x3f00, v1
	v_lshlrev_b16 v1, 8, v1
	v_and_b32_e32 v32, 0x3f00, v26
	v_lshlrev_b16 v26, 8, v26
	v_and_b32_e32 v29, 0x3f00, v2
	v_lshlrev_b16 v2, 8, v2
	v_add_nc_u16 v0, v0, 0xe000
	v_and_b32_e32 v33, 0x3f00, v28
	v_lshlrev_b16 v28, 8, v28
	v_add_nc_u16 v4, v4, 0xe000
	v_lshrrev_b16 v3, 8, v3
	v_add_nc_u16 v6, v6, 0xe000
	v_add_nc_u16 v1, v1, 0xe000
	;; [unrolled: 1-line block ×4, first 2 shown]
	v_lshrrev_b16 v0, 8, v0
	v_add_nc_u16 v28, v28, 0xe000
	v_lshrrev_b16 v4, 8, v4
	v_or_b32_e32 v3, v5, v3
	v_lshrrev_b16 v5, 8, v6
	v_lshrrev_b16 v1, 8, v1
	;; [unrolled: 1-line block ×4, first 2 shown]
	v_or_b32_e32 v0, v7, v0
	v_lshrrev_b16 v7, 8, v28
	v_or_b32_e32 v4, v30, v4
	v_or_b32_e32 v5, v31, v5
	v_or_b32_e32 v1, v27, v1
	v_or_b32_e32 v6, v32, v6
	v_or_b32_e32 v2, v29, v2
	v_or_b32_e32 v7, v33, v7
	v_add_nc_u16 v3, v3, 0xe000
	v_add_nc_u16 v4, v4, 0xe000
	;; [unrolled: 1-line block ×8, first 2 shown]
	v_and_b32_e32 v3, 0xffff, v3
	v_lshlrev_b32_e32 v4, 16, v4
	v_and_b32_e32 v0, 0xffff, v0
	v_lshlrev_b32_e32 v5, 16, v5
	;; [unrolled: 2-line block ×4, first 2 shown]
	v_or_b32_e32 v3, v3, v4
	v_or_b32_e32 v0, v0, v5
	;; [unrolled: 1-line block ×3, first 2 shown]
	s_delay_alu instid0(VALU_DEP_4)
	v_or_b32_e32 v2, v2, v7
	ds_store_b32 v130, v40
	ds_store_b32 v131, v3
	;; [unrolled: 1-line block ×5, first 2 shown]
	s_cbranch_scc0 .LBB210_4
; %bb.6:                                ;   in Loop: Header=BB210_5 Depth=1
	s_lshl_b32 s20, s22, 3
	s_delay_alu instid0(SALU_CYCLE_1) | instskip(NEXT) | instid1(VALU_DEP_1)
	v_add_nc_u32_e32 v0, s20, v77
	v_cmp_gt_i32_e64 s1, s8, v0
	s_delay_alu instid0(VALU_DEP_1) | instskip(NEXT) | instid1(SALU_CYCLE_1)
	s_and_b32 s21, s0, s1
	s_and_saveexec_b32 s1, s21
	s_cbranch_execz .LBB210_8
; %bb.7:                                ;   in Loop: Header=BB210_5 Depth=1
	v_add_nc_u32_e32 v2, v100, v0
	s_delay_alu instid0(VALU_DEP_1)
	v_mad_i64_i32 v[0:1], null, v2, 36, v[24:25]
	global_load_b32 v0, v[0:1], off offset:4
	s_waitcnt vmcnt(0)
	ds_store_b32 v88, v0
.LBB210_8:                              ;   in Loop: Header=BB210_5 Depth=1
	s_or_b32 exec_lo, exec_lo, s1
	s_and_saveexec_b32 s21, vcc_lo
	s_cbranch_execz .LBB210_11
; %bb.9:                                ;   in Loop: Header=BB210_5 Depth=1
	v_or_b32_e32 v0, s20, v47
	s_delay_alu instid0(VALU_DEP_1) | instskip(NEXT) | instid1(VALU_DEP_1)
	v_cmp_gt_i32_e64 s1, s8, v0
	s_and_b32 s1, s0, s1
	s_delay_alu instid0(SALU_CYCLE_1)
	s_and_b32 exec_lo, exec_lo, s1
	s_cbranch_execz .LBB210_11
; %bb.10:                               ;   in Loop: Header=BB210_5 Depth=1
	v_add_nc_u32_e32 v2, v100, v0
	s_delay_alu instid0(VALU_DEP_1)
	v_mad_i64_i32 v[0:1], null, v2, 36, s[2:3]
	global_load_b32 v0, v[0:1], off
	s_waitcnt vmcnt(0)
	v_cvt_f32_f16_e32 v0, v0
	ds_store_b32 v89, v0
.LBB210_11:                             ;   in Loop: Header=BB210_5 Depth=1
	s_or_b32 exec_lo, exec_lo, s21
	v_dual_mov_b32 v138, v113 :: v_dual_mov_b32 v139, v112
	s_mov_b32 s26, -2
	s_mov_b32 s1, 0
	s_mov_b32 s21, 0
	s_waitcnt lgkmcnt(0)
	s_barrier
	buffer_gl0_inv
.LBB210_12:                             ;   Parent Loop BB210_5 Depth=1
                                        ; =>  This Inner Loop Header: Depth=2
	ds_load_b128 v[0:3], v139 offset:16
	s_add_i32 s25, s26, 2
	ds_load_b128 v[4:7], v139
	ds_load_b32 v140, v138
	s_and_b32 s27, s25, 0x3ffffff8
	s_lshr_b32 s28, s25, 4
	s_lshl_b32 s29, s27, 2
	s_lshl_b32 s27, s28, 2
	v_add_nc_u32_e32 v148, s29, v92
	v_add_nc_u32_e32 v149, s29, v95
	v_add_nc_u32_e32 v34, s27, v93
	v_add_nc_u32_e32 v157, s29, v98
	ds_load_2addr_b32 v[28:29], v148 offset1:1
	ds_load_2addr_b32 v[26:27], v148 offset0:6 offset1:7
	ds_load_2addr_b32 v[30:31], v148 offset0:2 offset1:3
	;; [unrolled: 1-line block ×3, first 2 shown]
	ds_load_b32 v142, v34
	v_add_nc_u32_e32 v162, s29, v102
	s_lshl_b32 s28, s28, 3
	v_add_nc_u32_e32 v139, 32, v139
	v_add_lshl_u32 v165, v91, s28, 2
	v_add_lshl_u32 v168, v94, s28, 2
	v_add_lshl_u32 v171, v97, s28, 2
	s_waitcnt lgkmcnt(7)
	v_perm_b32 v158, v0, v0, 0x30201
	v_perm_b32 v159, v1, v1, 0x30201
	ds_load_2addr_b32 v[0:1], v149 offset1:1
	v_perm_b32 v145, v2, v2, 0x30201
	v_perm_b32 v141, v3, v3, 0x30201
	s_waitcnt lgkmcnt(7)
	v_perm_b32 v150, v6, v6, 0x30201
	v_add_nc_u32_e32 v6, 0x4208, v165
	v_perm_b32 v151, v4, v4, 0x30201
	v_perm_b32 v152, v5, v5, 0x30201
	;; [unrolled: 1-line block ×3, first 2 shown]
	s_waitcnt lgkmcnt(5)
	v_ashrrev_i32_e32 v153, s25, v28
	v_ashrrev_i32_e32 v154, s25, v29
	v_add_nc_u32_e32 v42, 0x4208, v171
	v_add_lshl_u32 v174, v101, s28, 2
	s_and_b32 s28, s21, -16
	v_bfe_u32 v175, v153, 24, 2
	v_and_b32_e32 v153, 0x3030303, v153
	s_waitcnt lgkmcnt(3)
	v_ashrrev_i32_e32 v30, s25, v30
	s_waitcnt lgkmcnt(2)
	v_ashrrev_i32_e32 v32, s25, v32
	v_ashrrev_i32_e32 v26, s25, v26
	;; [unrolled: 1-line block ×3, first 2 shown]
	v_add_nc_u32_e32 v138, 4, v138
	s_waitcnt lgkmcnt(0)
	v_ashrrev_i32_e32 v155, s25, v0
	v_ashrrev_i32_e32 v156, s25, v1
	ds_load_2addr_b32 v[2:3], v157 offset1:1
	ds_load_2addr_b32 v[0:1], v157 offset0:6 offset1:7
	ds_load_2addr_b32 v[34:35], v157 offset0:2 offset1:3
	s_add_i32 s21, s21, 2
	s_waitcnt lgkmcnt(2)
	v_ashrrev_i32_e32 v160, s25, v2
	v_add_nc_u32_e32 v2, s27, v99
	v_ashrrev_i32_e32 v161, s25, v3
	ds_load_2addr_b32 v[36:37], v162 offset0:2 offset1:3
	ds_load_b32 v143, v2
	ds_load_2addr_b32 v[2:3], v162 offset1:1
	s_waitcnt lgkmcnt(3)
	v_ashrrev_i32_e32 v34, s25, v34
	v_ashrrev_i32_e32 v0, s25, v0
	;; [unrolled: 1-line block ×3, first 2 shown]
	s_waitcnt lgkmcnt(2)
	v_ashrrev_i32_e32 v36, s25, v36
	s_waitcnt lgkmcnt(0)
	v_ashrrev_i32_e32 v163, s25, v2
	v_add_nc_u32_e32 v2, 0x4200, v165
	v_ashrrev_i32_e32 v164, s25, v3
	v_add_nc_u32_e32 v3, 0x4218, v165
	ds_load_2addr_b32 v[4:5], v2 offset1:1
	ds_load_2addr_b32 v[2:3], v3 offset1:1
	ds_load_2addr_b32 v[38:39], v6 offset1:1
	s_waitcnt lgkmcnt(2)
	v_ashrrev_i32_e32 v166, s1, v4
	v_add_nc_u32_e32 v4, 0x4200, v168
	v_ashrrev_i32_e32 v167, s1, v5
	v_add_nc_u32_e32 v5, 0x4208, v168
	ds_load_2addr_b32 v[6:7], v4 offset1:1
	ds_load_2addr_b32 v[40:41], v5 offset1:1
	ds_load_2addr_b32 v[4:5], v149 offset0:6 offset1:7
	v_lshlrev_b32_e32 v166, 2, v166
	v_lshlrev_b32_e32 v167, 2, v167
	s_waitcnt lgkmcnt(3)
	v_ashrrev_i32_e32 v38, s1, v38
	v_ashrrev_i32_e32 v2, s1, v2
	;; [unrolled: 1-line block ×3, first 2 shown]
	v_and_b32_e32 v166, 0x4040404, v166
	v_and_b32_e32 v167, 0x4040404, v167
	v_lshlrev_b32_e32 v38, 2, v38
	v_lshlrev_b32_e32 v2, 2, v2
	;; [unrolled: 1-line block ×3, first 2 shown]
	v_lshrrev_b32_e32 v176, 24, v166
	v_lshrrev_b32_e32 v177, 16, v166
	;; [unrolled: 1-line block ×4, first 2 shown]
	v_and_b32_e32 v38, 0x4040404, v38
	v_sub_nc_u16 v175, v175, v176
	v_lshrrev_b32_e32 v176, 16, v153
	s_waitcnt lgkmcnt(2)
	v_ashrrev_i32_e32 v169, s1, v6
	v_add_nc_u32_e32 v6, 0x4200, v171
	v_ashrrev_i32_e32 v170, s1, v7
	v_add_nc_u32_e32 v7, 0x4218, v171
	v_sub_nc_u16 v176, v176, v177
	v_lshrrev_b16 v177, 8, v153
	v_sub_nc_u16 v153, v153, v166
	v_lshrrev_b16 v166, 8, v166
	v_lshlrev_b32_e32 v169, 2, v169
	ds_load_2addr_b32 v[28:29], v6 offset1:1
	ds_load_2addr_b32 v[6:7], v7 offset1:1
	;; [unrolled: 1-line block ×3, first 2 shown]
	v_lshlrev_b32_e32 v170, 2, v170
	v_lshlrev_b16 v175, 8, v175
	v_sub_nc_u16 v166, v177, v166
	v_bfe_u32 v177, v154, 24, 2
	v_and_b32_e32 v154, 0x3030303, v154
	v_and_b32_e32 v169, 0x4040404, v169
	;; [unrolled: 1-line block ×3, first 2 shown]
	v_lshlrev_b16 v166, 8, v166
	v_sub_nc_u16 v177, v177, v178
	v_lshrrev_b32_e32 v178, 16, v154
	v_lshrrev_b32_e32 v180, 24, v169
	;; [unrolled: 1-line block ×5, first 2 shown]
	v_sub_nc_u16 v178, v178, v179
	v_lshrrev_b16 v179, 8, v154
	v_sub_nc_u16 v154, v154, v167
	v_lshrrev_b16 v167, 8, v167
	s_waitcnt lgkmcnt(2)
	v_ashrrev_i32_e32 v172, s1, v28
	v_add_nc_u32_e32 v28, 0x4200, v174
	v_ashrrev_i32_e32 v173, s1, v29
	v_add_nc_u32_e32 v29, 0x4208, v174
	v_sub_nc_u16 v167, v179, v167
	v_bfe_u32 v179, v155, 24, 2
	v_and_b32_e32 v155, 0x3030303, v155
	v_lshlrev_b32_e32 v172, 2, v172
	ds_load_2addr_b32 v[146:147], v28 offset1:1
	ds_load_2addr_b32 v[44:45], v29 offset1:1
	ds_load_2addr_b32 v[28:29], v162 offset0:6 offset1:7
	v_lshlrev_b32_e32 v173, 2, v173
	v_sub_nc_u16 v179, v179, v180
	v_lshrrev_b32_e32 v180, 16, v155
	v_and_b32_e32 v172, 0x4040404, v172
	v_lshlrev_b16 v177, 8, v177
	v_and_b32_e32 v173, 0x4040404, v173
	v_lshlrev_b16 v167, 8, v167
	v_sub_nc_u16 v180, v180, v181
	v_lshrrev_b16 v181, 8, v155
	v_sub_nc_u16 v155, v155, v169
	v_lshrrev_b16 v169, 8, v169
	v_lshrrev_b32_e32 v184, 24, v172
	v_lshrrev_b32_e32 v185, 16, v172
	;; [unrolled: 1-line block ×4, first 2 shown]
	v_sub_nc_u16 v169, v181, v169
	v_bfe_u32 v181, v156, 24, 2
	v_and_b32_e32 v156, 0x3030303, v156
	s_waitcnt lgkmcnt(2)
	v_ashrrev_i32_e32 v146, s1, v146
	v_ashrrev_i32_e32 v147, s1, v147
	v_lshlrev_b16 v179, 8, v179
	v_sub_nc_u16 v181, v181, v182
	v_lshrrev_b32_e32 v182, 16, v156
	v_lshlrev_b32_e32 v146, 2, v146
	v_lshlrev_b32_e32 v147, 2, v147
	v_lshlrev_b16 v169, 8, v169
	v_lshlrev_b16 v181, 8, v181
	v_sub_nc_u16 v182, v182, v183
	v_lshrrev_b16 v183, 8, v156
	v_sub_nc_u16 v156, v156, v170
	v_lshrrev_b16 v170, 8, v170
	v_and_b32_e32 v146, 0x4040404, v146
	v_and_b32_e32 v147, 0x4040404, v147
	v_ashrrev_i32_e32 v40, s1, v40
	v_ashrrev_i32_e32 v42, s1, v42
	v_sub_nc_u16 v170, v183, v170
	v_bfe_u32 v183, v160, 24, 2
	v_and_b32_e32 v160, 0x3030303, v160
	v_lshrrev_b32_e32 v188, 24, v146
	v_lshrrev_b32_e32 v189, 16, v146
	;; [unrolled: 1-line block ×3, first 2 shown]
	v_sub_nc_u16 v183, v183, v184
	v_lshrrev_b32_e32 v184, 16, v160
	v_lshrrev_b32_e32 v191, 16, v147
	v_lshlrev_b16 v170, 8, v170
	v_lshlrev_b32_e32 v40, 2, v40
	v_lshlrev_b16 v183, 8, v183
	v_sub_nc_u16 v184, v184, v185
	v_lshrrev_b16 v185, 8, v160
	v_sub_nc_u16 v160, v160, v172
	v_lshrrev_b16 v172, 8, v172
	v_and_b32_e32 v40, 0x4040404, v40
	v_lshlrev_b32_e32 v42, 2, v42
	s_waitcnt lgkmcnt(1)
	v_ashrrev_i32_e32 v44, s1, v44
	v_and_b32_e32 v2, 0x4040404, v2
	v_sub_nc_u16 v172, v185, v172
	v_bfe_u32 v185, v161, 24, 2
	v_and_b32_e32 v161, 0x3030303, v161
	v_and_b32_e32 v42, 0x4040404, v42
	v_lshlrev_b32_e32 v44, 2, v44
	v_lshlrev_b16 v172, 8, v172
	v_sub_nc_u16 v185, v185, v186
	v_lshrrev_b32_e32 v186, 16, v161
	v_ashrrev_i32_e32 v4, s25, v4
	v_and_b32_e32 v44, 0x4040404, v44
	v_ashrrev_i32_e32 v6, s1, v6
	v_lshlrev_b16 v185, 8, v185
	v_sub_nc_u16 v186, v186, v187
	v_lshrrev_b16 v187, 8, v161
	v_sub_nc_u16 v161, v161, v173
	v_lshrrev_b16 v173, 8, v173
	v_lshlrev_b32_e32 v6, 2, v6
	s_waitcnt lgkmcnt(0)
	v_ashrrev_i32_e32 v28, s25, v28
	v_and_b32_e32 v3, 0x4040404, v3
	v_ashrrev_i32_e32 v5, s25, v5
	v_sub_nc_u16 v173, v187, v173
	v_bfe_u32 v187, v163, 24, 2
	v_and_b32_e32 v163, 0x3030303, v163
	v_and_b32_e32 v6, 0x4040404, v6
	v_ashrrev_i32_e32 v7, s1, v7
	v_lshlrev_b16 v173, 8, v173
	v_sub_nc_u16 v187, v187, v188
	v_lshrrev_b32_e32 v188, 16, v163
	v_ashrrev_i32_e32 v29, s25, v29
	v_lshlrev_b32_e32 v7, 2, v7
	s_delay_alu instid0(VALU_DEP_4) | instskip(NEXT) | instid1(VALU_DEP_4)
	v_lshlrev_b16 v187, 8, v187
	v_sub_nc_u16 v188, v188, v189
	v_lshrrev_b16 v189, 8, v163
	v_sub_nc_u16 v163, v163, v146
	v_lshrrev_b16 v146, 8, v146
	v_and_b32_e32 v7, 0x4040404, v7
	s_delay_alu instid0(VALU_DEP_2) | instskip(SKIP_2) | instid1(VALU_DEP_3)
	v_sub_nc_u16 v146, v189, v146
	v_bfe_u32 v189, v164, 24, 2
	v_and_b32_e32 v164, 0x3030303, v164
	v_lshlrev_b16 v146, 8, v146
	s_delay_alu instid0(VALU_DEP_3) | instskip(NEXT) | instid1(VALU_DEP_3)
	v_sub_nc_u16 v189, v189, v190
	v_lshrrev_b32_e32 v190, 16, v164
	s_delay_alu instid0(VALU_DEP_2) | instskip(NEXT) | instid1(VALU_DEP_2)
	v_lshlrev_b16 v189, 8, v189
	v_sub_nc_u16 v190, v190, v191
	v_lshrrev_b16 v191, 8, v164
	v_sub_nc_u16 v164, v164, v147
	v_lshrrev_b16 v147, 8, v147
	s_delay_alu instid0(VALU_DEP_1) | instskip(SKIP_1) | instid1(VALU_DEP_2)
	v_sub_nc_u16 v147, v191, v147
	v_and_b32_e32 v191, 0xff, v176
	v_lshlrev_b16 v147, 8, v147
	s_delay_alu instid0(VALU_DEP_2) | instskip(SKIP_1) | instid1(VALU_DEP_2)
	v_or_b32_e32 v175, v191, v175
	v_and_b32_e32 v191, 0xff, v153
	v_perm_b32 v153, v153, v175, 0x4010c0c
	s_delay_alu instid0(VALU_DEP_2) | instskip(SKIP_1) | instid1(VALU_DEP_2)
	v_or_b32_e32 v166, v191, v166
	v_and_b32_e32 v191, 0xff, v178
	v_perm_b32 v166, v176, v166, 0xc0c0401
	s_delay_alu instid0(VALU_DEP_2) | instskip(SKIP_1) | instid1(VALU_DEP_3)
	v_or_b32_e32 v177, v191, v177
	v_and_b32_e32 v191, 0xff, v154
	v_or_b32_e32 v153, v153, v166
	s_delay_alu instid0(VALU_DEP_3) | instskip(NEXT) | instid1(VALU_DEP_3)
	v_perm_b32 v154, v154, v177, 0x4010c0c
	v_or_b32_e32 v167, v191, v167
	v_and_b32_e32 v191, 0xff, v180
	s_delay_alu instid0(VALU_DEP_4) | instskip(NEXT) | instid1(VALU_DEP_3)
	v_dot4_i32_iu8 v153, v153, v151, 0 neg_lo:[1,1,0]
	v_perm_b32 v167, v178, v167, 0xc0c0401
	s_delay_alu instid0(VALU_DEP_3) | instskip(SKIP_1) | instid1(VALU_DEP_3)
	v_or_b32_e32 v179, v191, v179
	v_and_b32_e32 v191, 0xff, v155
	v_or_b32_e32 v154, v154, v167
	s_delay_alu instid0(VALU_DEP_3) | instskip(NEXT) | instid1(VALU_DEP_3)
	v_perm_b32 v155, v155, v179, 0x4010c0c
	v_or_b32_e32 v169, v191, v169
	v_and_b32_e32 v191, 0xff, v182
	s_delay_alu instid0(VALU_DEP_2) | instskip(NEXT) | instid1(VALU_DEP_2)
	v_perm_b32 v169, v180, v169, 0xc0c0401
	v_or_b32_e32 v181, v191, v181
	v_and_b32_e32 v191, 0xff, v156
	s_delay_alu instid0(VALU_DEP_3) | instskip(NEXT) | instid1(VALU_DEP_3)
	v_or_b32_e32 v155, v155, v169
	v_perm_b32 v156, v156, v181, 0x4010c0c
	s_delay_alu instid0(VALU_DEP_3) | instskip(SKIP_1) | instid1(VALU_DEP_4)
	v_or_b32_e32 v170, v191, v170
	v_and_b32_e32 v191, 0xff, v184
	v_dot4_i32_iu8 v155, v155, v151, 0 neg_lo:[1,1,0]
	s_delay_alu instid0(VALU_DEP_3) | instskip(NEXT) | instid1(VALU_DEP_3)
	v_perm_b32 v170, v182, v170, 0xc0c0401
	v_or_b32_e32 v183, v191, v183
	v_and_b32_e32 v191, 0xff, v160
	s_delay_alu instid0(VALU_DEP_3) | instskip(NEXT) | instid1(VALU_DEP_3)
	v_or_b32_e32 v156, v156, v170
	v_perm_b32 v160, v160, v183, 0x4010c0c
	s_delay_alu instid0(VALU_DEP_3) | instskip(SKIP_1) | instid1(VALU_DEP_2)
	v_or_b32_e32 v172, v191, v172
	v_and_b32_e32 v191, 0xff, v186
	v_perm_b32 v172, v184, v172, 0xc0c0401
	s_delay_alu instid0(VALU_DEP_2) | instskip(SKIP_1) | instid1(VALU_DEP_3)
	v_or_b32_e32 v185, v191, v185
	v_and_b32_e32 v191, 0xff, v161
	v_or_b32_e32 v160, v160, v172
	s_delay_alu instid0(VALU_DEP_3) | instskip(NEXT) | instid1(VALU_DEP_3)
	v_perm_b32 v161, v161, v185, 0x4010c0c
	v_or_b32_e32 v173, v191, v173
	v_and_b32_e32 v191, 0xff, v188
	s_delay_alu instid0(VALU_DEP_4) | instskip(NEXT) | instid1(VALU_DEP_3)
	v_dot4_i32_iu8 v160, v160, v151, 0 neg_lo:[1,1,0]
	v_perm_b32 v173, v186, v173, 0xc0c0401
	s_delay_alu instid0(VALU_DEP_3) | instskip(SKIP_1) | instid1(VALU_DEP_3)
	v_or_b32_e32 v187, v191, v187
	v_and_b32_e32 v191, 0xff, v163
	v_or_b32_e32 v161, v161, v173
	s_delay_alu instid0(VALU_DEP_3) | instskip(NEXT) | instid1(VALU_DEP_3)
	v_perm_b32 v163, v163, v187, 0x4010c0c
	v_or_b32_e32 v146, v191, v146
	v_and_b32_e32 v191, 0xff, v190
	s_delay_alu instid0(VALU_DEP_4) | instskip(NEXT) | instid1(VALU_DEP_3)
	v_dot4_i32_iu8 v160, v161, v152, v160 neg_lo:[1,1,0]
	v_perm_b32 v146, v188, v146, 0xc0c0401
	s_delay_alu instid0(VALU_DEP_3) | instskip(SKIP_1) | instid1(VALU_DEP_3)
	v_or_b32_e32 v189, v191, v189
	v_and_b32_e32 v191, 0xff, v164
	v_or_b32_e32 v146, v163, v146
	s_delay_alu instid0(VALU_DEP_3) | instskip(NEXT) | instid1(VALU_DEP_3)
	v_perm_b32 v164, v164, v189, 0x4010c0c
	v_or_b32_e32 v147, v191, v147
	v_dot4_i32_iu8 v163, v154, v152, v153 neg_lo:[1,1,0]
	s_delay_alu instid0(VALU_DEP_4) | instskip(SKIP_1) | instid1(VALU_DEP_4)
	v_dot4_i32_iu8 v146, v146, v151, 0 neg_lo:[1,1,0]
	v_add_nc_u32_e32 v151, s28, v90
	v_perm_b32 v147, v190, v147, 0xc0c0401
	s_delay_alu instid0(VALU_DEP_1) | instskip(SKIP_2) | instid1(VALU_DEP_3)
	v_or_b32_e32 v147, v164, v147
	v_dot4_i32_iu8 v164, v156, v152, v155 neg_lo:[1,1,0]
	v_add_nc_u32_e32 v156, 0x4218, v174
	v_dot4_i32_iu8 v161, v147, v152, v146 neg_lo:[1,1,0]
	ds_load_2addr_b32 v[146:147], v148 offset0:4 offset1:5
	s_waitcnt lgkmcnt(0)
	v_ashrrev_i32_e32 v166, s25, v146
	v_ashrrev_i32_e32 v167, s25, v147
	ds_load_2addr_b32 v[146:147], v149 offset0:4 offset1:5
	v_add_nc_u32_e32 v149, 0x4218, v168
	s_waitcnt lgkmcnt(0)
	v_ashrrev_i32_e32 v169, s25, v146
	v_ashrrev_i32_e32 v170, s25, v147
	ds_load_2addr_b32 v[146:147], v157 offset0:4 offset1:5
	s_waitcnt lgkmcnt(0)
	v_ashrrev_i32_e32 v172, s25, v146
	v_ashrrev_i32_e32 v173, s25, v147
	ds_load_2addr_b32 v[146:147], v162 offset0:4 offset1:5
	s_waitcnt lgkmcnt(0)
	v_ashrrev_i32_e32 v162, s25, v146
	v_add_nc_u32_e32 v146, 0x4210, v165
	v_ashrrev_i32_e32 v175, s25, v147
	ds_load_2addr_b32 v[146:147], v146 offset1:1
	s_waitcnt lgkmcnt(0)
	v_ashrrev_i32_e32 v165, s1, v146
	v_add3_u32 v146, v110, s26, v151
	v_ashrrev_i32_e32 v176, s1, v147
	v_add_nc_u32_e32 v147, 0x4210, v168
	s_delay_alu instid0(VALU_DEP_4)
	v_lshlrev_b32_e32 v165, 2, v165
	ds_load_u16 v148, v146 offset:26370
	v_add_nc_u32_e32 v146, s27, v96
	ds_load_b32 v146, v146
	ds_load_2addr_b32 v[152:153], v147 offset1:1
	ds_load_2addr_b32 v[154:155], v149 offset1:1
	v_add_nc_u32_e32 v147, 0x4210, v171
	v_and_b32_e32 v165, 0x4040404, v165
	v_lshlrev_b32_e32 v176, 2, v176
	s_delay_alu instid0(VALU_DEP_2) | instskip(SKIP_1) | instid1(VALU_DEP_3)
	v_lshrrev_b32_e32 v179, 24, v165
	v_lshrrev_b32_e32 v180, 16, v165
	v_and_b32_e32 v176, 0x4040404, v176
	s_delay_alu instid0(VALU_DEP_1)
	v_lshrrev_b32_e32 v181, 24, v176
	v_lshrrev_b32_e32 v182, 16, v176
	s_waitcnt lgkmcnt(1)
	v_ashrrev_i32_e32 v168, s1, v152
	v_ashrrev_i32_e32 v177, s1, v153
	ds_load_2addr_b32 v[152:153], v147 offset1:1
	v_add3_u32 v147, v108, s26, v151
	v_lshlrev_b32_e32 v168, 2, v168
	v_lshlrev_b32_e32 v177, 2, v177
	ds_load_u16 v149, v147 offset:28418
	v_add_nc_u32_e32 v147, s27, v103
	v_and_b32_e32 v168, 0x4040404, v168
	v_and_b32_e32 v177, 0x4040404, v177
	s_delay_alu instid0(VALU_DEP_2) | instskip(SKIP_1) | instid1(VALU_DEP_3)
	v_lshrrev_b32_e32 v183, 24, v168
	v_lshrrev_b32_e32 v184, 16, v168
	;; [unrolled: 1-line block ×4, first 2 shown]
	s_waitcnt lgkmcnt(1)
	v_ashrrev_i32_e32 v171, s1, v152
	v_add_nc_u32_e32 v152, 0x4210, v174
	v_bfe_u32 v174, v166, 24, 2
	v_and_b32_e32 v166, 0x3030303, v166
	v_ashrrev_i32_e32 v178, s1, v153
	v_lshlrev_b32_e32 v171, 2, v171
	ds_load_b32 v147, v147
	ds_load_2addr_b32 v[152:153], v152 offset1:1
	ds_load_2addr_b32 v[156:157], v156 offset1:1
	v_sub_nc_u16 v174, v174, v179
	v_lshrrev_b32_e32 v179, 16, v166
	v_lshlrev_b32_e32 v178, 2, v178
	v_and_b32_e32 v171, 0x4040404, v171
	s_delay_alu instid0(VALU_DEP_4) | instskip(NEXT) | instid1(VALU_DEP_4)
	v_lshlrev_b16 v174, 8, v174
	v_sub_nc_u16 v179, v179, v180
	v_lshrrev_b16 v180, 8, v166
	v_sub_nc_u16 v166, v166, v165
	v_lshrrev_b16 v165, 8, v165
	v_lshrrev_b32_e32 v187, 24, v171
	v_lshrrev_b32_e32 v188, 16, v171
	v_and_b32_e32 v178, 0x4040404, v178
	s_delay_alu instid0(VALU_DEP_4) | instskip(SKIP_2) | instid1(VALU_DEP_4)
	v_sub_nc_u16 v165, v180, v165
	v_bfe_u32 v180, v167, 24, 2
	v_and_b32_e32 v167, 0x3030303, v167
	v_lshrrev_b32_e32 v189, 24, v178
	s_waitcnt lgkmcnt(1)
	v_ashrrev_i32_e32 v152, s1, v152
	v_lshrrev_b32_e32 v190, 16, v178
	v_sub_nc_u16 v180, v180, v181
	v_lshrrev_b32_e32 v181, 16, v167
	v_ashrrev_i32_e32 v153, s1, v153
	v_lshlrev_b32_e32 v152, 2, v152
	v_lshlrev_b16 v165, 8, v165
	v_lshlrev_b16 v180, 8, v180
	v_sub_nc_u16 v181, v181, v182
	v_lshrrev_b16 v182, 8, v167
	v_sub_nc_u16 v167, v167, v176
	v_lshrrev_b16 v176, 8, v176
	v_and_b32_e32 v152, 0x4040404, v152
	v_lshlrev_b32_e32 v153, 2, v153
	s_waitcnt lgkmcnt(0)
	v_ashrrev_i32_e32 v156, s1, v156
	v_sub_nc_u16 v176, v182, v176
	v_bfe_u32 v182, v169, 24, 2
	v_and_b32_e32 v169, 0x3030303, v169
	v_lshrrev_b32_e32 v191, 24, v152
	v_lshrrev_b32_e32 v192, 16, v152
	v_and_b32_e32 v153, 0x4040404, v153
	v_sub_nc_u16 v182, v182, v183
	v_lshrrev_b32_e32 v183, 16, v169
	v_lshlrev_b16 v176, 8, v176
	v_lshlrev_b32_e32 v156, 2, v156
	v_lshrrev_b32_e32 v193, 24, v153
	v_lshrrev_b32_e32 v194, 16, v153
	v_sub_nc_u16 v183, v183, v184
	v_lshrrev_b16 v184, 8, v169
	v_sub_nc_u16 v169, v169, v168
	v_lshrrev_b16 v168, 8, v168
	v_lshlrev_b16 v182, 8, v182
	v_and_b32_e32 v156, 0x4040404, v156
	s_delay_alu instid0(VALU_DEP_3) | instskip(SKIP_2) | instid1(VALU_DEP_3)
	v_sub_nc_u16 v168, v184, v168
	v_bfe_u32 v184, v170, 24, 2
	v_and_b32_e32 v170, 0x3030303, v170
	v_lshlrev_b16 v168, 8, v168
	s_delay_alu instid0(VALU_DEP_3) | instskip(NEXT) | instid1(VALU_DEP_3)
	v_sub_nc_u16 v184, v184, v185
	v_lshrrev_b32_e32 v185, 16, v170
	s_delay_alu instid0(VALU_DEP_2) | instskip(NEXT) | instid1(VALU_DEP_2)
	v_lshlrev_b16 v184, 8, v184
	v_sub_nc_u16 v185, v185, v186
	v_lshrrev_b16 v186, 8, v170
	v_sub_nc_u16 v170, v170, v177
	v_lshrrev_b16 v177, 8, v177
	s_delay_alu instid0(VALU_DEP_1) | instskip(SKIP_2) | instid1(VALU_DEP_3)
	v_sub_nc_u16 v177, v186, v177
	v_bfe_u32 v186, v172, 24, 2
	v_and_b32_e32 v172, 0x3030303, v172
	v_lshlrev_b16 v177, 8, v177
	s_delay_alu instid0(VALU_DEP_3) | instskip(NEXT) | instid1(VALU_DEP_3)
	v_sub_nc_u16 v186, v186, v187
	v_lshrrev_b32_e32 v187, 16, v172
	s_delay_alu instid0(VALU_DEP_2) | instskip(NEXT) | instid1(VALU_DEP_2)
	v_lshlrev_b16 v186, 8, v186
	v_sub_nc_u16 v187, v187, v188
	v_lshrrev_b16 v188, 8, v172
	v_sub_nc_u16 v172, v172, v171
	v_lshrrev_b16 v171, 8, v171
	s_delay_alu instid0(VALU_DEP_1) | instskip(SKIP_2) | instid1(VALU_DEP_3)
	;; [unrolled: 14-line block ×4, first 2 shown]
	v_sub_nc_u16 v152, v192, v152
	v_bfe_u32 v192, v175, 24, 2
	v_and_b32_e32 v175, 0x3030303, v175
	v_lshlrev_b16 v152, 8, v152
	s_delay_alu instid0(VALU_DEP_3) | instskip(NEXT) | instid1(VALU_DEP_3)
	v_sub_nc_u16 v192, v192, v193
	v_lshrrev_b32_e32 v193, 16, v175
	s_delay_alu instid0(VALU_DEP_2) | instskip(NEXT) | instid1(VALU_DEP_2)
	v_lshlrev_b16 v192, 8, v192
	v_sub_nc_u16 v193, v193, v194
	v_lshrrev_b16 v194, 8, v175
	v_sub_nc_u16 v175, v175, v153
	v_lshrrev_b16 v153, 8, v153
	s_delay_alu instid0(VALU_DEP_1) | instskip(SKIP_1) | instid1(VALU_DEP_2)
	v_sub_nc_u16 v153, v194, v153
	v_and_b32_e32 v194, 0xff, v179
	v_lshlrev_b16 v153, 8, v153
	s_delay_alu instid0(VALU_DEP_2) | instskip(SKIP_1) | instid1(VALU_DEP_2)
	v_or_b32_e32 v174, v194, v174
	v_and_b32_e32 v194, 0xff, v166
	v_perm_b32 v166, v166, v174, 0x4010c0c
	s_delay_alu instid0(VALU_DEP_2) | instskip(SKIP_1) | instid1(VALU_DEP_2)
	v_or_b32_e32 v165, v194, v165
	v_and_b32_e32 v194, 0xff, v181
	v_perm_b32 v165, v179, v165, 0xc0c0401
	s_delay_alu instid0(VALU_DEP_2) | instskip(SKIP_1) | instid1(VALU_DEP_3)
	v_or_b32_e32 v180, v194, v180
	v_and_b32_e32 v194, 0xff, v167
	v_or_b32_e32 v165, v166, v165
	s_delay_alu instid0(VALU_DEP_3) | instskip(NEXT) | instid1(VALU_DEP_3)
	v_perm_b32 v167, v167, v180, 0x4010c0c
	v_or_b32_e32 v176, v194, v176
	v_and_b32_e32 v194, 0xff, v183
	s_delay_alu instid0(VALU_DEP_2) | instskip(NEXT) | instid1(VALU_DEP_2)
	v_perm_b32 v174, v181, v176, 0xc0c0401
	v_or_b32_e32 v182, v194, v182
	v_and_b32_e32 v194, 0xff, v169
	s_delay_alu instid0(VALU_DEP_3) | instskip(NEXT) | instid1(VALU_DEP_3)
	v_or_b32_e32 v166, v167, v174
	v_perm_b32 v169, v169, v182, 0x4010c0c
	s_delay_alu instid0(VALU_DEP_3) | instskip(SKIP_1) | instid1(VALU_DEP_2)
	v_or_b32_e32 v168, v194, v168
	v_and_b32_e32 v194, 0xff, v185
	v_perm_b32 v168, v183, v168, 0xc0c0401
	s_delay_alu instid0(VALU_DEP_2) | instskip(SKIP_1) | instid1(VALU_DEP_3)
	v_or_b32_e32 v184, v194, v184
	v_and_b32_e32 v194, 0xff, v170
	v_or_b32_e32 v167, v169, v168
	s_delay_alu instid0(VALU_DEP_3) | instskip(NEXT) | instid1(VALU_DEP_3)
	v_perm_b32 v170, v170, v184, 0x4010c0c
	v_or_b32_e32 v177, v194, v177
	v_and_b32_e32 v194, 0xff, v187
	s_delay_alu instid0(VALU_DEP_2) | instskip(NEXT) | instid1(VALU_DEP_2)
	v_perm_b32 v176, v185, v177, 0xc0c0401
	v_or_b32_e32 v186, v194, v186
	v_and_b32_e32 v194, 0xff, v172
	s_delay_alu instid0(VALU_DEP_3) | instskip(NEXT) | instid1(VALU_DEP_3)
	v_or_b32_e32 v168, v170, v176
	v_perm_b32 v172, v172, v186, 0x4010c0c
	s_delay_alu instid0(VALU_DEP_3) | instskip(SKIP_1) | instid1(VALU_DEP_2)
	v_or_b32_e32 v171, v194, v171
	v_and_b32_e32 v194, 0xff, v189
	v_perm_b32 v171, v187, v171, 0xc0c0401
	s_delay_alu instid0(VALU_DEP_2) | instskip(SKIP_1) | instid1(VALU_DEP_3)
	v_or_b32_e32 v188, v194, v188
	v_and_b32_e32 v194, 0xff, v173
	v_or_b32_e32 v169, v172, v171
	s_delay_alu instid0(VALU_DEP_3) | instskip(NEXT) | instid1(VALU_DEP_3)
	v_perm_b32 v173, v173, v188, 0x4010c0c
	v_or_b32_e32 v178, v194, v178
	v_and_b32_e32 v194, 0xff, v191
	v_lshrrev_b32_e32 v171, 24, v44
	v_lshrrev_b32_e32 v172, 16, v44
	s_delay_alu instid0(VALU_DEP_4) | instskip(NEXT) | instid1(VALU_DEP_4)
	v_perm_b32 v177, v189, v178, 0xc0c0401
	v_or_b32_e32 v190, v194, v190
	v_and_b32_e32 v194, 0xff, v162
	s_delay_alu instid0(VALU_DEP_3) | instskip(NEXT) | instid1(VALU_DEP_3)
	v_or_b32_e32 v170, v173, v177
	v_perm_b32 v162, v162, v190, 0x4010c0c
	s_delay_alu instid0(VALU_DEP_3) | instskip(SKIP_1) | instid1(VALU_DEP_2)
	v_or_b32_e32 v152, v194, v152
	v_and_b32_e32 v194, 0xff, v193
	v_perm_b32 v152, v191, v152, 0xc0c0401
	s_delay_alu instid0(VALU_DEP_2) | instskip(SKIP_1) | instid1(VALU_DEP_3)
	v_or_b32_e32 v192, v194, v192
	v_and_b32_e32 v194, 0xff, v175
	v_or_b32_e32 v152, v162, v152
	s_delay_alu instid0(VALU_DEP_3) | instskip(NEXT) | instid1(VALU_DEP_3)
	v_perm_b32 v175, v175, v192, 0x4010c0c
	v_or_b32_e32 v153, v194, v153
	v_dot4_i32_iu8 v162, v165, v158, 0 neg_lo:[1,1,0]
	v_dot4_i32_iu8 v165, v167, v158, 0 neg_lo:[1,1,0]
	v_dot4_i32_iu8 v167, v169, v158, 0 neg_lo:[1,1,0]
	v_dot4_i32_iu8 v152, v152, v158, 0 neg_lo:[1,1,0]
	v_perm_b32 v153, v193, v153, 0xc0c0401
	v_dot4_i32_iu8 v158, v166, v159, v162 neg_lo:[1,1,0]
	v_dot4_i32_iu8 v162, v168, v159, v165 neg_lo:[1,1,0]
	;; [unrolled: 1-line block ×3, first 2 shown]
	v_lshrrev_b32_e32 v166, 16, v38
	v_or_b32_e32 v153, v175, v153
	v_lshrrev_b32_e32 v167, 24, v40
	v_lshrrev_b32_e32 v168, 16, v40
	;; [unrolled: 1-line block ×4, first 2 shown]
	v_dot4_i32_iu8 v152, v153, v159, v152 neg_lo:[1,1,0]
	v_bfe_u32 v153, v30, 24, 2
	v_lshrrev_b32_e32 v159, 24, v38
	v_and_b32_e32 v30, 0x3030303, v30
	s_delay_alu instid0(VALU_DEP_2) | instskip(NEXT) | instid1(VALU_DEP_2)
	v_sub_nc_u16 v153, v153, v159
	v_lshrrev_b32_e32 v159, 16, v30
	s_delay_alu instid0(VALU_DEP_2) | instskip(NEXT) | instid1(VALU_DEP_2)
	v_lshlrev_b16 v153, 8, v153
	v_sub_nc_u16 v159, v159, v166
	v_lshrrev_b16 v166, 8, v30
	v_sub_nc_u16 v30, v30, v38
	v_lshrrev_b16 v38, 8, v38
	s_delay_alu instid0(VALU_DEP_1) | instskip(SKIP_2) | instid1(VALU_DEP_3)
	v_sub_nc_u16 v38, v166, v38
	v_bfe_u32 v166, v32, 24, 2
	v_and_b32_e32 v32, 0x3030303, v32
	v_lshlrev_b16 v38, 8, v38
	s_delay_alu instid0(VALU_DEP_3) | instskip(NEXT) | instid1(VALU_DEP_3)
	v_sub_nc_u16 v166, v166, v167
	v_lshrrev_b32_e32 v167, 16, v32
	s_delay_alu instid0(VALU_DEP_2) | instskip(NEXT) | instid1(VALU_DEP_2)
	v_lshlrev_b16 v166, 8, v166
	v_sub_nc_u16 v167, v167, v168
	v_lshrrev_b16 v168, 8, v32
	v_sub_nc_u16 v32, v32, v40
	v_lshrrev_b16 v40, 8, v40
	s_delay_alu instid0(VALU_DEP_1) | instskip(SKIP_2) | instid1(VALU_DEP_3)
	v_sub_nc_u16 v40, v168, v40
	v_bfe_u32 v168, v34, 24, 2
	v_and_b32_e32 v34, 0x3030303, v34
	v_lshlrev_b16 v40, 8, v40
	s_delay_alu instid0(VALU_DEP_3) | instskip(NEXT) | instid1(VALU_DEP_3)
	;; [unrolled: 14-line block ×3, first 2 shown]
	v_sub_nc_u16 v170, v170, v171
	v_lshrrev_b32_e32 v171, 16, v36
	s_delay_alu instid0(VALU_DEP_2) | instskip(NEXT) | instid1(VALU_DEP_2)
	v_lshlrev_b16 v170, 8, v170
	v_sub_nc_u16 v171, v171, v172
	v_lshrrev_b16 v172, 8, v36
	v_sub_nc_u16 v36, v36, v44
	v_lshrrev_b16 v44, 8, v44
	s_delay_alu instid0(VALU_DEP_1) | instskip(SKIP_1) | instid1(VALU_DEP_2)
	v_sub_nc_u16 v44, v172, v44
	v_and_b32_e32 v172, 0xff, v159
	v_lshlrev_b16 v44, 8, v44
	s_delay_alu instid0(VALU_DEP_2) | instskip(SKIP_1) | instid1(VALU_DEP_2)
	v_or_b32_e32 v153, v172, v153
	v_and_b32_e32 v172, 0xff, v30
	v_perm_b32 v30, v30, v153, 0x4010c0c
	s_delay_alu instid0(VALU_DEP_2) | instskip(SKIP_1) | instid1(VALU_DEP_2)
	v_or_b32_e32 v38, v172, v38
	v_and_b32_e32 v172, 0xff, v167
	v_perm_b32 v38, v159, v38, 0xc0c0401
	s_delay_alu instid0(VALU_DEP_2) | instskip(SKIP_2) | instid1(VALU_DEP_4)
	v_or_b32_e32 v166, v172, v166
	v_and_b32_e32 v172, 0xff, v32
	v_lshrrev_b32_e32 v159, 16, v6
	v_or_b32_e32 v30, v30, v38
	s_delay_alu instid0(VALU_DEP_4) | instskip(NEXT) | instid1(VALU_DEP_4)
	v_perm_b32 v32, v32, v166, 0x4010c0c
	v_or_b32_e32 v40, v172, v40
	v_and_b32_e32 v172, 0xff, v169
	v_bfe_u32 v38, v26, 24, 2
	v_and_b32_e32 v26, 0x3030303, v26
	v_dot4_i32_iu8 v30, v30, v150, v163 neg_lo:[1,1,0]
	v_perm_b32 v40, v167, v40, 0xc0c0401
	v_or_b32_e32 v168, v172, v168
	v_and_b32_e32 v172, 0xff, v34
	s_delay_alu instid0(VALU_DEP_3) | instskip(NEXT) | instid1(VALU_DEP_3)
	v_or_b32_e32 v32, v32, v40
	v_perm_b32 v34, v34, v168, 0x4010c0c
	s_delay_alu instid0(VALU_DEP_3) | instskip(SKIP_3) | instid1(VALU_DEP_4)
	v_or_b32_e32 v42, v172, v42
	v_lshrrev_b32_e32 v40, 24, v2
	v_and_b32_e32 v172, 0xff, v171
	v_dot4_i32_iu8 v32, v32, v150, v164 neg_lo:[1,1,0]
	v_perm_b32 v42, v169, v42, 0xc0c0401
	s_delay_alu instid0(VALU_DEP_4)
	v_sub_nc_u16 v38, v38, v40
	v_lshrrev_b32_e32 v40, 16, v26
	v_or_b32_e32 v170, v172, v170
	v_and_b32_e32 v172, 0xff, v36
	v_or_b32_e32 v34, v34, v42
	v_lshrrev_b32_e32 v42, 16, v2
	v_lshlrev_b16 v38, 8, v38
	v_perm_b32 v36, v36, v170, 0x4010c0c
	v_or_b32_e32 v44, v172, v44
	v_dot4_i32_iu8 v34, v34, v150, v160 neg_lo:[1,1,0]
	v_sub_nc_u16 v40, v40, v42
	v_lshrrev_b16 v42, 8, v26
	v_sub_nc_u16 v26, v26, v2
	v_lshrrev_b16 v2, 8, v2
	v_perm_b32 v44, v171, v44, 0xc0c0401
	v_lshrrev_b32_e32 v160, 24, v156
	s_delay_alu instid0(VALU_DEP_3) | instskip(SKIP_1) | instid1(VALU_DEP_4)
	v_sub_nc_u16 v2, v42, v2
	v_ashrrev_i32_e32 v42, s1, v154
	v_or_b32_e32 v36, v36, v44
	v_bfe_u32 v44, v4, 24, 2
	v_and_b32_e32 v4, 0x3030303, v4
	v_lshrrev_b32_e32 v154, 24, v6
	v_lshlrev_b32_e32 v42, 2, v42
	v_dot4_i32_iu8 v36, v36, v150, v161 neg_lo:[1,1,0]
	v_lshrrev_b32_e32 v161, 16, v156
	v_lshlrev_b16 v2, 8, v2
	s_delay_alu instid0(VALU_DEP_4) | instskip(NEXT) | instid1(VALU_DEP_1)
	v_and_b32_e32 v42, 0x4040404, v42
	v_lshrrev_b32_e32 v150, 24, v42
	v_lshrrev_b32_e32 v153, 16, v42
	s_delay_alu instid0(VALU_DEP_2) | instskip(SKIP_1) | instid1(VALU_DEP_2)
	v_sub_nc_u16 v44, v44, v150
	v_lshrrev_b32_e32 v150, 16, v4
	v_lshlrev_b16 v44, 8, v44
	s_delay_alu instid0(VALU_DEP_2) | instskip(SKIP_3) | instid1(VALU_DEP_1)
	v_sub_nc_u16 v150, v150, v153
	v_lshrrev_b16 v153, 8, v4
	v_sub_nc_u16 v4, v4, v42
	v_lshrrev_b16 v42, 8, v42
	v_sub_nc_u16 v42, v153, v42
	v_bfe_u32 v153, v0, 24, 2
	v_and_b32_e32 v0, 0x3030303, v0
	s_delay_alu instid0(VALU_DEP_3) | instskip(NEXT) | instid1(VALU_DEP_3)
	v_lshlrev_b16 v42, 8, v42
	v_sub_nc_u16 v153, v153, v154
	s_delay_alu instid0(VALU_DEP_3) | instskip(NEXT) | instid1(VALU_DEP_2)
	v_lshrrev_b32_e32 v154, 16, v0
	v_lshlrev_b16 v153, 8, v153
	s_delay_alu instid0(VALU_DEP_2) | instskip(SKIP_3) | instid1(VALU_DEP_1)
	v_sub_nc_u16 v154, v154, v159
	v_lshrrev_b16 v159, 8, v0
	v_sub_nc_u16 v0, v0, v6
	v_lshrrev_b16 v6, 8, v6
	v_sub_nc_u16 v6, v159, v6
	v_bfe_u32 v159, v28, 24, 2
	v_and_b32_e32 v28, 0x3030303, v28
	s_delay_alu instid0(VALU_DEP_3) | instskip(NEXT) | instid1(VALU_DEP_3)
	v_lshlrev_b16 v6, 8, v6
	v_sub_nc_u16 v159, v159, v160
	s_delay_alu instid0(VALU_DEP_3) | instskip(NEXT) | instid1(VALU_DEP_2)
	v_lshrrev_b32_e32 v160, 16, v28
	v_lshlrev_b16 v159, 8, v159
	s_delay_alu instid0(VALU_DEP_2) | instskip(SKIP_3) | instid1(VALU_DEP_1)
	v_sub_nc_u16 v160, v160, v161
	v_lshrrev_b16 v161, 8, v28
	v_sub_nc_u16 v28, v28, v156
	v_lshrrev_b16 v156, 8, v156
	v_sub_nc_u16 v156, v161, v156
	v_and_b32_e32 v161, 0xff, v40
	s_delay_alu instid0(VALU_DEP_2) | instskip(NEXT) | instid1(VALU_DEP_2)
	v_lshlrev_b16 v156, 8, v156
	v_or_b32_e32 v38, v161, v38
	v_and_b32_e32 v161, 0xff, v26
	s_delay_alu instid0(VALU_DEP_2) | instskip(NEXT) | instid1(VALU_DEP_2)
	v_perm_b32 v26, v26, v38, 0x4010c0c
	v_or_b32_e32 v2, v161, v2
	v_and_b32_e32 v161, 0xff, v150
	s_delay_alu instid0(VALU_DEP_2) | instskip(NEXT) | instid1(VALU_DEP_2)
	v_perm_b32 v2, v40, v2, 0xc0c0401
	v_or_b32_e32 v44, v161, v44
	v_and_b32_e32 v161, 0xff, v4
	s_delay_alu instid0(VALU_DEP_3) | instskip(SKIP_1) | instid1(VALU_DEP_3)
	v_or_b32_e32 v2, v26, v2
	v_ashrrev_i32_e32 v26, s25, v31
	v_or_b32_e32 v42, v161, v42
	v_and_b32_e32 v161, 0xff, v154
	v_ashrrev_i32_e32 v31, s25, v35
	v_ashrrev_i32_e32 v35, s1, v39
	v_perm_b32 v4, v4, v44, 0x4010c0c
	v_perm_b32 v38, v150, v42, 0xc0c0401
	v_or_b32_e32 v153, v161, v153
	v_and_b32_e32 v161, 0xff, v0
	v_lshlrev_b32_e32 v35, 2, v35
	v_ashrrev_i32_e32 v39, s1, v45
	v_or_b32_e32 v4, v4, v38
	v_perm_b32 v0, v0, v153, 0x4010c0c
	v_or_b32_e32 v6, v161, v6
	v_and_b32_e32 v161, 0xff, v160
	v_and_b32_e32 v35, 0x4040404, v35
	v_ashrrev_i32_e32 v38, s1, v43
	v_dot4_i32_iu8 v2, v2, v145, v158 neg_lo:[1,1,0]
	v_perm_b32 v6, v154, v6, 0xc0c0401
	v_or_b32_e32 v159, v161, v159
	v_and_b32_e32 v161, 0xff, v28
	v_lshrrev_b32_e32 v42, 16, v35
	v_lshlrev_b32_e32 v38, 2, v38
	v_or_b32_e32 v0, v0, v6
	v_perm_b32 v28, v28, v159, 0x4010c0c
	v_or_b32_e32 v156, v161, v156
	v_dot4_i32_iu8 v4, v4, v145, v162 neg_lo:[1,1,0]
	v_and_b32_e32 v38, 0x4040404, v38
	v_dot4_i32_iu8 v0, v0, v145, v165 neg_lo:[1,1,0]
	v_lshlrev_b32_e32 v39, 2, v39
	v_perm_b32 v40, v160, v156, 0xc0c0401
	s_delay_alu instid0(VALU_DEP_4) | instskip(NEXT) | instid1(VALU_DEP_3)
	v_lshrrev_b32_e32 v45, 24, v38
	v_and_b32_e32 v39, 0x4040404, v39
	s_delay_alu instid0(VALU_DEP_3)
	v_or_b32_e32 v6, v28, v40
	v_ashrrev_i32_e32 v28, s25, v33
	v_ashrrev_i32_e32 v33, s25, v37
	;; [unrolled: 1-line block ×3, first 2 shown]
	v_bfe_u32 v40, v26, 24, 2
	v_lshrrev_b32_e32 v41, 24, v35
	v_and_b32_e32 v26, 0x3030303, v26
	v_dot4_i32_iu8 v6, v6, v145, v152 neg_lo:[1,1,0]
	v_lshlrev_b32_e32 v37, 2, v37
	v_lshrrev_b32_e32 v145, 16, v38
	v_sub_nc_u16 v40, v40, v41
	v_lshrrev_b32_e32 v41, 16, v26
	v_lshrrev_b32_e32 v150, 24, v39
	v_and_b32_e32 v37, 0x4040404, v37
	v_lshrrev_b32_e32 v152, 16, v39
	v_lshlrev_b16 v40, 8, v40
	v_sub_nc_u16 v41, v41, v42
	v_lshrrev_b16 v42, 8, v26
	v_sub_nc_u16 v26, v26, v35
	v_lshrrev_b16 v35, 8, v35
	v_lshrrev_b32_e32 v43, 24, v37
	v_lshrrev_b32_e32 v44, 16, v37
	s_delay_alu instid0(VALU_DEP_3) | instskip(SKIP_2) | instid1(VALU_DEP_3)
	v_sub_nc_u16 v35, v42, v35
	v_bfe_u32 v42, v28, 24, 2
	v_and_b32_e32 v28, 0x3030303, v28
	v_lshlrev_b16 v35, 8, v35
	s_delay_alu instid0(VALU_DEP_3) | instskip(NEXT) | instid1(VALU_DEP_3)
	v_sub_nc_u16 v42, v42, v43
	v_lshrrev_b32_e32 v43, 16, v28
	s_delay_alu instid0(VALU_DEP_2) | instskip(NEXT) | instid1(VALU_DEP_2)
	v_lshlrev_b16 v42, 8, v42
	v_sub_nc_u16 v43, v43, v44
	v_lshrrev_b16 v44, 8, v28
	v_sub_nc_u16 v28, v28, v37
	v_lshrrev_b16 v37, 8, v37
	s_delay_alu instid0(VALU_DEP_1) | instskip(SKIP_2) | instid1(VALU_DEP_3)
	v_sub_nc_u16 v37, v44, v37
	v_bfe_u32 v44, v31, 24, 2
	v_and_b32_e32 v31, 0x3030303, v31
	v_lshlrev_b16 v37, 8, v37
	s_delay_alu instid0(VALU_DEP_3) | instskip(NEXT) | instid1(VALU_DEP_3)
	v_sub_nc_u16 v44, v44, v45
	v_lshrrev_b32_e32 v45, 16, v31
	s_delay_alu instid0(VALU_DEP_2) | instskip(NEXT) | instid1(VALU_DEP_2)
	v_lshlrev_b16 v44, 8, v44
	v_sub_nc_u16 v45, v45, v145
	v_lshrrev_b16 v145, 8, v31
	v_sub_nc_u16 v31, v31, v38
	v_lshrrev_b16 v38, 8, v38
	s_delay_alu instid0(VALU_DEP_1) | instskip(SKIP_2) | instid1(VALU_DEP_3)
	v_sub_nc_u16 v38, v145, v38
	v_bfe_u32 v145, v33, 24, 2
	v_and_b32_e32 v33, 0x3030303, v33
	v_lshlrev_b16 v38, 8, v38
	s_delay_alu instid0(VALU_DEP_3) | instskip(NEXT) | instid1(VALU_DEP_3)
	v_sub_nc_u16 v145, v145, v150
	v_lshrrev_b32_e32 v150, 16, v33
	s_delay_alu instid0(VALU_DEP_2) | instskip(NEXT) | instid1(VALU_DEP_2)
	v_lshlrev_b16 v145, 8, v145
	v_sub_nc_u16 v150, v150, v152
	v_lshrrev_b16 v152, 8, v33
	v_sub_nc_u16 v33, v33, v39
	v_lshrrev_b16 v39, 8, v39
	s_delay_alu instid0(VALU_DEP_1) | instskip(SKIP_1) | instid1(VALU_DEP_2)
	v_sub_nc_u16 v39, v152, v39
	v_and_b32_e32 v152, 0xff, v41
	v_lshlrev_b16 v39, 8, v39
	s_delay_alu instid0(VALU_DEP_2) | instskip(SKIP_1) | instid1(VALU_DEP_2)
	v_or_b32_e32 v40, v152, v40
	v_and_b32_e32 v152, 0xff, v26
	v_perm_b32 v26, v26, v40, 0x4010c0c
	s_delay_alu instid0(VALU_DEP_2) | instskip(SKIP_2) | instid1(VALU_DEP_3)
	v_or_b32_e32 v35, v152, v35
	v_and_b32_e32 v152, 0xff, v43
	v_lshrrev_b32_e32 v40, 16, v7
	v_perm_b32 v35, v41, v35, 0xc0c0401
	s_delay_alu instid0(VALU_DEP_3) | instskip(SKIP_1) | instid1(VALU_DEP_3)
	v_or_b32_e32 v42, v152, v42
	v_and_b32_e32 v152, 0xff, v28
	v_or_b32_e32 v26, v26, v35
	s_delay_alu instid0(VALU_DEP_3) | instskip(NEXT) | instid1(VALU_DEP_3)
	v_perm_b32 v28, v28, v42, 0x4010c0c
	v_or_b32_e32 v37, v152, v37
	v_and_b32_e32 v152, 0xff, v45
	v_lshrrev_b32_e32 v35, 24, v3
	v_dot4_i32_iu8 v26, v26, v144, v30 neg_lo:[1,1,0]
	s_delay_alu instid0(VALU_DEP_4) | instskip(NEXT) | instid1(VALU_DEP_4)
	v_perm_b32 v37, v43, v37, 0xc0c0401
	v_or_b32_e32 v44, v152, v44
	v_and_b32_e32 v152, 0xff, v31
	s_delay_alu instid0(VALU_DEP_3) | instskip(NEXT) | instid1(VALU_DEP_3)
	v_or_b32_e32 v28, v28, v37
	v_perm_b32 v31, v31, v44, 0x4010c0c
	s_delay_alu instid0(VALU_DEP_3) | instskip(SKIP_1) | instid1(VALU_DEP_4)
	v_or_b32_e32 v38, v152, v38
	v_and_b32_e32 v152, 0xff, v150
	v_dot4_i32_iu8 v28, v28, v144, v32 neg_lo:[1,1,0]
	v_ashrrev_i32_e32 v32, s1, v155
	s_delay_alu instid0(VALU_DEP_4) | instskip(NEXT) | instid1(VALU_DEP_4)
	v_perm_b32 v38, v45, v38, 0xc0c0401
	v_or_b32_e32 v145, v152, v145
	v_and_b32_e32 v152, 0xff, v33
	s_delay_alu instid0(VALU_DEP_4) | instskip(NEXT) | instid1(VALU_DEP_4)
	v_lshlrev_b32_e32 v32, 2, v32
	v_or_b32_e32 v31, v31, v38
	s_delay_alu instid0(VALU_DEP_4) | instskip(NEXT) | instid1(VALU_DEP_4)
	v_perm_b32 v33, v33, v145, 0x4010c0c
	v_or_b32_e32 v39, v152, v39
	s_delay_alu instid0(VALU_DEP_4) | instskip(NEXT) | instid1(VALU_DEP_4)
	v_and_b32_e32 v32, 0x4040404, v32
	v_dot4_i32_iu8 v30, v31, v144, v34 neg_lo:[1,1,0]
	v_bfe_u32 v34, v27, 24, 2
	s_delay_alu instid0(VALU_DEP_4)
	v_perm_b32 v39, v150, v39, 0xc0c0401
	v_and_b32_e32 v27, 0x3030303, v27
	v_lshrrev_b32_e32 v37, 24, v32
	v_lshrrev_b32_e32 v38, 16, v32
	v_sub_nc_u16 v34, v34, v35
	v_or_b32_e32 v33, v33, v39
	v_lshrrev_b32_e32 v35, 16, v27
	v_lshrrev_b32_e32 v39, 24, v7
	s_delay_alu instid0(VALU_DEP_4) | instskip(NEXT) | instid1(VALU_DEP_4)
	v_lshlrev_b16 v34, 8, v34
	v_dot4_i32_iu8 v31, v33, v144, v36 neg_lo:[1,1,0]
	v_lshrrev_b32_e32 v36, 16, v3
	v_ashrrev_i32_e32 v33, s1, v157
	s_add_i32 s1, s1, 1
	s_cmp_lt_u32 s25, 6
	s_delay_alu instid0(VALU_DEP_2) | instskip(SKIP_4) | instid1(VALU_DEP_2)
	v_sub_nc_u16 v35, v35, v36
	v_lshrrev_b16 v36, 8, v27
	v_sub_nc_u16 v27, v27, v3
	v_lshrrev_b16 v3, 8, v3
	v_lshlrev_b32_e32 v33, 2, v33
	v_sub_nc_u16 v3, v36, v3
	v_bfe_u32 v36, v5, 24, 2
	v_and_b32_e32 v5, 0x3030303, v5
	s_delay_alu instid0(VALU_DEP_4) | instskip(NEXT) | instid1(VALU_DEP_4)
	v_and_b32_e32 v33, 0x4040404, v33
	v_lshlrev_b16 v3, 8, v3
	s_delay_alu instid0(VALU_DEP_4) | instskip(NEXT) | instid1(VALU_DEP_4)
	v_sub_nc_u16 v36, v36, v37
	v_lshrrev_b32_e32 v37, 16, v5
	s_delay_alu instid0(VALU_DEP_4) | instskip(SKIP_1) | instid1(VALU_DEP_4)
	v_lshrrev_b32_e32 v41, 24, v33
	v_lshrrev_b32_e32 v42, 16, v33
	v_lshlrev_b16 v36, 8, v36
	s_delay_alu instid0(VALU_DEP_4) | instskip(SKIP_3) | instid1(VALU_DEP_1)
	v_sub_nc_u16 v37, v37, v38
	v_lshrrev_b16 v38, 8, v5
	v_sub_nc_u16 v5, v5, v32
	v_lshrrev_b16 v32, 8, v32
	v_sub_nc_u16 v32, v38, v32
	v_bfe_u32 v38, v1, 24, 2
	v_and_b32_e32 v1, 0x3030303, v1
	s_delay_alu instid0(VALU_DEP_3) | instskip(NEXT) | instid1(VALU_DEP_3)
	v_lshlrev_b16 v32, 8, v32
	v_sub_nc_u16 v38, v38, v39
	s_delay_alu instid0(VALU_DEP_3) | instskip(NEXT) | instid1(VALU_DEP_2)
	v_lshrrev_b32_e32 v39, 16, v1
	v_lshlrev_b16 v38, 8, v38
	s_delay_alu instid0(VALU_DEP_2) | instskip(SKIP_3) | instid1(VALU_DEP_1)
	v_sub_nc_u16 v39, v39, v40
	v_lshrrev_b16 v40, 8, v1
	v_sub_nc_u16 v1, v1, v7
	v_lshrrev_b16 v7, 8, v7
	v_sub_nc_u16 v7, v40, v7
	v_bfe_u32 v40, v29, 24, 2
	v_and_b32_e32 v29, 0x3030303, v29
	s_delay_alu instid0(VALU_DEP_3) | instskip(NEXT) | instid1(VALU_DEP_3)
	v_lshlrev_b16 v7, 8, v7
	v_sub_nc_u16 v40, v40, v41
	s_delay_alu instid0(VALU_DEP_3) | instskip(NEXT) | instid1(VALU_DEP_2)
	v_lshrrev_b32_e32 v41, 16, v29
	v_lshlrev_b16 v40, 8, v40
	s_delay_alu instid0(VALU_DEP_2) | instskip(SKIP_3) | instid1(VALU_DEP_1)
	v_sub_nc_u16 v41, v41, v42
	v_lshrrev_b16 v42, 8, v29
	v_sub_nc_u16 v29, v29, v33
	v_lshrrev_b16 v33, 8, v33
	v_sub_nc_u16 v33, v42, v33
	v_and_b32_e32 v42, 0xff, v35
	s_delay_alu instid0(VALU_DEP_2) | instskip(NEXT) | instid1(VALU_DEP_2)
	v_lshlrev_b16 v33, 8, v33
	v_or_b32_e32 v34, v42, v34
	v_and_b32_e32 v42, 0xff, v27
	s_delay_alu instid0(VALU_DEP_2) | instskip(NEXT) | instid1(VALU_DEP_2)
	v_perm_b32 v27, v27, v34, 0x4010c0c
	v_or_b32_e32 v3, v42, v3
	v_and_b32_e32 v42, 0xff, v37
	s_delay_alu instid0(VALU_DEP_2) | instskip(NEXT) | instid1(VALU_DEP_2)
	v_perm_b32 v3, v35, v3, 0xc0c0401
	v_or_b32_e32 v36, v42, v36
	v_and_b32_e32 v42, 0xff, v5
	s_delay_alu instid0(VALU_DEP_3) | instskip(NEXT) | instid1(VALU_DEP_3)
	v_or_b32_e32 v3, v27, v3
	v_perm_b32 v5, v5, v36, 0x4010c0c
	s_delay_alu instid0(VALU_DEP_3) | instskip(SKIP_1) | instid1(VALU_DEP_4)
	v_or_b32_e32 v32, v42, v32
	v_and_b32_e32 v42, 0xff, v39
	v_dot4_i32_iu8 v27, v3, v141, v2 neg_lo:[1,1,0]
	v_add3_u32 v2, v111, s26, v151
	v_add3_u32 v3, v109, s26, v151
	s_delay_alu instid0(VALU_DEP_4)
	v_or_b32_e32 v38, v42, v38
	v_and_b32_e32 v42, 0xff, v1
	ds_load_u16 v2, v2 offset:25346
	ds_load_u16 v3, v3 offset:27394
	v_perm_b32 v32, v37, v32, 0xc0c0401
	v_perm_b32 v1, v1, v38, 0x4010c0c
	v_or_b32_e32 v7, v42, v7
	v_and_b32_e32 v42, 0xff, v41
	s_mov_b32 s26, s25
	v_or_b32_e32 v5, v5, v32
	s_delay_alu instid0(VALU_DEP_3) | instskip(NEXT) | instid1(VALU_DEP_3)
	v_perm_b32 v7, v39, v7, 0xc0c0401
	v_or_b32_e32 v40, v42, v40
	v_and_b32_e32 v42, 0xff, v29
	s_delay_alu instid0(VALU_DEP_3) | instskip(NEXT) | instid1(VALU_DEP_3)
	v_or_b32_e32 v1, v1, v7
	v_perm_b32 v29, v29, v40, 0x4010c0c
	s_delay_alu instid0(VALU_DEP_3) | instskip(NEXT) | instid1(VALU_DEP_3)
	v_or_b32_e32 v33, v42, v33
	v_dot4_i32_iu8 v32, v1, v141, v0 neg_lo:[1,1,0]
	v_lshrrev_b16 v1, 8, v148
	s_delay_alu instid0(VALU_DEP_3)
	v_perm_b32 v33, v41, v33, 0xc0c0401
	s_waitcnt lgkmcnt(0)
	v_lshrrev_b16 v0, 8, v3
	v_bfe_i32 v3, v3, 0, 8
	v_bfe_i32 v36, v1, 0, 8
	v_or_b32_e32 v7, v29, v33
	v_dot4_i32_iu8 v29, v5, v141, v4 neg_lo:[1,1,0]
	v_lshrrev_b16 v4, 8, v2
	v_bfe_i32 v2, v2, 0, 8
	v_bfe_i32 v5, v148, 0, 8
	;; [unrolled: 1-line block ×5, first 2 shown]
	v_mul_lo_u32 v0, v26, v2
	v_mul_lo_u32 v1, v28, v5
	v_dot4_i32_iu8 v7, v7, v141, v6 neg_lo:[1,1,0]
	v_lshrrev_b16 v6, 8, v149
	v_mul_lo_u32 v2, v30, v3
	v_mul_lo_u32 v3, v31, v33
	s_delay_alu instid0(VALU_DEP_3) | instskip(SKIP_1) | instid1(VALU_DEP_4)
	v_bfe_i32 v37, v6, 0, 8
	v_mad_u64_u32 v[4:5], null, v27, v34, v[0:1]
	v_mad_u64_u32 v[5:6], null, v29, v36, v[1:2]
	s_delay_alu instid0(VALU_DEP_4) | instskip(SKIP_1) | instid1(VALU_DEP_4)
	v_mad_u64_u32 v[0:1], null, v32, v35, v[2:3]
	v_mul_f32_e32 v6, v140, v146
	v_mad_u64_u32 v[1:2], null, v7, v37, v[3:4]
	v_mul_f32_e32 v2, v140, v142
	v_mul_f32_e32 v3, v140, v143
	;; [unrolled: 1-line block ×3, first 2 shown]
	v_cvt_f32_i32_e32 v4, v4
	v_cvt_f32_i32_e32 v5, v5
	v_cvt_f32_i32_e32 v0, v0
	v_cvt_f32_i32_e32 v1, v1
	s_delay_alu instid0(VALU_DEP_4) | instskip(NEXT) | instid1(VALU_DEP_3)
	v_fmac_f32_e32 v49, v2, v4
	v_dual_fmac_f32 v134, v6, v5 :: v_dual_fmac_f32 v135, v3, v0
	s_delay_alu instid0(VALU_DEP_3)
	v_fmac_f32_e32 v136, v7, v1
	s_cbranch_scc1 .LBB210_12
; %bb.13:                               ;   in Loop: Header=BB210_5 Depth=1
	s_or_b32 s1, s6, 0x80
	s_delay_alu instid0(SALU_CYCLE_1)
	s_cmp_ge_i32 s1, s5
	s_barrier
	buffer_gl0_inv
	s_cbranch_scc1 .LBB210_4
; %bb.14:                               ;   in Loop: Header=BB210_5 Depth=1
	v_add_nc_u32_e32 v0, s20, v104
	s_delay_alu instid0(VALU_DEP_1) | instskip(NEXT) | instid1(VALU_DEP_1)
	v_cmp_gt_i32_e64 s1, s8, v0
	s_and_b32 s21, s0, s1
	s_delay_alu instid0(SALU_CYCLE_1)
	s_and_saveexec_b32 s1, s21
	s_cbranch_execz .LBB210_16
; %bb.15:                               ;   in Loop: Header=BB210_5 Depth=1
	v_add_nc_u32_e32 v2, v100, v0
	s_delay_alu instid0(VALU_DEP_1)
	v_mad_i64_i32 v[0:1], null, v2, 36, v[24:25]
	global_load_b32 v0, v[0:1], off offset:4
	s_waitcnt vmcnt(0)
	ds_store_b32 v88, v0
.LBB210_16:                             ;   in Loop: Header=BB210_5 Depth=1
	s_or_b32 exec_lo, exec_lo, s1
	s_and_saveexec_b32 s21, vcc_lo
	s_cbranch_execz .LBB210_19
; %bb.17:                               ;   in Loop: Header=BB210_5 Depth=1
	v_or_b32_e32 v0, s20, v47
	s_delay_alu instid0(VALU_DEP_1) | instskip(NEXT) | instid1(VALU_DEP_1)
	v_or_b32_e32 v1, 4, v0
	v_cmp_gt_i32_e64 s1, s8, v1
	s_delay_alu instid0(VALU_DEP_1) | instskip(NEXT) | instid1(SALU_CYCLE_1)
	s_and_b32 s1, s0, s1
	s_and_b32 exec_lo, exec_lo, s1
	s_cbranch_execz .LBB210_19
; %bb.18:                               ;   in Loop: Header=BB210_5 Depth=1
	v_ashrrev_i32_e32 v1, 31, v0
	v_add_co_u32 v2, s1, v100, v0
	s_delay_alu instid0(VALU_DEP_1) | instskip(NEXT) | instid1(VALU_DEP_2)
	v_add_co_ci_u32_e64 v3, s1, v107, v1, s1
	v_mad_u64_u32 v[0:1], null, v2, 36, s[14:15]
	s_delay_alu instid0(VALU_DEP_1)
	v_mad_i32_i24 v1, v3, 36, v1
	global_load_b32 v0, v[0:1], off
	s_waitcnt vmcnt(0)
	v_cvt_f32_f16_e32 v0, v0
	ds_store_b32 v89, v0
.LBB210_19:                             ;   in Loop: Header=BB210_5 Depth=1
	s_or_b32 exec_lo, exec_lo, s21
	v_dual_mov_b32 v138, v112 :: v_dual_mov_b32 v139, v113
	s_mov_b32 s1, 8
	s_mov_b32 s21, 0
	;; [unrolled: 1-line block ×3, first 2 shown]
	s_waitcnt lgkmcnt(0)
	s_barrier
	buffer_gl0_inv
.LBB210_20:                             ;   Parent Loop BB210_5 Depth=1
                                        ; =>  This Inner Loop Header: Depth=2
	s_add_i32 s26, s21, 8
	ds_load_b128 v[4:7], v138
	ds_load_b128 v[0:3], v138 offset:16
	s_and_b32 s28, s26, 0x3ffffff8
	s_lshr_b32 s27, s26, 4
	s_lshl_b32 s28, s28, 2
	s_lshl_b32 s29, s27, 2
	v_add_nc_u32_e32 v147, s28, v92
	v_add_nc_u32_e32 v148, s28, v95
	;; [unrolled: 1-line block ×5, first 2 shown]
	ds_load_2addr_b32 v[28:29], v147 offset1:1
	ds_load_2addr_b32 v[34:35], v148 offset1:1
	ds_load_2addr_b32 v[26:27], v147 offset0:6 offset1:7
	ds_load_2addr_b32 v[30:31], v147 offset0:2 offset1:3
	;; [unrolled: 1-line block ×3, first 2 shown]
	ds_load_b32 v141, v36
	s_lshl_b32 s27, s27, 3
	v_add_nc_u32_e32 v138, 32, v138
	v_add_lshl_u32 v164, v91, s27, 2
	v_add_lshl_u32 v167, v94, s27, 2
	v_add_lshl_u32 v170, v97, s27, 2
	v_add_lshl_u32 v173, v101, s27, 2
	s_waitcnt lgkmcnt(7)
	v_perm_b32 v150, v6, v6, 0x30201
	s_waitcnt lgkmcnt(6)
	v_perm_b32 v157, v0, v0, 0x30201
	v_perm_b32 v158, v1, v1, 0x30201
	;; [unrolled: 1-line block ×4, first 2 shown]
	v_add_nc_u32_e32 v6, 0x4208, v164
	v_perm_b32 v149, v4, v4, 0x30201
	v_perm_b32 v151, v5, v5, 0x30201
	;; [unrolled: 1-line block ×3, first 2 shown]
	s_waitcnt lgkmcnt(5)
	v_ashrrev_i32_e32 v152, s21, v28
	s_waitcnt lgkmcnt(4)
	v_ashrrev_i32_e32 v154, s21, v34
	v_ashrrev_i32_e32 v155, s21, v35
	ds_load_2addr_b32 v[2:3], v156 offset1:1
	ds_load_2addr_b32 v[0:1], v156 offset0:6 offset1:7
	ds_load_2addr_b32 v[34:35], v156 offset0:2 offset1:3
	v_ashrrev_i32_e32 v153, s21, v29
	v_bfe_u32 v174, v152, 24, 2
	v_and_b32_e32 v152, 0x3030303, v152
	v_add_nc_u32_e32 v42, 0x4208, v170
	s_and_b32 s27, s1, -16
	s_waitcnt lgkmcnt(5)
	v_ashrrev_i32_e32 v30, s21, v30
	s_waitcnt lgkmcnt(4)
	v_ashrrev_i32_e32 v32, s21, v32
	v_ashrrev_i32_e32 v26, s21, v26
	;; [unrolled: 1-line block ×3, first 2 shown]
	s_add_i32 s1, s1, 2
	s_waitcnt lgkmcnt(2)
	v_ashrrev_i32_e32 v159, s21, v2
	v_add_nc_u32_e32 v2, s29, v99
	v_ashrrev_i32_e32 v160, s21, v3
	ds_load_2addr_b32 v[36:37], v161 offset0:2 offset1:3
	ds_load_b32 v142, v2
	ds_load_2addr_b32 v[2:3], v161 offset1:1
	s_waitcnt lgkmcnt(3)
	v_ashrrev_i32_e32 v34, s21, v34
	v_ashrrev_i32_e32 v0, s21, v0
	;; [unrolled: 1-line block ×3, first 2 shown]
	s_waitcnt lgkmcnt(2)
	v_ashrrev_i32_e32 v36, s21, v36
	s_waitcnt lgkmcnt(0)
	v_ashrrev_i32_e32 v162, s21, v2
	v_add_nc_u32_e32 v2, 0x4200, v164
	v_ashrrev_i32_e32 v163, s21, v3
	v_add_nc_u32_e32 v3, 0x4218, v164
	ds_load_2addr_b32 v[4:5], v2 offset1:1
	ds_load_2addr_b32 v[2:3], v3 offset1:1
	;; [unrolled: 1-line block ×3, first 2 shown]
	s_waitcnt lgkmcnt(2)
	v_ashrrev_i32_e32 v165, s25, v4
	v_add_nc_u32_e32 v4, 0x4200, v167
	v_ashrrev_i32_e32 v166, s25, v5
	v_add_nc_u32_e32 v5, 0x4208, v167
	ds_load_2addr_b32 v[6:7], v4 offset1:1
	ds_load_2addr_b32 v[40:41], v5 offset1:1
	ds_load_2addr_b32 v[4:5], v148 offset0:6 offset1:7
	v_lshlrev_b32_e32 v165, 2, v165
	v_lshlrev_b32_e32 v166, 2, v166
	s_waitcnt lgkmcnt(3)
	v_ashrrev_i32_e32 v38, s25, v38
	v_ashrrev_i32_e32 v2, s25, v2
	;; [unrolled: 1-line block ×3, first 2 shown]
	v_and_b32_e32 v165, 0x4040404, v165
	v_and_b32_e32 v166, 0x4040404, v166
	v_lshlrev_b32_e32 v38, 2, v38
	v_lshlrev_b32_e32 v2, 2, v2
	;; [unrolled: 1-line block ×3, first 2 shown]
	v_lshrrev_b32_e32 v175, 24, v165
	v_lshrrev_b32_e32 v176, 16, v165
	;; [unrolled: 1-line block ×4, first 2 shown]
	v_and_b32_e32 v38, 0x4040404, v38
	v_sub_nc_u16 v174, v174, v175
	v_lshrrev_b32_e32 v175, 16, v152
	s_waitcnt lgkmcnt(2)
	v_ashrrev_i32_e32 v168, s25, v6
	v_add_nc_u32_e32 v6, 0x4200, v170
	v_ashrrev_i32_e32 v169, s25, v7
	v_add_nc_u32_e32 v7, 0x4218, v170
	v_sub_nc_u16 v175, v175, v176
	v_lshrrev_b16 v176, 8, v152
	v_sub_nc_u16 v152, v152, v165
	v_lshrrev_b16 v165, 8, v165
	v_lshlrev_b32_e32 v168, 2, v168
	ds_load_2addr_b32 v[28:29], v6 offset1:1
	ds_load_2addr_b32 v[6:7], v7 offset1:1
	;; [unrolled: 1-line block ×3, first 2 shown]
	v_lshlrev_b32_e32 v169, 2, v169
	v_lshlrev_b16 v174, 8, v174
	v_sub_nc_u16 v165, v176, v165
	v_bfe_u32 v176, v153, 24, 2
	v_and_b32_e32 v153, 0x3030303, v153
	v_and_b32_e32 v168, 0x4040404, v168
	;; [unrolled: 1-line block ×3, first 2 shown]
	v_lshlrev_b16 v165, 8, v165
	v_sub_nc_u16 v176, v176, v177
	v_lshrrev_b32_e32 v177, 16, v153
	v_lshrrev_b32_e32 v179, 24, v168
	;; [unrolled: 1-line block ×5, first 2 shown]
	v_sub_nc_u16 v177, v177, v178
	v_lshrrev_b16 v178, 8, v153
	v_sub_nc_u16 v153, v153, v166
	v_lshrrev_b16 v166, 8, v166
	s_waitcnt lgkmcnt(2)
	v_ashrrev_i32_e32 v171, s25, v28
	v_add_nc_u32_e32 v28, 0x4200, v173
	v_ashrrev_i32_e32 v172, s25, v29
	v_add_nc_u32_e32 v29, 0x4208, v173
	v_sub_nc_u16 v166, v178, v166
	v_bfe_u32 v178, v154, 24, 2
	v_and_b32_e32 v154, 0x3030303, v154
	v_lshlrev_b32_e32 v171, 2, v171
	ds_load_2addr_b32 v[145:146], v28 offset1:1
	ds_load_2addr_b32 v[44:45], v29 offset1:1
	ds_load_2addr_b32 v[28:29], v161 offset0:6 offset1:7
	v_lshlrev_b32_e32 v172, 2, v172
	v_sub_nc_u16 v178, v178, v179
	v_lshrrev_b32_e32 v179, 16, v154
	v_and_b32_e32 v171, 0x4040404, v171
	v_lshlrev_b16 v176, 8, v176
	v_and_b32_e32 v172, 0x4040404, v172
	v_lshlrev_b16 v166, 8, v166
	v_sub_nc_u16 v179, v179, v180
	v_lshrrev_b16 v180, 8, v154
	v_sub_nc_u16 v154, v154, v168
	v_lshrrev_b16 v168, 8, v168
	v_lshrrev_b32_e32 v183, 24, v171
	v_lshrrev_b32_e32 v184, 16, v171
	;; [unrolled: 1-line block ×4, first 2 shown]
	v_sub_nc_u16 v168, v180, v168
	v_bfe_u32 v180, v155, 24, 2
	v_and_b32_e32 v155, 0x3030303, v155
	s_waitcnt lgkmcnt(2)
	v_ashrrev_i32_e32 v145, s25, v145
	v_ashrrev_i32_e32 v146, s25, v146
	v_lshlrev_b16 v178, 8, v178
	v_sub_nc_u16 v180, v180, v181
	v_lshrrev_b32_e32 v181, 16, v155
	v_lshlrev_b32_e32 v145, 2, v145
	v_lshlrev_b32_e32 v146, 2, v146
	v_lshlrev_b16 v168, 8, v168
	v_lshlrev_b16 v180, 8, v180
	v_sub_nc_u16 v181, v181, v182
	v_lshrrev_b16 v182, 8, v155
	v_sub_nc_u16 v155, v155, v169
	v_lshrrev_b16 v169, 8, v169
	v_and_b32_e32 v145, 0x4040404, v145
	v_and_b32_e32 v146, 0x4040404, v146
	v_ashrrev_i32_e32 v40, s25, v40
	v_ashrrev_i32_e32 v42, s25, v42
	v_sub_nc_u16 v169, v182, v169
	v_bfe_u32 v182, v159, 24, 2
	v_and_b32_e32 v159, 0x3030303, v159
	v_lshrrev_b32_e32 v187, 24, v145
	v_lshrrev_b32_e32 v188, 16, v145
	;; [unrolled: 1-line block ×3, first 2 shown]
	v_sub_nc_u16 v182, v182, v183
	v_lshrrev_b32_e32 v183, 16, v159
	v_lshrrev_b32_e32 v190, 16, v146
	v_lshlrev_b16 v169, 8, v169
	v_lshlrev_b32_e32 v40, 2, v40
	v_lshlrev_b16 v182, 8, v182
	v_sub_nc_u16 v183, v183, v184
	v_lshrrev_b16 v184, 8, v159
	v_sub_nc_u16 v159, v159, v171
	v_lshrrev_b16 v171, 8, v171
	v_and_b32_e32 v40, 0x4040404, v40
	v_lshlrev_b32_e32 v42, 2, v42
	s_waitcnt lgkmcnt(1)
	v_ashrrev_i32_e32 v44, s25, v44
	v_and_b32_e32 v2, 0x4040404, v2
	v_sub_nc_u16 v171, v184, v171
	v_bfe_u32 v184, v160, 24, 2
	v_and_b32_e32 v160, 0x3030303, v160
	v_and_b32_e32 v42, 0x4040404, v42
	v_lshlrev_b32_e32 v44, 2, v44
	v_lshlrev_b16 v171, 8, v171
	v_sub_nc_u16 v184, v184, v185
	v_lshrrev_b32_e32 v185, 16, v160
	v_ashrrev_i32_e32 v4, s21, v4
	v_and_b32_e32 v44, 0x4040404, v44
	v_ashrrev_i32_e32 v6, s25, v6
	v_lshlrev_b16 v184, 8, v184
	v_sub_nc_u16 v185, v185, v186
	v_lshrrev_b16 v186, 8, v160
	v_sub_nc_u16 v160, v160, v172
	v_lshrrev_b16 v172, 8, v172
	v_lshlrev_b32_e32 v6, 2, v6
	s_waitcnt lgkmcnt(0)
	v_ashrrev_i32_e32 v28, s21, v28
	v_and_b32_e32 v3, 0x4040404, v3
	v_ashrrev_i32_e32 v5, s21, v5
	v_sub_nc_u16 v172, v186, v172
	v_bfe_u32 v186, v162, 24, 2
	v_and_b32_e32 v162, 0x3030303, v162
	v_and_b32_e32 v6, 0x4040404, v6
	v_ashrrev_i32_e32 v7, s25, v7
	v_lshlrev_b16 v172, 8, v172
	v_sub_nc_u16 v186, v186, v187
	v_lshrrev_b32_e32 v187, 16, v162
	v_ashrrev_i32_e32 v29, s21, v29
	v_lshlrev_b32_e32 v7, 2, v7
	s_delay_alu instid0(VALU_DEP_4) | instskip(NEXT) | instid1(VALU_DEP_4)
	v_lshlrev_b16 v186, 8, v186
	v_sub_nc_u16 v187, v187, v188
	v_lshrrev_b16 v188, 8, v162
	v_sub_nc_u16 v162, v162, v145
	v_lshrrev_b16 v145, 8, v145
	v_and_b32_e32 v7, 0x4040404, v7
	s_delay_alu instid0(VALU_DEP_2) | instskip(SKIP_2) | instid1(VALU_DEP_3)
	v_sub_nc_u16 v145, v188, v145
	v_bfe_u32 v188, v163, 24, 2
	v_and_b32_e32 v163, 0x3030303, v163
	v_lshlrev_b16 v145, 8, v145
	s_delay_alu instid0(VALU_DEP_3) | instskip(NEXT) | instid1(VALU_DEP_3)
	v_sub_nc_u16 v188, v188, v189
	v_lshrrev_b32_e32 v189, 16, v163
	s_delay_alu instid0(VALU_DEP_2) | instskip(NEXT) | instid1(VALU_DEP_2)
	v_lshlrev_b16 v188, 8, v188
	v_sub_nc_u16 v189, v189, v190
	v_lshrrev_b16 v190, 8, v163
	v_sub_nc_u16 v163, v163, v146
	v_lshrrev_b16 v146, 8, v146
	s_delay_alu instid0(VALU_DEP_1) | instskip(SKIP_1) | instid1(VALU_DEP_2)
	v_sub_nc_u16 v146, v190, v146
	v_and_b32_e32 v190, 0xff, v175
	v_lshlrev_b16 v146, 8, v146
	s_delay_alu instid0(VALU_DEP_2) | instskip(SKIP_1) | instid1(VALU_DEP_2)
	v_or_b32_e32 v174, v190, v174
	v_and_b32_e32 v190, 0xff, v152
	v_perm_b32 v152, v152, v174, 0x4010c0c
	s_delay_alu instid0(VALU_DEP_2) | instskip(SKIP_1) | instid1(VALU_DEP_2)
	v_or_b32_e32 v165, v190, v165
	v_and_b32_e32 v190, 0xff, v177
	v_perm_b32 v165, v175, v165, 0xc0c0401
	s_delay_alu instid0(VALU_DEP_2) | instskip(SKIP_1) | instid1(VALU_DEP_3)
	v_or_b32_e32 v176, v190, v176
	v_and_b32_e32 v190, 0xff, v153
	v_or_b32_e32 v152, v152, v165
	s_delay_alu instid0(VALU_DEP_3) | instskip(NEXT) | instid1(VALU_DEP_3)
	v_perm_b32 v153, v153, v176, 0x4010c0c
	v_or_b32_e32 v166, v190, v166
	v_and_b32_e32 v190, 0xff, v179
	s_delay_alu instid0(VALU_DEP_4) | instskip(NEXT) | instid1(VALU_DEP_3)
	v_dot4_i32_iu8 v152, v152, v149, 0 neg_lo:[1,1,0]
	v_perm_b32 v166, v177, v166, 0xc0c0401
	s_delay_alu instid0(VALU_DEP_3) | instskip(SKIP_1) | instid1(VALU_DEP_3)
	v_or_b32_e32 v178, v190, v178
	v_and_b32_e32 v190, 0xff, v154
	v_or_b32_e32 v153, v153, v166
	s_delay_alu instid0(VALU_DEP_3) | instskip(NEXT) | instid1(VALU_DEP_3)
	v_perm_b32 v154, v154, v178, 0x4010c0c
	v_or_b32_e32 v168, v190, v168
	v_and_b32_e32 v190, 0xff, v181
	s_delay_alu instid0(VALU_DEP_2) | instskip(NEXT) | instid1(VALU_DEP_2)
	v_perm_b32 v168, v179, v168, 0xc0c0401
	v_or_b32_e32 v180, v190, v180
	v_and_b32_e32 v190, 0xff, v155
	s_delay_alu instid0(VALU_DEP_3) | instskip(NEXT) | instid1(VALU_DEP_3)
	v_or_b32_e32 v154, v154, v168
	v_perm_b32 v155, v155, v180, 0x4010c0c
	s_delay_alu instid0(VALU_DEP_3) | instskip(SKIP_1) | instid1(VALU_DEP_4)
	v_or_b32_e32 v169, v190, v169
	v_and_b32_e32 v190, 0xff, v183
	v_dot4_i32_iu8 v154, v154, v149, 0 neg_lo:[1,1,0]
	s_delay_alu instid0(VALU_DEP_3) | instskip(NEXT) | instid1(VALU_DEP_3)
	v_perm_b32 v169, v181, v169, 0xc0c0401
	v_or_b32_e32 v182, v190, v182
	v_and_b32_e32 v190, 0xff, v159
	s_delay_alu instid0(VALU_DEP_3) | instskip(NEXT) | instid1(VALU_DEP_3)
	v_or_b32_e32 v155, v155, v169
	v_perm_b32 v159, v159, v182, 0x4010c0c
	s_delay_alu instid0(VALU_DEP_3) | instskip(SKIP_1) | instid1(VALU_DEP_2)
	v_or_b32_e32 v171, v190, v171
	v_and_b32_e32 v190, 0xff, v185
	v_perm_b32 v171, v183, v171, 0xc0c0401
	s_delay_alu instid0(VALU_DEP_2) | instskip(SKIP_1) | instid1(VALU_DEP_3)
	v_or_b32_e32 v184, v190, v184
	v_and_b32_e32 v190, 0xff, v160
	v_or_b32_e32 v159, v159, v171
	s_delay_alu instid0(VALU_DEP_3) | instskip(NEXT) | instid1(VALU_DEP_3)
	v_perm_b32 v160, v160, v184, 0x4010c0c
	v_or_b32_e32 v172, v190, v172
	v_and_b32_e32 v190, 0xff, v187
	s_delay_alu instid0(VALU_DEP_4) | instskip(NEXT) | instid1(VALU_DEP_3)
	v_dot4_i32_iu8 v159, v159, v149, 0 neg_lo:[1,1,0]
	v_perm_b32 v172, v185, v172, 0xc0c0401
	s_delay_alu instid0(VALU_DEP_3) | instskip(SKIP_1) | instid1(VALU_DEP_3)
	v_or_b32_e32 v186, v190, v186
	v_and_b32_e32 v190, 0xff, v162
	v_or_b32_e32 v160, v160, v172
	s_delay_alu instid0(VALU_DEP_3) | instskip(NEXT) | instid1(VALU_DEP_3)
	v_perm_b32 v162, v162, v186, 0x4010c0c
	v_or_b32_e32 v145, v190, v145
	v_and_b32_e32 v190, 0xff, v189
	s_delay_alu instid0(VALU_DEP_4) | instskip(NEXT) | instid1(VALU_DEP_3)
	v_dot4_i32_iu8 v159, v160, v151, v159 neg_lo:[1,1,0]
	v_perm_b32 v145, v187, v145, 0xc0c0401
	s_delay_alu instid0(VALU_DEP_3) | instskip(SKIP_1) | instid1(VALU_DEP_3)
	v_or_b32_e32 v188, v190, v188
	v_and_b32_e32 v190, 0xff, v163
	v_or_b32_e32 v145, v162, v145
	s_delay_alu instid0(VALU_DEP_3) | instskip(NEXT) | instid1(VALU_DEP_3)
	v_perm_b32 v163, v163, v188, 0x4010c0c
	v_or_b32_e32 v146, v190, v146
	v_dot4_i32_iu8 v162, v153, v151, v152 neg_lo:[1,1,0]
	v_add_nc_u32_e32 v153, 0x4210, v173
	v_dot4_i32_iu8 v145, v145, v149, 0 neg_lo:[1,1,0]
	v_add_nc_u32_e32 v149, s21, v90
	v_perm_b32 v146, v189, v146, 0xc0c0401
	s_delay_alu instid0(VALU_DEP_1) | instskip(SKIP_2) | instid1(VALU_DEP_3)
	v_or_b32_e32 v146, v163, v146
	v_dot4_i32_iu8 v163, v155, v151, v154 neg_lo:[1,1,0]
	v_add_nc_u32_e32 v155, 0x4218, v173
	v_dot4_i32_iu8 v160, v146, v151, v145 neg_lo:[1,1,0]
	ds_load_2addr_b32 v[145:146], v147 offset0:4 offset1:5
	v_add_nc_u32_e32 v147, 0x4210, v167
	v_add_nc_u32_e32 v151, 0x4218, v167
	s_waitcnt lgkmcnt(0)
	v_ashrrev_i32_e32 v165, s21, v145
	v_ashrrev_i32_e32 v166, s21, v146
	ds_load_2addr_b32 v[145:146], v148 offset0:4 offset1:5
	v_bfe_u32 v173, v165, 24, 2
	v_and_b32_e32 v165, 0x3030303, v165
	s_waitcnt lgkmcnt(0)
	v_ashrrev_i32_e32 v168, s21, v145
	v_ashrrev_i32_e32 v169, s21, v146
	ds_load_2addr_b32 v[145:146], v156 offset0:4 offset1:5
	s_waitcnt lgkmcnt(0)
	v_ashrrev_i32_e32 v171, s21, v145
	v_ashrrev_i32_e32 v172, s21, v146
	ds_load_2addr_b32 v[145:146], v161 offset0:4 offset1:5
	s_waitcnt lgkmcnt(0)
	v_ashrrev_i32_e32 v161, s21, v145
	v_add_nc_u32_e32 v145, 0x4210, v164
	v_ashrrev_i32_e32 v174, s21, v146
	ds_load_2addr_b32 v[145:146], v145 offset1:1
	s_waitcnt lgkmcnt(0)
	v_ashrrev_i32_e32 v164, s25, v145
	v_add3_u32 v145, v116, s27, v149
	v_ashrrev_i32_e32 v175, s25, v146
	s_delay_alu instid0(VALU_DEP_3)
	v_lshlrev_b32_e32 v164, 2, v164
	ds_load_u16 v146, v145
	v_add_nc_u32_e32 v145, s29, v96
	ds_load_b32 v145, v145
	ds_load_2addr_b32 v[147:148], v147 offset1:1
	ds_load_2addr_b32 v[151:152], v151 offset1:1
	v_and_b32_e32 v164, 0x4040404, v164
	v_lshlrev_b32_e32 v175, 2, v175
	s_delay_alu instid0(VALU_DEP_2) | instskip(SKIP_1) | instid1(VALU_DEP_3)
	v_lshrrev_b32_e32 v178, 24, v164
	v_lshrrev_b32_e32 v179, 16, v164
	v_and_b32_e32 v175, 0x4040404, v175
	s_delay_alu instid0(VALU_DEP_3) | instskip(SKIP_1) | instid1(VALU_DEP_3)
	v_sub_nc_u16 v173, v173, v178
	v_lshrrev_b32_e32 v178, 16, v165
	v_lshrrev_b32_e32 v180, 24, v175
	;; [unrolled: 1-line block ×3, first 2 shown]
	s_delay_alu instid0(VALU_DEP_4) | instskip(NEXT) | instid1(VALU_DEP_4)
	v_lshlrev_b16 v173, 8, v173
	v_sub_nc_u16 v178, v178, v179
	v_lshrrev_b16 v179, 8, v165
	v_sub_nc_u16 v165, v165, v164
	v_lshrrev_b16 v164, 8, v164
	s_waitcnt lgkmcnt(1)
	v_ashrrev_i32_e32 v167, s25, v147
	v_add_nc_u32_e32 v147, 0x4210, v170
	v_ashrrev_i32_e32 v176, s25, v148
	v_sub_nc_u16 v164, v179, v164
	v_bfe_u32 v179, v166, 24, 2
	v_and_b32_e32 v166, 0x3030303, v166
	v_lshlrev_b32_e32 v167, 2, v167
	ds_load_2addr_b32 v[147:148], v147 offset1:1
	v_lshlrev_b32_e32 v176, 2, v176
	v_sub_nc_u16 v179, v179, v180
	v_lshrrev_b32_e32 v180, 16, v166
	v_and_b32_e32 v167, 0x4040404, v167
	v_lshlrev_b16 v164, 8, v164
	v_and_b32_e32 v176, 0x4040404, v176
	v_lshlrev_b16 v179, 8, v179
	v_sub_nc_u16 v180, v180, v181
	v_lshrrev_b16 v181, 8, v166
	v_sub_nc_u16 v166, v166, v175
	v_lshrrev_b16 v175, 8, v175
	v_lshrrev_b32_e32 v182, 24, v167
	v_lshrrev_b32_e32 v183, 16, v167
	v_lshrrev_b32_e32 v184, 24, v176
	v_lshrrev_b32_e32 v185, 16, v176
	v_sub_nc_u16 v175, v181, v175
	v_bfe_u32 v181, v168, 24, 2
	v_and_b32_e32 v168, 0x3030303, v168
	s_waitcnt lgkmcnt(0)
	v_ashrrev_i32_e32 v170, s25, v147
	v_add3_u32 v147, v114, s27, v149
	v_sub_nc_u16 v181, v181, v182
	v_lshrrev_b32_e32 v182, 16, v168
	v_ashrrev_i32_e32 v177, s25, v148
	v_lshlrev_b32_e32 v170, 2, v170
	ds_load_u16 v148, v147
	v_add_nc_u32_e32 v147, s29, v103
	v_sub_nc_u16 v182, v182, v183
	v_lshrrev_b16 v183, 8, v168
	v_sub_nc_u16 v168, v168, v167
	v_lshrrev_b16 v167, 8, v167
	v_and_b32_e32 v170, 0x4040404, v170
	ds_load_b32 v147, v147
	ds_load_2addr_b32 v[153:154], v153 offset1:1
	ds_load_2addr_b32 v[155:156], v155 offset1:1
	v_lshlrev_b32_e32 v177, 2, v177
	v_lshlrev_b16 v175, 8, v175
	v_sub_nc_u16 v167, v183, v167
	v_bfe_u32 v183, v169, 24, 2
	v_and_b32_e32 v169, 0x3030303, v169
	v_lshrrev_b32_e32 v186, 24, v170
	v_lshrrev_b32_e32 v187, 16, v170
	v_and_b32_e32 v177, 0x4040404, v177
	v_sub_nc_u16 v183, v183, v184
	v_lshrrev_b32_e32 v184, 16, v169
	v_lshlrev_b16 v181, 8, v181
	v_lshlrev_b16 v167, 8, v167
	v_lshrrev_b32_e32 v188, 24, v177
	v_lshrrev_b32_e32 v189, 16, v177
	v_sub_nc_u16 v184, v184, v185
	v_lshrrev_b16 v185, 8, v169
	v_sub_nc_u16 v169, v169, v176
	v_lshrrev_b16 v176, 8, v176
	s_waitcnt lgkmcnt(1)
	v_ashrrev_i32_e32 v153, s25, v153
	v_ashrrev_i32_e32 v154, s25, v154
	v_lshlrev_b16 v183, 8, v183
	s_waitcnt lgkmcnt(0)
	v_ashrrev_i32_e32 v155, s25, v155
	v_sub_nc_u16 v176, v185, v176
	v_bfe_u32 v185, v171, 24, 2
	v_and_b32_e32 v171, 0x3030303, v171
	v_lshlrev_b32_e32 v153, 2, v153
	v_lshlrev_b32_e32 v154, 2, v154
	v_lshlrev_b16 v176, 8, v176
	v_sub_nc_u16 v185, v185, v186
	v_lshrrev_b32_e32 v186, 16, v171
	v_and_b32_e32 v153, 0x4040404, v153
	v_and_b32_e32 v154, 0x4040404, v154
	v_lshlrev_b32_e32 v155, 2, v155
	v_lshlrev_b16 v185, 8, v185
	v_sub_nc_u16 v186, v186, v187
	v_lshrrev_b16 v187, 8, v171
	v_sub_nc_u16 v171, v171, v170
	v_lshrrev_b16 v170, 8, v170
	v_lshrrev_b32_e32 v190, 24, v153
	v_lshrrev_b32_e32 v191, 16, v153
	v_lshrrev_b32_e32 v192, 24, v154
	v_lshrrev_b32_e32 v193, 16, v154
	v_sub_nc_u16 v170, v187, v170
	v_bfe_u32 v187, v172, 24, 2
	v_and_b32_e32 v172, 0x3030303, v172
	v_and_b32_e32 v155, 0x4040404, v155
	s_delay_alu instid0(VALU_DEP_4) | instskip(NEXT) | instid1(VALU_DEP_4)
	v_lshlrev_b16 v170, 8, v170
	v_sub_nc_u16 v187, v187, v188
	s_delay_alu instid0(VALU_DEP_4) | instskip(NEXT) | instid1(VALU_DEP_2)
	v_lshrrev_b32_e32 v188, 16, v172
	v_lshlrev_b16 v187, 8, v187
	s_delay_alu instid0(VALU_DEP_2) | instskip(SKIP_3) | instid1(VALU_DEP_1)
	v_sub_nc_u16 v188, v188, v189
	v_lshrrev_b16 v189, 8, v172
	v_sub_nc_u16 v172, v172, v177
	v_lshrrev_b16 v177, 8, v177
	v_sub_nc_u16 v177, v189, v177
	v_bfe_u32 v189, v161, 24, 2
	v_and_b32_e32 v161, 0x3030303, v161
	s_delay_alu instid0(VALU_DEP_3) | instskip(NEXT) | instid1(VALU_DEP_3)
	v_lshlrev_b16 v177, 8, v177
	v_sub_nc_u16 v189, v189, v190
	s_delay_alu instid0(VALU_DEP_3) | instskip(NEXT) | instid1(VALU_DEP_2)
	v_lshrrev_b32_e32 v190, 16, v161
	v_lshlrev_b16 v189, 8, v189
	s_delay_alu instid0(VALU_DEP_2) | instskip(SKIP_3) | instid1(VALU_DEP_1)
	v_sub_nc_u16 v190, v190, v191
	v_lshrrev_b16 v191, 8, v161
	v_sub_nc_u16 v161, v161, v153
	v_lshrrev_b16 v153, 8, v153
	v_sub_nc_u16 v153, v191, v153
	v_bfe_u32 v191, v174, 24, 2
	v_and_b32_e32 v174, 0x3030303, v174
	s_delay_alu instid0(VALU_DEP_3) | instskip(NEXT) | instid1(VALU_DEP_3)
	v_lshlrev_b16 v153, 8, v153
	v_sub_nc_u16 v191, v191, v192
	s_delay_alu instid0(VALU_DEP_3) | instskip(NEXT) | instid1(VALU_DEP_2)
	v_lshrrev_b32_e32 v192, 16, v174
	v_lshlrev_b16 v191, 8, v191
	s_delay_alu instid0(VALU_DEP_2) | instskip(SKIP_3) | instid1(VALU_DEP_1)
	v_sub_nc_u16 v192, v192, v193
	v_lshrrev_b16 v193, 8, v174
	v_sub_nc_u16 v174, v174, v154
	v_lshrrev_b16 v154, 8, v154
	v_sub_nc_u16 v154, v193, v154
	v_and_b32_e32 v193, 0xff, v178
	s_delay_alu instid0(VALU_DEP_2) | instskip(NEXT) | instid1(VALU_DEP_2)
	v_lshlrev_b16 v154, 8, v154
	v_or_b32_e32 v173, v193, v173
	v_and_b32_e32 v193, 0xff, v165
	s_delay_alu instid0(VALU_DEP_2) | instskip(NEXT) | instid1(VALU_DEP_2)
	v_perm_b32 v165, v165, v173, 0x4010c0c
	v_or_b32_e32 v164, v193, v164
	v_and_b32_e32 v193, 0xff, v180
	s_delay_alu instid0(VALU_DEP_2) | instskip(NEXT) | instid1(VALU_DEP_2)
	v_perm_b32 v164, v178, v164, 0xc0c0401
	v_or_b32_e32 v179, v193, v179
	v_and_b32_e32 v193, 0xff, v166
	s_delay_alu instid0(VALU_DEP_3) | instskip(NEXT) | instid1(VALU_DEP_3)
	v_or_b32_e32 v164, v165, v164
	v_perm_b32 v166, v166, v179, 0x4010c0c
	s_delay_alu instid0(VALU_DEP_3) | instskip(SKIP_1) | instid1(VALU_DEP_2)
	v_or_b32_e32 v175, v193, v175
	v_and_b32_e32 v193, 0xff, v182
	v_perm_b32 v173, v180, v175, 0xc0c0401
	s_delay_alu instid0(VALU_DEP_2) | instskip(SKIP_1) | instid1(VALU_DEP_3)
	v_or_b32_e32 v181, v193, v181
	v_and_b32_e32 v193, 0xff, v168
	v_or_b32_e32 v165, v166, v173
	s_delay_alu instid0(VALU_DEP_3) | instskip(NEXT) | instid1(VALU_DEP_3)
	v_perm_b32 v168, v168, v181, 0x4010c0c
	v_or_b32_e32 v167, v193, v167
	v_and_b32_e32 v193, 0xff, v184
	s_delay_alu instid0(VALU_DEP_2) | instskip(NEXT) | instid1(VALU_DEP_2)
	v_perm_b32 v167, v182, v167, 0xc0c0401
	v_or_b32_e32 v183, v193, v183
	v_and_b32_e32 v193, 0xff, v169
	s_delay_alu instid0(VALU_DEP_3) | instskip(NEXT) | instid1(VALU_DEP_3)
	v_or_b32_e32 v166, v168, v167
	v_perm_b32 v169, v169, v183, 0x4010c0c
	s_delay_alu instid0(VALU_DEP_3) | instskip(SKIP_1) | instid1(VALU_DEP_2)
	v_or_b32_e32 v176, v193, v176
	v_and_b32_e32 v193, 0xff, v186
	v_perm_b32 v175, v184, v176, 0xc0c0401
	s_delay_alu instid0(VALU_DEP_2) | instskip(SKIP_1) | instid1(VALU_DEP_3)
	v_or_b32_e32 v185, v193, v185
	v_and_b32_e32 v193, 0xff, v171
	v_or_b32_e32 v167, v169, v175
	s_delay_alu instid0(VALU_DEP_3) | instskip(NEXT) | instid1(VALU_DEP_3)
	v_perm_b32 v171, v171, v185, 0x4010c0c
	v_or_b32_e32 v170, v193, v170
	v_and_b32_e32 v193, 0xff, v188
	s_delay_alu instid0(VALU_DEP_2) | instskip(NEXT) | instid1(VALU_DEP_2)
	v_perm_b32 v170, v186, v170, 0xc0c0401
	v_or_b32_e32 v187, v193, v187
	v_and_b32_e32 v193, 0xff, v172
	s_delay_alu instid0(VALU_DEP_3) | instskip(NEXT) | instid1(VALU_DEP_3)
	v_or_b32_e32 v168, v171, v170
	v_perm_b32 v172, v172, v187, 0x4010c0c
	s_delay_alu instid0(VALU_DEP_3) | instskip(SKIP_3) | instid1(VALU_DEP_4)
	v_or_b32_e32 v177, v193, v177
	v_and_b32_e32 v193, 0xff, v190
	v_lshrrev_b32_e32 v170, 24, v44
	v_lshrrev_b32_e32 v171, 16, v44
	v_perm_b32 v176, v188, v177, 0xc0c0401
	s_delay_alu instid0(VALU_DEP_4) | instskip(SKIP_1) | instid1(VALU_DEP_3)
	v_or_b32_e32 v189, v193, v189
	v_and_b32_e32 v193, 0xff, v161
	v_or_b32_e32 v169, v172, v176
	s_delay_alu instid0(VALU_DEP_3) | instskip(NEXT) | instid1(VALU_DEP_3)
	v_perm_b32 v161, v161, v189, 0x4010c0c
	v_or_b32_e32 v153, v193, v153
	v_and_b32_e32 v193, 0xff, v192
	s_delay_alu instid0(VALU_DEP_2) | instskip(NEXT) | instid1(VALU_DEP_2)
	v_perm_b32 v153, v190, v153, 0xc0c0401
	v_or_b32_e32 v191, v193, v191
	v_and_b32_e32 v193, 0xff, v174
	s_delay_alu instid0(VALU_DEP_3) | instskip(NEXT) | instid1(VALU_DEP_3)
	v_or_b32_e32 v153, v161, v153
	v_perm_b32 v174, v174, v191, 0x4010c0c
	s_delay_alu instid0(VALU_DEP_3)
	v_or_b32_e32 v154, v193, v154
	v_dot4_i32_iu8 v161, v164, v157, 0 neg_lo:[1,1,0]
	v_dot4_i32_iu8 v164, v166, v157, 0 neg_lo:[1,1,0]
	;; [unrolled: 1-line block ×4, first 2 shown]
	v_perm_b32 v154, v192, v154, 0xc0c0401
	v_dot4_i32_iu8 v157, v165, v158, v161 neg_lo:[1,1,0]
	v_dot4_i32_iu8 v161, v167, v158, v164 neg_lo:[1,1,0]
	;; [unrolled: 1-line block ×3, first 2 shown]
	v_lshrrev_b32_e32 v165, 16, v38
	v_or_b32_e32 v154, v174, v154
	v_lshrrev_b32_e32 v166, 24, v40
	v_lshrrev_b32_e32 v167, 16, v40
	;; [unrolled: 1-line block ×4, first 2 shown]
	v_dot4_i32_iu8 v153, v154, v158, v153 neg_lo:[1,1,0]
	v_bfe_u32 v154, v30, 24, 2
	v_lshrrev_b32_e32 v158, 24, v38
	v_and_b32_e32 v30, 0x3030303, v30
	s_delay_alu instid0(VALU_DEP_2) | instskip(NEXT) | instid1(VALU_DEP_2)
	v_sub_nc_u16 v154, v154, v158
	v_lshrrev_b32_e32 v158, 16, v30
	s_delay_alu instid0(VALU_DEP_2) | instskip(NEXT) | instid1(VALU_DEP_2)
	v_lshlrev_b16 v154, 8, v154
	v_sub_nc_u16 v158, v158, v165
	v_lshrrev_b16 v165, 8, v30
	v_sub_nc_u16 v30, v30, v38
	v_lshrrev_b16 v38, 8, v38
	s_delay_alu instid0(VALU_DEP_1) | instskip(SKIP_2) | instid1(VALU_DEP_3)
	v_sub_nc_u16 v38, v165, v38
	v_bfe_u32 v165, v32, 24, 2
	v_and_b32_e32 v32, 0x3030303, v32
	v_lshlrev_b16 v38, 8, v38
	s_delay_alu instid0(VALU_DEP_3) | instskip(NEXT) | instid1(VALU_DEP_3)
	v_sub_nc_u16 v165, v165, v166
	v_lshrrev_b32_e32 v166, 16, v32
	s_delay_alu instid0(VALU_DEP_2) | instskip(NEXT) | instid1(VALU_DEP_2)
	v_lshlrev_b16 v165, 8, v165
	v_sub_nc_u16 v166, v166, v167
	v_lshrrev_b16 v167, 8, v32
	v_sub_nc_u16 v32, v32, v40
	v_lshrrev_b16 v40, 8, v40
	s_delay_alu instid0(VALU_DEP_1) | instskip(SKIP_2) | instid1(VALU_DEP_3)
	v_sub_nc_u16 v40, v167, v40
	v_bfe_u32 v167, v34, 24, 2
	v_and_b32_e32 v34, 0x3030303, v34
	v_lshlrev_b16 v40, 8, v40
	s_delay_alu instid0(VALU_DEP_3) | instskip(NEXT) | instid1(VALU_DEP_3)
	;; [unrolled: 14-line block ×3, first 2 shown]
	v_sub_nc_u16 v169, v169, v170
	v_lshrrev_b32_e32 v170, 16, v36
	s_delay_alu instid0(VALU_DEP_2) | instskip(NEXT) | instid1(VALU_DEP_2)
	v_lshlrev_b16 v169, 8, v169
	v_sub_nc_u16 v170, v170, v171
	v_lshrrev_b16 v171, 8, v36
	v_sub_nc_u16 v36, v36, v44
	v_lshrrev_b16 v44, 8, v44
	s_delay_alu instid0(VALU_DEP_1) | instskip(SKIP_1) | instid1(VALU_DEP_2)
	v_sub_nc_u16 v44, v171, v44
	v_and_b32_e32 v171, 0xff, v158
	v_lshlrev_b16 v44, 8, v44
	s_delay_alu instid0(VALU_DEP_2) | instskip(SKIP_1) | instid1(VALU_DEP_2)
	v_or_b32_e32 v154, v171, v154
	v_and_b32_e32 v171, 0xff, v30
	v_perm_b32 v30, v30, v154, 0x4010c0c
	s_delay_alu instid0(VALU_DEP_2) | instskip(SKIP_2) | instid1(VALU_DEP_3)
	v_or_b32_e32 v38, v171, v38
	v_and_b32_e32 v171, 0xff, v166
	v_lshrrev_b32_e32 v154, 24, v6
	v_perm_b32 v38, v158, v38, 0xc0c0401
	s_delay_alu instid0(VALU_DEP_3) | instskip(SKIP_2) | instid1(VALU_DEP_4)
	v_or_b32_e32 v165, v171, v165
	v_and_b32_e32 v171, 0xff, v32
	v_lshrrev_b32_e32 v158, 16, v6
	v_or_b32_e32 v30, v30, v38
	s_delay_alu instid0(VALU_DEP_4) | instskip(NEXT) | instid1(VALU_DEP_4)
	v_perm_b32 v32, v32, v165, 0x4010c0c
	v_or_b32_e32 v40, v171, v40
	v_and_b32_e32 v171, 0xff, v168
	v_bfe_u32 v38, v26, 24, 2
	v_and_b32_e32 v26, 0x3030303, v26
	v_dot4_i32_iu8 v30, v30, v150, v162 neg_lo:[1,1,0]
	v_perm_b32 v40, v166, v40, 0xc0c0401
	v_or_b32_e32 v167, v171, v167
	v_and_b32_e32 v171, 0xff, v34
	s_delay_alu instid0(VALU_DEP_3) | instskip(NEXT) | instid1(VALU_DEP_3)
	v_or_b32_e32 v32, v32, v40
	v_perm_b32 v34, v34, v167, 0x4010c0c
	s_delay_alu instid0(VALU_DEP_3) | instskip(SKIP_3) | instid1(VALU_DEP_4)
	v_or_b32_e32 v42, v171, v42
	v_lshrrev_b32_e32 v40, 24, v2
	v_and_b32_e32 v171, 0xff, v170
	v_dot4_i32_iu8 v32, v32, v150, v163 neg_lo:[1,1,0]
	v_perm_b32 v42, v168, v42, 0xc0c0401
	s_delay_alu instid0(VALU_DEP_4)
	v_sub_nc_u16 v38, v38, v40
	v_lshrrev_b32_e32 v40, 16, v26
	v_or_b32_e32 v169, v171, v169
	v_and_b32_e32 v171, 0xff, v36
	v_or_b32_e32 v34, v34, v42
	v_lshrrev_b32_e32 v42, 16, v2
	v_lshlrev_b16 v38, 8, v38
	v_perm_b32 v36, v36, v169, 0x4010c0c
	v_or_b32_e32 v44, v171, v44
	v_dot4_i32_iu8 v34, v34, v150, v159 neg_lo:[1,1,0]
	v_sub_nc_u16 v40, v40, v42
	v_lshrrev_b16 v42, 8, v26
	v_sub_nc_u16 v26, v26, v2
	v_lshrrev_b16 v2, 8, v2
	v_perm_b32 v44, v170, v44, 0xc0c0401
	v_lshrrev_b32_e32 v159, 24, v155
	s_delay_alu instid0(VALU_DEP_3) | instskip(SKIP_1) | instid1(VALU_DEP_4)
	v_sub_nc_u16 v2, v42, v2
	v_ashrrev_i32_e32 v42, s25, v151
	v_or_b32_e32 v36, v36, v44
	v_bfe_u32 v44, v4, 24, 2
	v_and_b32_e32 v4, 0x3030303, v4
	v_lshlrev_b16 v2, 8, v2
	v_lshlrev_b32_e32 v42, 2, v42
	v_dot4_i32_iu8 v36, v36, v150, v160 neg_lo:[1,1,0]
	v_lshrrev_b32_e32 v160, 16, v155
	s_delay_alu instid0(VALU_DEP_3) | instskip(NEXT) | instid1(VALU_DEP_1)
	v_and_b32_e32 v42, 0x4040404, v42
	v_lshrrev_b32_e32 v150, 24, v42
	v_lshrrev_b32_e32 v151, 16, v42
	s_delay_alu instid0(VALU_DEP_2) | instskip(SKIP_1) | instid1(VALU_DEP_2)
	v_sub_nc_u16 v44, v44, v150
	v_lshrrev_b32_e32 v150, 16, v4
	v_lshlrev_b16 v44, 8, v44
	s_delay_alu instid0(VALU_DEP_2) | instskip(SKIP_3) | instid1(VALU_DEP_1)
	v_sub_nc_u16 v150, v150, v151
	v_lshrrev_b16 v151, 8, v4
	v_sub_nc_u16 v4, v4, v42
	v_lshrrev_b16 v42, 8, v42
	v_sub_nc_u16 v42, v151, v42
	v_bfe_u32 v151, v0, 24, 2
	v_and_b32_e32 v0, 0x3030303, v0
	s_delay_alu instid0(VALU_DEP_3) | instskip(NEXT) | instid1(VALU_DEP_3)
	v_lshlrev_b16 v42, 8, v42
	v_sub_nc_u16 v151, v151, v154
	s_delay_alu instid0(VALU_DEP_3) | instskip(NEXT) | instid1(VALU_DEP_2)
	v_lshrrev_b32_e32 v154, 16, v0
	v_lshlrev_b16 v151, 8, v151
	s_delay_alu instid0(VALU_DEP_2) | instskip(SKIP_3) | instid1(VALU_DEP_1)
	v_sub_nc_u16 v154, v154, v158
	v_lshrrev_b16 v158, 8, v0
	v_sub_nc_u16 v0, v0, v6
	v_lshrrev_b16 v6, 8, v6
	v_sub_nc_u16 v6, v158, v6
	v_bfe_u32 v158, v28, 24, 2
	v_and_b32_e32 v28, 0x3030303, v28
	s_delay_alu instid0(VALU_DEP_3) | instskip(NEXT) | instid1(VALU_DEP_3)
	v_lshlrev_b16 v6, 8, v6
	v_sub_nc_u16 v158, v158, v159
	s_delay_alu instid0(VALU_DEP_3) | instskip(NEXT) | instid1(VALU_DEP_2)
	v_lshrrev_b32_e32 v159, 16, v28
	v_lshlrev_b16 v158, 8, v158
	s_delay_alu instid0(VALU_DEP_2) | instskip(SKIP_3) | instid1(VALU_DEP_1)
	v_sub_nc_u16 v159, v159, v160
	v_lshrrev_b16 v160, 8, v28
	v_sub_nc_u16 v28, v28, v155
	v_lshrrev_b16 v155, 8, v155
	v_sub_nc_u16 v155, v160, v155
	v_and_b32_e32 v160, 0xff, v40
	s_delay_alu instid0(VALU_DEP_2) | instskip(NEXT) | instid1(VALU_DEP_2)
	v_lshlrev_b16 v155, 8, v155
	v_or_b32_e32 v38, v160, v38
	v_and_b32_e32 v160, 0xff, v26
	s_delay_alu instid0(VALU_DEP_2) | instskip(NEXT) | instid1(VALU_DEP_2)
	v_perm_b32 v26, v26, v38, 0x4010c0c
	v_or_b32_e32 v2, v160, v2
	v_and_b32_e32 v160, 0xff, v150
	s_delay_alu instid0(VALU_DEP_2) | instskip(NEXT) | instid1(VALU_DEP_2)
	v_perm_b32 v2, v40, v2, 0xc0c0401
	v_or_b32_e32 v44, v160, v44
	v_and_b32_e32 v160, 0xff, v4
	s_delay_alu instid0(VALU_DEP_3) | instskip(SKIP_1) | instid1(VALU_DEP_3)
	v_or_b32_e32 v2, v26, v2
	v_ashrrev_i32_e32 v26, s21, v31
	v_or_b32_e32 v42, v160, v42
	v_and_b32_e32 v160, 0xff, v154
	v_ashrrev_i32_e32 v31, s21, v35
	v_ashrrev_i32_e32 v35, s25, v39
	v_perm_b32 v4, v4, v44, 0x4010c0c
	v_perm_b32 v38, v150, v42, 0xc0c0401
	v_or_b32_e32 v151, v160, v151
	v_and_b32_e32 v160, 0xff, v0
	v_lshlrev_b32_e32 v35, 2, v35
	v_ashrrev_i32_e32 v39, s25, v45
	v_or_b32_e32 v4, v4, v38
	v_perm_b32 v0, v0, v151, 0x4010c0c
	v_or_b32_e32 v6, v160, v6
	v_and_b32_e32 v160, 0xff, v159
	v_and_b32_e32 v35, 0x4040404, v35
	v_ashrrev_i32_e32 v38, s25, v43
	v_dot4_i32_iu8 v2, v2, v144, v157 neg_lo:[1,1,0]
	v_perm_b32 v6, v154, v6, 0xc0c0401
	v_or_b32_e32 v158, v160, v158
	v_and_b32_e32 v160, 0xff, v28
	v_lshrrev_b32_e32 v42, 16, v35
	v_lshlrev_b32_e32 v38, 2, v38
	v_or_b32_e32 v0, v0, v6
	v_perm_b32 v28, v28, v158, 0x4010c0c
	v_or_b32_e32 v155, v160, v155
	v_dot4_i32_iu8 v4, v4, v144, v161 neg_lo:[1,1,0]
	v_and_b32_e32 v38, 0x4040404, v38
	v_dot4_i32_iu8 v0, v0, v144, v164 neg_lo:[1,1,0]
	v_lshlrev_b32_e32 v39, 2, v39
	v_perm_b32 v40, v159, v155, 0xc0c0401
	s_delay_alu instid0(VALU_DEP_4) | instskip(NEXT) | instid1(VALU_DEP_3)
	v_lshrrev_b32_e32 v45, 24, v38
	v_and_b32_e32 v39, 0x4040404, v39
	s_delay_alu instid0(VALU_DEP_3)
	v_or_b32_e32 v6, v28, v40
	v_ashrrev_i32_e32 v28, s21, v33
	v_ashrrev_i32_e32 v33, s21, v37
	;; [unrolled: 1-line block ×3, first 2 shown]
	v_bfe_u32 v40, v26, 24, 2
	v_lshrrev_b32_e32 v41, 24, v35
	v_and_b32_e32 v26, 0x3030303, v26
	v_dot4_i32_iu8 v6, v6, v144, v153 neg_lo:[1,1,0]
	v_lshlrev_b32_e32 v37, 2, v37
	v_lshrrev_b32_e32 v144, 16, v38
	v_sub_nc_u16 v40, v40, v41
	v_lshrrev_b32_e32 v41, 16, v26
	v_lshrrev_b32_e32 v150, 24, v39
	v_and_b32_e32 v37, 0x4040404, v37
	v_lshrrev_b32_e32 v151, 16, v39
	v_lshlrev_b16 v40, 8, v40
	v_sub_nc_u16 v41, v41, v42
	v_lshrrev_b16 v42, 8, v26
	v_sub_nc_u16 v26, v26, v35
	v_lshrrev_b16 v35, 8, v35
	v_lshrrev_b32_e32 v43, 24, v37
	v_lshrrev_b32_e32 v44, 16, v37
	s_add_i32 s21, s21, 2
	s_delay_alu instid0(VALU_DEP_3) | instskip(SKIP_2) | instid1(VALU_DEP_3)
	v_sub_nc_u16 v35, v42, v35
	v_bfe_u32 v42, v28, 24, 2
	v_and_b32_e32 v28, 0x3030303, v28
	v_lshlrev_b16 v35, 8, v35
	s_delay_alu instid0(VALU_DEP_3) | instskip(NEXT) | instid1(VALU_DEP_3)
	v_sub_nc_u16 v42, v42, v43
	v_lshrrev_b32_e32 v43, 16, v28
	s_delay_alu instid0(VALU_DEP_2) | instskip(NEXT) | instid1(VALU_DEP_2)
	v_lshlrev_b16 v42, 8, v42
	v_sub_nc_u16 v43, v43, v44
	v_lshrrev_b16 v44, 8, v28
	v_sub_nc_u16 v28, v28, v37
	v_lshrrev_b16 v37, 8, v37
	s_delay_alu instid0(VALU_DEP_1) | instskip(SKIP_2) | instid1(VALU_DEP_3)
	v_sub_nc_u16 v37, v44, v37
	v_bfe_u32 v44, v31, 24, 2
	v_and_b32_e32 v31, 0x3030303, v31
	v_lshlrev_b16 v37, 8, v37
	s_delay_alu instid0(VALU_DEP_3) | instskip(NEXT) | instid1(VALU_DEP_3)
	v_sub_nc_u16 v44, v44, v45
	v_lshrrev_b32_e32 v45, 16, v31
	s_delay_alu instid0(VALU_DEP_2) | instskip(NEXT) | instid1(VALU_DEP_2)
	v_lshlrev_b16 v44, 8, v44
	v_sub_nc_u16 v45, v45, v144
	v_lshrrev_b16 v144, 8, v31
	v_sub_nc_u16 v31, v31, v38
	v_lshrrev_b16 v38, 8, v38
	s_delay_alu instid0(VALU_DEP_1) | instskip(SKIP_2) | instid1(VALU_DEP_3)
	v_sub_nc_u16 v38, v144, v38
	v_bfe_u32 v144, v33, 24, 2
	v_and_b32_e32 v33, 0x3030303, v33
	v_lshlrev_b16 v38, 8, v38
	s_delay_alu instid0(VALU_DEP_3) | instskip(NEXT) | instid1(VALU_DEP_3)
	v_sub_nc_u16 v144, v144, v150
	v_lshrrev_b32_e32 v150, 16, v33
	s_delay_alu instid0(VALU_DEP_2) | instskip(NEXT) | instid1(VALU_DEP_2)
	v_lshlrev_b16 v144, 8, v144
	v_sub_nc_u16 v150, v150, v151
	v_lshrrev_b16 v151, 8, v33
	v_sub_nc_u16 v33, v33, v39
	v_lshrrev_b16 v39, 8, v39
	s_delay_alu instid0(VALU_DEP_1) | instskip(SKIP_1) | instid1(VALU_DEP_2)
	v_sub_nc_u16 v39, v151, v39
	v_and_b32_e32 v151, 0xff, v41
	v_lshlrev_b16 v39, 8, v39
	s_delay_alu instid0(VALU_DEP_2) | instskip(SKIP_1) | instid1(VALU_DEP_2)
	v_or_b32_e32 v40, v151, v40
	v_and_b32_e32 v151, 0xff, v26
	v_perm_b32 v26, v26, v40, 0x4010c0c
	s_delay_alu instid0(VALU_DEP_2) | instskip(SKIP_2) | instid1(VALU_DEP_3)
	v_or_b32_e32 v35, v151, v35
	v_and_b32_e32 v151, 0xff, v43
	v_lshrrev_b32_e32 v40, 16, v7
	v_perm_b32 v35, v41, v35, 0xc0c0401
	s_delay_alu instid0(VALU_DEP_3) | instskip(SKIP_1) | instid1(VALU_DEP_3)
	v_or_b32_e32 v42, v151, v42
	v_and_b32_e32 v151, 0xff, v28
	v_or_b32_e32 v26, v26, v35
	s_delay_alu instid0(VALU_DEP_3) | instskip(NEXT) | instid1(VALU_DEP_3)
	v_perm_b32 v28, v28, v42, 0x4010c0c
	v_or_b32_e32 v37, v151, v37
	v_and_b32_e32 v151, 0xff, v45
	v_lshrrev_b32_e32 v35, 24, v3
	v_dot4_i32_iu8 v26, v26, v143, v30 neg_lo:[1,1,0]
	s_delay_alu instid0(VALU_DEP_4) | instskip(NEXT) | instid1(VALU_DEP_4)
	v_perm_b32 v37, v43, v37, 0xc0c0401
	v_or_b32_e32 v44, v151, v44
	v_and_b32_e32 v151, 0xff, v31
	s_delay_alu instid0(VALU_DEP_3) | instskip(NEXT) | instid1(VALU_DEP_3)
	v_or_b32_e32 v28, v28, v37
	v_perm_b32 v31, v31, v44, 0x4010c0c
	s_delay_alu instid0(VALU_DEP_3) | instskip(SKIP_1) | instid1(VALU_DEP_4)
	v_or_b32_e32 v38, v151, v38
	v_and_b32_e32 v151, 0xff, v150
	v_dot4_i32_iu8 v28, v28, v143, v32 neg_lo:[1,1,0]
	v_ashrrev_i32_e32 v32, s25, v152
	s_delay_alu instid0(VALU_DEP_4) | instskip(NEXT) | instid1(VALU_DEP_4)
	v_perm_b32 v38, v45, v38, 0xc0c0401
	v_or_b32_e32 v144, v151, v144
	v_and_b32_e32 v151, 0xff, v33
	s_delay_alu instid0(VALU_DEP_4) | instskip(NEXT) | instid1(VALU_DEP_4)
	v_lshlrev_b32_e32 v32, 2, v32
	v_or_b32_e32 v31, v31, v38
	s_delay_alu instid0(VALU_DEP_4) | instskip(NEXT) | instid1(VALU_DEP_4)
	v_perm_b32 v33, v33, v144, 0x4010c0c
	v_or_b32_e32 v39, v151, v39
	s_delay_alu instid0(VALU_DEP_4) | instskip(NEXT) | instid1(VALU_DEP_4)
	v_and_b32_e32 v32, 0x4040404, v32
	v_dot4_i32_iu8 v30, v31, v143, v34 neg_lo:[1,1,0]
	v_bfe_u32 v34, v27, 24, 2
	s_delay_alu instid0(VALU_DEP_4)
	v_perm_b32 v39, v150, v39, 0xc0c0401
	v_and_b32_e32 v27, 0x3030303, v27
	v_lshrrev_b32_e32 v37, 24, v32
	v_lshrrev_b32_e32 v38, 16, v32
	v_sub_nc_u16 v34, v34, v35
	v_or_b32_e32 v33, v33, v39
	v_lshrrev_b32_e32 v35, 16, v27
	v_lshrrev_b32_e32 v39, 24, v7
	s_delay_alu instid0(VALU_DEP_4) | instskip(NEXT) | instid1(VALU_DEP_4)
	v_lshlrev_b16 v34, 8, v34
	v_dot4_i32_iu8 v31, v33, v143, v36 neg_lo:[1,1,0]
	v_lshrrev_b32_e32 v36, 16, v3
	v_ashrrev_i32_e32 v33, s25, v156
	s_add_i32 s25, s25, 1
	s_cmp_lt_u32 s26, 14
	s_delay_alu instid0(VALU_DEP_2) | instskip(SKIP_4) | instid1(VALU_DEP_2)
	v_sub_nc_u16 v35, v35, v36
	v_lshrrev_b16 v36, 8, v27
	v_sub_nc_u16 v27, v27, v3
	v_lshrrev_b16 v3, 8, v3
	v_lshlrev_b32_e32 v33, 2, v33
	v_sub_nc_u16 v3, v36, v3
	v_bfe_u32 v36, v5, 24, 2
	v_and_b32_e32 v5, 0x3030303, v5
	s_delay_alu instid0(VALU_DEP_4) | instskip(NEXT) | instid1(VALU_DEP_4)
	v_and_b32_e32 v33, 0x4040404, v33
	v_lshlrev_b16 v3, 8, v3
	s_delay_alu instid0(VALU_DEP_4) | instskip(NEXT) | instid1(VALU_DEP_4)
	v_sub_nc_u16 v36, v36, v37
	v_lshrrev_b32_e32 v37, 16, v5
	s_delay_alu instid0(VALU_DEP_4) | instskip(SKIP_1) | instid1(VALU_DEP_4)
	v_lshrrev_b32_e32 v41, 24, v33
	v_lshrrev_b32_e32 v42, 16, v33
	v_lshlrev_b16 v36, 8, v36
	s_delay_alu instid0(VALU_DEP_4) | instskip(SKIP_3) | instid1(VALU_DEP_1)
	v_sub_nc_u16 v37, v37, v38
	v_lshrrev_b16 v38, 8, v5
	v_sub_nc_u16 v5, v5, v32
	v_lshrrev_b16 v32, 8, v32
	v_sub_nc_u16 v32, v38, v32
	v_bfe_u32 v38, v1, 24, 2
	v_and_b32_e32 v1, 0x3030303, v1
	s_delay_alu instid0(VALU_DEP_3) | instskip(NEXT) | instid1(VALU_DEP_3)
	v_lshlrev_b16 v32, 8, v32
	v_sub_nc_u16 v38, v38, v39
	s_delay_alu instid0(VALU_DEP_3) | instskip(NEXT) | instid1(VALU_DEP_2)
	v_lshrrev_b32_e32 v39, 16, v1
	v_lshlrev_b16 v38, 8, v38
	s_delay_alu instid0(VALU_DEP_2) | instskip(SKIP_3) | instid1(VALU_DEP_1)
	v_sub_nc_u16 v39, v39, v40
	v_lshrrev_b16 v40, 8, v1
	v_sub_nc_u16 v1, v1, v7
	v_lshrrev_b16 v7, 8, v7
	v_sub_nc_u16 v7, v40, v7
	v_bfe_u32 v40, v29, 24, 2
	v_and_b32_e32 v29, 0x3030303, v29
	s_delay_alu instid0(VALU_DEP_3) | instskip(NEXT) | instid1(VALU_DEP_3)
	v_lshlrev_b16 v7, 8, v7
	v_sub_nc_u16 v40, v40, v41
	s_delay_alu instid0(VALU_DEP_3) | instskip(NEXT) | instid1(VALU_DEP_2)
	v_lshrrev_b32_e32 v41, 16, v29
	v_lshlrev_b16 v40, 8, v40
	s_delay_alu instid0(VALU_DEP_2) | instskip(SKIP_3) | instid1(VALU_DEP_1)
	v_sub_nc_u16 v41, v41, v42
	v_lshrrev_b16 v42, 8, v29
	v_sub_nc_u16 v29, v29, v33
	v_lshrrev_b16 v33, 8, v33
	v_sub_nc_u16 v33, v42, v33
	v_and_b32_e32 v42, 0xff, v35
	s_delay_alu instid0(VALU_DEP_2) | instskip(NEXT) | instid1(VALU_DEP_2)
	v_lshlrev_b16 v33, 8, v33
	v_or_b32_e32 v34, v42, v34
	v_and_b32_e32 v42, 0xff, v27
	s_delay_alu instid0(VALU_DEP_2) | instskip(NEXT) | instid1(VALU_DEP_2)
	v_perm_b32 v27, v27, v34, 0x4010c0c
	v_or_b32_e32 v3, v42, v3
	v_and_b32_e32 v42, 0xff, v37
	s_delay_alu instid0(VALU_DEP_2) | instskip(NEXT) | instid1(VALU_DEP_2)
	v_perm_b32 v3, v35, v3, 0xc0c0401
	v_or_b32_e32 v36, v42, v36
	v_and_b32_e32 v42, 0xff, v5
	s_delay_alu instid0(VALU_DEP_3) | instskip(SKIP_1) | instid1(VALU_DEP_3)
	v_or_b32_e32 v3, v27, v3
	v_add3_u32 v27, v117, s27, v149
	v_or_b32_e32 v32, v42, v32
	v_and_b32_e32 v42, 0xff, v39
	v_perm_b32 v5, v5, v36, 0x4010c0c
	s_delay_alu instid0(VALU_DEP_3) | instskip(NEXT) | instid1(VALU_DEP_3)
	v_perm_b32 v32, v37, v32, 0xc0c0401
	v_or_b32_e32 v38, v42, v38
	v_and_b32_e32 v42, 0xff, v1
	s_delay_alu instid0(VALU_DEP_3) | instskip(NEXT) | instid1(VALU_DEP_3)
	v_or_b32_e32 v5, v5, v32
	v_perm_b32 v1, v1, v38, 0x4010c0c
	s_delay_alu instid0(VALU_DEP_3)
	v_or_b32_e32 v7, v42, v7
	v_and_b32_e32 v42, 0xff, v41
	v_dot4_i32_iu8 v32, v3, v140, v2 neg_lo:[1,1,0]
	v_dot4_i32_iu8 v34, v5, v140, v4 neg_lo:[1,1,0]
	v_bfe_i32 v4, v146, 0, 8
	v_perm_b32 v7, v39, v7, 0xc0c0401
	v_or_b32_e32 v40, v42, v40
	v_and_b32_e32 v42, 0xff, v29
	v_bfe_i32 v5, v148, 0, 8
	s_delay_alu instid0(VALU_DEP_4) | instskip(NEXT) | instid1(VALU_DEP_4)
	v_or_b32_e32 v1, v1, v7
	v_perm_b32 v29, v29, v40, 0x4010c0c
	s_delay_alu instid0(VALU_DEP_4) | instskip(NEXT) | instid1(VALU_DEP_3)
	v_or_b32_e32 v33, v42, v33
	v_dot4_i32_iu8 v35, v1, v140, v0 neg_lo:[1,1,0]
	s_delay_alu instid0(VALU_DEP_2) | instskip(NEXT) | instid1(VALU_DEP_1)
	v_perm_b32 v33, v41, v33, 0xc0c0401
	v_or_b32_e32 v7, v29, v33
	v_add3_u32 v29, v115, s27, v149
	ds_load_u16 v27, v27
	ds_load_u16 v29, v29
	ds_load_b32 v33, v139
	v_dot4_i32_iu8 v7, v7, v140, v6 neg_lo:[1,1,0]
	v_add_nc_u32_e32 v139, 4, v139
	s_waitcnt lgkmcnt(2)
	v_bfe_i32 v1, v27, 0, 8
	s_waitcnt lgkmcnt(1)
	v_lshrrev_b16 v0, 8, v29
	v_bfe_i32 v3, v29, 0, 8
	v_lshrrev_b16 v2, 8, v27
	s_delay_alu instid0(VALU_DEP_3) | instskip(SKIP_1) | instid1(VALU_DEP_3)
	v_bfe_i32 v29, v0, 0, 8
	v_lshrrev_b16 v0, 8, v146
	v_bfe_i32 v27, v2, 0, 8
	v_lshrrev_b16 v2, 8, v148
	s_delay_alu instid0(VALU_DEP_3) | instskip(SKIP_2) | instid1(VALU_DEP_4)
	v_bfe_i32 v36, v0, 0, 8
	v_mul_lo_u32 v0, v26, v1
	v_mul_lo_u32 v1, v28, v4
	v_bfe_i32 v37, v2, 0, 8
	v_mul_lo_u32 v2, v30, v3
	v_mul_lo_u32 v3, v31, v5
	s_delay_alu instid0(VALU_DEP_4) | instskip(NEXT) | instid1(VALU_DEP_3)
	v_mad_u64_u32 v[4:5], null, v32, v27, v[0:1]
	v_mad_u64_u32 v[5:6], null, v34, v36, v[1:2]
	s_delay_alu instid0(VALU_DEP_3) | instskip(SKIP_2) | instid1(VALU_DEP_4)
	v_mad_u64_u32 v[0:1], null, v35, v29, v[2:3]
	s_waitcnt lgkmcnt(0)
	v_mul_f32_e32 v6, v33, v145
	v_mad_u64_u32 v[1:2], null, v7, v37, v[3:4]
	v_mul_f32_e32 v2, v33, v141
	v_mul_f32_e32 v3, v33, v142
	;; [unrolled: 1-line block ×3, first 2 shown]
	v_cvt_f32_i32_e32 v4, v4
	v_cvt_f32_i32_e32 v5, v5
	;; [unrolled: 1-line block ×4, first 2 shown]
	s_delay_alu instid0(VALU_DEP_4) | instskip(NEXT) | instid1(VALU_DEP_3)
	v_fmac_f32_e32 v49, v2, v4
	v_dual_fmac_f32 v134, v6, v5 :: v_dual_fmac_f32 v135, v3, v0
	s_delay_alu instid0(VALU_DEP_3)
	v_fmac_f32_e32 v136, v7, v1
	s_cbranch_scc1 .LBB210_20
; %bb.21:                               ;   in Loop: Header=BB210_5 Depth=1
	s_or_b32 s1, s6, 0x100
	s_delay_alu instid0(SALU_CYCLE_1)
	s_cmp_ge_i32 s1, s5
	s_barrier
	buffer_gl0_inv
	s_cbranch_scc1 .LBB210_4
; %bb.22:                               ;   in Loop: Header=BB210_5 Depth=1
	v_add_nc_u32_e32 v0, s20, v105
	s_delay_alu instid0(VALU_DEP_1) | instskip(NEXT) | instid1(VALU_DEP_1)
	v_cmp_gt_i32_e64 s1, s8, v0
	s_and_b32 s21, s0, s1
	s_delay_alu instid0(SALU_CYCLE_1)
	s_and_saveexec_b32 s1, s21
	s_cbranch_execz .LBB210_24
; %bb.23:                               ;   in Loop: Header=BB210_5 Depth=1
	v_add_nc_u32_e32 v2, v100, v0
	s_delay_alu instid0(VALU_DEP_1)
	v_mad_i64_i32 v[0:1], null, v2, 36, v[24:25]
	global_load_b32 v0, v[0:1], off offset:4
	s_waitcnt vmcnt(0)
	ds_store_b32 v88, v0
.LBB210_24:                             ;   in Loop: Header=BB210_5 Depth=1
	s_or_b32 exec_lo, exec_lo, s1
	s_and_saveexec_b32 s21, vcc_lo
	s_cbranch_execz .LBB210_27
; %bb.25:                               ;   in Loop: Header=BB210_5 Depth=1
	v_or_b32_e32 v0, s20, v47
	s_delay_alu instid0(VALU_DEP_1) | instskip(NEXT) | instid1(VALU_DEP_1)
	v_or_b32_e32 v1, 8, v0
	v_cmp_gt_i32_e64 s1, s8, v1
	s_delay_alu instid0(VALU_DEP_1) | instskip(NEXT) | instid1(SALU_CYCLE_1)
	s_and_b32 s1, s0, s1
	s_and_b32 exec_lo, exec_lo, s1
	s_cbranch_execz .LBB210_27
; %bb.26:                               ;   in Loop: Header=BB210_5 Depth=1
	v_ashrrev_i32_e32 v1, 31, v0
	v_add_co_u32 v2, s1, v100, v0
	s_delay_alu instid0(VALU_DEP_1) | instskip(NEXT) | instid1(VALU_DEP_2)
	v_add_co_ci_u32_e64 v3, s1, v107, v1, s1
	v_mad_u64_u32 v[0:1], null, v2, 36, s[16:17]
	s_delay_alu instid0(VALU_DEP_1)
	v_mad_i32_i24 v1, v3, 36, v1
	global_load_b32 v0, v[0:1], off
	s_waitcnt vmcnt(0)
	v_cvt_f32_f16_e32 v0, v0
	ds_store_b32 v89, v0
.LBB210_27:                             ;   in Loop: Header=BB210_5 Depth=1
	s_or_b32 exec_lo, exec_lo, s21
	v_dual_mov_b32 v138, v112 :: v_dual_mov_b32 v139, v113
	s_mov_b32 s1, 16
	s_mov_b32 s27, 14
	;; [unrolled: 1-line block ×3, first 2 shown]
	s_waitcnt lgkmcnt(0)
	s_barrier
	buffer_gl0_inv
.LBB210_28:                             ;   Parent Loop BB210_5 Depth=1
                                        ; =>  This Inner Loop Header: Depth=2
	s_add_i32 s25, s27, 2
	ds_load_b128 v[4:7], v138
	ds_load_b128 v[0:3], v138 offset:16
	s_and_b32 s29, s25, 0x3ffffff8
	s_lshr_b32 s28, s25, 4
	s_lshl_b32 s29, s29, 2
	s_lshl_b32 s30, s28, 2
	v_add_nc_u32_e32 v147, s29, v92
	v_add_nc_u32_e32 v148, s29, v95
	;; [unrolled: 1-line block ×4, first 2 shown]
	s_add_i32 s26, s27, -14
	ds_load_2addr_b32 v[28:29], v147 offset1:1
	ds_load_2addr_b32 v[34:35], v148 offset1:1
	ds_load_2addr_b32 v[26:27], v147 offset0:6 offset1:7
	ds_load_2addr_b32 v[30:31], v147 offset0:2 offset1:3
	ds_load_2addr_b32 v[32:33], v148 offset0:2 offset1:3
	ds_load_b32 v141, v36
	v_add_nc_u32_e32 v161, s29, v102
	s_lshl_b32 s28, s28, 3
	v_add_nc_u32_e32 v138, 32, v138
	v_add_lshl_u32 v164, v91, s28, 2
	v_add_lshl_u32 v167, v94, s28, 2
	;; [unrolled: 1-line block ×3, first 2 shown]
	s_waitcnt lgkmcnt(7)
	v_perm_b32 v149, v6, v6, 0x30201
	s_waitcnt lgkmcnt(6)
	v_perm_b32 v156, v0, v0, 0x30201
	v_perm_b32 v157, v1, v1, 0x30201
	;; [unrolled: 1-line block ×4, first 2 shown]
	v_add_nc_u32_e32 v6, 0x4208, v164
	v_perm_b32 v150, v4, v4, 0x30201
	v_perm_b32 v151, v5, v5, 0x30201
	s_waitcnt lgkmcnt(5)
	v_ashrrev_i32_e32 v152, s26, v28
	s_waitcnt lgkmcnt(4)
	v_ashrrev_i32_e32 v154, s26, v34
	v_ashrrev_i32_e32 v155, s26, v35
	ds_load_2addr_b32 v[2:3], v158 offset1:1
	ds_load_2addr_b32 v[0:1], v158 offset0:6 offset1:7
	ds_load_2addr_b32 v[34:35], v158 offset0:2 offset1:3
	v_perm_b32 v143, v7, v7, 0x30201
	v_bfe_u32 v174, v152, 24, 2
	v_and_b32_e32 v152, 0x3030303, v152
	v_ashrrev_i32_e32 v153, s26, v29
	v_add_nc_u32_e32 v42, 0x4208, v170
	v_add_lshl_u32 v173, v101, s28, 2
	s_and_b32 s28, s1, -16
	s_waitcnt lgkmcnt(5)
	v_ashrrev_i32_e32 v30, s26, v30
	s_add_i32 s27, s27, s28
	s_waitcnt lgkmcnt(4)
	v_ashrrev_i32_e32 v32, s26, v32
	v_ashrrev_i32_e32 v26, s26, v26
	;; [unrolled: 1-line block ×3, first 2 shown]
	s_add_i32 s1, s1, 2
	s_waitcnt lgkmcnt(2)
	v_ashrrev_i32_e32 v159, s26, v2
	v_add_nc_u32_e32 v2, s30, v99
	v_ashrrev_i32_e32 v160, s26, v3
	ds_load_2addr_b32 v[36:37], v161 offset0:2 offset1:3
	ds_load_b32 v142, v2
	ds_load_2addr_b32 v[2:3], v161 offset1:1
	s_waitcnt lgkmcnt(3)
	v_ashrrev_i32_e32 v34, s26, v34
	v_ashrrev_i32_e32 v0, s26, v0
	;; [unrolled: 1-line block ×3, first 2 shown]
	s_waitcnt lgkmcnt(2)
	v_ashrrev_i32_e32 v36, s26, v36
	s_waitcnt lgkmcnt(0)
	v_ashrrev_i32_e32 v162, s26, v2
	v_add_nc_u32_e32 v2, 0x4200, v164
	v_ashrrev_i32_e32 v163, s26, v3
	v_add_nc_u32_e32 v3, 0x4218, v164
	ds_load_2addr_b32 v[4:5], v2 offset1:1
	ds_load_2addr_b32 v[2:3], v3 offset1:1
	;; [unrolled: 1-line block ×3, first 2 shown]
	s_waitcnt lgkmcnt(2)
	v_ashrrev_i32_e32 v165, s21, v4
	v_add_nc_u32_e32 v4, 0x4200, v167
	v_ashrrev_i32_e32 v166, s21, v5
	v_add_nc_u32_e32 v5, 0x4208, v167
	ds_load_2addr_b32 v[6:7], v4 offset1:1
	ds_load_2addr_b32 v[40:41], v5 offset1:1
	ds_load_2addr_b32 v[4:5], v148 offset0:6 offset1:7
	v_lshlrev_b32_e32 v165, 2, v165
	v_lshlrev_b32_e32 v166, 2, v166
	s_waitcnt lgkmcnt(3)
	v_ashrrev_i32_e32 v38, s21, v38
	v_ashrrev_i32_e32 v2, s21, v2
	;; [unrolled: 1-line block ×3, first 2 shown]
	v_and_b32_e32 v165, 0x4040404, v165
	v_and_b32_e32 v166, 0x4040404, v166
	v_lshlrev_b32_e32 v38, 2, v38
	v_lshlrev_b32_e32 v2, 2, v2
	;; [unrolled: 1-line block ×3, first 2 shown]
	v_lshrrev_b32_e32 v175, 24, v165
	v_lshrrev_b32_e32 v176, 16, v165
	v_lshrrev_b32_e32 v177, 24, v166
	v_lshrrev_b32_e32 v178, 16, v166
	v_and_b32_e32 v38, 0x4040404, v38
	v_sub_nc_u16 v174, v174, v175
	v_lshrrev_b32_e32 v175, 16, v152
	s_waitcnt lgkmcnt(2)
	v_ashrrev_i32_e32 v168, s21, v6
	v_add_nc_u32_e32 v6, 0x4200, v170
	v_ashrrev_i32_e32 v169, s21, v7
	v_add_nc_u32_e32 v7, 0x4218, v170
	v_sub_nc_u16 v175, v175, v176
	v_lshrrev_b16 v176, 8, v152
	v_sub_nc_u16 v152, v152, v165
	v_lshrrev_b16 v165, 8, v165
	v_lshlrev_b32_e32 v168, 2, v168
	ds_load_2addr_b32 v[28:29], v6 offset1:1
	ds_load_2addr_b32 v[6:7], v7 offset1:1
	;; [unrolled: 1-line block ×3, first 2 shown]
	v_lshlrev_b32_e32 v169, 2, v169
	v_lshlrev_b16 v174, 8, v174
	v_sub_nc_u16 v165, v176, v165
	v_bfe_u32 v176, v153, 24, 2
	v_and_b32_e32 v153, 0x3030303, v153
	v_and_b32_e32 v168, 0x4040404, v168
	;; [unrolled: 1-line block ×3, first 2 shown]
	v_lshlrev_b16 v165, 8, v165
	v_sub_nc_u16 v176, v176, v177
	v_lshrrev_b32_e32 v177, 16, v153
	v_lshrrev_b32_e32 v179, 24, v168
	;; [unrolled: 1-line block ×5, first 2 shown]
	v_sub_nc_u16 v177, v177, v178
	v_lshrrev_b16 v178, 8, v153
	v_sub_nc_u16 v153, v153, v166
	v_lshrrev_b16 v166, 8, v166
	s_waitcnt lgkmcnt(2)
	v_ashrrev_i32_e32 v171, s21, v28
	v_add_nc_u32_e32 v28, 0x4200, v173
	v_ashrrev_i32_e32 v172, s21, v29
	v_add_nc_u32_e32 v29, 0x4208, v173
	v_sub_nc_u16 v166, v178, v166
	v_bfe_u32 v178, v154, 24, 2
	v_and_b32_e32 v154, 0x3030303, v154
	v_lshlrev_b32_e32 v171, 2, v171
	ds_load_2addr_b32 v[145:146], v28 offset1:1
	ds_load_2addr_b32 v[44:45], v29 offset1:1
	ds_load_2addr_b32 v[28:29], v161 offset0:6 offset1:7
	v_lshlrev_b32_e32 v172, 2, v172
	v_sub_nc_u16 v178, v178, v179
	v_lshrrev_b32_e32 v179, 16, v154
	v_and_b32_e32 v171, 0x4040404, v171
	v_lshlrev_b16 v176, 8, v176
	v_and_b32_e32 v172, 0x4040404, v172
	v_lshlrev_b16 v166, 8, v166
	v_sub_nc_u16 v179, v179, v180
	v_lshrrev_b16 v180, 8, v154
	v_sub_nc_u16 v154, v154, v168
	v_lshrrev_b16 v168, 8, v168
	v_lshrrev_b32_e32 v183, 24, v171
	v_lshrrev_b32_e32 v184, 16, v171
	;; [unrolled: 1-line block ×4, first 2 shown]
	v_sub_nc_u16 v168, v180, v168
	v_bfe_u32 v180, v155, 24, 2
	v_and_b32_e32 v155, 0x3030303, v155
	s_waitcnt lgkmcnt(2)
	v_ashrrev_i32_e32 v145, s21, v145
	v_ashrrev_i32_e32 v146, s21, v146
	v_lshlrev_b16 v178, 8, v178
	v_sub_nc_u16 v180, v180, v181
	v_lshrrev_b32_e32 v181, 16, v155
	v_lshlrev_b32_e32 v145, 2, v145
	v_lshlrev_b32_e32 v146, 2, v146
	v_lshlrev_b16 v168, 8, v168
	v_lshlrev_b16 v180, 8, v180
	v_sub_nc_u16 v181, v181, v182
	v_lshrrev_b16 v182, 8, v155
	v_sub_nc_u16 v155, v155, v169
	v_lshrrev_b16 v169, 8, v169
	v_and_b32_e32 v145, 0x4040404, v145
	v_and_b32_e32 v146, 0x4040404, v146
	v_ashrrev_i32_e32 v40, s21, v40
	v_ashrrev_i32_e32 v42, s21, v42
	v_sub_nc_u16 v169, v182, v169
	v_bfe_u32 v182, v159, 24, 2
	v_and_b32_e32 v159, 0x3030303, v159
	v_lshrrev_b32_e32 v187, 24, v145
	v_lshrrev_b32_e32 v188, 16, v145
	;; [unrolled: 1-line block ×3, first 2 shown]
	v_sub_nc_u16 v182, v182, v183
	v_lshrrev_b32_e32 v183, 16, v159
	v_lshrrev_b32_e32 v190, 16, v146
	v_lshlrev_b16 v169, 8, v169
	v_lshlrev_b32_e32 v40, 2, v40
	v_lshlrev_b16 v182, 8, v182
	v_sub_nc_u16 v183, v183, v184
	v_lshrrev_b16 v184, 8, v159
	v_sub_nc_u16 v159, v159, v171
	v_lshrrev_b16 v171, 8, v171
	v_and_b32_e32 v40, 0x4040404, v40
	v_lshlrev_b32_e32 v42, 2, v42
	s_waitcnt lgkmcnt(1)
	v_ashrrev_i32_e32 v44, s21, v44
	v_and_b32_e32 v2, 0x4040404, v2
	v_sub_nc_u16 v171, v184, v171
	v_bfe_u32 v184, v160, 24, 2
	v_and_b32_e32 v160, 0x3030303, v160
	v_and_b32_e32 v42, 0x4040404, v42
	v_lshlrev_b32_e32 v44, 2, v44
	v_lshlrev_b16 v171, 8, v171
	v_sub_nc_u16 v184, v184, v185
	v_lshrrev_b32_e32 v185, 16, v160
	v_ashrrev_i32_e32 v4, s26, v4
	v_and_b32_e32 v44, 0x4040404, v44
	v_ashrrev_i32_e32 v6, s21, v6
	v_lshlrev_b16 v184, 8, v184
	v_sub_nc_u16 v185, v185, v186
	v_lshrrev_b16 v186, 8, v160
	v_sub_nc_u16 v160, v160, v172
	v_lshrrev_b16 v172, 8, v172
	v_lshlrev_b32_e32 v6, 2, v6
	s_waitcnt lgkmcnt(0)
	v_ashrrev_i32_e32 v28, s26, v28
	v_and_b32_e32 v3, 0x4040404, v3
	v_ashrrev_i32_e32 v5, s26, v5
	v_sub_nc_u16 v172, v186, v172
	v_bfe_u32 v186, v162, 24, 2
	v_and_b32_e32 v162, 0x3030303, v162
	v_and_b32_e32 v6, 0x4040404, v6
	v_ashrrev_i32_e32 v7, s21, v7
	v_lshlrev_b16 v172, 8, v172
	v_sub_nc_u16 v186, v186, v187
	v_lshrrev_b32_e32 v187, 16, v162
	v_ashrrev_i32_e32 v29, s26, v29
	v_lshlrev_b32_e32 v7, 2, v7
	s_delay_alu instid0(VALU_DEP_4) | instskip(NEXT) | instid1(VALU_DEP_4)
	v_lshlrev_b16 v186, 8, v186
	v_sub_nc_u16 v187, v187, v188
	v_lshrrev_b16 v188, 8, v162
	v_sub_nc_u16 v162, v162, v145
	v_lshrrev_b16 v145, 8, v145
	v_and_b32_e32 v7, 0x4040404, v7
	s_delay_alu instid0(VALU_DEP_2) | instskip(SKIP_2) | instid1(VALU_DEP_3)
	v_sub_nc_u16 v145, v188, v145
	v_bfe_u32 v188, v163, 24, 2
	v_and_b32_e32 v163, 0x3030303, v163
	v_lshlrev_b16 v145, 8, v145
	s_delay_alu instid0(VALU_DEP_3) | instskip(NEXT) | instid1(VALU_DEP_3)
	v_sub_nc_u16 v188, v188, v189
	v_lshrrev_b32_e32 v189, 16, v163
	s_delay_alu instid0(VALU_DEP_2) | instskip(NEXT) | instid1(VALU_DEP_2)
	v_lshlrev_b16 v188, 8, v188
	v_sub_nc_u16 v189, v189, v190
	v_lshrrev_b16 v190, 8, v163
	v_sub_nc_u16 v163, v163, v146
	v_lshrrev_b16 v146, 8, v146
	s_delay_alu instid0(VALU_DEP_1) | instskip(SKIP_1) | instid1(VALU_DEP_2)
	v_sub_nc_u16 v146, v190, v146
	v_and_b32_e32 v190, 0xff, v175
	v_lshlrev_b16 v146, 8, v146
	s_delay_alu instid0(VALU_DEP_2) | instskip(SKIP_1) | instid1(VALU_DEP_2)
	v_or_b32_e32 v174, v190, v174
	v_and_b32_e32 v190, 0xff, v152
	v_perm_b32 v152, v152, v174, 0x4010c0c
	s_delay_alu instid0(VALU_DEP_2) | instskip(SKIP_1) | instid1(VALU_DEP_2)
	v_or_b32_e32 v165, v190, v165
	v_and_b32_e32 v190, 0xff, v177
	v_perm_b32 v165, v175, v165, 0xc0c0401
	s_delay_alu instid0(VALU_DEP_2) | instskip(SKIP_1) | instid1(VALU_DEP_3)
	v_or_b32_e32 v176, v190, v176
	v_and_b32_e32 v190, 0xff, v153
	v_or_b32_e32 v152, v152, v165
	s_delay_alu instid0(VALU_DEP_3) | instskip(NEXT) | instid1(VALU_DEP_3)
	v_perm_b32 v153, v153, v176, 0x4010c0c
	v_or_b32_e32 v166, v190, v166
	v_and_b32_e32 v190, 0xff, v179
	s_delay_alu instid0(VALU_DEP_4) | instskip(NEXT) | instid1(VALU_DEP_3)
	v_dot4_i32_iu8 v152, v152, v150, 0 neg_lo:[1,1,0]
	v_perm_b32 v166, v177, v166, 0xc0c0401
	s_delay_alu instid0(VALU_DEP_3) | instskip(SKIP_1) | instid1(VALU_DEP_3)
	v_or_b32_e32 v178, v190, v178
	v_and_b32_e32 v190, 0xff, v154
	v_or_b32_e32 v153, v153, v166
	s_delay_alu instid0(VALU_DEP_3) | instskip(NEXT) | instid1(VALU_DEP_3)
	v_perm_b32 v154, v154, v178, 0x4010c0c
	v_or_b32_e32 v168, v190, v168
	v_and_b32_e32 v190, 0xff, v181
	s_delay_alu instid0(VALU_DEP_2) | instskip(NEXT) | instid1(VALU_DEP_2)
	v_perm_b32 v168, v179, v168, 0xc0c0401
	v_or_b32_e32 v180, v190, v180
	v_and_b32_e32 v190, 0xff, v155
	s_delay_alu instid0(VALU_DEP_3) | instskip(NEXT) | instid1(VALU_DEP_3)
	v_or_b32_e32 v154, v154, v168
	v_perm_b32 v155, v155, v180, 0x4010c0c
	s_delay_alu instid0(VALU_DEP_3) | instskip(SKIP_1) | instid1(VALU_DEP_4)
	v_or_b32_e32 v169, v190, v169
	v_and_b32_e32 v190, 0xff, v183
	v_dot4_i32_iu8 v154, v154, v150, 0 neg_lo:[1,1,0]
	s_delay_alu instid0(VALU_DEP_3) | instskip(NEXT) | instid1(VALU_DEP_3)
	v_perm_b32 v169, v181, v169, 0xc0c0401
	v_or_b32_e32 v182, v190, v182
	v_and_b32_e32 v190, 0xff, v159
	s_delay_alu instid0(VALU_DEP_3) | instskip(NEXT) | instid1(VALU_DEP_3)
	v_or_b32_e32 v155, v155, v169
	v_perm_b32 v159, v159, v182, 0x4010c0c
	s_delay_alu instid0(VALU_DEP_3) | instskip(SKIP_1) | instid1(VALU_DEP_2)
	v_or_b32_e32 v171, v190, v171
	v_and_b32_e32 v190, 0xff, v185
	v_perm_b32 v171, v183, v171, 0xc0c0401
	s_delay_alu instid0(VALU_DEP_2) | instskip(SKIP_1) | instid1(VALU_DEP_3)
	v_or_b32_e32 v184, v190, v184
	v_and_b32_e32 v190, 0xff, v160
	v_or_b32_e32 v159, v159, v171
	s_delay_alu instid0(VALU_DEP_3) | instskip(NEXT) | instid1(VALU_DEP_3)
	v_perm_b32 v160, v160, v184, 0x4010c0c
	v_or_b32_e32 v172, v190, v172
	v_and_b32_e32 v190, 0xff, v187
	s_delay_alu instid0(VALU_DEP_4) | instskip(NEXT) | instid1(VALU_DEP_3)
	v_dot4_i32_iu8 v159, v159, v150, 0 neg_lo:[1,1,0]
	v_perm_b32 v172, v185, v172, 0xc0c0401
	s_delay_alu instid0(VALU_DEP_3) | instskip(SKIP_1) | instid1(VALU_DEP_3)
	v_or_b32_e32 v186, v190, v186
	v_and_b32_e32 v190, 0xff, v162
	v_or_b32_e32 v160, v160, v172
	s_delay_alu instid0(VALU_DEP_3) | instskip(NEXT) | instid1(VALU_DEP_3)
	v_perm_b32 v162, v162, v186, 0x4010c0c
	v_or_b32_e32 v145, v190, v145
	v_and_b32_e32 v190, 0xff, v189
	s_delay_alu instid0(VALU_DEP_4) | instskip(NEXT) | instid1(VALU_DEP_3)
	v_dot4_i32_iu8 v159, v160, v151, v159 neg_lo:[1,1,0]
	v_perm_b32 v145, v187, v145, 0xc0c0401
	s_delay_alu instid0(VALU_DEP_3) | instskip(SKIP_1) | instid1(VALU_DEP_3)
	v_or_b32_e32 v188, v190, v188
	v_and_b32_e32 v190, 0xff, v163
	v_or_b32_e32 v145, v162, v145
	s_delay_alu instid0(VALU_DEP_3) | instskip(NEXT) | instid1(VALU_DEP_3)
	v_perm_b32 v163, v163, v188, 0x4010c0c
	v_or_b32_e32 v146, v190, v146
	v_dot4_i32_iu8 v162, v153, v151, v152 neg_lo:[1,1,0]
	v_add_nc_u32_e32 v152, 0x4210, v173
	v_dot4_i32_iu8 v145, v145, v150, 0 neg_lo:[1,1,0]
	v_add_nc_u32_e32 v150, 0x4218, v167
	v_perm_b32 v146, v189, v146, 0xc0c0401
	s_delay_alu instid0(VALU_DEP_1) | instskip(SKIP_2) | instid1(VALU_DEP_3)
	v_or_b32_e32 v146, v163, v146
	v_dot4_i32_iu8 v163, v155, v151, v154 neg_lo:[1,1,0]
	v_add_nc_u32_e32 v154, 0x4218, v173
	v_dot4_i32_iu8 v160, v146, v151, v145 neg_lo:[1,1,0]
	ds_load_2addr_b32 v[145:146], v147 offset0:4 offset1:5
	v_add_nc_u32_e32 v147, 0x4210, v167
	s_waitcnt lgkmcnt(0)
	v_ashrrev_i32_e32 v165, s26, v145
	v_ashrrev_i32_e32 v166, s26, v146
	ds_load_2addr_b32 v[145:146], v148 offset0:4 offset1:5
	v_bfe_u32 v173, v165, 24, 2
	v_and_b32_e32 v165, 0x3030303, v165
	s_waitcnt lgkmcnt(0)
	v_ashrrev_i32_e32 v168, s26, v145
	v_ashrrev_i32_e32 v169, s26, v146
	ds_load_2addr_b32 v[145:146], v158 offset0:4 offset1:5
	s_waitcnt lgkmcnt(0)
	v_ashrrev_i32_e32 v158, s26, v145
	v_ashrrev_i32_e32 v171, s26, v146
	ds_load_2addr_b32 v[145:146], v161 offset0:4 offset1:5
	s_waitcnt lgkmcnt(0)
	v_ashrrev_i32_e32 v161, s26, v145
	v_add_nc_u32_e32 v145, 0x4210, v164
	v_ashrrev_i32_e32 v172, s26, v146
	ds_load_2addr_b32 v[145:146], v145 offset1:1
	s_waitcnt lgkmcnt(0)
	v_ashrrev_i32_e32 v164, s21, v145
	v_add_nc_u32_e32 v145, s27, v120
	v_ashrrev_i32_e32 v174, s21, v146
	s_delay_alu instid0(VALU_DEP_3)
	v_lshlrev_b32_e32 v164, 2, v164
	ds_load_u16 v146, v145 offset:26354
	v_add_nc_u32_e32 v145, s30, v96
	ds_load_b32 v145, v145
	ds_load_2addr_b32 v[147:148], v147 offset1:1
	ds_load_2addr_b32 v[150:151], v150 offset1:1
	v_and_b32_e32 v164, 0x4040404, v164
	v_lshlrev_b32_e32 v174, 2, v174
	s_delay_alu instid0(VALU_DEP_2) | instskip(SKIP_1) | instid1(VALU_DEP_3)
	v_lshrrev_b32_e32 v177, 24, v164
	v_lshrrev_b32_e32 v178, 16, v164
	v_and_b32_e32 v174, 0x4040404, v174
	s_delay_alu instid0(VALU_DEP_3) | instskip(SKIP_1) | instid1(VALU_DEP_3)
	v_sub_nc_u16 v173, v173, v177
	v_lshrrev_b32_e32 v177, 16, v165
	v_lshrrev_b32_e32 v179, 24, v174
	;; [unrolled: 1-line block ×3, first 2 shown]
	s_delay_alu instid0(VALU_DEP_4) | instskip(NEXT) | instid1(VALU_DEP_4)
	v_lshlrev_b16 v173, 8, v173
	v_sub_nc_u16 v177, v177, v178
	v_lshrrev_b16 v178, 8, v165
	v_sub_nc_u16 v165, v165, v164
	v_lshrrev_b16 v164, 8, v164
	s_waitcnt lgkmcnt(1)
	v_ashrrev_i32_e32 v167, s21, v147
	v_add_nc_u32_e32 v147, 0x4210, v170
	v_ashrrev_i32_e32 v175, s21, v148
	v_sub_nc_u16 v164, v178, v164
	v_bfe_u32 v178, v166, 24, 2
	v_and_b32_e32 v166, 0x3030303, v166
	v_lshlrev_b32_e32 v167, 2, v167
	ds_load_2addr_b32 v[147:148], v147 offset1:1
	v_lshlrev_b32_e32 v175, 2, v175
	v_sub_nc_u16 v178, v178, v179
	v_lshrrev_b32_e32 v179, 16, v166
	v_and_b32_e32 v167, 0x4040404, v167
	v_lshlrev_b16 v164, 8, v164
	v_and_b32_e32 v175, 0x4040404, v175
	v_lshlrev_b16 v178, 8, v178
	v_sub_nc_u16 v179, v179, v180
	v_lshrrev_b16 v180, 8, v166
	v_sub_nc_u16 v166, v166, v174
	v_lshrrev_b16 v174, 8, v174
	v_lshrrev_b32_e32 v181, 24, v167
	v_lshrrev_b32_e32 v182, 16, v167
	;; [unrolled: 1-line block ×4, first 2 shown]
	v_sub_nc_u16 v174, v180, v174
	v_bfe_u32 v180, v168, 24, 2
	v_and_b32_e32 v168, 0x3030303, v168
	s_waitcnt lgkmcnt(0)
	v_ashrrev_i32_e32 v170, s21, v147
	v_add_nc_u32_e32 v147, s27, v118
	v_sub_nc_u16 v180, v180, v181
	v_lshrrev_b32_e32 v181, 16, v168
	v_ashrrev_i32_e32 v176, s21, v148
	v_lshlrev_b32_e32 v170, 2, v170
	ds_load_u16 v148, v147 offset:28402
	v_add_nc_u32_e32 v147, s30, v103
	v_sub_nc_u16 v181, v181, v182
	v_lshrrev_b16 v182, 8, v168
	v_sub_nc_u16 v168, v168, v167
	v_lshrrev_b16 v167, 8, v167
	v_and_b32_e32 v170, 0x4040404, v170
	ds_load_b32 v147, v147
	ds_load_2addr_b32 v[152:153], v152 offset1:1
	ds_load_2addr_b32 v[154:155], v154 offset1:1
	v_lshlrev_b32_e32 v176, 2, v176
	v_lshlrev_b16 v174, 8, v174
	v_sub_nc_u16 v167, v182, v167
	v_bfe_u32 v182, v169, 24, 2
	v_and_b32_e32 v169, 0x3030303, v169
	v_lshrrev_b32_e32 v185, 24, v170
	v_lshrrev_b32_e32 v186, 16, v170
	v_and_b32_e32 v176, 0x4040404, v176
	v_sub_nc_u16 v182, v182, v183
	v_lshrrev_b32_e32 v183, 16, v169
	v_lshlrev_b16 v180, 8, v180
	v_lshlrev_b16 v167, 8, v167
	v_lshrrev_b32_e32 v187, 24, v176
	v_lshrrev_b32_e32 v188, 16, v176
	v_sub_nc_u16 v183, v183, v184
	v_lshrrev_b16 v184, 8, v169
	v_sub_nc_u16 v169, v169, v175
	v_lshrrev_b16 v175, 8, v175
	s_waitcnt lgkmcnt(1)
	v_ashrrev_i32_e32 v152, s21, v152
	v_ashrrev_i32_e32 v153, s21, v153
	v_lshlrev_b16 v182, 8, v182
	s_waitcnt lgkmcnt(0)
	v_ashrrev_i32_e32 v154, s21, v154
	v_sub_nc_u16 v175, v184, v175
	v_bfe_u32 v184, v158, 24, 2
	v_and_b32_e32 v158, 0x3030303, v158
	v_lshlrev_b32_e32 v152, 2, v152
	v_lshlrev_b32_e32 v153, 2, v153
	v_lshlrev_b16 v175, 8, v175
	v_sub_nc_u16 v184, v184, v185
	v_lshrrev_b32_e32 v185, 16, v158
	v_and_b32_e32 v152, 0x4040404, v152
	v_and_b32_e32 v153, 0x4040404, v153
	v_lshlrev_b32_e32 v154, 2, v154
	v_lshlrev_b16 v184, 8, v184
	v_sub_nc_u16 v185, v185, v186
	v_lshrrev_b16 v186, 8, v158
	v_sub_nc_u16 v158, v158, v170
	v_lshrrev_b16 v170, 8, v170
	v_lshrrev_b32_e32 v189, 24, v152
	v_lshrrev_b32_e32 v190, 16, v152
	;; [unrolled: 1-line block ×4, first 2 shown]
	v_sub_nc_u16 v170, v186, v170
	v_bfe_u32 v186, v171, 24, 2
	v_and_b32_e32 v171, 0x3030303, v171
	v_and_b32_e32 v154, 0x4040404, v154
	s_delay_alu instid0(VALU_DEP_4) | instskip(NEXT) | instid1(VALU_DEP_4)
	v_lshlrev_b16 v170, 8, v170
	v_sub_nc_u16 v186, v186, v187
	s_delay_alu instid0(VALU_DEP_4) | instskip(NEXT) | instid1(VALU_DEP_2)
	v_lshrrev_b32_e32 v187, 16, v171
	v_lshlrev_b16 v186, 8, v186
	s_delay_alu instid0(VALU_DEP_2) | instskip(SKIP_3) | instid1(VALU_DEP_1)
	v_sub_nc_u16 v187, v187, v188
	v_lshrrev_b16 v188, 8, v171
	v_sub_nc_u16 v171, v171, v176
	v_lshrrev_b16 v176, 8, v176
	v_sub_nc_u16 v176, v188, v176
	v_bfe_u32 v188, v161, 24, 2
	v_and_b32_e32 v161, 0x3030303, v161
	s_delay_alu instid0(VALU_DEP_3) | instskip(NEXT) | instid1(VALU_DEP_3)
	v_lshlrev_b16 v176, 8, v176
	v_sub_nc_u16 v188, v188, v189
	s_delay_alu instid0(VALU_DEP_3) | instskip(NEXT) | instid1(VALU_DEP_2)
	v_lshrrev_b32_e32 v189, 16, v161
	v_lshlrev_b16 v188, 8, v188
	s_delay_alu instid0(VALU_DEP_2) | instskip(SKIP_3) | instid1(VALU_DEP_1)
	v_sub_nc_u16 v189, v189, v190
	v_lshrrev_b16 v190, 8, v161
	v_sub_nc_u16 v161, v161, v152
	v_lshrrev_b16 v152, 8, v152
	v_sub_nc_u16 v152, v190, v152
	v_bfe_u32 v190, v172, 24, 2
	v_and_b32_e32 v172, 0x3030303, v172
	s_delay_alu instid0(VALU_DEP_3) | instskip(NEXT) | instid1(VALU_DEP_3)
	v_lshlrev_b16 v152, 8, v152
	v_sub_nc_u16 v190, v190, v191
	s_delay_alu instid0(VALU_DEP_3) | instskip(NEXT) | instid1(VALU_DEP_2)
	v_lshrrev_b32_e32 v191, 16, v172
	v_lshlrev_b16 v190, 8, v190
	s_delay_alu instid0(VALU_DEP_2) | instskip(SKIP_3) | instid1(VALU_DEP_1)
	v_sub_nc_u16 v191, v191, v192
	v_lshrrev_b16 v192, 8, v172
	v_sub_nc_u16 v172, v172, v153
	v_lshrrev_b16 v153, 8, v153
	v_sub_nc_u16 v153, v192, v153
	v_and_b32_e32 v192, 0xff, v177
	s_delay_alu instid0(VALU_DEP_2) | instskip(NEXT) | instid1(VALU_DEP_2)
	v_lshlrev_b16 v153, 8, v153
	v_or_b32_e32 v173, v192, v173
	v_and_b32_e32 v192, 0xff, v165
	s_delay_alu instid0(VALU_DEP_2) | instskip(NEXT) | instid1(VALU_DEP_2)
	v_perm_b32 v165, v165, v173, 0x4010c0c
	v_or_b32_e32 v164, v192, v164
	v_and_b32_e32 v192, 0xff, v179
	s_delay_alu instid0(VALU_DEP_2) | instskip(NEXT) | instid1(VALU_DEP_2)
	v_perm_b32 v164, v177, v164, 0xc0c0401
	v_or_b32_e32 v178, v192, v178
	v_and_b32_e32 v192, 0xff, v166
	s_delay_alu instid0(VALU_DEP_3) | instskip(NEXT) | instid1(VALU_DEP_3)
	v_or_b32_e32 v164, v165, v164
	v_perm_b32 v166, v166, v178, 0x4010c0c
	s_delay_alu instid0(VALU_DEP_3) | instskip(SKIP_1) | instid1(VALU_DEP_2)
	v_or_b32_e32 v174, v192, v174
	v_and_b32_e32 v192, 0xff, v181
	v_perm_b32 v173, v179, v174, 0xc0c0401
	s_delay_alu instid0(VALU_DEP_2) | instskip(SKIP_1) | instid1(VALU_DEP_3)
	v_or_b32_e32 v180, v192, v180
	v_and_b32_e32 v192, 0xff, v168
	v_or_b32_e32 v165, v166, v173
	s_delay_alu instid0(VALU_DEP_3) | instskip(NEXT) | instid1(VALU_DEP_3)
	v_perm_b32 v168, v168, v180, 0x4010c0c
	v_or_b32_e32 v167, v192, v167
	v_and_b32_e32 v192, 0xff, v183
	s_delay_alu instid0(VALU_DEP_2) | instskip(NEXT) | instid1(VALU_DEP_2)
	v_perm_b32 v167, v181, v167, 0xc0c0401
	v_or_b32_e32 v182, v192, v182
	v_and_b32_e32 v192, 0xff, v169
	s_delay_alu instid0(VALU_DEP_3) | instskip(NEXT) | instid1(VALU_DEP_3)
	v_or_b32_e32 v166, v168, v167
	v_perm_b32 v169, v169, v182, 0x4010c0c
	s_delay_alu instid0(VALU_DEP_3) | instskip(SKIP_1) | instid1(VALU_DEP_2)
	v_or_b32_e32 v175, v192, v175
	v_and_b32_e32 v192, 0xff, v185
	v_perm_b32 v174, v183, v175, 0xc0c0401
	s_delay_alu instid0(VALU_DEP_2) | instskip(SKIP_1) | instid1(VALU_DEP_3)
	v_or_b32_e32 v184, v192, v184
	v_and_b32_e32 v192, 0xff, v158
	v_or_b32_e32 v167, v169, v174
	s_delay_alu instid0(VALU_DEP_3) | instskip(NEXT) | instid1(VALU_DEP_3)
	v_perm_b32 v158, v158, v184, 0x4010c0c
	v_or_b32_e32 v170, v192, v170
	v_and_b32_e32 v192, 0xff, v187
	v_lshrrev_b32_e32 v169, 24, v44
	s_delay_alu instid0(VALU_DEP_3) | instskip(NEXT) | instid1(VALU_DEP_3)
	v_perm_b32 v170, v185, v170, 0xc0c0401
	v_or_b32_e32 v186, v192, v186
	v_and_b32_e32 v192, 0xff, v171
	s_delay_alu instid0(VALU_DEP_3) | instskip(NEXT) | instid1(VALU_DEP_3)
	v_or_b32_e32 v158, v158, v170
	v_perm_b32 v171, v171, v186, 0x4010c0c
	s_delay_alu instid0(VALU_DEP_3) | instskip(SKIP_3) | instid1(VALU_DEP_4)
	v_or_b32_e32 v176, v192, v176
	v_and_b32_e32 v192, 0xff, v189
	v_lshrrev_b32_e32 v170, 16, v44
	v_dot4_i32_iu8 v158, v158, v156, 0 neg_lo:[1,1,0]
	v_perm_b32 v175, v187, v176, 0xc0c0401
	s_delay_alu instid0(VALU_DEP_4) | instskip(SKIP_1) | instid1(VALU_DEP_3)
	v_or_b32_e32 v188, v192, v188
	v_and_b32_e32 v192, 0xff, v161
	v_or_b32_e32 v168, v171, v175
	s_delay_alu instid0(VALU_DEP_3) | instskip(NEXT) | instid1(VALU_DEP_3)
	v_perm_b32 v161, v161, v188, 0x4010c0c
	v_or_b32_e32 v152, v192, v152
	v_and_b32_e32 v192, 0xff, v191
	s_delay_alu instid0(VALU_DEP_4) | instskip(SKIP_1) | instid1(VALU_DEP_4)
	v_dot4_i32_iu8 v158, v168, v157, v158 neg_lo:[1,1,0]
	v_lshrrev_b32_e32 v168, 16, v42
	v_perm_b32 v152, v189, v152, 0xc0c0401
	s_delay_alu instid0(VALU_DEP_4) | instskip(SKIP_1) | instid1(VALU_DEP_3)
	v_or_b32_e32 v190, v192, v190
	v_and_b32_e32 v192, 0xff, v172
	v_or_b32_e32 v152, v161, v152
	s_delay_alu instid0(VALU_DEP_3) | instskip(NEXT) | instid1(VALU_DEP_3)
	v_perm_b32 v172, v172, v190, 0x4010c0c
	v_or_b32_e32 v153, v192, v153
	v_dot4_i32_iu8 v161, v164, v156, 0 neg_lo:[1,1,0]
	v_dot4_i32_iu8 v164, v166, v156, 0 neg_lo:[1,1,0]
	;; [unrolled: 1-line block ×3, first 2 shown]
	v_lshrrev_b32_e32 v166, 16, v40
	v_perm_b32 v153, v191, v153, 0xc0c0401
	v_dot4_i32_iu8 v156, v165, v157, v161 neg_lo:[1,1,0]
	v_dot4_i32_iu8 v161, v167, v157, v164 neg_lo:[1,1,0]
	v_lshrrev_b32_e32 v164, 16, v38
	v_lshrrev_b32_e32 v165, 24, v40
	v_or_b32_e32 v153, v172, v153
	v_lshrrev_b32_e32 v167, 24, v42
	s_delay_alu instid0(VALU_DEP_2) | instskip(SKIP_3) | instid1(VALU_DEP_2)
	v_dot4_i32_iu8 v152, v153, v157, v152 neg_lo:[1,1,0]
	v_bfe_u32 v153, v30, 24, 2
	v_lshrrev_b32_e32 v157, 24, v38
	v_and_b32_e32 v30, 0x3030303, v30
	v_sub_nc_u16 v153, v153, v157
	s_delay_alu instid0(VALU_DEP_2) | instskip(NEXT) | instid1(VALU_DEP_2)
	v_lshrrev_b32_e32 v157, 16, v30
	v_lshlrev_b16 v153, 8, v153
	s_delay_alu instid0(VALU_DEP_2) | instskip(SKIP_3) | instid1(VALU_DEP_1)
	v_sub_nc_u16 v157, v157, v164
	v_lshrrev_b16 v164, 8, v30
	v_sub_nc_u16 v30, v30, v38
	v_lshrrev_b16 v38, 8, v38
	v_sub_nc_u16 v38, v164, v38
	v_bfe_u32 v164, v32, 24, 2
	v_and_b32_e32 v32, 0x3030303, v32
	s_delay_alu instid0(VALU_DEP_3) | instskip(NEXT) | instid1(VALU_DEP_3)
	v_lshlrev_b16 v38, 8, v38
	v_sub_nc_u16 v164, v164, v165
	s_delay_alu instid0(VALU_DEP_3) | instskip(NEXT) | instid1(VALU_DEP_2)
	v_lshrrev_b32_e32 v165, 16, v32
	v_lshlrev_b16 v164, 8, v164
	s_delay_alu instid0(VALU_DEP_2) | instskip(SKIP_3) | instid1(VALU_DEP_1)
	v_sub_nc_u16 v165, v165, v166
	v_lshrrev_b16 v166, 8, v32
	v_sub_nc_u16 v32, v32, v40
	v_lshrrev_b16 v40, 8, v40
	v_sub_nc_u16 v40, v166, v40
	v_bfe_u32 v166, v34, 24, 2
	v_and_b32_e32 v34, 0x3030303, v34
	s_delay_alu instid0(VALU_DEP_3) | instskip(NEXT) | instid1(VALU_DEP_3)
	v_lshlrev_b16 v40, 8, v40
	v_sub_nc_u16 v166, v166, v167
	s_delay_alu instid0(VALU_DEP_3) | instskip(NEXT) | instid1(VALU_DEP_2)
	;; [unrolled: 14-line block ×3, first 2 shown]
	v_lshrrev_b32_e32 v169, 16, v36
	v_lshlrev_b16 v168, 8, v168
	s_delay_alu instid0(VALU_DEP_2) | instskip(SKIP_3) | instid1(VALU_DEP_1)
	v_sub_nc_u16 v169, v169, v170
	v_lshrrev_b16 v170, 8, v36
	v_sub_nc_u16 v36, v36, v44
	v_lshrrev_b16 v44, 8, v44
	v_sub_nc_u16 v44, v170, v44
	v_and_b32_e32 v170, 0xff, v157
	s_delay_alu instid0(VALU_DEP_2) | instskip(NEXT) | instid1(VALU_DEP_2)
	v_lshlrev_b16 v44, 8, v44
	v_or_b32_e32 v153, v170, v153
	v_and_b32_e32 v170, 0xff, v30
	s_delay_alu instid0(VALU_DEP_2) | instskip(NEXT) | instid1(VALU_DEP_2)
	v_perm_b32 v30, v30, v153, 0x4010c0c
	v_or_b32_e32 v38, v170, v38
	v_and_b32_e32 v170, 0xff, v165
	v_lshrrev_b32_e32 v153, 24, v6
	s_delay_alu instid0(VALU_DEP_3) | instskip(NEXT) | instid1(VALU_DEP_3)
	v_perm_b32 v38, v157, v38, 0xc0c0401
	v_or_b32_e32 v164, v170, v164
	v_and_b32_e32 v170, 0xff, v32
	v_lshrrev_b32_e32 v157, 16, v6
	s_delay_alu instid0(VALU_DEP_4) | instskip(NEXT) | instid1(VALU_DEP_4)
	v_or_b32_e32 v30, v30, v38
	v_perm_b32 v32, v32, v164, 0x4010c0c
	s_delay_alu instid0(VALU_DEP_4)
	v_or_b32_e32 v40, v170, v40
	v_and_b32_e32 v170, 0xff, v167
	v_bfe_u32 v38, v26, 24, 2
	v_and_b32_e32 v26, 0x3030303, v26
	v_dot4_i32_iu8 v30, v30, v149, v162 neg_lo:[1,1,0]
	v_perm_b32 v40, v165, v40, 0xc0c0401
	v_or_b32_e32 v166, v170, v166
	v_and_b32_e32 v170, 0xff, v34
	s_delay_alu instid0(VALU_DEP_3) | instskip(NEXT) | instid1(VALU_DEP_3)
	v_or_b32_e32 v32, v32, v40
	v_perm_b32 v34, v34, v166, 0x4010c0c
	s_delay_alu instid0(VALU_DEP_3) | instskip(SKIP_3) | instid1(VALU_DEP_4)
	v_or_b32_e32 v42, v170, v42
	v_lshrrev_b32_e32 v40, 24, v2
	v_and_b32_e32 v170, 0xff, v169
	v_dot4_i32_iu8 v32, v32, v149, v163 neg_lo:[1,1,0]
	v_perm_b32 v42, v167, v42, 0xc0c0401
	s_delay_alu instid0(VALU_DEP_4)
	v_sub_nc_u16 v38, v38, v40
	v_lshrrev_b32_e32 v40, 16, v26
	v_or_b32_e32 v168, v170, v168
	v_and_b32_e32 v170, 0xff, v36
	v_or_b32_e32 v34, v34, v42
	v_lshrrev_b32_e32 v42, 16, v2
	v_lshlrev_b16 v38, 8, v38
	v_perm_b32 v36, v36, v168, 0x4010c0c
	v_or_b32_e32 v44, v170, v44
	v_dot4_i32_iu8 v34, v34, v149, v159 neg_lo:[1,1,0]
	v_sub_nc_u16 v40, v40, v42
	v_lshrrev_b16 v42, 8, v26
	v_sub_nc_u16 v26, v26, v2
	v_lshrrev_b16 v2, 8, v2
	v_perm_b32 v44, v169, v44, 0xc0c0401
	v_lshrrev_b32_e32 v159, 24, v154
	s_delay_alu instid0(VALU_DEP_3) | instskip(SKIP_1) | instid1(VALU_DEP_4)
	v_sub_nc_u16 v2, v42, v2
	v_ashrrev_i32_e32 v42, s21, v150
	v_or_b32_e32 v36, v36, v44
	v_bfe_u32 v44, v4, 24, 2
	v_and_b32_e32 v4, 0x3030303, v4
	v_lshlrev_b16 v2, 8, v2
	v_lshlrev_b32_e32 v42, 2, v42
	v_dot4_i32_iu8 v36, v36, v149, v160 neg_lo:[1,1,0]
	v_lshrrev_b32_e32 v160, 16, v154
	s_delay_alu instid0(VALU_DEP_3) | instskip(NEXT) | instid1(VALU_DEP_1)
	v_and_b32_e32 v42, 0x4040404, v42
	v_lshrrev_b32_e32 v149, 24, v42
	v_lshrrev_b32_e32 v150, 16, v42
	s_delay_alu instid0(VALU_DEP_2) | instskip(SKIP_1) | instid1(VALU_DEP_2)
	v_sub_nc_u16 v44, v44, v149
	v_lshrrev_b32_e32 v149, 16, v4
	v_lshlrev_b16 v44, 8, v44
	s_delay_alu instid0(VALU_DEP_2) | instskip(SKIP_3) | instid1(VALU_DEP_1)
	v_sub_nc_u16 v149, v149, v150
	v_lshrrev_b16 v150, 8, v4
	v_sub_nc_u16 v4, v4, v42
	v_lshrrev_b16 v42, 8, v42
	v_sub_nc_u16 v42, v150, v42
	v_bfe_u32 v150, v0, 24, 2
	v_and_b32_e32 v0, 0x3030303, v0
	s_delay_alu instid0(VALU_DEP_3) | instskip(NEXT) | instid1(VALU_DEP_3)
	v_lshlrev_b16 v42, 8, v42
	v_sub_nc_u16 v150, v150, v153
	s_delay_alu instid0(VALU_DEP_3) | instskip(NEXT) | instid1(VALU_DEP_2)
	v_lshrrev_b32_e32 v153, 16, v0
	v_lshlrev_b16 v150, 8, v150
	s_delay_alu instid0(VALU_DEP_2) | instskip(SKIP_3) | instid1(VALU_DEP_1)
	v_sub_nc_u16 v153, v153, v157
	v_lshrrev_b16 v157, 8, v0
	v_sub_nc_u16 v0, v0, v6
	v_lshrrev_b16 v6, 8, v6
	v_sub_nc_u16 v6, v157, v6
	v_bfe_u32 v157, v28, 24, 2
	v_and_b32_e32 v28, 0x3030303, v28
	s_delay_alu instid0(VALU_DEP_3) | instskip(NEXT) | instid1(VALU_DEP_3)
	v_lshlrev_b16 v6, 8, v6
	v_sub_nc_u16 v157, v157, v159
	s_delay_alu instid0(VALU_DEP_3) | instskip(NEXT) | instid1(VALU_DEP_2)
	v_lshrrev_b32_e32 v159, 16, v28
	v_lshlrev_b16 v157, 8, v157
	s_delay_alu instid0(VALU_DEP_2) | instskip(SKIP_3) | instid1(VALU_DEP_1)
	v_sub_nc_u16 v159, v159, v160
	v_lshrrev_b16 v160, 8, v28
	v_sub_nc_u16 v28, v28, v154
	v_lshrrev_b16 v154, 8, v154
	v_sub_nc_u16 v154, v160, v154
	v_and_b32_e32 v160, 0xff, v40
	s_delay_alu instid0(VALU_DEP_2) | instskip(NEXT) | instid1(VALU_DEP_2)
	v_lshlrev_b16 v154, 8, v154
	v_or_b32_e32 v38, v160, v38
	v_and_b32_e32 v160, 0xff, v26
	s_delay_alu instid0(VALU_DEP_2) | instskip(NEXT) | instid1(VALU_DEP_2)
	v_perm_b32 v26, v26, v38, 0x4010c0c
	v_or_b32_e32 v2, v160, v2
	v_and_b32_e32 v160, 0xff, v149
	s_delay_alu instid0(VALU_DEP_2) | instskip(NEXT) | instid1(VALU_DEP_2)
	v_perm_b32 v2, v40, v2, 0xc0c0401
	v_or_b32_e32 v44, v160, v44
	v_and_b32_e32 v160, 0xff, v4
	s_delay_alu instid0(VALU_DEP_3) | instskip(SKIP_1) | instid1(VALU_DEP_3)
	v_or_b32_e32 v2, v26, v2
	v_ashrrev_i32_e32 v26, s26, v31
	v_or_b32_e32 v42, v160, v42
	v_and_b32_e32 v160, 0xff, v153
	v_ashrrev_i32_e32 v31, s26, v35
	v_ashrrev_i32_e32 v35, s21, v39
	v_perm_b32 v4, v4, v44, 0x4010c0c
	v_perm_b32 v38, v149, v42, 0xc0c0401
	v_or_b32_e32 v150, v160, v150
	v_and_b32_e32 v160, 0xff, v0
	v_lshlrev_b32_e32 v35, 2, v35
	v_ashrrev_i32_e32 v39, s21, v45
	v_or_b32_e32 v4, v4, v38
	v_perm_b32 v0, v0, v150, 0x4010c0c
	v_or_b32_e32 v6, v160, v6
	v_and_b32_e32 v160, 0xff, v159
	v_and_b32_e32 v35, 0x4040404, v35
	v_ashrrev_i32_e32 v38, s21, v43
	v_dot4_i32_iu8 v2, v2, v144, v156 neg_lo:[1,1,0]
	v_perm_b32 v6, v153, v6, 0xc0c0401
	v_or_b32_e32 v157, v160, v157
	v_and_b32_e32 v160, 0xff, v28
	v_lshrrev_b32_e32 v42, 16, v35
	v_lshlrev_b32_e32 v38, 2, v38
	v_or_b32_e32 v0, v0, v6
	v_perm_b32 v28, v28, v157, 0x4010c0c
	v_or_b32_e32 v154, v160, v154
	v_dot4_i32_iu8 v4, v4, v144, v161 neg_lo:[1,1,0]
	v_and_b32_e32 v38, 0x4040404, v38
	v_dot4_i32_iu8 v0, v0, v144, v158 neg_lo:[1,1,0]
	v_lshlrev_b32_e32 v39, 2, v39
	v_perm_b32 v40, v159, v154, 0xc0c0401
	s_delay_alu instid0(VALU_DEP_4) | instskip(NEXT) | instid1(VALU_DEP_3)
	v_lshrrev_b32_e32 v45, 24, v38
	v_and_b32_e32 v39, 0x4040404, v39
	s_delay_alu instid0(VALU_DEP_3)
	v_or_b32_e32 v6, v28, v40
	v_ashrrev_i32_e32 v28, s26, v33
	v_ashrrev_i32_e32 v33, s26, v37
	;; [unrolled: 1-line block ×3, first 2 shown]
	v_bfe_u32 v40, v26, 24, 2
	v_lshrrev_b32_e32 v41, 24, v35
	v_and_b32_e32 v26, 0x3030303, v26
	v_dot4_i32_iu8 v6, v6, v144, v152 neg_lo:[1,1,0]
	v_lshlrev_b32_e32 v37, 2, v37
	v_lshrrev_b32_e32 v144, 16, v38
	v_sub_nc_u16 v40, v40, v41
	v_lshrrev_b32_e32 v41, 16, v26
	v_lshrrev_b32_e32 v149, 24, v39
	v_and_b32_e32 v37, 0x4040404, v37
	v_lshrrev_b32_e32 v150, 16, v39
	v_lshlrev_b16 v40, 8, v40
	v_sub_nc_u16 v41, v41, v42
	v_lshrrev_b16 v42, 8, v26
	v_sub_nc_u16 v26, v26, v35
	v_lshrrev_b16 v35, 8, v35
	v_lshrrev_b32_e32 v43, 24, v37
	v_lshrrev_b32_e32 v44, 16, v37
	s_delay_alu instid0(VALU_DEP_3) | instskip(SKIP_2) | instid1(VALU_DEP_3)
	v_sub_nc_u16 v35, v42, v35
	v_bfe_u32 v42, v28, 24, 2
	v_and_b32_e32 v28, 0x3030303, v28
	v_lshlrev_b16 v35, 8, v35
	s_delay_alu instid0(VALU_DEP_3) | instskip(NEXT) | instid1(VALU_DEP_3)
	v_sub_nc_u16 v42, v42, v43
	v_lshrrev_b32_e32 v43, 16, v28
	s_delay_alu instid0(VALU_DEP_2) | instskip(NEXT) | instid1(VALU_DEP_2)
	v_lshlrev_b16 v42, 8, v42
	v_sub_nc_u16 v43, v43, v44
	v_lshrrev_b16 v44, 8, v28
	v_sub_nc_u16 v28, v28, v37
	v_lshrrev_b16 v37, 8, v37
	s_delay_alu instid0(VALU_DEP_1) | instskip(SKIP_2) | instid1(VALU_DEP_3)
	v_sub_nc_u16 v37, v44, v37
	v_bfe_u32 v44, v31, 24, 2
	v_and_b32_e32 v31, 0x3030303, v31
	v_lshlrev_b16 v37, 8, v37
	s_delay_alu instid0(VALU_DEP_3) | instskip(NEXT) | instid1(VALU_DEP_3)
	v_sub_nc_u16 v44, v44, v45
	v_lshrrev_b32_e32 v45, 16, v31
	s_delay_alu instid0(VALU_DEP_2) | instskip(NEXT) | instid1(VALU_DEP_2)
	v_lshlrev_b16 v44, 8, v44
	v_sub_nc_u16 v45, v45, v144
	v_lshrrev_b16 v144, 8, v31
	v_sub_nc_u16 v31, v31, v38
	v_lshrrev_b16 v38, 8, v38
	s_delay_alu instid0(VALU_DEP_1) | instskip(SKIP_2) | instid1(VALU_DEP_3)
	v_sub_nc_u16 v38, v144, v38
	v_bfe_u32 v144, v33, 24, 2
	v_and_b32_e32 v33, 0x3030303, v33
	v_lshlrev_b16 v38, 8, v38
	s_delay_alu instid0(VALU_DEP_3) | instskip(NEXT) | instid1(VALU_DEP_3)
	v_sub_nc_u16 v144, v144, v149
	v_lshrrev_b32_e32 v149, 16, v33
	s_delay_alu instid0(VALU_DEP_2) | instskip(NEXT) | instid1(VALU_DEP_2)
	v_lshlrev_b16 v144, 8, v144
	v_sub_nc_u16 v149, v149, v150
	v_lshrrev_b16 v150, 8, v33
	v_sub_nc_u16 v33, v33, v39
	v_lshrrev_b16 v39, 8, v39
	s_delay_alu instid0(VALU_DEP_1) | instskip(SKIP_1) | instid1(VALU_DEP_2)
	v_sub_nc_u16 v39, v150, v39
	v_and_b32_e32 v150, 0xff, v41
	v_lshlrev_b16 v39, 8, v39
	s_delay_alu instid0(VALU_DEP_2) | instskip(SKIP_1) | instid1(VALU_DEP_2)
	v_or_b32_e32 v40, v150, v40
	v_and_b32_e32 v150, 0xff, v26
	v_perm_b32 v26, v26, v40, 0x4010c0c
	s_delay_alu instid0(VALU_DEP_2) | instskip(SKIP_2) | instid1(VALU_DEP_3)
	v_or_b32_e32 v35, v150, v35
	v_and_b32_e32 v150, 0xff, v43
	v_lshrrev_b32_e32 v40, 16, v7
	v_perm_b32 v35, v41, v35, 0xc0c0401
	s_delay_alu instid0(VALU_DEP_3) | instskip(SKIP_1) | instid1(VALU_DEP_3)
	v_or_b32_e32 v42, v150, v42
	v_and_b32_e32 v150, 0xff, v28
	v_or_b32_e32 v26, v26, v35
	s_delay_alu instid0(VALU_DEP_3) | instskip(NEXT) | instid1(VALU_DEP_3)
	v_perm_b32 v28, v28, v42, 0x4010c0c
	v_or_b32_e32 v37, v150, v37
	v_and_b32_e32 v150, 0xff, v45
	v_lshrrev_b32_e32 v35, 24, v3
	v_dot4_i32_iu8 v26, v26, v143, v30 neg_lo:[1,1,0]
	s_delay_alu instid0(VALU_DEP_4) | instskip(NEXT) | instid1(VALU_DEP_4)
	v_perm_b32 v37, v43, v37, 0xc0c0401
	v_or_b32_e32 v44, v150, v44
	v_and_b32_e32 v150, 0xff, v31
	s_delay_alu instid0(VALU_DEP_3) | instskip(NEXT) | instid1(VALU_DEP_3)
	v_or_b32_e32 v28, v28, v37
	v_perm_b32 v31, v31, v44, 0x4010c0c
	s_delay_alu instid0(VALU_DEP_3) | instskip(SKIP_1) | instid1(VALU_DEP_4)
	v_or_b32_e32 v38, v150, v38
	v_and_b32_e32 v150, 0xff, v149
	v_dot4_i32_iu8 v28, v28, v143, v32 neg_lo:[1,1,0]
	v_ashrrev_i32_e32 v32, s21, v151
	s_delay_alu instid0(VALU_DEP_4) | instskip(NEXT) | instid1(VALU_DEP_4)
	v_perm_b32 v38, v45, v38, 0xc0c0401
	v_or_b32_e32 v144, v150, v144
	v_and_b32_e32 v150, 0xff, v33
	s_delay_alu instid0(VALU_DEP_4) | instskip(NEXT) | instid1(VALU_DEP_4)
	v_lshlrev_b32_e32 v32, 2, v32
	v_or_b32_e32 v31, v31, v38
	s_delay_alu instid0(VALU_DEP_4) | instskip(NEXT) | instid1(VALU_DEP_4)
	v_perm_b32 v33, v33, v144, 0x4010c0c
	v_or_b32_e32 v39, v150, v39
	s_delay_alu instid0(VALU_DEP_4) | instskip(NEXT) | instid1(VALU_DEP_4)
	v_and_b32_e32 v32, 0x4040404, v32
	v_dot4_i32_iu8 v30, v31, v143, v34 neg_lo:[1,1,0]
	v_bfe_u32 v34, v27, 24, 2
	s_delay_alu instid0(VALU_DEP_4)
	v_perm_b32 v39, v149, v39, 0xc0c0401
	v_and_b32_e32 v27, 0x3030303, v27
	v_lshrrev_b32_e32 v37, 24, v32
	v_lshrrev_b32_e32 v38, 16, v32
	v_sub_nc_u16 v34, v34, v35
	v_or_b32_e32 v33, v33, v39
	v_lshrrev_b32_e32 v35, 16, v27
	v_lshrrev_b32_e32 v39, 24, v7
	s_delay_alu instid0(VALU_DEP_4) | instskip(NEXT) | instid1(VALU_DEP_4)
	v_lshlrev_b16 v34, 8, v34
	v_dot4_i32_iu8 v31, v33, v143, v36 neg_lo:[1,1,0]
	v_lshrrev_b32_e32 v36, 16, v3
	v_ashrrev_i32_e32 v33, s21, v155
	s_add_i32 s21, s21, 1
	s_cmp_lt_u32 s25, 22
	s_delay_alu instid0(VALU_DEP_2) | instskip(SKIP_4) | instid1(VALU_DEP_2)
	v_sub_nc_u16 v35, v35, v36
	v_lshrrev_b16 v36, 8, v27
	v_sub_nc_u16 v27, v27, v3
	v_lshrrev_b16 v3, 8, v3
	v_lshlrev_b32_e32 v33, 2, v33
	v_sub_nc_u16 v3, v36, v3
	v_bfe_u32 v36, v5, 24, 2
	v_and_b32_e32 v5, 0x3030303, v5
	s_delay_alu instid0(VALU_DEP_4) | instskip(NEXT) | instid1(VALU_DEP_4)
	v_and_b32_e32 v33, 0x4040404, v33
	v_lshlrev_b16 v3, 8, v3
	s_delay_alu instid0(VALU_DEP_4) | instskip(NEXT) | instid1(VALU_DEP_4)
	v_sub_nc_u16 v36, v36, v37
	v_lshrrev_b32_e32 v37, 16, v5
	s_delay_alu instid0(VALU_DEP_4) | instskip(SKIP_1) | instid1(VALU_DEP_4)
	v_lshrrev_b32_e32 v41, 24, v33
	v_lshrrev_b32_e32 v42, 16, v33
	v_lshlrev_b16 v36, 8, v36
	s_delay_alu instid0(VALU_DEP_4) | instskip(SKIP_3) | instid1(VALU_DEP_1)
	v_sub_nc_u16 v37, v37, v38
	v_lshrrev_b16 v38, 8, v5
	v_sub_nc_u16 v5, v5, v32
	v_lshrrev_b16 v32, 8, v32
	v_sub_nc_u16 v32, v38, v32
	v_bfe_u32 v38, v1, 24, 2
	v_and_b32_e32 v1, 0x3030303, v1
	s_delay_alu instid0(VALU_DEP_3) | instskip(NEXT) | instid1(VALU_DEP_3)
	v_lshlrev_b16 v32, 8, v32
	v_sub_nc_u16 v38, v38, v39
	s_delay_alu instid0(VALU_DEP_3) | instskip(NEXT) | instid1(VALU_DEP_2)
	v_lshrrev_b32_e32 v39, 16, v1
	v_lshlrev_b16 v38, 8, v38
	s_delay_alu instid0(VALU_DEP_2) | instskip(SKIP_3) | instid1(VALU_DEP_1)
	v_sub_nc_u16 v39, v39, v40
	v_lshrrev_b16 v40, 8, v1
	v_sub_nc_u16 v1, v1, v7
	v_lshrrev_b16 v7, 8, v7
	v_sub_nc_u16 v7, v40, v7
	v_bfe_u32 v40, v29, 24, 2
	v_and_b32_e32 v29, 0x3030303, v29
	s_delay_alu instid0(VALU_DEP_3) | instskip(NEXT) | instid1(VALU_DEP_3)
	v_lshlrev_b16 v7, 8, v7
	v_sub_nc_u16 v40, v40, v41
	s_delay_alu instid0(VALU_DEP_3) | instskip(NEXT) | instid1(VALU_DEP_2)
	v_lshrrev_b32_e32 v41, 16, v29
	v_lshlrev_b16 v40, 8, v40
	s_delay_alu instid0(VALU_DEP_2) | instskip(SKIP_3) | instid1(VALU_DEP_1)
	v_sub_nc_u16 v41, v41, v42
	v_lshrrev_b16 v42, 8, v29
	v_sub_nc_u16 v29, v29, v33
	v_lshrrev_b16 v33, 8, v33
	v_sub_nc_u16 v33, v42, v33
	v_and_b32_e32 v42, 0xff, v35
	s_delay_alu instid0(VALU_DEP_2) | instskip(NEXT) | instid1(VALU_DEP_2)
	v_lshlrev_b16 v33, 8, v33
	v_or_b32_e32 v34, v42, v34
	v_and_b32_e32 v42, 0xff, v27
	s_delay_alu instid0(VALU_DEP_2) | instskip(NEXT) | instid1(VALU_DEP_2)
	v_perm_b32 v27, v27, v34, 0x4010c0c
	v_or_b32_e32 v3, v42, v3
	v_and_b32_e32 v42, 0xff, v37
	s_delay_alu instid0(VALU_DEP_2) | instskip(NEXT) | instid1(VALU_DEP_2)
	v_perm_b32 v3, v35, v3, 0xc0c0401
	v_or_b32_e32 v36, v42, v36
	v_and_b32_e32 v42, 0xff, v5
	s_delay_alu instid0(VALU_DEP_3) | instskip(SKIP_1) | instid1(VALU_DEP_3)
	v_or_b32_e32 v3, v27, v3
	v_add_nc_u32_e32 v27, s27, v121
	v_or_b32_e32 v32, v42, v32
	v_and_b32_e32 v42, 0xff, v39
	v_perm_b32 v5, v5, v36, 0x4010c0c
	s_delay_alu instid0(VALU_DEP_3) | instskip(NEXT) | instid1(VALU_DEP_3)
	v_perm_b32 v32, v37, v32, 0xc0c0401
	v_or_b32_e32 v38, v42, v38
	v_and_b32_e32 v42, 0xff, v1
	s_delay_alu instid0(VALU_DEP_3) | instskip(NEXT) | instid1(VALU_DEP_3)
	v_or_b32_e32 v5, v5, v32
	v_perm_b32 v1, v1, v38, 0x4010c0c
	s_delay_alu instid0(VALU_DEP_3) | instskip(SKIP_1) | instid1(VALU_DEP_4)
	v_or_b32_e32 v7, v42, v7
	v_and_b32_e32 v42, 0xff, v41
	v_dot4_i32_iu8 v34, v5, v140, v4 neg_lo:[1,1,0]
	s_delay_alu instid0(VALU_DEP_3) | instskip(NEXT) | instid1(VALU_DEP_3)
	v_perm_b32 v7, v39, v7, 0xc0c0401
	v_or_b32_e32 v40, v42, v40
	v_and_b32_e32 v42, 0xff, v29
	s_delay_alu instid0(VALU_DEP_3)
	v_or_b32_e32 v1, v1, v7
	v_add_nc_u32_e32 v7, s27, v119
	ds_load_u16 v27, v27 offset:25330
	ds_load_u16 v7, v7 offset:27378
	v_or_b32_e32 v33, v42, v33
	v_perm_b32 v29, v29, v40, 0x4010c0c
	v_dot4_i32_iu8 v35, v1, v140, v0 neg_lo:[1,1,0]
	v_lshrrev_b16 v0, 8, v146
	v_lshrrev_b16 v1, 8, v148
	v_perm_b32 v33, v41, v33, 0xc0c0401
	ds_load_b32 v32, v139
	v_add_nc_u32_e32 v139, 4, v139
	v_bfe_i32 v36, v0, 0, 8
	v_bfe_i32 v37, v1, 0, 8
	v_or_b32_e32 v29, v29, v33
	v_dot4_i32_iu8 v33, v3, v140, v2 neg_lo:[1,1,0]
	s_mov_b32 s27, s25
	s_delay_alu instid0(VALU_DEP_2)
	v_dot4_i32_iu8 v29, v29, v140, v6 neg_lo:[1,1,0]
	s_waitcnt lgkmcnt(2)
	v_lshrrev_b16 v2, 8, v27
	s_waitcnt lgkmcnt(1)
	v_lshrrev_b16 v3, 8, v7
	v_bfe_i32 v4, v27, 0, 8
	v_bfe_i32 v5, v7, 0, 8
	;; [unrolled: 1-line block ×4, first 2 shown]
	s_delay_alu instid0(VALU_DEP_4) | instskip(SKIP_2) | instid1(VALU_DEP_4)
	v_mul_lo_u32 v0, v26, v4
	v_bfe_i32 v27, v3, 0, 8
	v_bfe_i32 v3, v148, 0, 8
	v_mul_lo_u32 v1, v28, v2
	v_mul_lo_u32 v2, v30, v5
	s_delay_alu instid0(VALU_DEP_3) | instskip(NEXT) | instid1(VALU_DEP_3)
	v_mul_lo_u32 v3, v31, v3
	v_mad_u64_u32 v[4:5], null, v33, v7, v[0:1]
	s_delay_alu instid0(VALU_DEP_3) | instskip(NEXT) | instid1(VALU_DEP_3)
	v_mad_u64_u32 v[5:6], null, v34, v36, v[1:2]
	v_mad_u64_u32 v[0:1], null, v35, v27, v[2:3]
	s_waitcnt lgkmcnt(0)
	v_mul_f32_e32 v6, v32, v145
	v_mul_f32_e32 v7, v32, v147
	v_mad_u64_u32 v[1:2], null, v29, v37, v[3:4]
	v_mul_f32_e32 v2, v32, v141
	v_mul_f32_e32 v3, v32, v142
	v_cvt_f32_i32_e32 v4, v4
	v_cvt_f32_i32_e32 v5, v5
	;; [unrolled: 1-line block ×4, first 2 shown]
	s_delay_alu instid0(VALU_DEP_4) | instskip(NEXT) | instid1(VALU_DEP_3)
	v_fmac_f32_e32 v49, v2, v4
	v_dual_fmac_f32 v134, v6, v5 :: v_dual_fmac_f32 v135, v3, v0
	s_delay_alu instid0(VALU_DEP_3)
	v_fmac_f32_e32 v136, v7, v1
	s_cbranch_scc1 .LBB210_28
; %bb.29:                               ;   in Loop: Header=BB210_5 Depth=1
	s_or_b32 s1, s6, 0x180
	s_delay_alu instid0(SALU_CYCLE_1)
	s_cmp_ge_i32 s1, s5
	s_barrier
	buffer_gl0_inv
	s_cbranch_scc1 .LBB210_4
; %bb.30:                               ;   in Loop: Header=BB210_5 Depth=1
	v_add_nc_u32_e32 v0, s20, v106
	s_delay_alu instid0(VALU_DEP_1) | instskip(NEXT) | instid1(VALU_DEP_1)
	v_cmp_gt_i32_e64 s1, s8, v0
	s_and_b32 s6, s0, s1
	s_delay_alu instid0(SALU_CYCLE_1)
	s_and_saveexec_b32 s1, s6
	s_cbranch_execz .LBB210_32
; %bb.31:                               ;   in Loop: Header=BB210_5 Depth=1
	v_add_nc_u32_e32 v2, v100, v0
	s_delay_alu instid0(VALU_DEP_1)
	v_mad_i64_i32 v[0:1], null, v2, 36, v[24:25]
	global_load_b32 v0, v[0:1], off offset:4
	s_waitcnt vmcnt(0)
	ds_store_b32 v88, v0
.LBB210_32:                             ;   in Loop: Header=BB210_5 Depth=1
	s_or_b32 exec_lo, exec_lo, s1
	s_and_saveexec_b32 s6, vcc_lo
	s_cbranch_execz .LBB210_35
; %bb.33:                               ;   in Loop: Header=BB210_5 Depth=1
	v_or_b32_e32 v0, s20, v47
	s_delay_alu instid0(VALU_DEP_1) | instskip(NEXT) | instid1(VALU_DEP_1)
	v_or_b32_e32 v1, 12, v0
	v_cmp_gt_i32_e64 s1, s8, v1
	s_delay_alu instid0(VALU_DEP_1) | instskip(NEXT) | instid1(SALU_CYCLE_1)
	s_and_b32 s1, s0, s1
	s_and_b32 exec_lo, exec_lo, s1
	s_cbranch_execz .LBB210_35
; %bb.34:                               ;   in Loop: Header=BB210_5 Depth=1
	v_ashrrev_i32_e32 v1, 31, v0
	v_add_co_u32 v2, s1, v100, v0
	s_delay_alu instid0(VALU_DEP_1) | instskip(NEXT) | instid1(VALU_DEP_2)
	v_add_co_ci_u32_e64 v3, s1, v107, v1, s1
	v_mad_u64_u32 v[0:1], null, v2, 36, s[18:19]
	s_delay_alu instid0(VALU_DEP_1)
	v_mad_i32_i24 v1, v3, 36, v1
	global_load_b32 v0, v[0:1], off
	s_waitcnt vmcnt(0)
	v_cvt_f32_f16_e32 v0, v0
	ds_store_b32 v89, v0
.LBB210_35:                             ;   in Loop: Header=BB210_5 Depth=1
	s_or_b32 exec_lo, exec_lo, s6
	v_dual_mov_b32 v138, v112 :: v_dual_mov_b32 v139, v113
	s_mov_b32 s1, 24
	s_mov_b32 s25, 22
	;; [unrolled: 1-line block ×3, first 2 shown]
	s_waitcnt lgkmcnt(0)
	s_barrier
	buffer_gl0_inv
.LBB210_36:                             ;   Parent Loop BB210_5 Depth=1
                                        ; =>  This Inner Loop Header: Depth=2
	s_add_i32 s20, s25, 2
	ds_load_b128 v[4:7], v138
	ds_load_b128 v[0:3], v138 offset:16
	s_and_b32 s27, s20, 0x3ffffff8
	s_lshr_b32 s26, s20, 4
	s_lshl_b32 s27, s27, 2
	s_lshl_b32 s28, s26, 2
	v_add_nc_u32_e32 v147, s27, v92
	v_add_nc_u32_e32 v148, s27, v95
	;; [unrolled: 1-line block ×4, first 2 shown]
	s_sub_i32 s21, s25, 22
	ds_load_2addr_b32 v[28:29], v147 offset1:1
	ds_load_2addr_b32 v[34:35], v148 offset1:1
	ds_load_2addr_b32 v[26:27], v147 offset0:6 offset1:7
	ds_load_2addr_b32 v[30:31], v147 offset0:2 offset1:3
	;; [unrolled: 1-line block ×3, first 2 shown]
	ds_load_b32 v141, v36
	v_add_nc_u32_e32 v161, s27, v102
	s_lshl_b32 s26, s26, 3
	v_add_nc_u32_e32 v138, 32, v138
	v_add_lshl_u32 v164, v91, s26, 2
	v_add_lshl_u32 v167, v94, s26, 2
	;; [unrolled: 1-line block ×3, first 2 shown]
	s_waitcnt lgkmcnt(7)
	v_perm_b32 v149, v6, v6, 0x30201
	s_waitcnt lgkmcnt(6)
	v_perm_b32 v156, v0, v0, 0x30201
	v_perm_b32 v157, v1, v1, 0x30201
	v_perm_b32 v144, v2, v2, 0x30201
	v_perm_b32 v140, v3, v3, 0x30201
	v_add_nc_u32_e32 v6, 0x4208, v164
	v_perm_b32 v150, v4, v4, 0x30201
	v_perm_b32 v151, v5, v5, 0x30201
	s_waitcnt lgkmcnt(5)
	v_ashrrev_i32_e32 v152, s21, v28
	s_waitcnt lgkmcnt(4)
	v_ashrrev_i32_e32 v154, s21, v34
	v_ashrrev_i32_e32 v155, s21, v35
	ds_load_2addr_b32 v[2:3], v158 offset1:1
	ds_load_2addr_b32 v[0:1], v158 offset0:6 offset1:7
	ds_load_2addr_b32 v[34:35], v158 offset0:2 offset1:3
	v_perm_b32 v143, v7, v7, 0x30201
	v_bfe_u32 v174, v152, 24, 2
	v_and_b32_e32 v152, 0x3030303, v152
	v_ashrrev_i32_e32 v153, s21, v29
	v_add_nc_u32_e32 v42, 0x4208, v170
	v_add_lshl_u32 v173, v101, s26, 2
	s_and_b32 s26, s1, -16
	s_waitcnt lgkmcnt(5)
	v_ashrrev_i32_e32 v30, s21, v30
	s_add_i32 s25, s25, s26
	s_waitcnt lgkmcnt(4)
	v_ashrrev_i32_e32 v32, s21, v32
	v_ashrrev_i32_e32 v26, s21, v26
	;; [unrolled: 1-line block ×3, first 2 shown]
	s_add_i32 s1, s1, 2
	s_waitcnt lgkmcnt(2)
	v_ashrrev_i32_e32 v159, s21, v2
	v_add_nc_u32_e32 v2, s28, v99
	v_ashrrev_i32_e32 v160, s21, v3
	ds_load_2addr_b32 v[36:37], v161 offset0:2 offset1:3
	ds_load_b32 v142, v2
	ds_load_2addr_b32 v[2:3], v161 offset1:1
	s_waitcnt lgkmcnt(3)
	v_ashrrev_i32_e32 v34, s21, v34
	v_ashrrev_i32_e32 v0, s21, v0
	;; [unrolled: 1-line block ×3, first 2 shown]
	s_waitcnt lgkmcnt(2)
	v_ashrrev_i32_e32 v36, s21, v36
	s_waitcnt lgkmcnt(0)
	v_ashrrev_i32_e32 v162, s21, v2
	v_add_nc_u32_e32 v2, 0x4200, v164
	v_ashrrev_i32_e32 v163, s21, v3
	v_add_nc_u32_e32 v3, 0x4218, v164
	ds_load_2addr_b32 v[4:5], v2 offset1:1
	ds_load_2addr_b32 v[2:3], v3 offset1:1
	ds_load_2addr_b32 v[38:39], v6 offset1:1
	s_waitcnt lgkmcnt(2)
	v_ashrrev_i32_e32 v165, s6, v4
	v_add_nc_u32_e32 v4, 0x4200, v167
	v_ashrrev_i32_e32 v166, s6, v5
	v_add_nc_u32_e32 v5, 0x4208, v167
	ds_load_2addr_b32 v[6:7], v4 offset1:1
	ds_load_2addr_b32 v[40:41], v5 offset1:1
	ds_load_2addr_b32 v[4:5], v148 offset0:6 offset1:7
	v_lshlrev_b32_e32 v165, 2, v165
	v_lshlrev_b32_e32 v166, 2, v166
	s_waitcnt lgkmcnt(3)
	v_ashrrev_i32_e32 v38, s6, v38
	v_ashrrev_i32_e32 v2, s6, v2
	;; [unrolled: 1-line block ×3, first 2 shown]
	v_and_b32_e32 v165, 0x4040404, v165
	v_and_b32_e32 v166, 0x4040404, v166
	v_lshlrev_b32_e32 v38, 2, v38
	v_lshlrev_b32_e32 v2, 2, v2
	;; [unrolled: 1-line block ×3, first 2 shown]
	v_lshrrev_b32_e32 v175, 24, v165
	v_lshrrev_b32_e32 v176, 16, v165
	;; [unrolled: 1-line block ×4, first 2 shown]
	v_and_b32_e32 v38, 0x4040404, v38
	v_sub_nc_u16 v174, v174, v175
	v_lshrrev_b32_e32 v175, 16, v152
	s_waitcnt lgkmcnt(2)
	v_ashrrev_i32_e32 v168, s6, v6
	v_add_nc_u32_e32 v6, 0x4200, v170
	v_ashrrev_i32_e32 v169, s6, v7
	v_add_nc_u32_e32 v7, 0x4218, v170
	v_sub_nc_u16 v175, v175, v176
	v_lshrrev_b16 v176, 8, v152
	v_sub_nc_u16 v152, v152, v165
	v_lshrrev_b16 v165, 8, v165
	v_lshlrev_b32_e32 v168, 2, v168
	ds_load_2addr_b32 v[28:29], v6 offset1:1
	ds_load_2addr_b32 v[6:7], v7 offset1:1
	;; [unrolled: 1-line block ×3, first 2 shown]
	v_lshlrev_b32_e32 v169, 2, v169
	v_lshlrev_b16 v174, 8, v174
	v_sub_nc_u16 v165, v176, v165
	v_bfe_u32 v176, v153, 24, 2
	v_and_b32_e32 v153, 0x3030303, v153
	v_and_b32_e32 v168, 0x4040404, v168
	;; [unrolled: 1-line block ×3, first 2 shown]
	v_lshlrev_b16 v165, 8, v165
	v_sub_nc_u16 v176, v176, v177
	v_lshrrev_b32_e32 v177, 16, v153
	v_lshrrev_b32_e32 v179, 24, v168
	;; [unrolled: 1-line block ×5, first 2 shown]
	v_sub_nc_u16 v177, v177, v178
	v_lshrrev_b16 v178, 8, v153
	v_sub_nc_u16 v153, v153, v166
	v_lshrrev_b16 v166, 8, v166
	s_waitcnt lgkmcnt(2)
	v_ashrrev_i32_e32 v171, s6, v28
	v_add_nc_u32_e32 v28, 0x4200, v173
	v_ashrrev_i32_e32 v172, s6, v29
	v_add_nc_u32_e32 v29, 0x4208, v173
	v_sub_nc_u16 v166, v178, v166
	v_bfe_u32 v178, v154, 24, 2
	v_and_b32_e32 v154, 0x3030303, v154
	v_lshlrev_b32_e32 v171, 2, v171
	ds_load_2addr_b32 v[145:146], v28 offset1:1
	ds_load_2addr_b32 v[44:45], v29 offset1:1
	ds_load_2addr_b32 v[28:29], v161 offset0:6 offset1:7
	v_lshlrev_b32_e32 v172, 2, v172
	v_sub_nc_u16 v178, v178, v179
	v_lshrrev_b32_e32 v179, 16, v154
	v_and_b32_e32 v171, 0x4040404, v171
	v_lshlrev_b16 v176, 8, v176
	v_and_b32_e32 v172, 0x4040404, v172
	v_lshlrev_b16 v166, 8, v166
	v_sub_nc_u16 v179, v179, v180
	v_lshrrev_b16 v180, 8, v154
	v_sub_nc_u16 v154, v154, v168
	v_lshrrev_b16 v168, 8, v168
	v_lshrrev_b32_e32 v183, 24, v171
	v_lshrrev_b32_e32 v184, 16, v171
	;; [unrolled: 1-line block ×4, first 2 shown]
	v_sub_nc_u16 v168, v180, v168
	v_bfe_u32 v180, v155, 24, 2
	v_and_b32_e32 v155, 0x3030303, v155
	s_waitcnt lgkmcnt(2)
	v_ashrrev_i32_e32 v145, s6, v145
	v_ashrrev_i32_e32 v146, s6, v146
	v_lshlrev_b16 v178, 8, v178
	v_sub_nc_u16 v180, v180, v181
	v_lshrrev_b32_e32 v181, 16, v155
	v_lshlrev_b32_e32 v145, 2, v145
	v_lshlrev_b32_e32 v146, 2, v146
	v_lshlrev_b16 v168, 8, v168
	v_lshlrev_b16 v180, 8, v180
	v_sub_nc_u16 v181, v181, v182
	v_lshrrev_b16 v182, 8, v155
	v_sub_nc_u16 v155, v155, v169
	v_lshrrev_b16 v169, 8, v169
	v_and_b32_e32 v145, 0x4040404, v145
	v_and_b32_e32 v146, 0x4040404, v146
	v_ashrrev_i32_e32 v40, s6, v40
	v_ashrrev_i32_e32 v42, s6, v42
	v_sub_nc_u16 v169, v182, v169
	v_bfe_u32 v182, v159, 24, 2
	v_and_b32_e32 v159, 0x3030303, v159
	v_lshrrev_b32_e32 v187, 24, v145
	v_lshrrev_b32_e32 v188, 16, v145
	;; [unrolled: 1-line block ×3, first 2 shown]
	v_sub_nc_u16 v182, v182, v183
	v_lshrrev_b32_e32 v183, 16, v159
	v_lshrrev_b32_e32 v190, 16, v146
	v_lshlrev_b16 v169, 8, v169
	v_lshlrev_b32_e32 v40, 2, v40
	v_lshlrev_b16 v182, 8, v182
	v_sub_nc_u16 v183, v183, v184
	v_lshrrev_b16 v184, 8, v159
	v_sub_nc_u16 v159, v159, v171
	v_lshrrev_b16 v171, 8, v171
	v_and_b32_e32 v40, 0x4040404, v40
	v_lshlrev_b32_e32 v42, 2, v42
	s_waitcnt lgkmcnt(1)
	v_ashrrev_i32_e32 v44, s6, v44
	v_and_b32_e32 v2, 0x4040404, v2
	v_sub_nc_u16 v171, v184, v171
	v_bfe_u32 v184, v160, 24, 2
	v_and_b32_e32 v160, 0x3030303, v160
	v_and_b32_e32 v42, 0x4040404, v42
	v_lshlrev_b32_e32 v44, 2, v44
	v_lshlrev_b16 v171, 8, v171
	v_sub_nc_u16 v184, v184, v185
	v_lshrrev_b32_e32 v185, 16, v160
	v_ashrrev_i32_e32 v4, s21, v4
	v_and_b32_e32 v44, 0x4040404, v44
	v_ashrrev_i32_e32 v6, s6, v6
	v_lshlrev_b16 v184, 8, v184
	v_sub_nc_u16 v185, v185, v186
	v_lshrrev_b16 v186, 8, v160
	v_sub_nc_u16 v160, v160, v172
	v_lshrrev_b16 v172, 8, v172
	v_lshlrev_b32_e32 v6, 2, v6
	s_waitcnt lgkmcnt(0)
	v_ashrrev_i32_e32 v28, s21, v28
	v_and_b32_e32 v3, 0x4040404, v3
	v_ashrrev_i32_e32 v5, s21, v5
	v_sub_nc_u16 v172, v186, v172
	v_bfe_u32 v186, v162, 24, 2
	v_and_b32_e32 v162, 0x3030303, v162
	v_and_b32_e32 v6, 0x4040404, v6
	v_ashrrev_i32_e32 v7, s6, v7
	v_lshlrev_b16 v172, 8, v172
	v_sub_nc_u16 v186, v186, v187
	v_lshrrev_b32_e32 v187, 16, v162
	v_ashrrev_i32_e32 v29, s21, v29
	v_lshlrev_b32_e32 v7, 2, v7
	s_delay_alu instid0(VALU_DEP_4) | instskip(NEXT) | instid1(VALU_DEP_4)
	v_lshlrev_b16 v186, 8, v186
	v_sub_nc_u16 v187, v187, v188
	v_lshrrev_b16 v188, 8, v162
	v_sub_nc_u16 v162, v162, v145
	v_lshrrev_b16 v145, 8, v145
	v_and_b32_e32 v7, 0x4040404, v7
	s_delay_alu instid0(VALU_DEP_2) | instskip(SKIP_2) | instid1(VALU_DEP_3)
	v_sub_nc_u16 v145, v188, v145
	v_bfe_u32 v188, v163, 24, 2
	v_and_b32_e32 v163, 0x3030303, v163
	v_lshlrev_b16 v145, 8, v145
	s_delay_alu instid0(VALU_DEP_3) | instskip(NEXT) | instid1(VALU_DEP_3)
	v_sub_nc_u16 v188, v188, v189
	v_lshrrev_b32_e32 v189, 16, v163
	s_delay_alu instid0(VALU_DEP_2) | instskip(NEXT) | instid1(VALU_DEP_2)
	v_lshlrev_b16 v188, 8, v188
	v_sub_nc_u16 v189, v189, v190
	v_lshrrev_b16 v190, 8, v163
	v_sub_nc_u16 v163, v163, v146
	v_lshrrev_b16 v146, 8, v146
	s_delay_alu instid0(VALU_DEP_1) | instskip(SKIP_1) | instid1(VALU_DEP_2)
	v_sub_nc_u16 v146, v190, v146
	v_and_b32_e32 v190, 0xff, v175
	v_lshlrev_b16 v146, 8, v146
	s_delay_alu instid0(VALU_DEP_2) | instskip(SKIP_1) | instid1(VALU_DEP_2)
	v_or_b32_e32 v174, v190, v174
	v_and_b32_e32 v190, 0xff, v152
	v_perm_b32 v152, v152, v174, 0x4010c0c
	s_delay_alu instid0(VALU_DEP_2) | instskip(SKIP_1) | instid1(VALU_DEP_2)
	v_or_b32_e32 v165, v190, v165
	v_and_b32_e32 v190, 0xff, v177
	v_perm_b32 v165, v175, v165, 0xc0c0401
	s_delay_alu instid0(VALU_DEP_2) | instskip(SKIP_1) | instid1(VALU_DEP_3)
	v_or_b32_e32 v176, v190, v176
	v_and_b32_e32 v190, 0xff, v153
	v_or_b32_e32 v152, v152, v165
	s_delay_alu instid0(VALU_DEP_3) | instskip(NEXT) | instid1(VALU_DEP_3)
	v_perm_b32 v153, v153, v176, 0x4010c0c
	v_or_b32_e32 v166, v190, v166
	v_and_b32_e32 v190, 0xff, v179
	s_delay_alu instid0(VALU_DEP_4) | instskip(NEXT) | instid1(VALU_DEP_3)
	v_dot4_i32_iu8 v152, v152, v150, 0 neg_lo:[1,1,0]
	v_perm_b32 v166, v177, v166, 0xc0c0401
	s_delay_alu instid0(VALU_DEP_3) | instskip(SKIP_1) | instid1(VALU_DEP_3)
	v_or_b32_e32 v178, v190, v178
	v_and_b32_e32 v190, 0xff, v154
	v_or_b32_e32 v153, v153, v166
	s_delay_alu instid0(VALU_DEP_3) | instskip(NEXT) | instid1(VALU_DEP_3)
	v_perm_b32 v154, v154, v178, 0x4010c0c
	v_or_b32_e32 v168, v190, v168
	v_and_b32_e32 v190, 0xff, v181
	s_delay_alu instid0(VALU_DEP_2) | instskip(NEXT) | instid1(VALU_DEP_2)
	v_perm_b32 v168, v179, v168, 0xc0c0401
	v_or_b32_e32 v180, v190, v180
	v_and_b32_e32 v190, 0xff, v155
	s_delay_alu instid0(VALU_DEP_3) | instskip(NEXT) | instid1(VALU_DEP_3)
	v_or_b32_e32 v154, v154, v168
	v_perm_b32 v155, v155, v180, 0x4010c0c
	s_delay_alu instid0(VALU_DEP_3) | instskip(SKIP_1) | instid1(VALU_DEP_4)
	v_or_b32_e32 v169, v190, v169
	v_and_b32_e32 v190, 0xff, v183
	v_dot4_i32_iu8 v154, v154, v150, 0 neg_lo:[1,1,0]
	s_delay_alu instid0(VALU_DEP_3) | instskip(NEXT) | instid1(VALU_DEP_3)
	v_perm_b32 v169, v181, v169, 0xc0c0401
	v_or_b32_e32 v182, v190, v182
	v_and_b32_e32 v190, 0xff, v159
	s_delay_alu instid0(VALU_DEP_3) | instskip(NEXT) | instid1(VALU_DEP_3)
	v_or_b32_e32 v155, v155, v169
	v_perm_b32 v159, v159, v182, 0x4010c0c
	s_delay_alu instid0(VALU_DEP_3) | instskip(SKIP_1) | instid1(VALU_DEP_2)
	v_or_b32_e32 v171, v190, v171
	v_and_b32_e32 v190, 0xff, v185
	v_perm_b32 v171, v183, v171, 0xc0c0401
	s_delay_alu instid0(VALU_DEP_2) | instskip(SKIP_1) | instid1(VALU_DEP_3)
	v_or_b32_e32 v184, v190, v184
	v_and_b32_e32 v190, 0xff, v160
	v_or_b32_e32 v159, v159, v171
	s_delay_alu instid0(VALU_DEP_3) | instskip(NEXT) | instid1(VALU_DEP_3)
	v_perm_b32 v160, v160, v184, 0x4010c0c
	v_or_b32_e32 v172, v190, v172
	v_and_b32_e32 v190, 0xff, v187
	s_delay_alu instid0(VALU_DEP_4) | instskip(NEXT) | instid1(VALU_DEP_3)
	v_dot4_i32_iu8 v159, v159, v150, 0 neg_lo:[1,1,0]
	v_perm_b32 v172, v185, v172, 0xc0c0401
	s_delay_alu instid0(VALU_DEP_3) | instskip(SKIP_1) | instid1(VALU_DEP_3)
	v_or_b32_e32 v186, v190, v186
	v_and_b32_e32 v190, 0xff, v162
	v_or_b32_e32 v160, v160, v172
	s_delay_alu instid0(VALU_DEP_3) | instskip(NEXT) | instid1(VALU_DEP_3)
	v_perm_b32 v162, v162, v186, 0x4010c0c
	v_or_b32_e32 v145, v190, v145
	v_and_b32_e32 v190, 0xff, v189
	s_delay_alu instid0(VALU_DEP_4) | instskip(NEXT) | instid1(VALU_DEP_3)
	v_dot4_i32_iu8 v159, v160, v151, v159 neg_lo:[1,1,0]
	v_perm_b32 v145, v187, v145, 0xc0c0401
	s_delay_alu instid0(VALU_DEP_3) | instskip(SKIP_1) | instid1(VALU_DEP_3)
	v_or_b32_e32 v188, v190, v188
	v_and_b32_e32 v190, 0xff, v163
	v_or_b32_e32 v145, v162, v145
	s_delay_alu instid0(VALU_DEP_3) | instskip(NEXT) | instid1(VALU_DEP_3)
	v_perm_b32 v163, v163, v188, 0x4010c0c
	v_or_b32_e32 v146, v190, v146
	v_dot4_i32_iu8 v162, v153, v151, v152 neg_lo:[1,1,0]
	v_add_nc_u32_e32 v152, 0x4210, v173
	v_dot4_i32_iu8 v145, v145, v150, 0 neg_lo:[1,1,0]
	v_add_nc_u32_e32 v150, 0x4218, v167
	v_perm_b32 v146, v189, v146, 0xc0c0401
	s_delay_alu instid0(VALU_DEP_1) | instskip(SKIP_2) | instid1(VALU_DEP_3)
	v_or_b32_e32 v146, v163, v146
	v_dot4_i32_iu8 v163, v155, v151, v154 neg_lo:[1,1,0]
	v_add_nc_u32_e32 v154, 0x4218, v173
	v_dot4_i32_iu8 v160, v146, v151, v145 neg_lo:[1,1,0]
	ds_load_2addr_b32 v[145:146], v147 offset0:4 offset1:5
	v_add_nc_u32_e32 v147, 0x4210, v167
	s_waitcnt lgkmcnt(0)
	v_ashrrev_i32_e32 v165, s21, v145
	v_ashrrev_i32_e32 v166, s21, v146
	ds_load_2addr_b32 v[145:146], v148 offset0:4 offset1:5
	v_bfe_u32 v173, v165, 24, 2
	v_and_b32_e32 v165, 0x3030303, v165
	s_waitcnt lgkmcnt(0)
	v_ashrrev_i32_e32 v168, s21, v145
	v_ashrrev_i32_e32 v169, s21, v146
	ds_load_2addr_b32 v[145:146], v158 offset0:4 offset1:5
	s_waitcnt lgkmcnt(0)
	v_ashrrev_i32_e32 v158, s21, v145
	v_ashrrev_i32_e32 v171, s21, v146
	ds_load_2addr_b32 v[145:146], v161 offset0:4 offset1:5
	s_waitcnt lgkmcnt(0)
	v_ashrrev_i32_e32 v161, s21, v145
	v_add_nc_u32_e32 v145, 0x4210, v164
	v_ashrrev_i32_e32 v172, s21, v146
	ds_load_2addr_b32 v[145:146], v145 offset1:1
	s_waitcnt lgkmcnt(0)
	v_ashrrev_i32_e32 v164, s6, v145
	v_add_nc_u32_e32 v145, s25, v120
	v_ashrrev_i32_e32 v174, s6, v146
	s_delay_alu instid0(VALU_DEP_3)
	v_lshlrev_b32_e32 v164, 2, v164
	ds_load_u16 v146, v145 offset:26354
	v_add_nc_u32_e32 v145, s28, v96
	ds_load_b32 v145, v145
	ds_load_2addr_b32 v[147:148], v147 offset1:1
	ds_load_2addr_b32 v[150:151], v150 offset1:1
	v_and_b32_e32 v164, 0x4040404, v164
	v_lshlrev_b32_e32 v174, 2, v174
	s_delay_alu instid0(VALU_DEP_2) | instskip(SKIP_1) | instid1(VALU_DEP_3)
	v_lshrrev_b32_e32 v177, 24, v164
	v_lshrrev_b32_e32 v178, 16, v164
	v_and_b32_e32 v174, 0x4040404, v174
	s_delay_alu instid0(VALU_DEP_3) | instskip(SKIP_1) | instid1(VALU_DEP_3)
	v_sub_nc_u16 v173, v173, v177
	v_lshrrev_b32_e32 v177, 16, v165
	v_lshrrev_b32_e32 v179, 24, v174
	;; [unrolled: 1-line block ×3, first 2 shown]
	s_delay_alu instid0(VALU_DEP_4) | instskip(NEXT) | instid1(VALU_DEP_4)
	v_lshlrev_b16 v173, 8, v173
	v_sub_nc_u16 v177, v177, v178
	v_lshrrev_b16 v178, 8, v165
	v_sub_nc_u16 v165, v165, v164
	v_lshrrev_b16 v164, 8, v164
	s_waitcnt lgkmcnt(1)
	v_ashrrev_i32_e32 v167, s6, v147
	v_add_nc_u32_e32 v147, 0x4210, v170
	v_ashrrev_i32_e32 v175, s6, v148
	v_sub_nc_u16 v164, v178, v164
	v_bfe_u32 v178, v166, 24, 2
	v_and_b32_e32 v166, 0x3030303, v166
	v_lshlrev_b32_e32 v167, 2, v167
	ds_load_2addr_b32 v[147:148], v147 offset1:1
	v_lshlrev_b32_e32 v175, 2, v175
	v_sub_nc_u16 v178, v178, v179
	v_lshrrev_b32_e32 v179, 16, v166
	v_and_b32_e32 v167, 0x4040404, v167
	v_lshlrev_b16 v164, 8, v164
	v_and_b32_e32 v175, 0x4040404, v175
	v_lshlrev_b16 v178, 8, v178
	v_sub_nc_u16 v179, v179, v180
	v_lshrrev_b16 v180, 8, v166
	v_sub_nc_u16 v166, v166, v174
	v_lshrrev_b16 v174, 8, v174
	v_lshrrev_b32_e32 v181, 24, v167
	v_lshrrev_b32_e32 v182, 16, v167
	v_lshrrev_b32_e32 v183, 24, v175
	v_lshrrev_b32_e32 v184, 16, v175
	v_sub_nc_u16 v174, v180, v174
	v_bfe_u32 v180, v168, 24, 2
	v_and_b32_e32 v168, 0x3030303, v168
	s_waitcnt lgkmcnt(0)
	v_ashrrev_i32_e32 v170, s6, v147
	v_add_nc_u32_e32 v147, s25, v118
	v_sub_nc_u16 v180, v180, v181
	v_lshrrev_b32_e32 v181, 16, v168
	v_ashrrev_i32_e32 v176, s6, v148
	v_lshlrev_b32_e32 v170, 2, v170
	ds_load_u16 v148, v147 offset:28402
	v_add_nc_u32_e32 v147, s28, v103
	v_sub_nc_u16 v181, v181, v182
	v_lshrrev_b16 v182, 8, v168
	v_sub_nc_u16 v168, v168, v167
	v_lshrrev_b16 v167, 8, v167
	v_and_b32_e32 v170, 0x4040404, v170
	ds_load_b32 v147, v147
	ds_load_2addr_b32 v[152:153], v152 offset1:1
	ds_load_2addr_b32 v[154:155], v154 offset1:1
	v_lshlrev_b32_e32 v176, 2, v176
	v_lshlrev_b16 v174, 8, v174
	v_sub_nc_u16 v167, v182, v167
	v_bfe_u32 v182, v169, 24, 2
	v_and_b32_e32 v169, 0x3030303, v169
	v_lshrrev_b32_e32 v185, 24, v170
	v_lshrrev_b32_e32 v186, 16, v170
	v_and_b32_e32 v176, 0x4040404, v176
	v_sub_nc_u16 v182, v182, v183
	v_lshrrev_b32_e32 v183, 16, v169
	v_lshlrev_b16 v180, 8, v180
	v_lshlrev_b16 v167, 8, v167
	v_lshrrev_b32_e32 v187, 24, v176
	v_lshrrev_b32_e32 v188, 16, v176
	v_sub_nc_u16 v183, v183, v184
	v_lshrrev_b16 v184, 8, v169
	v_sub_nc_u16 v169, v169, v175
	v_lshrrev_b16 v175, 8, v175
	s_waitcnt lgkmcnt(1)
	v_ashrrev_i32_e32 v152, s6, v152
	v_ashrrev_i32_e32 v153, s6, v153
	v_lshlrev_b16 v182, 8, v182
	s_waitcnt lgkmcnt(0)
	v_ashrrev_i32_e32 v154, s6, v154
	v_sub_nc_u16 v175, v184, v175
	v_bfe_u32 v184, v158, 24, 2
	v_and_b32_e32 v158, 0x3030303, v158
	v_lshlrev_b32_e32 v152, 2, v152
	v_lshlrev_b32_e32 v153, 2, v153
	v_lshlrev_b16 v175, 8, v175
	v_sub_nc_u16 v184, v184, v185
	v_lshrrev_b32_e32 v185, 16, v158
	v_and_b32_e32 v152, 0x4040404, v152
	v_and_b32_e32 v153, 0x4040404, v153
	v_lshlrev_b32_e32 v154, 2, v154
	v_lshlrev_b16 v184, 8, v184
	v_sub_nc_u16 v185, v185, v186
	v_lshrrev_b16 v186, 8, v158
	v_sub_nc_u16 v158, v158, v170
	v_lshrrev_b16 v170, 8, v170
	v_lshrrev_b32_e32 v189, 24, v152
	v_lshrrev_b32_e32 v190, 16, v152
	;; [unrolled: 1-line block ×4, first 2 shown]
	v_sub_nc_u16 v170, v186, v170
	v_bfe_u32 v186, v171, 24, 2
	v_and_b32_e32 v171, 0x3030303, v171
	v_and_b32_e32 v154, 0x4040404, v154
	s_delay_alu instid0(VALU_DEP_4) | instskip(NEXT) | instid1(VALU_DEP_4)
	v_lshlrev_b16 v170, 8, v170
	v_sub_nc_u16 v186, v186, v187
	s_delay_alu instid0(VALU_DEP_4) | instskip(NEXT) | instid1(VALU_DEP_2)
	v_lshrrev_b32_e32 v187, 16, v171
	v_lshlrev_b16 v186, 8, v186
	s_delay_alu instid0(VALU_DEP_2) | instskip(SKIP_3) | instid1(VALU_DEP_1)
	v_sub_nc_u16 v187, v187, v188
	v_lshrrev_b16 v188, 8, v171
	v_sub_nc_u16 v171, v171, v176
	v_lshrrev_b16 v176, 8, v176
	v_sub_nc_u16 v176, v188, v176
	v_bfe_u32 v188, v161, 24, 2
	v_and_b32_e32 v161, 0x3030303, v161
	s_delay_alu instid0(VALU_DEP_3) | instskip(NEXT) | instid1(VALU_DEP_3)
	v_lshlrev_b16 v176, 8, v176
	v_sub_nc_u16 v188, v188, v189
	s_delay_alu instid0(VALU_DEP_3) | instskip(NEXT) | instid1(VALU_DEP_2)
	v_lshrrev_b32_e32 v189, 16, v161
	v_lshlrev_b16 v188, 8, v188
	s_delay_alu instid0(VALU_DEP_2) | instskip(SKIP_3) | instid1(VALU_DEP_1)
	v_sub_nc_u16 v189, v189, v190
	v_lshrrev_b16 v190, 8, v161
	v_sub_nc_u16 v161, v161, v152
	v_lshrrev_b16 v152, 8, v152
	v_sub_nc_u16 v152, v190, v152
	v_bfe_u32 v190, v172, 24, 2
	v_and_b32_e32 v172, 0x3030303, v172
	s_delay_alu instid0(VALU_DEP_3) | instskip(NEXT) | instid1(VALU_DEP_3)
	v_lshlrev_b16 v152, 8, v152
	v_sub_nc_u16 v190, v190, v191
	s_delay_alu instid0(VALU_DEP_3) | instskip(NEXT) | instid1(VALU_DEP_2)
	v_lshrrev_b32_e32 v191, 16, v172
	v_lshlrev_b16 v190, 8, v190
	s_delay_alu instid0(VALU_DEP_2) | instskip(SKIP_3) | instid1(VALU_DEP_1)
	v_sub_nc_u16 v191, v191, v192
	v_lshrrev_b16 v192, 8, v172
	v_sub_nc_u16 v172, v172, v153
	v_lshrrev_b16 v153, 8, v153
	v_sub_nc_u16 v153, v192, v153
	v_and_b32_e32 v192, 0xff, v177
	s_delay_alu instid0(VALU_DEP_2) | instskip(NEXT) | instid1(VALU_DEP_2)
	v_lshlrev_b16 v153, 8, v153
	v_or_b32_e32 v173, v192, v173
	v_and_b32_e32 v192, 0xff, v165
	s_delay_alu instid0(VALU_DEP_2) | instskip(NEXT) | instid1(VALU_DEP_2)
	v_perm_b32 v165, v165, v173, 0x4010c0c
	v_or_b32_e32 v164, v192, v164
	v_and_b32_e32 v192, 0xff, v179
	s_delay_alu instid0(VALU_DEP_2) | instskip(NEXT) | instid1(VALU_DEP_2)
	v_perm_b32 v164, v177, v164, 0xc0c0401
	v_or_b32_e32 v178, v192, v178
	v_and_b32_e32 v192, 0xff, v166
	s_delay_alu instid0(VALU_DEP_3) | instskip(NEXT) | instid1(VALU_DEP_3)
	v_or_b32_e32 v164, v165, v164
	v_perm_b32 v166, v166, v178, 0x4010c0c
	s_delay_alu instid0(VALU_DEP_3) | instskip(SKIP_1) | instid1(VALU_DEP_2)
	v_or_b32_e32 v174, v192, v174
	v_and_b32_e32 v192, 0xff, v181
	v_perm_b32 v173, v179, v174, 0xc0c0401
	s_delay_alu instid0(VALU_DEP_2) | instskip(SKIP_1) | instid1(VALU_DEP_3)
	v_or_b32_e32 v180, v192, v180
	v_and_b32_e32 v192, 0xff, v168
	v_or_b32_e32 v165, v166, v173
	s_delay_alu instid0(VALU_DEP_3) | instskip(NEXT) | instid1(VALU_DEP_3)
	v_perm_b32 v168, v168, v180, 0x4010c0c
	v_or_b32_e32 v167, v192, v167
	v_and_b32_e32 v192, 0xff, v183
	s_delay_alu instid0(VALU_DEP_2) | instskip(NEXT) | instid1(VALU_DEP_2)
	v_perm_b32 v167, v181, v167, 0xc0c0401
	v_or_b32_e32 v182, v192, v182
	v_and_b32_e32 v192, 0xff, v169
	s_delay_alu instid0(VALU_DEP_3) | instskip(NEXT) | instid1(VALU_DEP_3)
	v_or_b32_e32 v166, v168, v167
	v_perm_b32 v169, v169, v182, 0x4010c0c
	s_delay_alu instid0(VALU_DEP_3) | instskip(SKIP_1) | instid1(VALU_DEP_2)
	v_or_b32_e32 v175, v192, v175
	v_and_b32_e32 v192, 0xff, v185
	v_perm_b32 v174, v183, v175, 0xc0c0401
	s_delay_alu instid0(VALU_DEP_2) | instskip(SKIP_1) | instid1(VALU_DEP_3)
	v_or_b32_e32 v184, v192, v184
	v_and_b32_e32 v192, 0xff, v158
	v_or_b32_e32 v167, v169, v174
	s_delay_alu instid0(VALU_DEP_3) | instskip(NEXT) | instid1(VALU_DEP_3)
	v_perm_b32 v158, v158, v184, 0x4010c0c
	v_or_b32_e32 v170, v192, v170
	v_and_b32_e32 v192, 0xff, v187
	v_lshrrev_b32_e32 v169, 24, v44
	s_delay_alu instid0(VALU_DEP_3) | instskip(NEXT) | instid1(VALU_DEP_3)
	v_perm_b32 v170, v185, v170, 0xc0c0401
	v_or_b32_e32 v186, v192, v186
	v_and_b32_e32 v192, 0xff, v171
	s_delay_alu instid0(VALU_DEP_3) | instskip(NEXT) | instid1(VALU_DEP_3)
	v_or_b32_e32 v158, v158, v170
	v_perm_b32 v171, v171, v186, 0x4010c0c
	s_delay_alu instid0(VALU_DEP_3) | instskip(SKIP_3) | instid1(VALU_DEP_4)
	v_or_b32_e32 v176, v192, v176
	v_and_b32_e32 v192, 0xff, v189
	v_lshrrev_b32_e32 v170, 16, v44
	v_dot4_i32_iu8 v158, v158, v156, 0 neg_lo:[1,1,0]
	v_perm_b32 v175, v187, v176, 0xc0c0401
	s_delay_alu instid0(VALU_DEP_4) | instskip(SKIP_1) | instid1(VALU_DEP_3)
	v_or_b32_e32 v188, v192, v188
	v_and_b32_e32 v192, 0xff, v161
	v_or_b32_e32 v168, v171, v175
	s_delay_alu instid0(VALU_DEP_3) | instskip(NEXT) | instid1(VALU_DEP_3)
	v_perm_b32 v161, v161, v188, 0x4010c0c
	v_or_b32_e32 v152, v192, v152
	v_and_b32_e32 v192, 0xff, v191
	s_delay_alu instid0(VALU_DEP_4) | instskip(SKIP_1) | instid1(VALU_DEP_4)
	v_dot4_i32_iu8 v158, v168, v157, v158 neg_lo:[1,1,0]
	v_lshrrev_b32_e32 v168, 16, v42
	v_perm_b32 v152, v189, v152, 0xc0c0401
	s_delay_alu instid0(VALU_DEP_4) | instskip(SKIP_1) | instid1(VALU_DEP_3)
	v_or_b32_e32 v190, v192, v190
	v_and_b32_e32 v192, 0xff, v172
	v_or_b32_e32 v152, v161, v152
	s_delay_alu instid0(VALU_DEP_3) | instskip(NEXT) | instid1(VALU_DEP_3)
	v_perm_b32 v172, v172, v190, 0x4010c0c
	v_or_b32_e32 v153, v192, v153
	v_dot4_i32_iu8 v161, v164, v156, 0 neg_lo:[1,1,0]
	v_dot4_i32_iu8 v164, v166, v156, 0 neg_lo:[1,1,0]
	;; [unrolled: 1-line block ×3, first 2 shown]
	v_lshrrev_b32_e32 v166, 16, v40
	v_perm_b32 v153, v191, v153, 0xc0c0401
	v_dot4_i32_iu8 v156, v165, v157, v161 neg_lo:[1,1,0]
	v_dot4_i32_iu8 v161, v167, v157, v164 neg_lo:[1,1,0]
	v_lshrrev_b32_e32 v164, 16, v38
	v_lshrrev_b32_e32 v165, 24, v40
	v_or_b32_e32 v153, v172, v153
	v_lshrrev_b32_e32 v167, 24, v42
	s_delay_alu instid0(VALU_DEP_2) | instskip(SKIP_3) | instid1(VALU_DEP_2)
	v_dot4_i32_iu8 v152, v153, v157, v152 neg_lo:[1,1,0]
	v_bfe_u32 v153, v30, 24, 2
	v_lshrrev_b32_e32 v157, 24, v38
	v_and_b32_e32 v30, 0x3030303, v30
	v_sub_nc_u16 v153, v153, v157
	s_delay_alu instid0(VALU_DEP_2) | instskip(NEXT) | instid1(VALU_DEP_2)
	v_lshrrev_b32_e32 v157, 16, v30
	v_lshlrev_b16 v153, 8, v153
	s_delay_alu instid0(VALU_DEP_2) | instskip(SKIP_3) | instid1(VALU_DEP_1)
	v_sub_nc_u16 v157, v157, v164
	v_lshrrev_b16 v164, 8, v30
	v_sub_nc_u16 v30, v30, v38
	v_lshrrev_b16 v38, 8, v38
	v_sub_nc_u16 v38, v164, v38
	v_bfe_u32 v164, v32, 24, 2
	v_and_b32_e32 v32, 0x3030303, v32
	s_delay_alu instid0(VALU_DEP_3) | instskip(NEXT) | instid1(VALU_DEP_3)
	v_lshlrev_b16 v38, 8, v38
	v_sub_nc_u16 v164, v164, v165
	s_delay_alu instid0(VALU_DEP_3) | instskip(NEXT) | instid1(VALU_DEP_2)
	v_lshrrev_b32_e32 v165, 16, v32
	v_lshlrev_b16 v164, 8, v164
	s_delay_alu instid0(VALU_DEP_2) | instskip(SKIP_3) | instid1(VALU_DEP_1)
	v_sub_nc_u16 v165, v165, v166
	v_lshrrev_b16 v166, 8, v32
	v_sub_nc_u16 v32, v32, v40
	v_lshrrev_b16 v40, 8, v40
	v_sub_nc_u16 v40, v166, v40
	v_bfe_u32 v166, v34, 24, 2
	v_and_b32_e32 v34, 0x3030303, v34
	s_delay_alu instid0(VALU_DEP_3) | instskip(NEXT) | instid1(VALU_DEP_3)
	v_lshlrev_b16 v40, 8, v40
	v_sub_nc_u16 v166, v166, v167
	s_delay_alu instid0(VALU_DEP_3) | instskip(NEXT) | instid1(VALU_DEP_2)
	;; [unrolled: 14-line block ×3, first 2 shown]
	v_lshrrev_b32_e32 v169, 16, v36
	v_lshlrev_b16 v168, 8, v168
	s_delay_alu instid0(VALU_DEP_2) | instskip(SKIP_3) | instid1(VALU_DEP_1)
	v_sub_nc_u16 v169, v169, v170
	v_lshrrev_b16 v170, 8, v36
	v_sub_nc_u16 v36, v36, v44
	v_lshrrev_b16 v44, 8, v44
	v_sub_nc_u16 v44, v170, v44
	v_and_b32_e32 v170, 0xff, v157
	s_delay_alu instid0(VALU_DEP_2) | instskip(NEXT) | instid1(VALU_DEP_2)
	v_lshlrev_b16 v44, 8, v44
	v_or_b32_e32 v153, v170, v153
	v_and_b32_e32 v170, 0xff, v30
	s_delay_alu instid0(VALU_DEP_2) | instskip(NEXT) | instid1(VALU_DEP_2)
	v_perm_b32 v30, v30, v153, 0x4010c0c
	v_or_b32_e32 v38, v170, v38
	v_and_b32_e32 v170, 0xff, v165
	v_lshrrev_b32_e32 v153, 24, v6
	s_delay_alu instid0(VALU_DEP_3) | instskip(NEXT) | instid1(VALU_DEP_3)
	v_perm_b32 v38, v157, v38, 0xc0c0401
	v_or_b32_e32 v164, v170, v164
	v_and_b32_e32 v170, 0xff, v32
	v_lshrrev_b32_e32 v157, 16, v6
	s_delay_alu instid0(VALU_DEP_4) | instskip(NEXT) | instid1(VALU_DEP_4)
	v_or_b32_e32 v30, v30, v38
	v_perm_b32 v32, v32, v164, 0x4010c0c
	s_delay_alu instid0(VALU_DEP_4)
	v_or_b32_e32 v40, v170, v40
	v_and_b32_e32 v170, 0xff, v167
	v_bfe_u32 v38, v26, 24, 2
	v_and_b32_e32 v26, 0x3030303, v26
	v_dot4_i32_iu8 v30, v30, v149, v162 neg_lo:[1,1,0]
	v_perm_b32 v40, v165, v40, 0xc0c0401
	v_or_b32_e32 v166, v170, v166
	v_and_b32_e32 v170, 0xff, v34
	s_delay_alu instid0(VALU_DEP_3) | instskip(NEXT) | instid1(VALU_DEP_3)
	v_or_b32_e32 v32, v32, v40
	v_perm_b32 v34, v34, v166, 0x4010c0c
	s_delay_alu instid0(VALU_DEP_3) | instskip(SKIP_3) | instid1(VALU_DEP_4)
	v_or_b32_e32 v42, v170, v42
	v_lshrrev_b32_e32 v40, 24, v2
	v_and_b32_e32 v170, 0xff, v169
	v_dot4_i32_iu8 v32, v32, v149, v163 neg_lo:[1,1,0]
	v_perm_b32 v42, v167, v42, 0xc0c0401
	s_delay_alu instid0(VALU_DEP_4)
	v_sub_nc_u16 v38, v38, v40
	v_lshrrev_b32_e32 v40, 16, v26
	v_or_b32_e32 v168, v170, v168
	v_and_b32_e32 v170, 0xff, v36
	v_or_b32_e32 v34, v34, v42
	v_lshrrev_b32_e32 v42, 16, v2
	v_lshlrev_b16 v38, 8, v38
	v_perm_b32 v36, v36, v168, 0x4010c0c
	v_or_b32_e32 v44, v170, v44
	v_dot4_i32_iu8 v34, v34, v149, v159 neg_lo:[1,1,0]
	v_sub_nc_u16 v40, v40, v42
	v_lshrrev_b16 v42, 8, v26
	v_sub_nc_u16 v26, v26, v2
	v_lshrrev_b16 v2, 8, v2
	v_perm_b32 v44, v169, v44, 0xc0c0401
	v_lshrrev_b32_e32 v159, 24, v154
	s_delay_alu instid0(VALU_DEP_3) | instskip(SKIP_1) | instid1(VALU_DEP_4)
	v_sub_nc_u16 v2, v42, v2
	v_ashrrev_i32_e32 v42, s6, v150
	v_or_b32_e32 v36, v36, v44
	v_bfe_u32 v44, v4, 24, 2
	v_and_b32_e32 v4, 0x3030303, v4
	v_lshlrev_b16 v2, 8, v2
	v_lshlrev_b32_e32 v42, 2, v42
	v_dot4_i32_iu8 v36, v36, v149, v160 neg_lo:[1,1,0]
	v_lshrrev_b32_e32 v160, 16, v154
	s_delay_alu instid0(VALU_DEP_3) | instskip(NEXT) | instid1(VALU_DEP_1)
	v_and_b32_e32 v42, 0x4040404, v42
	v_lshrrev_b32_e32 v149, 24, v42
	v_lshrrev_b32_e32 v150, 16, v42
	s_delay_alu instid0(VALU_DEP_2) | instskip(SKIP_1) | instid1(VALU_DEP_2)
	v_sub_nc_u16 v44, v44, v149
	v_lshrrev_b32_e32 v149, 16, v4
	v_lshlrev_b16 v44, 8, v44
	s_delay_alu instid0(VALU_DEP_2) | instskip(SKIP_3) | instid1(VALU_DEP_1)
	v_sub_nc_u16 v149, v149, v150
	v_lshrrev_b16 v150, 8, v4
	v_sub_nc_u16 v4, v4, v42
	v_lshrrev_b16 v42, 8, v42
	v_sub_nc_u16 v42, v150, v42
	v_bfe_u32 v150, v0, 24, 2
	v_and_b32_e32 v0, 0x3030303, v0
	s_delay_alu instid0(VALU_DEP_3) | instskip(NEXT) | instid1(VALU_DEP_3)
	v_lshlrev_b16 v42, 8, v42
	v_sub_nc_u16 v150, v150, v153
	s_delay_alu instid0(VALU_DEP_3) | instskip(NEXT) | instid1(VALU_DEP_2)
	v_lshrrev_b32_e32 v153, 16, v0
	v_lshlrev_b16 v150, 8, v150
	s_delay_alu instid0(VALU_DEP_2) | instskip(SKIP_3) | instid1(VALU_DEP_1)
	v_sub_nc_u16 v153, v153, v157
	v_lshrrev_b16 v157, 8, v0
	v_sub_nc_u16 v0, v0, v6
	v_lshrrev_b16 v6, 8, v6
	v_sub_nc_u16 v6, v157, v6
	v_bfe_u32 v157, v28, 24, 2
	v_and_b32_e32 v28, 0x3030303, v28
	s_delay_alu instid0(VALU_DEP_3) | instskip(NEXT) | instid1(VALU_DEP_3)
	v_lshlrev_b16 v6, 8, v6
	v_sub_nc_u16 v157, v157, v159
	s_delay_alu instid0(VALU_DEP_3) | instskip(NEXT) | instid1(VALU_DEP_2)
	v_lshrrev_b32_e32 v159, 16, v28
	v_lshlrev_b16 v157, 8, v157
	s_delay_alu instid0(VALU_DEP_2) | instskip(SKIP_3) | instid1(VALU_DEP_1)
	v_sub_nc_u16 v159, v159, v160
	v_lshrrev_b16 v160, 8, v28
	v_sub_nc_u16 v28, v28, v154
	v_lshrrev_b16 v154, 8, v154
	v_sub_nc_u16 v154, v160, v154
	v_and_b32_e32 v160, 0xff, v40
	s_delay_alu instid0(VALU_DEP_2) | instskip(NEXT) | instid1(VALU_DEP_2)
	v_lshlrev_b16 v154, 8, v154
	v_or_b32_e32 v38, v160, v38
	v_and_b32_e32 v160, 0xff, v26
	s_delay_alu instid0(VALU_DEP_2) | instskip(NEXT) | instid1(VALU_DEP_2)
	v_perm_b32 v26, v26, v38, 0x4010c0c
	v_or_b32_e32 v2, v160, v2
	v_and_b32_e32 v160, 0xff, v149
	s_delay_alu instid0(VALU_DEP_2) | instskip(NEXT) | instid1(VALU_DEP_2)
	v_perm_b32 v2, v40, v2, 0xc0c0401
	v_or_b32_e32 v44, v160, v44
	v_and_b32_e32 v160, 0xff, v4
	s_delay_alu instid0(VALU_DEP_3) | instskip(SKIP_1) | instid1(VALU_DEP_3)
	v_or_b32_e32 v2, v26, v2
	v_ashrrev_i32_e32 v26, s21, v31
	v_or_b32_e32 v42, v160, v42
	v_and_b32_e32 v160, 0xff, v153
	v_ashrrev_i32_e32 v31, s21, v35
	v_ashrrev_i32_e32 v35, s6, v39
	v_perm_b32 v4, v4, v44, 0x4010c0c
	v_perm_b32 v38, v149, v42, 0xc0c0401
	v_or_b32_e32 v150, v160, v150
	v_and_b32_e32 v160, 0xff, v0
	v_lshlrev_b32_e32 v35, 2, v35
	v_ashrrev_i32_e32 v39, s6, v45
	v_or_b32_e32 v4, v4, v38
	v_perm_b32 v0, v0, v150, 0x4010c0c
	v_or_b32_e32 v6, v160, v6
	v_and_b32_e32 v160, 0xff, v159
	v_and_b32_e32 v35, 0x4040404, v35
	v_ashrrev_i32_e32 v38, s6, v43
	v_dot4_i32_iu8 v2, v2, v144, v156 neg_lo:[1,1,0]
	v_perm_b32 v6, v153, v6, 0xc0c0401
	v_or_b32_e32 v157, v160, v157
	v_and_b32_e32 v160, 0xff, v28
	v_lshrrev_b32_e32 v42, 16, v35
	v_lshlrev_b32_e32 v38, 2, v38
	v_or_b32_e32 v0, v0, v6
	v_perm_b32 v28, v28, v157, 0x4010c0c
	v_or_b32_e32 v154, v160, v154
	v_dot4_i32_iu8 v4, v4, v144, v161 neg_lo:[1,1,0]
	v_and_b32_e32 v38, 0x4040404, v38
	v_dot4_i32_iu8 v0, v0, v144, v158 neg_lo:[1,1,0]
	v_lshlrev_b32_e32 v39, 2, v39
	v_perm_b32 v40, v159, v154, 0xc0c0401
	s_delay_alu instid0(VALU_DEP_4) | instskip(NEXT) | instid1(VALU_DEP_3)
	v_lshrrev_b32_e32 v45, 24, v38
	v_and_b32_e32 v39, 0x4040404, v39
	s_delay_alu instid0(VALU_DEP_3)
	v_or_b32_e32 v6, v28, v40
	v_ashrrev_i32_e32 v28, s21, v33
	v_ashrrev_i32_e32 v33, s21, v37
	;; [unrolled: 1-line block ×3, first 2 shown]
	v_bfe_u32 v40, v26, 24, 2
	v_lshrrev_b32_e32 v41, 24, v35
	v_and_b32_e32 v26, 0x3030303, v26
	v_dot4_i32_iu8 v6, v6, v144, v152 neg_lo:[1,1,0]
	v_lshlrev_b32_e32 v37, 2, v37
	v_lshrrev_b32_e32 v144, 16, v38
	v_sub_nc_u16 v40, v40, v41
	v_lshrrev_b32_e32 v41, 16, v26
	v_lshrrev_b32_e32 v149, 24, v39
	v_and_b32_e32 v37, 0x4040404, v37
	v_lshrrev_b32_e32 v150, 16, v39
	v_lshlrev_b16 v40, 8, v40
	v_sub_nc_u16 v41, v41, v42
	v_lshrrev_b16 v42, 8, v26
	v_sub_nc_u16 v26, v26, v35
	v_lshrrev_b16 v35, 8, v35
	v_lshrrev_b32_e32 v43, 24, v37
	v_lshrrev_b32_e32 v44, 16, v37
	s_delay_alu instid0(VALU_DEP_3) | instskip(SKIP_2) | instid1(VALU_DEP_3)
	v_sub_nc_u16 v35, v42, v35
	v_bfe_u32 v42, v28, 24, 2
	v_and_b32_e32 v28, 0x3030303, v28
	v_lshlrev_b16 v35, 8, v35
	s_delay_alu instid0(VALU_DEP_3) | instskip(NEXT) | instid1(VALU_DEP_3)
	v_sub_nc_u16 v42, v42, v43
	v_lshrrev_b32_e32 v43, 16, v28
	s_delay_alu instid0(VALU_DEP_2) | instskip(NEXT) | instid1(VALU_DEP_2)
	v_lshlrev_b16 v42, 8, v42
	v_sub_nc_u16 v43, v43, v44
	v_lshrrev_b16 v44, 8, v28
	v_sub_nc_u16 v28, v28, v37
	v_lshrrev_b16 v37, 8, v37
	s_delay_alu instid0(VALU_DEP_1) | instskip(SKIP_2) | instid1(VALU_DEP_3)
	v_sub_nc_u16 v37, v44, v37
	v_bfe_u32 v44, v31, 24, 2
	v_and_b32_e32 v31, 0x3030303, v31
	v_lshlrev_b16 v37, 8, v37
	s_delay_alu instid0(VALU_DEP_3) | instskip(NEXT) | instid1(VALU_DEP_3)
	v_sub_nc_u16 v44, v44, v45
	v_lshrrev_b32_e32 v45, 16, v31
	s_delay_alu instid0(VALU_DEP_2) | instskip(NEXT) | instid1(VALU_DEP_2)
	v_lshlrev_b16 v44, 8, v44
	v_sub_nc_u16 v45, v45, v144
	v_lshrrev_b16 v144, 8, v31
	v_sub_nc_u16 v31, v31, v38
	v_lshrrev_b16 v38, 8, v38
	s_delay_alu instid0(VALU_DEP_1) | instskip(SKIP_2) | instid1(VALU_DEP_3)
	v_sub_nc_u16 v38, v144, v38
	v_bfe_u32 v144, v33, 24, 2
	v_and_b32_e32 v33, 0x3030303, v33
	v_lshlrev_b16 v38, 8, v38
	s_delay_alu instid0(VALU_DEP_3) | instskip(NEXT) | instid1(VALU_DEP_3)
	v_sub_nc_u16 v144, v144, v149
	v_lshrrev_b32_e32 v149, 16, v33
	s_delay_alu instid0(VALU_DEP_2) | instskip(NEXT) | instid1(VALU_DEP_2)
	v_lshlrev_b16 v144, 8, v144
	v_sub_nc_u16 v149, v149, v150
	v_lshrrev_b16 v150, 8, v33
	v_sub_nc_u16 v33, v33, v39
	v_lshrrev_b16 v39, 8, v39
	s_delay_alu instid0(VALU_DEP_1) | instskip(SKIP_1) | instid1(VALU_DEP_2)
	v_sub_nc_u16 v39, v150, v39
	v_and_b32_e32 v150, 0xff, v41
	v_lshlrev_b16 v39, 8, v39
	s_delay_alu instid0(VALU_DEP_2) | instskip(SKIP_1) | instid1(VALU_DEP_2)
	v_or_b32_e32 v40, v150, v40
	v_and_b32_e32 v150, 0xff, v26
	v_perm_b32 v26, v26, v40, 0x4010c0c
	s_delay_alu instid0(VALU_DEP_2) | instskip(SKIP_2) | instid1(VALU_DEP_3)
	v_or_b32_e32 v35, v150, v35
	v_and_b32_e32 v150, 0xff, v43
	v_lshrrev_b32_e32 v40, 16, v7
	v_perm_b32 v35, v41, v35, 0xc0c0401
	s_delay_alu instid0(VALU_DEP_3) | instskip(SKIP_1) | instid1(VALU_DEP_3)
	v_or_b32_e32 v42, v150, v42
	v_and_b32_e32 v150, 0xff, v28
	v_or_b32_e32 v26, v26, v35
	s_delay_alu instid0(VALU_DEP_3) | instskip(NEXT) | instid1(VALU_DEP_3)
	v_perm_b32 v28, v28, v42, 0x4010c0c
	v_or_b32_e32 v37, v150, v37
	v_and_b32_e32 v150, 0xff, v45
	v_lshrrev_b32_e32 v35, 24, v3
	v_dot4_i32_iu8 v26, v26, v143, v30 neg_lo:[1,1,0]
	s_delay_alu instid0(VALU_DEP_4) | instskip(NEXT) | instid1(VALU_DEP_4)
	v_perm_b32 v37, v43, v37, 0xc0c0401
	v_or_b32_e32 v44, v150, v44
	v_and_b32_e32 v150, 0xff, v31
	s_delay_alu instid0(VALU_DEP_3) | instskip(NEXT) | instid1(VALU_DEP_3)
	v_or_b32_e32 v28, v28, v37
	v_perm_b32 v31, v31, v44, 0x4010c0c
	s_delay_alu instid0(VALU_DEP_3) | instskip(SKIP_1) | instid1(VALU_DEP_4)
	v_or_b32_e32 v38, v150, v38
	v_and_b32_e32 v150, 0xff, v149
	v_dot4_i32_iu8 v28, v28, v143, v32 neg_lo:[1,1,0]
	v_ashrrev_i32_e32 v32, s6, v151
	s_delay_alu instid0(VALU_DEP_4) | instskip(NEXT) | instid1(VALU_DEP_4)
	v_perm_b32 v38, v45, v38, 0xc0c0401
	v_or_b32_e32 v144, v150, v144
	v_and_b32_e32 v150, 0xff, v33
	s_delay_alu instid0(VALU_DEP_4) | instskip(NEXT) | instid1(VALU_DEP_4)
	v_lshlrev_b32_e32 v32, 2, v32
	v_or_b32_e32 v31, v31, v38
	s_delay_alu instid0(VALU_DEP_4) | instskip(NEXT) | instid1(VALU_DEP_4)
	v_perm_b32 v33, v33, v144, 0x4010c0c
	v_or_b32_e32 v39, v150, v39
	s_delay_alu instid0(VALU_DEP_4) | instskip(NEXT) | instid1(VALU_DEP_4)
	v_and_b32_e32 v32, 0x4040404, v32
	v_dot4_i32_iu8 v30, v31, v143, v34 neg_lo:[1,1,0]
	v_bfe_u32 v34, v27, 24, 2
	s_delay_alu instid0(VALU_DEP_4)
	v_perm_b32 v39, v149, v39, 0xc0c0401
	v_and_b32_e32 v27, 0x3030303, v27
	v_lshrrev_b32_e32 v37, 24, v32
	v_lshrrev_b32_e32 v38, 16, v32
	v_sub_nc_u16 v34, v34, v35
	v_or_b32_e32 v33, v33, v39
	v_lshrrev_b32_e32 v35, 16, v27
	v_lshrrev_b32_e32 v39, 24, v7
	s_delay_alu instid0(VALU_DEP_4) | instskip(NEXT) | instid1(VALU_DEP_4)
	v_lshlrev_b16 v34, 8, v34
	v_dot4_i32_iu8 v31, v33, v143, v36 neg_lo:[1,1,0]
	v_lshrrev_b32_e32 v36, 16, v3
	v_ashrrev_i32_e32 v33, s6, v155
	s_add_i32 s6, s6, 1
	s_cmp_lt_u32 s20, 30
	s_delay_alu instid0(VALU_DEP_2) | instskip(SKIP_4) | instid1(VALU_DEP_2)
	v_sub_nc_u16 v35, v35, v36
	v_lshrrev_b16 v36, 8, v27
	v_sub_nc_u16 v27, v27, v3
	v_lshrrev_b16 v3, 8, v3
	v_lshlrev_b32_e32 v33, 2, v33
	v_sub_nc_u16 v3, v36, v3
	v_bfe_u32 v36, v5, 24, 2
	v_and_b32_e32 v5, 0x3030303, v5
	s_delay_alu instid0(VALU_DEP_4) | instskip(NEXT) | instid1(VALU_DEP_4)
	v_and_b32_e32 v33, 0x4040404, v33
	v_lshlrev_b16 v3, 8, v3
	s_delay_alu instid0(VALU_DEP_4) | instskip(NEXT) | instid1(VALU_DEP_4)
	v_sub_nc_u16 v36, v36, v37
	v_lshrrev_b32_e32 v37, 16, v5
	s_delay_alu instid0(VALU_DEP_4) | instskip(SKIP_1) | instid1(VALU_DEP_4)
	v_lshrrev_b32_e32 v41, 24, v33
	v_lshrrev_b32_e32 v42, 16, v33
	v_lshlrev_b16 v36, 8, v36
	s_delay_alu instid0(VALU_DEP_4) | instskip(SKIP_3) | instid1(VALU_DEP_1)
	v_sub_nc_u16 v37, v37, v38
	v_lshrrev_b16 v38, 8, v5
	v_sub_nc_u16 v5, v5, v32
	v_lshrrev_b16 v32, 8, v32
	v_sub_nc_u16 v32, v38, v32
	v_bfe_u32 v38, v1, 24, 2
	v_and_b32_e32 v1, 0x3030303, v1
	s_delay_alu instid0(VALU_DEP_3) | instskip(NEXT) | instid1(VALU_DEP_3)
	v_lshlrev_b16 v32, 8, v32
	v_sub_nc_u16 v38, v38, v39
	s_delay_alu instid0(VALU_DEP_3) | instskip(NEXT) | instid1(VALU_DEP_2)
	v_lshrrev_b32_e32 v39, 16, v1
	v_lshlrev_b16 v38, 8, v38
	s_delay_alu instid0(VALU_DEP_2) | instskip(SKIP_3) | instid1(VALU_DEP_1)
	v_sub_nc_u16 v39, v39, v40
	v_lshrrev_b16 v40, 8, v1
	v_sub_nc_u16 v1, v1, v7
	v_lshrrev_b16 v7, 8, v7
	v_sub_nc_u16 v7, v40, v7
	v_bfe_u32 v40, v29, 24, 2
	v_and_b32_e32 v29, 0x3030303, v29
	s_delay_alu instid0(VALU_DEP_3) | instskip(NEXT) | instid1(VALU_DEP_3)
	v_lshlrev_b16 v7, 8, v7
	v_sub_nc_u16 v40, v40, v41
	s_delay_alu instid0(VALU_DEP_3) | instskip(NEXT) | instid1(VALU_DEP_2)
	v_lshrrev_b32_e32 v41, 16, v29
	v_lshlrev_b16 v40, 8, v40
	s_delay_alu instid0(VALU_DEP_2) | instskip(SKIP_3) | instid1(VALU_DEP_1)
	v_sub_nc_u16 v41, v41, v42
	v_lshrrev_b16 v42, 8, v29
	v_sub_nc_u16 v29, v29, v33
	v_lshrrev_b16 v33, 8, v33
	v_sub_nc_u16 v33, v42, v33
	v_and_b32_e32 v42, 0xff, v35
	s_delay_alu instid0(VALU_DEP_2) | instskip(NEXT) | instid1(VALU_DEP_2)
	v_lshlrev_b16 v33, 8, v33
	v_or_b32_e32 v34, v42, v34
	v_and_b32_e32 v42, 0xff, v27
	s_delay_alu instid0(VALU_DEP_2) | instskip(NEXT) | instid1(VALU_DEP_2)
	v_perm_b32 v27, v27, v34, 0x4010c0c
	v_or_b32_e32 v3, v42, v3
	v_and_b32_e32 v42, 0xff, v37
	s_delay_alu instid0(VALU_DEP_2) | instskip(NEXT) | instid1(VALU_DEP_2)
	v_perm_b32 v3, v35, v3, 0xc0c0401
	v_or_b32_e32 v36, v42, v36
	v_and_b32_e32 v42, 0xff, v5
	s_delay_alu instid0(VALU_DEP_3) | instskip(SKIP_1) | instid1(VALU_DEP_3)
	v_or_b32_e32 v3, v27, v3
	v_add_nc_u32_e32 v27, s25, v121
	v_or_b32_e32 v32, v42, v32
	v_and_b32_e32 v42, 0xff, v39
	v_perm_b32 v5, v5, v36, 0x4010c0c
	s_delay_alu instid0(VALU_DEP_3) | instskip(NEXT) | instid1(VALU_DEP_3)
	v_perm_b32 v32, v37, v32, 0xc0c0401
	v_or_b32_e32 v38, v42, v38
	v_and_b32_e32 v42, 0xff, v1
	s_delay_alu instid0(VALU_DEP_3) | instskip(NEXT) | instid1(VALU_DEP_3)
	v_or_b32_e32 v5, v5, v32
	v_perm_b32 v1, v1, v38, 0x4010c0c
	s_delay_alu instid0(VALU_DEP_3) | instskip(SKIP_1) | instid1(VALU_DEP_4)
	v_or_b32_e32 v7, v42, v7
	v_and_b32_e32 v42, 0xff, v41
	v_dot4_i32_iu8 v34, v5, v140, v4 neg_lo:[1,1,0]
	s_delay_alu instid0(VALU_DEP_3) | instskip(NEXT) | instid1(VALU_DEP_3)
	v_perm_b32 v7, v39, v7, 0xc0c0401
	v_or_b32_e32 v40, v42, v40
	v_and_b32_e32 v42, 0xff, v29
	s_delay_alu instid0(VALU_DEP_3)
	v_or_b32_e32 v1, v1, v7
	v_add_nc_u32_e32 v7, s25, v119
	ds_load_u16 v27, v27 offset:25330
	ds_load_u16 v7, v7 offset:27378
	v_or_b32_e32 v33, v42, v33
	v_perm_b32 v29, v29, v40, 0x4010c0c
	v_dot4_i32_iu8 v35, v1, v140, v0 neg_lo:[1,1,0]
	v_lshrrev_b16 v0, 8, v146
	v_lshrrev_b16 v1, 8, v148
	v_perm_b32 v33, v41, v33, 0xc0c0401
	ds_load_b32 v32, v139
	v_add_nc_u32_e32 v139, 4, v139
	v_bfe_i32 v36, v0, 0, 8
	v_bfe_i32 v37, v1, 0, 8
	v_or_b32_e32 v29, v29, v33
	v_dot4_i32_iu8 v33, v3, v140, v2 neg_lo:[1,1,0]
	s_mov_b32 s25, s20
	s_delay_alu instid0(VALU_DEP_2)
	v_dot4_i32_iu8 v29, v29, v140, v6 neg_lo:[1,1,0]
	s_waitcnt lgkmcnt(2)
	v_lshrrev_b16 v2, 8, v27
	s_waitcnt lgkmcnt(1)
	v_lshrrev_b16 v3, 8, v7
	v_bfe_i32 v4, v27, 0, 8
	v_bfe_i32 v5, v7, 0, 8
	;; [unrolled: 1-line block ×4, first 2 shown]
	s_delay_alu instid0(VALU_DEP_4) | instskip(SKIP_2) | instid1(VALU_DEP_4)
	v_mul_lo_u32 v0, v26, v4
	v_bfe_i32 v27, v3, 0, 8
	v_bfe_i32 v3, v148, 0, 8
	v_mul_lo_u32 v1, v28, v2
	v_mul_lo_u32 v2, v30, v5
	s_delay_alu instid0(VALU_DEP_3) | instskip(NEXT) | instid1(VALU_DEP_3)
	v_mul_lo_u32 v3, v31, v3
	v_mad_u64_u32 v[4:5], null, v33, v7, v[0:1]
	s_delay_alu instid0(VALU_DEP_3) | instskip(NEXT) | instid1(VALU_DEP_3)
	v_mad_u64_u32 v[5:6], null, v34, v36, v[1:2]
	v_mad_u64_u32 v[0:1], null, v35, v27, v[2:3]
	s_waitcnt lgkmcnt(0)
	v_mul_f32_e32 v6, v32, v145
	v_mul_f32_e32 v7, v32, v147
	v_mad_u64_u32 v[1:2], null, v29, v37, v[3:4]
	v_mul_f32_e32 v2, v32, v141
	v_mul_f32_e32 v3, v32, v142
	v_cvt_f32_i32_e32 v4, v4
	v_cvt_f32_i32_e32 v5, v5
	;; [unrolled: 1-line block ×4, first 2 shown]
	s_delay_alu instid0(VALU_DEP_4) | instskip(NEXT) | instid1(VALU_DEP_3)
	v_fmac_f32_e32 v49, v2, v4
	v_dual_fmac_f32 v134, v6, v5 :: v_dual_fmac_f32 v135, v3, v0
	s_delay_alu instid0(VALU_DEP_3)
	v_fmac_f32_e32 v136, v7, v1
	s_cbranch_scc1 .LBB210_36
; %bb.37:                               ;   in Loop: Header=BB210_5 Depth=1
	s_barrier
	buffer_gl0_inv
	s_branch .LBB210_4
.LBB210_38:
	v_cvt_f16_f32_e32 v5, v49
	v_cvt_f16_f32_e64 v4, v134
	v_cvt_f16_f32_e64 v0, v135
	v_cvt_f16_f32_e64 v2, v136
.LBB210_39:
	s_mul_i32 s0, s10, s7
	s_waitcnt vmcnt(0)
	v_cmp_gt_i32_e32 vcc_lo, s0, v46
	s_and_saveexec_b32 s0, vcc_lo
	s_cbranch_execz .LBB210_48
; %bb.40:
	v_mul_lo_u32 v1, v46, s9
	v_add_nc_u32_e32 v3, s11, v47
	s_mov_b32 s0, exec_lo
	s_delay_alu instid0(VALU_DEP_1)
	v_cmpx_gt_u32_e64 s9, v3
	s_cbranch_execz .LBB210_42
; %bb.41:
	s_delay_alu instid0(VALU_DEP_3) | instskip(NEXT) | instid1(VALU_DEP_1)
	v_dual_mov_b32 v7, 0 :: v_dual_add_nc_u32 v6, v1, v3
	v_lshlrev_b64 v[6:7], 1, v[6:7]
	s_delay_alu instid0(VALU_DEP_1) | instskip(NEXT) | instid1(VALU_DEP_2)
	v_add_co_u32 v6, vcc_lo, s12, v6
	v_add_co_ci_u32_e32 v7, vcc_lo, s13, v7, vcc_lo
	global_store_b16 v[6:7], v5, off
.LBB210_42:
	s_or_b32 exec_lo, exec_lo, s0
	v_add_nc_u32_e32 v5, 32, v3
	s_mov_b32 s0, exec_lo
	s_delay_alu instid0(VALU_DEP_1)
	v_cmpx_gt_u32_e64 s9, v5
	s_cbranch_execz .LBB210_44
; %bb.43:
	v_dual_mov_b32 v6, 0 :: v_dual_add_nc_u32 v5, v1, v5
	s_delay_alu instid0(VALU_DEP_1) | instskip(NEXT) | instid1(VALU_DEP_1)
	v_lshlrev_b64 v[5:6], 1, v[5:6]
	v_add_co_u32 v5, vcc_lo, s12, v5
	s_delay_alu instid0(VALU_DEP_2)
	v_add_co_ci_u32_e32 v6, vcc_lo, s13, v6, vcc_lo
	global_store_b16 v[5:6], v4, off
.LBB210_44:
	s_or_b32 exec_lo, exec_lo, s0
	v_add_nc_u32_e32 v4, 64, v3
	s_mov_b32 s0, exec_lo
	s_delay_alu instid0(VALU_DEP_1)
	v_cmpx_gt_u32_e64 s9, v4
	s_cbranch_execz .LBB210_46
; %bb.45:
	v_dual_mov_b32 v5, 0 :: v_dual_add_nc_u32 v4, v1, v4
	s_delay_alu instid0(VALU_DEP_1) | instskip(NEXT) | instid1(VALU_DEP_1)
	v_lshlrev_b64 v[4:5], 1, v[4:5]
	v_add_co_u32 v4, vcc_lo, s12, v4
	s_delay_alu instid0(VALU_DEP_2)
	v_add_co_ci_u32_e32 v5, vcc_lo, s13, v5, vcc_lo
	global_store_b16 v[4:5], v0, off
.LBB210_46:
	s_or_b32 exec_lo, exec_lo, s0
	v_add_nc_u32_e32 v0, 0x60, v3
	s_delay_alu instid0(VALU_DEP_1)
	v_cmp_gt_u32_e32 vcc_lo, s9, v0
	s_and_b32 exec_lo, exec_lo, vcc_lo
	s_cbranch_execz .LBB210_48
; %bb.47:
	v_dual_mov_b32 v1, 0 :: v_dual_add_nc_u32 v0, v1, v0
	s_delay_alu instid0(VALU_DEP_1) | instskip(NEXT) | instid1(VALU_DEP_1)
	v_lshlrev_b64 v[0:1], 1, v[0:1]
	v_add_co_u32 v0, vcc_lo, s12, v0
	s_delay_alu instid0(VALU_DEP_2)
	v_add_co_ci_u32_e32 v1, vcc_lo, s13, v1, vcc_lo
	global_store_b16 v[0:1], v2, off
.LBB210_48:
	s_nop 0
	s_sendmsg sendmsg(MSG_DEALLOC_VGPRS)
	s_endpgm
	.section	.rodata,"a",@progbits
	.p2align	6, 0x0
	.amdhsa_kernel _ZL8moe_q3_KIN3c104HalfELb1EEvPKvS3_PT_PKiS7_S7_iiiiiii
		.amdhsa_group_segment_fixed_size 31776
		.amdhsa_private_segment_fixed_size 0
		.amdhsa_kernarg_size 76
		.amdhsa_user_sgpr_count 14
		.amdhsa_user_sgpr_dispatch_ptr 0
		.amdhsa_user_sgpr_queue_ptr 0
		.amdhsa_user_sgpr_kernarg_segment_ptr 1
		.amdhsa_user_sgpr_dispatch_id 0
		.amdhsa_user_sgpr_private_segment_size 0
		.amdhsa_wavefront_size32 1
		.amdhsa_uses_dynamic_stack 0
		.amdhsa_enable_private_segment 0
		.amdhsa_system_sgpr_workgroup_id_x 1
		.amdhsa_system_sgpr_workgroup_id_y 1
		.amdhsa_system_sgpr_workgroup_id_z 0
		.amdhsa_system_sgpr_workgroup_info 0
		.amdhsa_system_vgpr_workitem_id 1
		.amdhsa_next_free_vgpr 195
		.amdhsa_next_free_sgpr 31
		.amdhsa_reserve_vcc 1
		.amdhsa_float_round_mode_32 0
		.amdhsa_float_round_mode_16_64 0
		.amdhsa_float_denorm_mode_32 3
		.amdhsa_float_denorm_mode_16_64 3
		.amdhsa_dx10_clamp 1
		.amdhsa_ieee_mode 1
		.amdhsa_fp16_overflow 0
		.amdhsa_workgroup_processor_mode 1
		.amdhsa_memory_ordered 1
		.amdhsa_forward_progress 0
		.amdhsa_shared_vgpr_count 0
		.amdhsa_exception_fp_ieee_invalid_op 0
		.amdhsa_exception_fp_denorm_src 0
		.amdhsa_exception_fp_ieee_div_zero 0
		.amdhsa_exception_fp_ieee_overflow 0
		.amdhsa_exception_fp_ieee_underflow 0
		.amdhsa_exception_fp_ieee_inexact 0
		.amdhsa_exception_int_div_zero 0
	.end_amdhsa_kernel
	.section	.text._ZL8moe_q3_KIN3c104HalfELb1EEvPKvS3_PT_PKiS7_S7_iiiiiii,"axG",@progbits,_ZL8moe_q3_KIN3c104HalfELb1EEvPKvS3_PT_PKiS7_S7_iiiiiii,comdat
.Lfunc_end210:
	.size	_ZL8moe_q3_KIN3c104HalfELb1EEvPKvS3_PT_PKiS7_S7_iiiiiii, .Lfunc_end210-_ZL8moe_q3_KIN3c104HalfELb1EEvPKvS3_PT_PKiS7_S7_iiiiiii
                                        ; -- End function
	.section	.AMDGPU.csdata,"",@progbits
; Kernel info:
; codeLenInByte = 34008
; NumSgprs: 33
; NumVgprs: 195
; ScratchSize: 0
; MemoryBound: 0
; FloatMode: 240
; IeeeMode: 1
; LDSByteSize: 31776 bytes/workgroup (compile time only)
; SGPRBlocks: 4
; VGPRBlocks: 24
; NumSGPRsForWavesPerEU: 33
; NumVGPRsForWavesPerEU: 195
; Occupancy: 7
; WaveLimiterHint : 1
; COMPUTE_PGM_RSRC2:SCRATCH_EN: 0
; COMPUTE_PGM_RSRC2:USER_SGPR: 14
; COMPUTE_PGM_RSRC2:TRAP_HANDLER: 0
; COMPUTE_PGM_RSRC2:TGID_X_EN: 1
; COMPUTE_PGM_RSRC2:TGID_Y_EN: 1
; COMPUTE_PGM_RSRC2:TGID_Z_EN: 0
; COMPUTE_PGM_RSRC2:TIDIG_COMP_CNT: 1
	.section	.text._ZL8moe_q4_KIN3c104HalfELb0EEvPKvS3_PT_PKiS7_S7_iiiiiii,"axG",@progbits,_ZL8moe_q4_KIN3c104HalfELb0EEvPKvS3_PT_PKiS7_S7_iiiiiii,comdat
	.globl	_ZL8moe_q4_KIN3c104HalfELb0EEvPKvS3_PT_PKiS7_S7_iiiiiii ; -- Begin function _ZL8moe_q4_KIN3c104HalfELb0EEvPKvS3_PT_PKiS7_S7_iiiiiii
	.p2align	8
	.type	_ZL8moe_q4_KIN3c104HalfELb0EEvPKvS3_PT_PKiS7_S7_iiiiiii,@function
_ZL8moe_q4_KIN3c104HalfELb0EEvPKvS3_PT_PKiS7_S7_iiiiiii: ; @_ZL8moe_q4_KIN3c104HalfELb0EEvPKvS3_PT_PKiS7_S7_iiiiiii
; %bb.0:
	s_load_b128 s[4:7], s[0:1], 0x18
	s_mov_b32 s2, s15
	s_mov_b32 s3, 0
	s_delay_alu instid0(SALU_CYCLE_1)
	s_lshl_b64 s[8:9], s[2:3], 2
	s_waitcnt lgkmcnt(0)
	s_add_u32 s6, s6, s8
	s_addc_u32 s7, s7, s9
	s_load_b32 s12, s[6:7], 0x0
	s_waitcnt lgkmcnt(0)
	s_cmpk_gt_u32 s12, 0xff
	s_cbranch_scc1 .LBB211_33
; %bb.1:
	s_load_b64 s[6:7], s[0:1], 0x28
	s_lshl_b32 s2, s2, 3
	s_waitcnt lgkmcnt(0)
	s_load_b32 s3, s[6:7], 0x0
	s_waitcnt lgkmcnt(0)
	s_cmp_gt_u32 s2, s3
	s_cbranch_scc1 .LBB211_33
; %bb.2:
	v_bfe_u32 v3, v0, 10, 10
	v_mov_b32_e32 v2, 0
	s_lshl_b32 s16, s14, 7
	s_mov_b32 s17, 0
	s_delay_alu instid0(VALU_DEP_2) | instskip(SKIP_1) | instid1(VALU_DEP_2)
	v_add_nc_u32_e32 v1, s2, v3
	v_and_b32_e32 v0, 0x3ff, v0
	v_lshlrev_b64 v[4:5], 2, v[1:2]
	s_delay_alu instid0(VALU_DEP_1) | instskip(NEXT) | instid1(VALU_DEP_2)
	v_add_co_u32 v4, vcc_lo, s4, v4
	v_add_co_ci_u32_e32 v5, vcc_lo, s5, v5, vcc_lo
	global_load_b32 v14, v[4:5], off
	v_mov_b32_e32 v5, v2
	s_clause 0x2
	s_load_b64 s[10:11], s[0:1], 0x30
	s_load_b64 s[8:9], s[0:1], 0x10
	s_load_b128 s[4:7], s[0:1], 0x3c
	scratch_store_b32 off, v0, off offset:128 ; 4-byte Folded Spill
	v_mov_b32_e32 v0, v2
	v_mov_b32_e32 v4, v2
	s_waitcnt lgkmcnt(0)
	s_cmpk_lt_i32 s11, 0x100
	s_cbranch_scc1 .LBB211_24
; %bb.3:
	scratch_load_b32 v15, off, off offset:128 ; 4-byte Folded Reload
	s_load_b128 s[0:3], s[0:1], 0x0
	s_ashr_i32 s14, s11, 31
	s_mul_i32 s18, s12, s10
	s_lshr_b32 s10, s14, 24
	s_ashr_i32 s15, s5, 31
	s_add_i32 s10, s11, s10
	s_lshr_b32 s14, s15, 27
	s_ashr_i32 s10, s10, 8
	s_add_i32 s5, s5, s14
	s_mul_i32 s14, s10, s16
	s_ashr_i32 s15, s18, 31
	s_ashr_i32 s5, s5, 5
	s_mul_hi_i32 s19, s14, 0x90
	s_mulk_i32 s14, 0x90
	v_dual_mov_b32 v89, 0 :: v_dual_lshlrev_b32 v0, 3, v3
	s_waitcnt vmcnt(1)
	v_sub_nc_u32_e32 v4, 0, v14
	s_movk_i32 s12, 0x1080
	s_movk_i32 s13, 0x2100
	v_mul_i32_i24_e32 v47, s10, v3
	s_waitcnt lgkmcnt(0)
	s_add_u32 s0, s0, s18
	s_addc_u32 s1, s1, s15
	s_add_u32 s18, s0, s14
	s_addc_u32 s19, s1, s19
	s_abs_i32 s15, s7
	s_lshl_b32 s14, s10, 3
	s_sub_i32 s0, 0, s15
	v_mad_i32_i24 v27, s10, v3, s14
	s_movk_i32 s1, 0x3180
	v_dual_mov_b32 v91, 0 :: v_dual_mov_b32 v90, 0
	s_delay_alu instid0(VALU_DEP_2) | instskip(NEXT) | instid1(VALU_DEP_1)
	v_add_nc_u32_e32 v30, s14, v27
	v_add_nc_u32_e32 v38, s14, v30
	s_delay_alu instid0(VALU_DEP_1) | instskip(NEXT) | instid1(VALU_DEP_1)
	v_add_nc_u32_e32 v42, s14, v38
	v_add_nc_u32_e32 v50, s14, v42
	s_delay_alu instid0(VALU_DEP_1) | instskip(NEXT) | instid1(VALU_DEP_1)
	v_add_nc_u32_e32 v58, s14, v50
	v_add_nc_u32_e32 v16, s14, v58
	s_delay_alu instid0(VALU_DEP_1) | instskip(NEXT) | instid1(VALU_DEP_1)
	v_add_nc_u32_e32 v23, s14, v16
	v_add_nc_u32_e32 v31, s14, v23
	s_delay_alu instid0(VALU_DEP_1) | instskip(NEXT) | instid1(VALU_DEP_1)
	v_add_nc_u32_e32 v34, s14, v31
	v_add_nc_u32_e32 v36, s14, v34
	s_delay_alu instid0(VALU_DEP_1) | instskip(NEXT) | instid1(VALU_DEP_1)
	v_add_nc_u32_e32 v39, s14, v36
	v_add_nc_u32_e32 v40, s14, v39
	s_delay_alu instid0(VALU_DEP_1) | instskip(NEXT) | instid1(VALU_DEP_1)
	v_add_nc_u32_e32 v43, s14, v40
	v_add_nc_u32_e32 v45, s14, v43
	s_waitcnt vmcnt(0)
	v_lshrrev_b32_e32 v1, 2, v15
	v_and_b32_e32 v2, 3, v15
	v_lshrrev_b32_e32 v26, 5, v15
	v_mad_u32_u24 v75, 0x84, v15, s1
	v_lshrrev_b32_e32 v65, 3, v15
	v_add_nc_u32_e32 v5, v1, v0
	v_add_nc_u16 v0, v1, v0
	v_max_i32_e32 v1, v14, v4
	v_cvt_f32_u32_e32 v4, s15
	v_add_nc_u32_e32 v7, 0xfe, v2
	v_cmp_gt_u32_e32 vcc_lo, 2, v2
	v_lshlrev_b32_e32 v20, 2, v15
	v_and_b32_e32 v5, 0x7f, v5
	v_rcp_iflag_f32_e32 v4, v4
	v_lshlrev_b32_e32 v9, 2, v2
	s_delay_alu instid0(VALU_DEP_3)
	v_dual_cndmask_b32 v7, v7, v2 :: v_dual_and_b32 v8, 4, v20
	v_cmp_lt_u32_e32 vcc_lo, 1, v2
	v_lshlrev_b32_e32 v22, 5, v3
	v_lshrrev_b16 v0, 1, v0
	v_xor_b32_e32 v12, 64, v5
	v_and_b32_e32 v7, 0xff, v7
	v_cndmask_b32_e32 v37, 0, v8, vcc_lo
	s_delay_alu instid0(TRANS32_DEP_1)
	v_mul_f32_e32 v4, 0x4f7ffffe, v4
	v_add_nc_u32_e32 v6, v22, v15
	v_and_b32_e32 v0, 60, v0
	v_lshlrev_b32_e32 v46, 1, v7
	v_mul_i32_i24_e32 v48, s10, v5
	v_cvt_u32_f32_e32 v4, v4
	v_and_b32_e32 v10, 0x7f, v6
	v_lshrrev_b32_e32 v11, 3, v6
	v_mad_u32_u24 v51, 0x84, v3, v20
	v_mul_i32_i24_e32 v55, s10, v12
	v_mul_lo_u32 v8, s0, v4
	v_mul_i32_i24_e32 v41, s10, v10
	v_and_b32_e32 v11, 12, v11
	v_lshlrev_b32_e32 v10, 2, v10
	v_cmp_ne_u32_e64 s0, 0, v2
	v_dual_mov_b32 v18, 0 :: v_dual_and_b32 v35, 0x7c, v20
	v_add_nc_u32_e32 v52, 0x840, v51
	v_mul_hi_u32 v8, v4, v8
	v_add3_u32 v44, v10, v11, 0x4e40
	v_lshl_or_b32 v10, v5, 4, v9
	v_lshrrev_b32_e32 v11, 1, v12
	v_add_co_ci_u32_e64 v2, s0, 0, v7, s0
	v_add_nc_u32_e32 v54, 0xc60, v51
	s_delay_alu instid0(VALU_DEP_4)
	v_add3_u32 v53, v10, v0, 0x4200
	v_add_nc_u32_e32 v4, v4, v8
	v_and_b32_e32 v0, 28, v20
	v_and_b32_e32 v5, 60, v11
	v_cndmask_b32_e64 v8, 0, 1, vcc_lo
	v_add_nc_u32_e32 v56, 0x1080, v51
	v_mul_hi_u32 v13, v1, v4
	v_lshl_or_b32 v4, v12, 4, v9
	v_and_or_b32 v9, v15, 31, v22
	v_add_co_u32 v10, s0, s2, v0
	v_mad_i32_i24 v0, 0xffffffe4, v3, v6
	s_delay_alu instid0(VALU_DEP_4)
	v_add3_u32 v4, v4, v5, 0x4200
	v_add_co_ci_u32_e64 v11, null, s3, 0, s0
	v_mul_lo_u32 v7, v13, s15
	v_lshl_add_u32 v5, v9, 2, 0x4a40
	v_lshl_add_u32 v0, v0, 2, 0x5050
	scratch_store_b64 off, v[10:11], off offset:132 ; 8-byte Folded Spill
	v_add_nc_u32_e32 v6, 1, v13
	v_add_nc_u32_e32 v10, 32, v15
	s_clause 0x1
	scratch_store_b32 off, v5, off offset:140
	scratch_store_b32 off, v0, off offset:160
	v_sub_nc_u32_e32 v1, v1, v7
	v_lshlrev_b32_e32 v7, 2, v26
	v_lshrrev_b32_e32 v5, 3, v10
	v_xor_b32_e32 v9, s7, v14
	v_add_nc_u32_e32 v11, 64, v15
	v_subrev_nc_u32_e32 v0, s15, v1
	v_cmp_le_u32_e32 vcc_lo, s15, v1
	v_add_nc_u32_e32 v49, 0x420, v51
	v_ashrrev_i32_e32 v9, 31, v9
	v_lshlrev_b32_e32 v10, 2, v10
	v_dual_cndmask_b32 v6, v13, v6 :: v_dual_add_nc_u32 v25, 0x14a0, v51
	v_dual_cndmask_b32 v0, v1, v0 :: v_dual_add_nc_u32 v85, 0x18c0, v51
	v_add_nc_u32_e32 v86, 0x1ce0, v51
	v_add_nc_u32_e32 v17, 0x2100, v51
	s_delay_alu instid0(VALU_DEP_4) | instskip(NEXT) | instid1(VALU_DEP_4)
	v_add_nc_u32_e32 v1, 1, v6
	v_cmp_le_u32_e32 vcc_lo, s15, v0
	v_add_nc_u32_e32 v19, 0x2520, v51
	v_add_nc_u32_e32 v21, 0x2940, v51
	;; [unrolled: 1-line block ×4, first 2 shown]
	v_cndmask_b32_e32 v0, v6, v1, vcc_lo
	v_add3_u32 v6, v7, v20, 0x4e40
	v_and_b32_e32 v7, 60, v5
	v_add_nc_u32_e32 v1, 0x60, v15
	v_add_nc_u32_e32 v29, 0x35a0, v51
	v_xor_b32_e32 v0, v0, v9
	v_add_nc_u32_e32 v32, 0x39c0, v51
	v_add3_u32 v7, v20, v7, 0x4e40
	scratch_store_b32 off, v6, off          ; 4-byte Folded Spill
	v_lshrrev_b32_e32 v6, 3, v11
	v_lshrrev_b32_e32 v12, 3, v1
	v_sub_nc_u32_e32 v0, v0, v9
	v_lshlrev_b32_e32 v9, 2, v11
	v_lshlrev_b32_e32 v1, 2, v1
	v_and_b32_e32 v13, 60, v6
	v_add_nc_u32_e32 v33, 0x3de0, v51
	v_cmp_gt_i32_e64 s1, s4, v0
	v_cmp_gt_u32_e64 s0, 4, v15
	v_mul_u32_u24_e32 v72, 0x84, v15
	v_add3_u32 v11, v20, v13, 0x4e40
	scratch_store_b32 off, v7, off offset:4 ; 4-byte Folded Spill
	v_and_b32_e32 v7, 60, v12
	v_mad_u32_u24 v73, 0x84, v15, s12
	v_mad_u32_u24 v74, 0x84, v15, s13
	v_lshlrev_b32_e32 v80, 4, v15
	v_lshlrev_b32_e32 v81, 2, v12
	v_add3_u32 v7, v20, v7, 0x4e40
	scratch_store_b32 off, v11, off offset:8 ; 4-byte Folded Spill
	v_mul_lo_u32 v11, v0, s5
	v_lshlrev_b32_e32 v82, 2, v6
	v_lshlrev_b32_e32 v83, 2, v5
	s_clause 0x1
	scratch_store_b32 off, v7, off offset:12
	scratch_store_b32 off, v5, off offset:144
	v_lshl_or_b32 v84, v65, 2, 0x4200
	v_lshlrev_b32_e32 v5, 2, v2
	v_lshlrev_b32_e32 v57, 2, v8
	scratch_store_b32 off, v11, off offset:16 ; 4-byte Folded Spill
	v_ashrrev_i32_e32 v0, 31, v11
	v_lshlrev_b32_e32 v87, 2, v10
	v_lshlrev_b32_e32 v88, 2, v9
	;; [unrolled: 1-line block ×3, first 2 shown]
	s_add_u32 s12, s2, 0x90
	scratch_store_b32 off, v0, off offset:164 ; 4-byte Folded Spill
	v_mad_u32_u24 v0, 0x84, v15, 64
	scratch_store_b32 off, v14, off offset:168 ; 4-byte Folded Spill
	s_addc_u32 s13, s3, 0
	scratch_store_b32 off, v0, off offset:148 ; 4-byte Folded Spill
	v_lshl_add_u32 v0, v3, 4, 0x5050
	scratch_store_b32 off, v0, off offset:152 ; 4-byte Folded Spill
	v_lshl_add_u32 v0, v3, 7, 0x4a40
	s_clause 0x1b
	scratch_store_b32 off, v0, off offset:156
	scratch_store_b32 off, v16, off offset:20
	;; [unrolled: 1-line block ×28, first 2 shown]
	s_branch .LBB211_6
.LBB211_4:                              ;   in Loop: Header=BB211_6 Depth=1
	s_clause 0x1a
	scratch_load_b32 v16, off, off offset:20
	scratch_load_b32 v17, off, off offset:24
	scratch_load_b32 v19, off, off offset:28
	scratch_load_b32 v21, off, off offset:32
	scratch_load_b32 v23, off, off offset:36
	scratch_load_b32 v24, off, off offset:40
	scratch_load_b32 v28, off, off offset:44
	scratch_load_b32 v29, off, off offset:48
	scratch_load_b32 v31, off, off offset:52
	scratch_load_b32 v32, off, off offset:56
	scratch_load_b32 v33, off, off offset:60
	scratch_load_b32 v34, off, off offset:64
	scratch_load_b32 v36, off, off offset:68
	scratch_load_b32 v37, off, off offset:72
	scratch_load_b32 v39, off, off offset:76
	scratch_load_b32 v40, off, off offset:80
	scratch_load_b32 v41, off, off offset:84
	scratch_load_b32 v43, off, off offset:88
	scratch_load_b32 v44, off, off offset:92
	scratch_load_b32 v45, off, off offset:96
	scratch_load_b32 v46, off, off offset:100
	scratch_load_b32 v48, off, off offset:104
	scratch_load_b32 v53, off, off offset:108
	scratch_load_b32 v55, off, off offset:112
	scratch_load_b32 v4, off, off offset:116
	scratch_load_b32 v5, off, off offset:120
	scratch_load_b32 v57, off, off offset:124
.LBB211_5:                              ;   in Loop: Header=BB211_6 Depth=1
	s_add_i32 s17, s17, 1
	s_delay_alu instid0(SALU_CYCLE_1)
	s_cmp_eq_u32 s17, s10
	s_cbranch_scc1 .LBB211_23
.LBB211_6:                              ; =>This Loop Header: Depth=1
                                        ;     Child Loop BB211_13 Depth 2
                                        ;     Child Loop BB211_21 Depth 2
	s_mul_i32 s14, s17, 0x90
	s_mul_hi_u32 s15, s17, 0x90
	s_add_u32 s14, s18, s14
	s_addc_u32 s15, s19, s15
	s_delay_alu instid0(SALU_CYCLE_1) | instskip(SKIP_2) | instid1(VALU_DEP_2)
	v_mad_u64_u32 v[0:1], null, 0x90, v26, s[14:15]
	s_waitcnt vmcnt(5)
	v_mad_u64_u32 v[97:98], null, 0x90, v48, s[14:15]
	v_add_co_u32 v0, vcc_lo, v0, v35
	s_delay_alu instid0(VALU_DEP_3) | instskip(NEXT) | instid1(VALU_DEP_2)
	v_add_co_ci_u32_e32 v1, vcc_lo, 0, v1, vcc_lo
	v_add_co_u32 v0, vcc_lo, v0, 16
	s_delay_alu instid0(VALU_DEP_2) | instskip(NEXT) | instid1(VALU_DEP_1)
	v_add_co_ci_u32_e32 v1, vcc_lo, 0, v1, vcc_lo
	v_mad_u64_u32 v[2:3], null, 0x90, v47, v[0:1]
	v_mad_u64_u32 v[6:7], null, 0x90, v27, v[0:1]
	;; [unrolled: 1-line block ×8, first 2 shown]
	s_clause 0x7
	global_load_b32 v99, v[2:3], off
	global_load_b32 v100, v[6:7], off
	;; [unrolled: 1-line block ×8, first 2 shown]
	v_add_co_u32 v14, vcc_lo, v97, 4
	s_waitcnt vmcnt(11)
	v_mad_u64_u32 v[8:9], null, 0x90, v55, s[14:15]
	v_add_co_ci_u32_e32 v15, vcc_lo, 0, v98, vcc_lo
	s_waitcnt vmcnt(8)
	v_add_co_u32 v12, vcc_lo, v14, v5
	v_mad_u64_u32 v[2:3], null, 0x90, v23, v[0:1]
	s_delay_alu instid0(VALU_DEP_3) | instskip(SKIP_4) | instid1(VALU_DEP_4)
	v_add_co_ci_u32_e32 v13, vcc_lo, 0, v15, vcc_lo
	v_add_co_u32 v93, vcc_lo, v8, 4
	v_add_co_ci_u32_e32 v94, vcc_lo, 0, v9, vcc_lo
	v_add_co_u32 v8, vcc_lo, v14, v57
	v_add_co_ci_u32_e32 v9, vcc_lo, 0, v15, vcc_lo
	v_add_co_u32 v14, vcc_lo, v93, v5
	s_delay_alu instid0(VALU_DEP_4)
	v_add_co_ci_u32_e32 v15, vcc_lo, 0, v94, vcc_lo
	v_add_co_u32 v93, vcc_lo, v93, v57
	v_add_co_ci_u32_e32 v94, vcc_lo, 0, v94, vcc_lo
	s_clause 0x2
	global_load_b32 v97, v[12:13], off
	global_load_b32 v98, v[8:9], off
	;; [unrolled: 1-line block ×3, first 2 shown]
	v_mad_u64_u32 v[6:7], null, 0x90, v31, v[0:1]
	v_mad_u64_u32 v[10:11], null, 0x90, v34, v[0:1]
	global_load_b32 v108, v[93:94], off
	v_mad_u64_u32 v[8:9], null, 0x90, v36, v[0:1]
	v_mad_u64_u32 v[12:13], null, 0x90, v39, v[0:1]
	;; [unrolled: 1-line block ×6, first 2 shown]
	s_clause 0x8
	global_load_b32 v2, v[2:3], off
	global_load_b32 v3, v[6:7], off
	;; [unrolled: 1-line block ×9, first 2 shown]
	s_lshl_b32 s14, s17, 8
	s_waitcnt vmcnt(20)
	ds_store_b32 v51, v99
	s_waitcnt vmcnt(19)
	ds_store_b32 v49, v100
	;; [unrolled: 2-line block ×14, first 2 shown]
	v_ashrrev_i32_e32 v1, v37, v97
	v_ashrrev_i32_e32 v12, v37, v107
	;; [unrolled: 1-line block ×4, first 2 shown]
	s_cmp_lt_i32 s14, s11
	v_and_b32_e32 v1, 0xf0f0f0f, v1
	v_and_b32_e32 v12, 0xf0f0f0f, v12
	s_delay_alu instid0(VALU_DEP_2) | instskip(NEXT) | instid1(VALU_DEP_2)
	v_and_or_b32 v1, 0x30303030, v13, v1
	v_and_or_b32 v2, 0x30303030, v14, v12
	s_waitcnt vmcnt(2)
	ds_store_b32 v32, v10
	s_waitcnt vmcnt(1)
	ds_store_b32 v33, v11
	;; [unrolled: 2-line block ×3, first 2 shown]
	ds_store_b32 v53, v1
	ds_store_b32 v4, v2
	s_cbranch_scc0 .LBB211_5
; %bb.7:                                ;   in Loop: Header=BB211_6 Depth=1
	s_lshl_b32 s15, s17, 3
	s_delay_alu instid0(SALU_CYCLE_1) | instskip(NEXT) | instid1(VALU_DEP_1)
	v_add_nc_u32_e32 v0, s15, v65
	v_cmp_gt_i32_e32 vcc_lo, s5, v0
	s_and_b32 s21, s1, vcc_lo
	s_delay_alu instid0(SALU_CYCLE_1)
	s_and_saveexec_b32 s20, s21
	s_cbranch_execz .LBB211_9
; %bb.8:                                ;   in Loop: Header=BB211_6 Depth=1
	s_clause 0x1
	scratch_load_b32 v1, off, off offset:16
	scratch_load_b64 v[5:6], off, off offset:132
	s_waitcnt vmcnt(1)
	v_add_nc_u32_e32 v2, v1, v0
	s_waitcnt vmcnt(0)
	s_delay_alu instid0(VALU_DEP_1)
	v_mad_i64_i32 v[0:1], null, v2, 36, v[5:6]
	global_load_b32 v0, v[0:1], off offset:4
	scratch_load_b32 v1, off, off offset:140 ; 4-byte Folded Reload
	s_waitcnt vmcnt(0)
	ds_store_b32 v1, v0
.LBB211_9:                              ;   in Loop: Header=BB211_6 Depth=1
	s_or_b32 exec_lo, exec_lo, s20
	s_and_saveexec_b32 s20, s0
	s_cbranch_execz .LBB211_12
; %bb.10:                               ;   in Loop: Header=BB211_6 Depth=1
	scratch_load_b32 v0, off, off offset:128 ; 4-byte Folded Reload
	s_waitcnt vmcnt(0)
	v_or_b32_e32 v0, s15, v0
	s_delay_alu instid0(VALU_DEP_1) | instskip(SKIP_1) | instid1(SALU_CYCLE_1)
	v_cmp_gt_i32_e32 vcc_lo, s5, v0
	s_and_b32 s21, s1, vcc_lo
	s_and_b32 exec_lo, exec_lo, s21
	s_cbranch_execz .LBB211_12
; %bb.11:                               ;   in Loop: Header=BB211_6 Depth=1
	scratch_load_b32 v1, off, off offset:16 ; 4-byte Folded Reload
	s_waitcnt vmcnt(0)
	v_add_nc_u32_e32 v2, v1, v0
	s_delay_alu instid0(VALU_DEP_1)
	v_mad_i64_i32 v[0:1], null, v2, 36, s[2:3]
	global_load_b32 v0, v[0:1], off
	scratch_load_b32 v1, off, off offset:160 ; 4-byte Folded Reload
	s_waitcnt vmcnt(0)
	ds_store_b32 v1, v0
.LBB211_12:                             ;   in Loop: Header=BB211_6 Depth=1
	s_or_b32 exec_lo, exec_lo, s20
	s_waitcnt lgkmcnt(0)
	s_waitcnt_vscnt null, 0x0
	s_barrier
	buffer_gl0_inv
	s_clause 0x2
	scratch_load_b32 v0, off, off
	scratch_load_b32 v1, off, off offset:4
	scratch_load_b32 v2, off, off offset:8
	s_mov_b32 s22, 0
	s_mov_b32 s20, -1
	s_waitcnt vmcnt(2)
	ds_load_b32 v0, v0
	s_waitcnt vmcnt(1)
	ds_load_b32 v1, v1 offset:128
	s_waitcnt vmcnt(0)
	ds_load_b32 v7, v2 offset:256
	scratch_load_b32 v2, off, off offset:12 ; 4-byte Folded Reload
	s_waitcnt lgkmcnt(1)
	v_cvt_f32_f16_e32 v3, v1
	v_lshrrev_b32_e32 v1, 16, v1
	s_waitcnt lgkmcnt(0)
	v_lshrrev_b32_e32 v10, 16, v7
	v_cvt_f32_f16_e32 v6, v7
	s_delay_alu instid0(VALU_DEP_3) | instskip(NEXT) | instid1(VALU_DEP_3)
	v_cvt_f32_f16_e32 v9, v1
	v_cvt_f32_f16_e32 v10, v10
	s_waitcnt vmcnt(0)
	ds_load_b32 v8, v2 offset:384
	v_cvt_f32_f16_e32 v2, v0
	v_lshrrev_b32_e32 v0, 16, v0
	s_waitcnt lgkmcnt(0)
	v_lshrrev_b32_e32 v11, 16, v8
	v_cvt_f32_f16_e32 v7, v8
	s_delay_alu instid0(VALU_DEP_3) | instskip(NEXT) | instid1(VALU_DEP_3)
	v_cvt_f32_f16_e32 v8, v0
	v_cvt_f32_f16_e32 v11, v11
.LBB211_13:                             ;   Parent Loop BB211_6 Depth=1
                                        ; =>  This Inner Loop Header: Depth=2
	s_lshr_b32 s21, s22, 2
	v_lshl_or_b32 v0, s22, 1, v22
	s_lshl_b32 s22, s22, 2
	v_lshlrev_b32_e32 v1, 2, v65
	v_lshlrev_b32_e32 v12, 2, v20
	v_add_nc_u32_e32 v13, s22, v72
	s_addk_i32 s21, 0x4200
	v_add_nc_u32_e32 v14, s22, v73
	v_add_nc_u32_e32 v94, s22, v74
	;; [unrolled: 1-line block ×3, first 2 shown]
	v_add3_u32 v97, s21, v83, v87
	v_add3_u32 v95, s21, v81, v92
	v_lshlrev_b32_e32 v122, 2, v0
	v_add3_u32 v105, s21, v82, v88
	v_add3_u32 v12, s21, v1, v12
	v_lshrrev_b32_e32 v146, 1, v0
	ds_load_2addr_b32 v[0:1], v13 offset1:1
	ds_load_2addr_b32 v[99:100], v13 offset0:2 offset1:3
	ds_load_2addr_b32 v[101:102], v13 offset0:4 offset1:5
	ds_load_2addr_b32 v[103:104], v13 offset0:6 offset1:7
	ds_load_2addr_b32 v[110:111], v94 offset1:1
	ds_load_2addr_b32 v[126:127], v94 offset0:2 offset1:3
	ds_load_2addr_b32 v[112:113], v14 offset1:1
	ds_load_2addr_b32 v[128:129], v15 offset0:4 offset1:5
	ds_load_2addr_b32 v[130:131], v14 offset0:2 offset1:3
	;; [unrolled: 1-line block ×7, first 2 shown]
	ds_load_u8 v13, v95 offset:9
	ds_load_2addr_b32 v[142:143], v15 offset1:1
	ds_load_u16 v93, v105
	ds_load_u8 v15, v95 offset:8
	ds_load_u16 v14, v95
	ds_load_2addr_b32 v[144:145], v94 offset0:6 offset1:7
	ds_load_u16 v95, v97
	ds_load_u8 v96, v97 offset:9
	ds_load_u8 v98, v97 offset:8
	;; [unrolled: 1-line block ×4, first 2 shown]
	ds_load_b128 v[106:109], v122 offset:19008
	ds_load_b128 v[114:117], v122 offset:19024
	;; [unrolled: 1-line block ×4, first 2 shown]
	s_waitcnt lgkmcnt(28)
	v_and_b32_e32 v147, 15, v0
	s_waitcnt lgkmcnt(22)
	v_and_b32_e32 v148, 15, v112
	v_and_b32_e32 v149, 15, v110
	v_ashrrev_i32_e32 v153, 4, v0
	v_bfe_u32 v159, v0, 8, 4
	v_bfe_u32 v170, v0, 16, 4
	;; [unrolled: 1-line block ×3, first 2 shown]
	s_waitcnt lgkmcnt(13)
	v_and_b32_e32 v62, 15, v142
	v_and_b32_e32 v150, 15, v1
	;; [unrolled: 1-line block ×4, first 2 shown]
	v_ashrrev_i32_e32 v154, 4, v112
	v_ashrrev_i32_e32 v155, 4, v110
	v_and_b32_e32 v21, 15, v143
	v_ashrrev_i32_e32 v156, 4, v1
	v_ashrrev_i32_e32 v157, 4, v113
	s_waitcnt lgkmcnt(3)
	v_bfe_i32 v0, v106, 0, 8
	v_bfe_i32 v76, v107, 0, 8
	s_waitcnt lgkmcnt(1)
	v_bfe_i32 v37, v118, 0, 8
	v_bfe_i32 v19, v119, 0, 8
	v_ashrrev_i32_e32 v158, 4, v111
	v_mul_i32_i24_e32 v147, v147, v0
	v_mul_i32_i24_e32 v148, v148, v0
	;; [unrolled: 1-line block ×4, first 2 shown]
	v_ashrrev_i32_e32 v62, 4, v142
	v_mad_i32_i24 v147, v150, v76, v147
	v_mad_i32_i24 v148, v151, v76, v148
	v_and_b32_e32 v151, 15, v153
	v_mad_i32_i24 v149, v152, v76, v149
	v_and_b32_e32 v152, 15, v154
	;; [unrolled: 2-line block ×3, first 2 shown]
	v_and_b32_e32 v76, 15, v62
	v_mul_i32_i24_e32 v151, v151, v37
	v_mul_i32_i24_e32 v152, v152, v37
	v_bfe_u32 v163, v110, 8, 4
	v_mul_i32_i24_e32 v21, v21, v37
	v_mul_i32_i24_e32 v37, v76, v37
	v_and_b32_e32 v76, 15, v156
	v_and_b32_e32 v164, 15, v126
	v_bfe_u32 v176, v1, 8, 4
	v_bfe_u32 v187, v1, 16, 4
	;; [unrolled: 1-line block ×3, first 2 shown]
	v_bfe_i32 v1, v106, 8, 8
	v_bfe_i32 v79, v108, 0, 8
	v_mad_i32_i24 v76, v76, v19, v151
	v_and_b32_e32 v151, 15, v157
	v_ashrrev_i32_e32 v150, 4, v143
	v_mul_i32_i24_e32 v163, v163, v1
	v_mul_i32_i24_e32 v164, v164, v79
	v_and_b32_e32 v160, 15, v99
	v_mad_i32_i24 v151, v151, v19, v152
	v_and_b32_e32 v152, 15, v158
	v_bfe_u32 v161, v112, 8, 4
	v_and_b32_e32 v162, 15, v130
	v_and_b32_e32 v165, 15, v140
	v_add3_u32 v149, v149, v164, v163
	v_mad_i32_i24 v21, v152, v19, v21
	v_and_b32_e32 v152, 15, v150
	v_bfe_u32 v163, v142, 8, 4
	v_ashrrev_i32_e32 v166, 4, v99
	v_mul_i32_i24_e32 v161, v161, v1
	v_mul_i32_i24_e32 v162, v162, v79
	v_mad_i32_i24 v19, v152, v19, v37
	v_mul_i32_i24_e32 v152, v159, v1
	v_mul_i32_i24_e32 v159, v160, v79
	;; [unrolled: 1-line block ×4, first 2 shown]
	v_bfe_u32 v180, v111, 8, 4
	v_bfe_u32 v191, v111, 16, 4
	;; [unrolled: 1-line block ×3, first 2 shown]
	v_bfe_i32 v66, v108, 8, 8
	v_bfe_i32 v63, v108, 16, 8
	v_ashrrev_i32_e32 v16, 24, v108
	v_bfe_i32 v39, v118, 8, 8
	v_bfe_i32 v41, v119, 8, 8
	;; [unrolled: 1-line block ×3, first 2 shown]
	v_ashrrev_i32_e32 v108, 24, v119
	v_bfe_i32 v119, v120, 0, 8
	v_add3_u32 v79, v0, v79, v1
	v_bfe_u32 v0, v153, 8, 4
	v_and_b32_e32 v1, 15, v166
	v_ashrrev_i32_e32 v167, 4, v130
	v_ashrrev_i32_e32 v168, 4, v126
	;; [unrolled: 1-line block ×3, first 2 shown]
	v_mul_i32_i24_e32 v0, v0, v39
	v_mul_i32_i24_e32 v1, v1, v119
	v_bfe_u32 v172, v112, 16, 4
	v_bfe_u32 v173, v112, 24, 4
	v_bfe_u32 v174, v110, 16, 4
	v_bfe_i32 v254, v106, 16, 8
	v_add3_u32 v76, v76, v1, v0
	v_bfe_u32 v0, v154, 8, 4
	v_and_b32_e32 v1, 15, v167
	v_ashrrev_i32_e32 v255, 24, v106
	v_bfe_i32 v40, v118, 16, 8
	v_ashrrev_i32_e32 v118, 24, v118
	v_mul_i32_i24_e32 v0, v0, v39
	v_mul_i32_i24_e32 v1, v1, v119
	v_and_b32_e32 v177, 15, v100
	v_bfe_i32 v64, v107, 8, 8
	v_bfe_i32 v70, v109, 0, 8
	v_add3_u32 v147, v147, v159, v152
	v_add3_u32 v151, v151, v1, v0
	v_bfe_u32 v0, v155, 8, 4
	v_and_b32_e32 v1, 15, v168
	v_ashrrev_i32_e32 v183, 4, v100
	v_ashrrev_i32_e32 v184, 4, v131
	;; [unrolled: 1-line block ×3, first 2 shown]
	v_mul_i32_i24_e32 v0, v0, v39
	v_mul_i32_i24_e32 v1, v1, v119
	v_ashrrev_i32_e32 v186, 4, v141
	v_mul_i32_i24_e32 v176, v176, v64
	v_mul_i32_i24_e32 v177, v177, v70
	v_bfe_u32 v175, v110, 24, 4
	v_add3_u32 v21, v21, v1, v0
	v_and_b32_e32 v0, 15, v169
	v_bfe_u32 v178, v113, 8, 4
	v_and_b32_e32 v179, 15, v131
	v_bfe_i32 v45, v121, 0, 8
	v_add3_u32 v148, v148, v162, v161
	v_mul_i32_i24_e32 v119, v0, v119
	v_bfe_u32 v0, v62, 8, 4
	v_and_b32_e32 v181, 15, v127
	v_and_b32_e32 v182, 15, v141
	v_bfe_u32 v189, v113, 16, 4
	v_bfe_u32 v190, v113, 24, 4
	v_mul_i32_i24_e32 v39, v0, v39
	ds_load_b64 v[0:1], v146 offset:20560
	v_bfe_i32 v77, v107, 16, 8
	v_ashrrev_i32_e32 v78, 24, v107
	v_mul_i32_i24_e32 v178, v178, v64
	v_add3_u32 v19, v19, v119, v39
	v_bfe_u32 v39, v142, 16, 4
	v_bfe_u32 v119, v142, 24, 4
	v_mul_i32_i24_e32 v142, v170, v254
	ds_load_u16 v170, v12
	v_mul_i32_i24_e32 v146, v171, v255
	v_mul_i32_i24_e32 v171, v172, v254
	;; [unrolled: 1-line block ×5, first 2 shown]
	v_bfe_u32 v254, v154, 16, 4
	v_bfe_u32 v154, v154, 24, 4
	v_mul_i32_i24_e32 v119, v119, v255
	v_add3_u32 v142, v147, v142, v146
	v_bfe_u32 v146, v143, 8, 4
	v_mul_i32_i24_e32 v254, v254, v40
	v_mul_i32_i24_e32 v154, v154, v118
	v_add3_u32 v39, v79, v39, v119
	v_bfe_u32 v119, v153, 16, 4
	v_bfe_u32 v153, v153, 24, 4
	v_add3_u32 v142, v142, v177, v176
	v_add3_u32 v151, v151, v254, v154
	v_bfe_u32 v154, v155, 16, 4
	v_bfe_u32 v155, v155, 24, 4
	v_mul_i32_i24_e32 v119, v119, v40
	v_mul_i32_i24_e32 v153, v153, v118
	v_and_b32_e32 v176, 15, v186
	v_mul_i32_i24_e32 v154, v154, v40
	v_mul_i32_i24_e32 v155, v155, v118
	v_add3_u32 v148, v148, v171, v172
	v_mul_i32_i24_e32 v174, v175, v255
	v_bfe_u32 v254, v156, 8, 4
	v_mul_i32_i24_e32 v179, v179, v70
	v_add3_u32 v21, v21, v154, v155
	v_bfe_u32 v155, v62, 16, 4
	v_bfe_u32 v62, v62, 24, 4
	v_and_b32_e32 v154, 15, v183
	v_bfe_u32 v193, v99, 8, 4
	v_and_b32_e32 v194, 15, v101
	v_mul_i32_i24_e32 v40, v155, v40
	v_mul_i32_i24_e32 v62, v62, v118
	v_and_b32_e32 v118, 15, v184
	v_bfe_u32 v155, v157, 8, 4
	v_mul_i32_i24_e32 v154, v154, v45
	v_bfe_u32 v195, v130, 8, 4
	v_add3_u32 v19, v19, v40, v62
	v_and_b32_e32 v62, 15, v185
	v_bfe_u32 v40, v158, 8, 4
	v_mul_i32_i24_e32 v118, v118, v45
	v_and_b32_e32 v196, 15, v132
	v_bfe_u32 v197, v126, 8, 4
	v_mul_i32_i24_e32 v62, v62, v45
	v_mul_i32_i24_e32 v45, v176, v45
	v_bfe_u32 v176, v150, 8, 4
	v_and_b32_e32 v198, 15, v136
	v_bfe_u32 v199, v140, 8, 4
	v_and_b32_e32 v200, 15, v128
	v_ashrrev_i32_e32 v201, 4, v101
	v_ashrrev_i32_e32 v202, 4, v132
	;; [unrolled: 1-line block ×4, first 2 shown]
	v_bfe_u32 v205, v99, 16, 4
	v_bfe_u32 v206, v99, 24, 4
	;; [unrolled: 1-line block ×13, first 2 shown]
	v_and_b32_e32 v215, 15, v102
	v_bfe_u32 v216, v131, 8, 4
	v_and_b32_e32 v217, 15, v133
	v_bfe_u32 v218, v127, 8, 4
	;; [unrolled: 2-line block ×4, first 2 shown]
	v_bfe_u32 v224, v102, 8, 4
	v_bfe_u32 v230, v131, 16, 4
	;; [unrolled: 1-line block ×5, first 2 shown]
	v_and_b32_e32 v233, 15, v104
	v_bfe_u32 v236, v141, 16, 4
	v_bfe_u32 v141, v141, 24, 4
	;; [unrolled: 1-line block ×6, first 2 shown]
	v_and_b32_e32 v247, 15, v135
	v_bfe_u32 v248, v136, 8, 4
	v_bfe_u32 v249, v135, 8, 4
	;; [unrolled: 1-line block ×4, first 2 shown]
	v_ashrrev_i32_e32 v100, 4, v135
	v_bfe_u32 v135, v128, 8, 4
	v_bfe_u32 v253, v136, 16, 4
	;; [unrolled: 1-line block ×3, first 2 shown]
	v_bfe_i32 v67, v109, 8, 8
	v_bfe_i32 v68, v109, 16, 8
	v_ashrrev_i32_e32 v69, 24, v109
	v_bfe_i32 v71, v114, 0, 8
	v_bfe_i32 v4, v114, 8, 8
	;; [unrolled: 1-line block ×3, first 2 shown]
	v_ashrrev_i32_e32 v114, 24, v114
	v_bfe_i32 v17, v115, 0, 8
	v_bfe_i32 v24, v115, 8, 8
	;; [unrolled: 1-line block ×3, first 2 shown]
	s_waitcnt lgkmcnt(2)
	v_bfe_i32 v112, v124, 0, 8
	v_bfe_i32 v110, v124, 8, 8
	;; [unrolled: 1-line block ×3, first 2 shown]
	v_ashrrev_i32_e32 v107, 24, v124
	v_bfe_u32 v124, v137, 8, 4
	v_bfe_u32 v37, v128, 16, 4
	;; [unrolled: 1-line block ×4, first 2 shown]
	v_and_b32_e32 v163, 15, v139
	v_bfe_u32 v147, v143, 16, 4
	v_bfe_u32 v143, v143, 24, 4
	v_add3_u32 v149, v149, v173, v174
	v_and_b32_e32 v175, 15, v145
	v_add3_u32 v76, v76, v119, v153
	v_add3_u32 v148, v148, v179, v178
	v_mul_i32_i24_e32 v180, v180, v64
	v_mul_i32_i24_e32 v181, v181, v70
	;; [unrolled: 1-line block ×12, first 2 shown]
	v_ashrrev_i32_e32 v223, 4, v102
	v_ashrrev_i32_e32 v113, 4, v133
	;; [unrolled: 1-line block ×3, first 2 shown]
	v_bfe_u32 v225, v102, 16, 4
	v_bfe_u32 v226, v102, 24, 4
	v_ashrrev_i32_e32 v102, 4, v129
	v_and_b32_e32 v227, 15, v103
	v_bfe_u32 v228, v103, 8, 4
	v_bfe_u32 v229, v103, 16, 4
	;; [unrolled: 1-line block ×6, first 2 shown]
	v_ashrrev_i32_e32 v238, 4, v103
	v_ashrrev_i32_e32 v99, 4, v104
	v_bfe_u32 v242, v133, 16, 4
	v_bfe_u32 v133, v133, 24, 4
	v_bfe_i32 v28, v115, 16, 8
	v_ashrrev_i32_e32 v115, 24, v115
	v_bfe_i32 v36, v117, 16, 8
	v_bfe_i32 v46, v121, 8, 8
	v_bfe_i32 v48, v121, 16, 8
	v_ashrrev_i32_e32 v121, 24, v121
	v_bfe_i32 v53, v122, 0, 8
	v_bfe_i32 v55, v122, 8, 8
	;; [unrolled: 1-line block ×6, first 2 shown]
	v_ashrrev_i32_e32 v101, 24, v125
	v_bfe_u32 v125, v137, 16, 4
	v_bfe_u32 v137, v137, 24, 4
	;; [unrolled: 1-line block ×6, first 2 shown]
	v_add3_u32 v149, v149, v181, v180
	v_and_b32_e32 v181, 15, v201
	v_and_b32_e32 v182, 15, v202
	v_add3_u32 v39, v39, v70, v64
	v_and_b32_e32 v70, 15, v203
	v_add3_u32 v76, v76, v154, v254
	v_and_b32_e32 v254, 15, v204
	v_bfe_u32 v176, v183, 8, 4
	v_add3_u32 v19, v19, v45, v41
	v_bfe_u32 v45, v184, 8, 4
	v_add3_u32 v142, v142, v187, v188
	;; [unrolled: 2-line block ×3, first 2 shown]
	v_bfe_u32 v190, v186, 8, 4
	v_mul_i32_i24_e32 v192, v192, v78
	v_mul_i32_i24_e32 v78, v143, v78
	v_bfe_u32 v143, v183, 16, 4
	v_bfe_u32 v183, v183, 24, 4
	v_mul_i32_i24_e32 v193, v193, v66
	v_mul_i32_i24_e32 v195, v195, v66
	v_mul_i32_i24_e32 v197, v197, v66
	v_mul_i32_i24_e32 v66, v199, v66
	v_bfe_u32 v199, v184, 16, 4
	v_bfe_u32 v184, v184, 24, 4
	v_mul_i32_i24_e32 v194, v194, v71
	v_mul_i32_i24_e32 v196, v196, v71
	;; [unrolled: 6-line block ×4, first 2 shown]
	v_mul_i32_i24_e32 v126, v126, v16
	v_mul_i32_i24_e32 v16, v140, v16
	v_bfe_u32 v140, v201, 8, 4
	v_mul_i32_i24_e32 v215, v215, v17
	v_mul_i32_i24_e32 v217, v217, v17
	v_mul_i32_i24_e32 v219, v219, v17
	v_mul_i32_i24_e32 v17, v221, v17
	v_bfe_u32 v221, v202, 8, 4
	v_mul_i32_i24_e32 v212, v212, v69
	v_mul_i32_i24_e32 v131, v131, v69
	;; [unrolled: 5-line block ×7, first 2 shown]
	v_mul_i32_i24_e32 v175, v175, v33
	v_mul_i32_i24_e32 v33, v163, v33
	v_bfe_u32 v163, v204, 16, 4
	v_bfe_i32 v59, v123, 0, 8
	v_bfe_i32 v60, v123, 8, 8
	;; [unrolled: 1-line block ×3, first 2 shown]
	v_ashrrev_i32_e32 v123, 24, v123
	v_and_b32_e32 v41, 15, v223
	v_and_b32_e32 v187, 15, v113
	;; [unrolled: 1-line block ×3, first 2 shown]
	v_mul_i32_i24_e32 v191, v191, v77
	v_mul_i32_i24_e32 v77, v147, v77
	v_and_b32_e32 v147, 15, v102
	v_mul_i32_i24_e32 v225, v225, v28
	v_mul_i32_i24_e32 v242, v242, v28
	v_mul_i32_i24_e32 v125, v125, v28
	v_mul_i32_i24_e32 v28, v159, v28
	v_bfe_u32 v159, v223, 8, 4
	v_mul_i32_i24_e32 v226, v226, v115
	v_mul_i32_i24_e32 v133, v133, v115
	v_mul_i32_i24_e32 v137, v137, v115
	v_mul_i32_i24_e32 v115, v129, v115
	v_bfe_u32 v129, v223, 16, 4
	v_bfe_u32 v223, v223, 24, 4
	v_mul_i32_i24_e32 v235, v235, v36
	v_mul_i32_i24_e32 v250, v250, v36
	v_mul_i32_i24_e32 v119, v119, v36
	v_mul_i32_i24_e32 v36, v165, v36
	v_bfe_u32 v165, v113, 8, 4
	v_mul_i32_i24_e32 v181, v181, v53
	v_mul_i32_i24_e32 v182, v182, v53
	v_mul_i32_i24_e32 v70, v70, v53
	v_mul_i32_i24_e32 v53, v254, v53
	v_bfe_u32 v254, v113, 16, 4
	v_bfe_u32 v113, v113, 24, 4
	;; [unrolled: 11-line block ×4, first 2 shown]
	v_bfe_u32 v177, v156, 16, 4
	v_bfe_u32 v156, v156, 24, 4
	v_bfe_u32 v178, v157, 16, 4
	v_bfe_u32 v157, v157, 24, 4
	v_bfe_u32 v179, v158, 16, 4
	v_bfe_u32 v158, v158, 24, 4
	v_mul_i32_i24_e32 v223, v223, v123
	v_mul_i32_i24_e32 v113, v113, v123
	;; [unrolled: 1-line block ×4, first 2 shown]
	v_bfe_u32 v123, v150, 16, 4
	v_bfe_u32 v150, v150, 24, 4
	v_bfe_i32 v43, v120, 8, 8
	v_bfe_u32 v180, v166, 8, 4
	v_bfe_u32 v146, v167, 8, 4
	;; [unrolled: 1-line block ×4, first 2 shown]
	v_add3_u32 v118, v151, v118, v155
	v_add3_u32 v21, v21, v62, v40
	v_mul_i32_i24_e32 v177, v177, v111
	v_mul_i32_i24_e32 v178, v178, v111
	;; [unrolled: 1-line block ×8, first 2 shown]
	v_add3_u32 v149, v149, v191, v192
	v_add3_u32 v39, v39, v77, v78
	v_bfe_i32 v44, v120, 16, 8
	v_ashrrev_i32_e32 v120, 24, v120
	v_bfe_u32 v151, v166, 16, 4
	v_bfe_u32 v155, v166, 24, 4
	;; [unrolled: 1-line block ×8, first 2 shown]
	v_mul_i32_i24_e32 v180, v180, v43
	v_mul_i32_i24_e32 v146, v146, v43
	;; [unrolled: 1-line block ×4, first 2 shown]
	v_add3_u32 v76, v76, v177, v156
	v_add3_u32 v77, v118, v178, v157
	;; [unrolled: 1-line block ×8, first 2 shown]
	v_and_b32_e32 v243, 15, v134
	v_bfe_u32 v244, v134, 8, 4
	v_bfe_u32 v245, v134, 16, 4
	;; [unrolled: 1-line block ×3, first 2 shown]
	v_ashrrev_i32_e32 v134, 4, v134
	v_and_b32_e32 v252, 15, v138
	v_bfe_i32 v29, v116, 0, 8
	v_ashrrev_i32_e32 v160, 4, v138
	v_and_b32_e32 v171, 15, v144
	v_ashrrev_i32_e32 v172, 4, v144
	v_mul_i32_i24_e32 v210, v210, v67
	v_mul_i32_i24_e32 v216, v216, v67
	;; [unrolled: 1-line block ×12, first 2 shown]
	v_add3_u32 v66, v76, v181, v180
	v_add3_u32 v71, v77, v182, v146
	;; [unrolled: 1-line block ×8, first 2 shown]
	v_bfe_i32 v31, v116, 8, 8
	v_ashrrev_i32_e32 v122, 24, v122
	v_bfe_u32 v161, v138, 8, 4
	v_bfe_u32 v173, v144, 8, 4
	v_and_b32_e32 v220, 15, v238
	v_mul_i32_i24_e32 v211, v211, v68
	v_mul_i32_i24_e32 v230, v230, v68
	;; [unrolled: 1-line block ×4, first 2 shown]
	v_and_b32_e32 v236, 15, v134
	v_mul_i32_i24_e32 v227, v227, v29
	v_mul_i32_i24_e32 v243, v243, v29
	;; [unrolled: 1-line block ×4, first 2 shown]
	v_and_b32_e32 v252, 15, v160
	v_bfe_u32 v201, v201, 24, 4
	v_bfe_u32 v202, v202, 24, 4
	;; [unrolled: 1-line block ×4, first 2 shown]
	v_and_b32_e32 v150, 15, v172
	v_mul_i32_i24_e32 v176, v176, v46
	v_mul_i32_i24_e32 v45, v45, v46
	;; [unrolled: 1-line block ×8, first 2 shown]
	v_add3_u32 v39, v66, v151, v155
	v_add3_u32 v63, v71, v166, v167
	;; [unrolled: 1-line block ×8, first 2 shown]
	v_bfe_i32 v32, v116, 16, 8
	v_bfe_u32 v162, v138, 16, 4
	v_bfe_u32 v174, v144, 16, 4
	v_mul_i32_i24_e32 v228, v228, v31
	v_mul_i32_i24_e32 v244, v244, v31
	;; [unrolled: 1-line block ×4, first 2 shown]
	v_bfe_u32 v161, v238, 8, 4
	v_bfe_u32 v168, v134, 8, 4
	v_mul_i32_i24_e32 v201, v201, v122
	v_mul_i32_i24_e32 v202, v202, v122
	v_mul_i32_i24_e32 v203, v203, v122
	v_mul_i32_i24_e32 v122, v204, v122
	v_bfe_u32 v204, v160, 8, 4
	v_mul_i32_i24_e32 v220, v220, v112
	v_mul_i32_i24_e32 v236, v236, v112
	;; [unrolled: 1-line block ×4, first 2 shown]
	v_bfe_u32 v150, v172, 8, 4
	v_add3_u32 v17, v39, v41, v176
	v_add3_u32 v39, v63, v187, v45
	;; [unrolled: 1-line block ×8, first 2 shown]
	v_ashrrev_i32_e32 v116, 24, v116
	v_bfe_i32 v34, v117, 8, 8
	v_ashrrev_i32_e32 v117, 24, v117
	v_bfe_u32 v138, v138, 24, 4
	v_bfe_u32 v164, v139, 8, 4
	;; [unrolled: 1-line block ×3, first 2 shown]
	v_ashrrev_i32_e32 v139, 4, v139
	v_bfe_u32 v144, v144, 24, 4
	v_bfe_u32 v79, v145, 8, 4
	;; [unrolled: 1-line block ×3, first 2 shown]
	v_ashrrev_i32_e32 v145, 4, v145
	v_mul_i32_i24_e32 v229, v229, v32
	v_mul_i32_i24_e32 v245, v245, v32
	;; [unrolled: 1-line block ×4, first 2 shown]
	v_bfe_u32 v162, v238, 16, 4
	v_bfe_u32 v238, v238, 24, 4
	;; [unrolled: 1-line block ×4, first 2 shown]
	v_mul_i32_i24_e32 v159, v159, v60
	v_mul_i32_i24_e32 v165, v165, v60
	;; [unrolled: 1-line block ×4, first 2 shown]
	v_bfe_u32 v135, v160, 16, 4
	v_bfe_u32 v160, v160, 24, 4
	v_mul_i32_i24_e32 v161, v161, v110
	v_mul_i32_i24_e32 v168, v168, v110
	;; [unrolled: 1-line block ×4, first 2 shown]
	v_bfe_u32 v150, v172, 16, 4
	v_bfe_u32 v172, v172, 24, 4
	v_add3_u32 v17, v17, v143, v183
	v_add3_u32 v39, v39, v199, v184
	;; [unrolled: 1-line block ×8, first 2 shown]
	v_mul_i32_i24_e32 v232, v232, v116
	v_mul_i32_i24_e32 v246, v246, v116
	v_mul_i32_i24_e32 v144, v144, v116
	v_mul_i32_i24_e32 v116, v138, v116
	v_and_b32_e32 v138, 15, v99
	v_mul_i32_i24_e32 v237, v237, v117
	v_mul_i32_i24_e32 v251, v251, v117
	v_mul_i32_i24_e32 v153, v153, v117
	v_mul_i32_i24_e32 v23, v23, v117
	v_and_b32_e32 v117, 15, v100
	;; [unrolled: 5-line block ×4, first 2 shown]
	v_add3_u32 v16, v17, v220, v140
	v_add3_u32 v17, v39, v236, v221
	v_add3_u32 v21, v21, v112, v141
	v_add3_u32 v19, v19, v252, v55
	v_add3_u32 v29, v40, v214, v222
	v_add3_u32 v39, v41, v240, v132
	v_add3_u32 v40, v43, v253, v136
	v_add3_u32 v4, v4, v5, v114
	v_mul_i32_i24_e32 v234, v234, v34
	v_mul_i32_i24_e32 v249, v249, v34
	;; [unrolled: 1-line block ×4, first 2 shown]
	v_bfe_u32 v164, v99, 8, 4
	v_bfe_u32 v190, v100, 8, 4
	;; [unrolled: 1-line block ×3, first 2 shown]
	v_mul_i32_i24_e32 v138, v138, v106
	v_mul_i32_i24_e32 v117, v117, v106
	;; [unrolled: 1-line block ×4, first 2 shown]
	v_bfe_u32 v172, v145, 8, 4
	v_add3_u32 v5, v16, v37, v201
	v_add3_u32 v16, v17, v128, v202
	v_add3_u32 v17, v21, v152, v203
	v_add3_u32 v19, v19, v57, v122
	v_add3_u32 v21, v29, v233, v224
	v_add3_u32 v29, v39, v247, v241
	v_add3_u32 v37, v40, v175, v124
	v_add3_u32 v4, v4, v33, v24
	v_bfe_u32 v154, v99, 16, 4
	v_bfe_u32 v147, v100, 16, 4
	v_mul_i32_i24_e32 v162, v162, v109
	v_mul_i32_i24_e32 v169, v169, v109
	;; [unrolled: 1-line block ×4, first 2 shown]
	v_bfe_u32 v150, v139, 16, 4
	v_mul_i32_i24_e32 v164, v164, v104
	v_mul_i32_i24_e32 v190, v190, v104
	;; [unrolled: 1-line block ×4, first 2 shown]
	v_bfe_u32 v172, v145, 16, 4
	v_add3_u32 v5, v5, v138, v159
	v_add3_u32 v16, v16, v117, v165
	;; [unrolled: 1-line block ×8, first 2 shown]
	v_mul_i32_i24_e32 v154, v154, v103
	v_mul_i32_i24_e32 v147, v147, v103
	;; [unrolled: 1-line block ×4, first 2 shown]
	ds_load_u8 v172, v12 offset:8
	ds_load_u8 v12, v12 offset:9
	v_cvt_f32_ubyte0_e32 v98, v98
	v_cvt_f32_ubyte0_e32 v97, v97
	;; [unrolled: 1-line block ×3, first 2 shown]
	v_add3_u32 v5, v5, v129, v223
	v_add3_u32 v16, v16, v254, v113
	;; [unrolled: 1-line block ×8, first 2 shown]
	v_bfe_u32 v99, v99, 24, 4
	v_bfe_u32 v100, v100, 24, 4
	;; [unrolled: 1-line block ×4, first 2 shown]
	v_cvt_f32_ubyte0_e32 v96, v96
	s_waitcnt lgkmcnt(3)
	v_fma_mix_f32 v98, v0, v98, 0 op_sel:[1,0,0] op_sel_hi:[1,0,0]
	v_cvt_f32_ubyte0_e32 v94, v94
	v_fma_mix_f32 v97, v0, v97, 0 op_sel:[1,0,0] op_sel_hi:[1,0,0]
	v_cvt_f32_ubyte0_e32 v13, v13
	v_fma_mix_f32 v15, v0, v15, 0 op_sel:[1,0,0] op_sel_hi:[1,0,0]
	v_add3_u32 v5, v5, v161, v162
	v_add3_u32 v16, v16, v168, v169
	;; [unrolled: 1-line block ×8, first 2 shown]
	v_mul_i32_i24_e32 v99, v99, v101
	v_mul_i32_i24_e32 v100, v100, v101
	;; [unrolled: 1-line block ×4, first 2 shown]
	v_lshrrev_b16 v145, 8, v95
	v_and_b32_e32 v95, 0xff, v95
	v_fma_mix_f32 v96, v1, v96, v98 op_sel:[1,0,0] op_sel_hi:[1,0,0]
	v_lshrrev_b16 v98, 8, v93
	v_and_b32_e32 v93, 0xff, v93
	v_fma_mix_f32 v94, v1, v94, v97 op_sel:[1,0,0] op_sel_hi:[1,0,0]
	;; [unrolled: 3-line block ×3, first 2 shown]
	s_waitcnt lgkmcnt(2)
	v_lshrrev_b16 v15, 8, v170
	v_and_b32_e32 v170, 0xff, v170
	v_add3_u32 v5, v5, v238, v164
	v_add3_u32 v16, v16, v134, v190
	;; [unrolled: 1-line block ×8, first 2 shown]
	v_and_b32_e32 v145, 0xffff, v145
	v_and_b32_e32 v98, 0xffff, v98
	;; [unrolled: 1-line block ×4, first 2 shown]
	v_add3_u32 v5, v5, v154, v99
	v_add3_u32 v16, v16, v147, v100
	;; [unrolled: 1-line block ×4, first 2 shown]
	v_mul_lo_u32 v21, v21, v170
	v_mul_lo_u32 v23, v24, v95
	v_mul_lo_u32 v24, v28, v93
	v_mul_lo_u32 v4, v4, v14
	s_waitcnt lgkmcnt(1)
	v_cvt_f32_ubyte0_e32 v172, v172
	v_mul_lo_u32 v5, v5, v15
	v_mul_lo_u32 v14, v16, v145
	;; [unrolled: 1-line block ×4, first 2 shown]
	s_waitcnt lgkmcnt(0)
	v_cvt_f32_ubyte0_e32 v12, v12
	v_fma_mix_f32 v172, v0, v172, 0 op_sel:[1,0,0] op_sel_hi:[1,0,0]
	v_cvt_f32_i32_e32 v17, v21
	v_cvt_f32_i32_e32 v19, v23
	v_cvt_f32_i32_e32 v21, v24
	v_cvt_f32_i32_e32 v4, v4
	v_fma_mix_f32 v12, v1, v12, v172 op_sel:[1,0,0] op_sel_hi:[1,0,0]
	v_cvt_f32_i32_e32 v5, v5
	v_cvt_f32_i32_e32 v14, v14
	;; [unrolled: 1-line block ×4, first 2 shown]
	v_fma_mix_f32 v17, v0, v17, 0 op_sel_hi:[1,0,0]
	v_fma_mix_f32 v19, v0, v19, 0 op_sel_hi:[1,0,0]
	;; [unrolled: 1-line block ×4, first 2 shown]
	v_mul_f32_e32 v96, v96, v9
	v_dual_mul_f32 v94, v94, v10 :: v_dual_mul_f32 v13, v13, v11
	v_mul_f32_e32 v4, v12, v8
	v_fma_mix_f32 v5, v1, v5, v17 op_sel_hi:[1,0,0]
	v_fma_mix_f32 v12, v1, v14, v19 op_sel_hi:[1,0,0]
	;; [unrolled: 1-line block ×4, first 2 shown]
	s_mov_b32 s22, 8
	v_fma_f32 v1, v5, v2, -v4
	v_fma_f32 v4, v12, v3, -v96
	;; [unrolled: 1-line block ×4, first 2 shown]
	s_and_b32 vcc_lo, exec_lo, s20
	s_delay_alu instid0(VALU_DEP_3) | instskip(NEXT) | instid1(VALU_DEP_2)
	v_dual_add_f32 v18, v18, v1 :: v_dual_add_f32 v89, v89, v4
	v_dual_add_f32 v90, v90, v5 :: v_dual_add_f32 v91, v91, v0
	s_mov_b32 s20, 0
	s_cbranch_vccnz .LBB211_13
; %bb.14:                               ;   in Loop: Header=BB211_6 Depth=1
	s_bitset1_b32 s14, 7
	s_delay_alu instid0(SALU_CYCLE_1)
	s_cmp_ge_i32 s14, s11
	s_barrier
	buffer_gl0_inv
	s_cbranch_scc1 .LBB211_4
; %bb.15:                               ;   in Loop: Header=BB211_6 Depth=1
	scratch_load_b32 v0, off, off offset:144 ; 4-byte Folded Reload
	s_waitcnt vmcnt(0)
	v_add_nc_u32_e32 v0, s15, v0
	s_delay_alu instid0(VALU_DEP_1)
	v_cmp_gt_i32_e32 vcc_lo, s5, v0
	s_and_b32 s20, s1, vcc_lo
	s_mov_b32 s14, exec_lo
	s_clause 0x4
	scratch_load_b32 v46, off, off offset:100
	scratch_load_b32 v48, off, off offset:104
	;; [unrolled: 1-line block ×5, first 2 shown]
	s_and_b32 s20, s14, s20
	s_delay_alu instid0(SALU_CYCLE_1)
	s_mov_b32 exec_lo, s20
	s_cbranch_execz .LBB211_17
; %bb.16:                               ;   in Loop: Header=BB211_6 Depth=1
	s_clause 0x1
	scratch_load_b32 v1, off, off offset:16
	scratch_load_b64 v[3:4], off, off offset:132
	s_waitcnt vmcnt(1)
	v_add_nc_u32_e32 v2, v1, v0
	s_waitcnt vmcnt(0)
	s_delay_alu instid0(VALU_DEP_1)
	v_mad_i64_i32 v[0:1], null, v2, 36, v[3:4]
	global_load_b32 v0, v[0:1], off offset:4
	scratch_load_b32 v1, off, off offset:140 ; 4-byte Folded Reload
	s_waitcnt vmcnt(0)
	ds_store_b32 v1, v0
.LBB211_17:                             ;   in Loop: Header=BB211_6 Depth=1
	s_or_b32 exec_lo, exec_lo, s14
	s_and_saveexec_b32 s14, s0
	s_cbranch_execz .LBB211_20
; %bb.18:                               ;   in Loop: Header=BB211_6 Depth=1
	scratch_load_b32 v0, off, off offset:128 ; 4-byte Folded Reload
	s_waitcnt vmcnt(0)
	v_or_b32_e32 v0, s15, v0
	s_delay_alu instid0(VALU_DEP_1) | instskip(NEXT) | instid1(VALU_DEP_1)
	v_or_b32_e32 v1, 4, v0
	v_cmp_gt_i32_e32 vcc_lo, s5, v1
	s_and_b32 s15, s1, vcc_lo
	s_delay_alu instid0(SALU_CYCLE_1)
	s_and_b32 exec_lo, exec_lo, s15
	s_cbranch_execz .LBB211_20
; %bb.19:                               ;   in Loop: Header=BB211_6 Depth=1
	scratch_load_b32 v2, off, off offset:16 ; 4-byte Folded Reload
	v_ashrrev_i32_e32 v1, 31, v0
	s_waitcnt vmcnt(0)
	v_add_co_u32 v2, vcc_lo, v2, v0
	scratch_load_b32 v0, off, off offset:164 ; 4-byte Folded Reload
	s_waitcnt vmcnt(0)
	v_add_co_ci_u32_e32 v3, vcc_lo, v0, v1, vcc_lo
	v_mad_u64_u32 v[0:1], null, v2, 36, s[12:13]
	s_delay_alu instid0(VALU_DEP_1)
	v_mad_i32_i24 v1, v3, 36, v1
	global_load_b32 v0, v[0:1], off
	scratch_load_b32 v1, off, off offset:160 ; 4-byte Folded Reload
	s_waitcnt vmcnt(0)
	ds_store_b32 v1, v0
.LBB211_20:                             ;   in Loop: Header=BB211_6 Depth=1
	s_or_b32 exec_lo, exec_lo, s14
	s_waitcnt vmcnt(0) lgkmcnt(0)
	s_barrier
	buffer_gl0_inv
	s_clause 0x3
	scratch_load_b32 v0, off, off
	scratch_load_b32 v1, off, off offset:4
	scratch_load_b32 v2, off, off offset:8
	;; [unrolled: 1-line block ×3, first 2 shown]
	s_mov_b32 s14, 16
	s_mov_b32 s15, 0
	;; [unrolled: 1-line block ×3, first 2 shown]
	s_waitcnt vmcnt(3)
	ds_load_b32 v0, v0
	s_waitcnt vmcnt(2)
	ds_load_b32 v1, v1 offset:128
	s_waitcnt vmcnt(1)
	ds_load_b32 v2, v2 offset:256
	;; [unrolled: 2-line block ×3, first 2 shown]
	s_clause 0x2
	scratch_load_b32 v93, off, off offset:156
	scratch_load_b32 v94, off, off offset:152
	;; [unrolled: 1-line block ×3, first 2 shown]
	s_waitcnt lgkmcnt(3)
	v_cvt_f32_f16_e32 v95, v0
	v_lshrrev_b32_e32 v0, 16, v0
	s_waitcnt lgkmcnt(2)
	v_cvt_f32_f16_e32 v96, v1
	v_lshrrev_b32_e32 v1, 16, v1
	;; [unrolled: 3-line block ×3, first 2 shown]
	s_waitcnt lgkmcnt(0)
	v_lshrrev_b32_e32 v4, 16, v3
	v_cvt_f32_f16_e32 v98, v3
	v_cvt_f32_f16_e32 v99, v0
	;; [unrolled: 1-line block ×5, first 2 shown]
.LBB211_21:                             ;   Parent Loop BB211_6 Depth=1
                                        ; =>  This Inner Loop Header: Depth=2
	s_waitcnt vmcnt(2)
	ds_load_b128 v[0:3], v93
	ds_load_b128 v[6:9], v93 offset:16
	v_add_nc_u32_e32 v167, s15, v80
	s_lshr_b32 s21, s14, 2
	s_waitcnt vmcnt(0)
	v_add_nc_u32_e32 v14, 0x2108, v103
	s_and_b32 s21, s21, 0x3ffffffc
	v_add_nc_u32_e32 v17, 0x3180, v103
	v_add3_u32 v168, v83, s21, v167
	v_add_nc_u32_e32 v15, 0x2110, v103
	v_add_nc_u32_e32 v29, 0x1098, v103
	;; [unrolled: 1-line block ×3, first 2 shown]
	s_add_i32 s22, s20, 8
	s_add_i32 s20, s20, 16
	;; [unrolled: 1-line block ×4, first 2 shown]
	s_cmp_lt_u32 s20, 24
	s_mov_b32 s20, s22
	s_waitcnt lgkmcnt(1)
	v_bfe_i32 v12, v0, 0, 8
	v_bfe_i32 v10, v0, 8, 8
	v_bfe_i32 v157, v0, 16, 8
	v_ashrrev_i32_e32 v156, 24, v0
	v_bfe_i32 v11, v1, 0, 8
	v_bfe_i32 v152, v1, 8, 8
	v_bfe_i32 v148, v1, 16, 8
	v_ashrrev_i32_e32 v149, 24, v1
	;; [unrolled: 4-line block ×4, first 2 shown]
	s_waitcnt lgkmcnt(0)
	v_bfe_i32 v146, v6, 0, 8
	v_bfe_i32 v128, v6, 8, 8
	v_bfe_i32 v125, v6, 16, 8
	v_ashrrev_i32_e32 v124, 24, v6
	v_bfe_i32 v138, v7, 0, 8
	v_bfe_i32 v120, v7, 8, 8
	v_bfe_i32 v116, v7, 16, 8
	v_ashrrev_i32_e32 v117, 24, v7
	;; [unrolled: 4-line block ×4, first 2 shown]
	ds_load_b128 v[0:3], v93 offset:32
	ds_load_b128 v[6:9], v93 offset:48
	v_add_nc_u32_e32 v93, 64, v93
	s_waitcnt lgkmcnt(1)
	v_bfe_i32 v164, v0, 0, 8
	v_bfe_i32 v160, v0, 8, 8
	v_bfe_i32 v159, v0, 16, 8
	v_ashrrev_i32_e32 v158, 24, v0
	v_bfe_i32 v163, v1, 0, 8
	v_bfe_i32 v153, v1, 8, 8
	v_bfe_i32 v151, v1, 16, 8
	v_ashrrev_i32_e32 v150, 24, v1
	;; [unrolled: 4-line block ×4, first 2 shown]
	s_waitcnt lgkmcnt(0)
	v_bfe_i32 v147, v6, 0, 8
	v_bfe_i32 v129, v6, 8, 8
	v_bfe_i32 v127, v6, 16, 8
	v_ashrrev_i32_e32 v126, 24, v6
	v_bfe_i32 v139, v7, 0, 8
	v_bfe_i32 v121, v7, 8, 8
	v_bfe_i32 v119, v7, 16, 8
	v_ashrrev_i32_e32 v118, 24, v7
	;; [unrolled: 4-line block ×4, first 2 shown]
	ds_load_2addr_b32 v[2:3], v103 offset1:1
	ds_load_2addr_b32 v[0:1], v103 offset0:2 offset1:3
	ds_load_2addr_b32 v[6:7], v103 offset0:4 offset1:5
	ds_load_b64 v[8:9], v94
	ds_load_u16 v165, v168 offset:17416
	v_add_nc_u32_e32 v94, 8, v94
	s_waitcnt lgkmcnt(4)
	v_and_b32_e32 v4, 15, v2
	v_and_b32_e32 v5, 15, v3
	s_waitcnt lgkmcnt(3)
	v_and_b32_e32 v13, 15, v0
	v_ashrrev_i32_e32 v21, 4, v2
	v_ashrrev_i32_e32 v23, 4, v3
	v_mul_i32_i24_e32 v4, v4, v12
	v_ashrrev_i32_e32 v24, 4, v0
	v_mul_i32_i24_e32 v13, v13, v162
	v_and_b32_e32 v43, 15, v1
	s_delay_alu instid0(VALU_DEP_4) | instskip(SKIP_1) | instid1(VALU_DEP_3)
	v_mad_i32_i24 v4, v5, v11, v4
	v_bfe_u32 v5, v2, 8, 4
	v_mul_i32_i24_e32 v43, v43, v154
	s_delay_alu instid0(VALU_DEP_2) | instskip(NEXT) | instid1(VALU_DEP_1)
	v_mul_i32_i24_e32 v5, v5, v10
	v_add3_u32 v4, v4, v13, v5
	v_add_nc_u32_e32 v5, 0x1080, v103
	v_add_nc_u32_e32 v13, 0x2100, v103
	ds_load_2addr_b32 v[170:171], v5 offset1:1
	ds_load_2addr_b32 v[172:173], v13 offset1:1
	v_add3_u32 v13, v82, s21, v167
	ds_load_2addr_b32 v[174:175], v14 offset1:1
	ds_load_2addr_b32 v[14:15], v15 offset1:1
	ds_load_u16 v166, v13 offset:17928
	ds_load_2addr_b32 v[176:177], v17 offset1:1
	v_add3_u32 v17, v81, s21, v167
	ds_load_u16 v169, v17 offset:18440
	s_waitcnt lgkmcnt(6)
	v_and_b32_e32 v5, 15, v170
	s_waitcnt lgkmcnt(5)
	v_and_b32_e32 v16, 15, v172
	v_ashrrev_i32_e32 v37, 4, v171
	v_ashrrev_i32_e32 v32, 4, v172
	v_mul_i32_i24_e32 v5, v5, v12
	s_waitcnt lgkmcnt(1)
	v_and_b32_e32 v19, 15, v176
	v_mul_i32_i24_e32 v16, v16, v12
	v_and_b32_e32 v39, 15, v37
	v_and_b32_e32 v33, 15, v32
	v_ashrrev_i32_e32 v34, 4, v176
	v_mul_i32_i24_e32 v12, v19, v12
	v_and_b32_e32 v19, 15, v171
	s_delay_alu instid0(VALU_DEP_4) | instskip(NEXT) | instid1(VALU_DEP_4)
	v_mul_i32_i24_e32 v33, v33, v164
	v_and_b32_e32 v36, 15, v34
	s_delay_alu instid0(VALU_DEP_3) | instskip(SKIP_1) | instid1(VALU_DEP_3)
	v_mad_i32_i24 v5, v19, v11, v5
	v_and_b32_e32 v19, 15, v173
	v_mul_i32_i24_e32 v36, v36, v164
	s_delay_alu instid0(VALU_DEP_2) | instskip(SKIP_1) | instid1(VALU_DEP_1)
	v_mad_i32_i24 v16, v19, v11, v16
	v_and_b32_e32 v19, 15, v177
	v_mad_i32_i24 v19, v19, v11, v12
	v_bfe_u32 v11, v2, 16, 4
	v_bfe_u32 v12, v2, 24, 4
	v_and_b32_e32 v2, 15, v21
	s_delay_alu instid0(VALU_DEP_3) | instskip(NEXT) | instid1(VALU_DEP_3)
	v_mul_i32_i24_e32 v11, v11, v157
	v_mul_i32_i24_e32 v12, v12, v156
	s_delay_alu instid0(VALU_DEP_3) | instskip(NEXT) | instid1(VALU_DEP_2)
	v_mul_i32_i24_e32 v2, v2, v164
	v_add3_u32 v4, v4, v11, v12
	v_and_b32_e32 v11, 15, v23
	v_and_b32_e32 v12, 15, v24
	s_delay_alu instid0(VALU_DEP_2) | instskip(SKIP_1) | instid1(VALU_DEP_3)
	v_mad_i32_i24 v2, v11, v163, v2
	v_bfe_u32 v11, v21, 8, 4
	v_mul_i32_i24_e32 v12, v12, v161
	s_delay_alu instid0(VALU_DEP_2) | instskip(NEXT) | instid1(VALU_DEP_1)
	v_mul_i32_i24_e32 v11, v11, v160
	v_add3_u32 v28, v2, v12, v11
	v_add_nc_u32_e32 v12, 0x1088, v103
	ds_load_u16 v2, v13 offset:17920
	v_add_nc_u32_e32 v13, 0x1090, v103
	ds_load_2addr_b32 v[178:179], v12 offset1:1
	ds_load_2addr_b32 v[180:181], v13 offset1:1
	ds_load_2addr_b32 v[12:13], v29 offset1:1
	v_bfe_u32 v11, v170, 8, 4
	s_delay_alu instid0(VALU_DEP_1) | instskip(SKIP_2) | instid1(VALU_DEP_1)
	v_mul_i32_i24_e32 v11, v11, v10
	s_waitcnt lgkmcnt(2)
	v_and_b32_e32 v29, 15, v178
	v_mul_i32_i24_e32 v29, v29, v162
	s_delay_alu instid0(VALU_DEP_1) | instskip(SKIP_2) | instid1(VALU_DEP_2)
	v_add3_u32 v5, v5, v29, v11
	v_bfe_u32 v11, v172, 8, 4
	v_and_b32_e32 v29, 15, v174
	v_mul_i32_i24_e32 v11, v11, v10
	s_delay_alu instid0(VALU_DEP_2) | instskip(NEXT) | instid1(VALU_DEP_1)
	v_mul_i32_i24_e32 v29, v29, v162
	v_add3_u32 v16, v16, v29, v11
	v_bfe_u32 v11, v176, 8, 4
	s_delay_alu instid0(VALU_DEP_1)
	v_mul_i32_i24_e32 v29, v11, v10
	v_add_nc_u32_e32 v10, 0x3188, v103
	v_add_nc_u32_e32 v11, 0x3190, v103
	ds_load_2addr_b32 v[182:183], v10 offset1:1
	ds_load_2addr_b32 v[184:185], v11 offset1:1
	ds_load_2addr_b32 v[10:11], v31 offset1:1
	ds_load_u16 v17, v17 offset:18432
	s_waitcnt lgkmcnt(3)
	v_and_b32_e32 v31, 15, v182
	s_delay_alu instid0(VALU_DEP_1) | instskip(NEXT) | instid1(VALU_DEP_1)
	v_mul_i32_i24_e32 v31, v31, v162
	v_add3_u32 v19, v19, v31, v29
	v_ashrrev_i32_e32 v29, 4, v170
	s_delay_alu instid0(VALU_DEP_1) | instskip(NEXT) | instid1(VALU_DEP_1)
	v_and_b32_e32 v31, 15, v29
	v_mul_i32_i24_e32 v31, v31, v164
	s_delay_alu instid0(VALU_DEP_1) | instskip(SKIP_1) | instid1(VALU_DEP_1)
	v_mad_i32_i24 v31, v39, v163, v31
	v_ashrrev_i32_e32 v39, 4, v173
	v_and_b32_e32 v40, 15, v39
	s_delay_alu instid0(VALU_DEP_1) | instskip(SKIP_1) | instid1(VALU_DEP_1)
	v_mad_i32_i24 v33, v40, v163, v33
	v_ashrrev_i32_e32 v40, 4, v177
	v_and_b32_e32 v41, 15, v40
	s_delay_alu instid0(VALU_DEP_1) | instskip(SKIP_1) | instid1(VALU_DEP_1)
	v_mad_i32_i24 v36, v41, v163, v36
	v_bfe_u32 v41, v3, 8, 4
	v_mul_i32_i24_e32 v41, v41, v152
	s_delay_alu instid0(VALU_DEP_1) | instskip(SKIP_2) | instid1(VALU_DEP_2)
	v_add3_u32 v4, v4, v43, v41
	v_bfe_u32 v41, v21, 16, 4
	v_bfe_u32 v21, v21, 24, 4
	v_mul_i32_i24_e32 v41, v41, v159
	s_delay_alu instid0(VALU_DEP_2) | instskip(NEXT) | instid1(VALU_DEP_1)
	v_mul_i32_i24_e32 v21, v21, v158
	v_add3_u32 v21, v28, v41, v21
	v_bfe_u32 v28, v170, 16, 4
	v_bfe_u32 v41, v170, 24, 4
	s_delay_alu instid0(VALU_DEP_2) | instskip(NEXT) | instid1(VALU_DEP_2)
	v_mul_i32_i24_e32 v28, v28, v157
	v_mul_i32_i24_e32 v41, v41, v156
	s_delay_alu instid0(VALU_DEP_1) | instskip(SKIP_2) | instid1(VALU_DEP_2)
	v_add3_u32 v5, v5, v28, v41
	v_ashrrev_i32_e32 v41, 4, v178
	v_bfe_u32 v28, v29, 8, 4
	v_and_b32_e32 v43, 15, v41
	s_delay_alu instid0(VALU_DEP_2) | instskip(NEXT) | instid1(VALU_DEP_2)
	v_mul_i32_i24_e32 v28, v28, v160
	v_mul_i32_i24_e32 v43, v43, v161
	s_delay_alu instid0(VALU_DEP_1) | instskip(SKIP_2) | instid1(VALU_DEP_2)
	v_add3_u32 v28, v31, v43, v28
	v_bfe_u32 v31, v172, 16, 4
	v_bfe_u32 v43, v172, 24, 4
	v_mul_i32_i24_e32 v31, v31, v157
	s_delay_alu instid0(VALU_DEP_2) | instskip(NEXT) | instid1(VALU_DEP_1)
	v_mul_i32_i24_e32 v43, v43, v156
	v_add3_u32 v16, v16, v31, v43
	v_ashrrev_i32_e32 v43, 4, v174
	v_bfe_u32 v31, v32, 8, 4
	s_delay_alu instid0(VALU_DEP_2) | instskip(NEXT) | instid1(VALU_DEP_2)
	v_and_b32_e32 v44, 15, v43
	v_mul_i32_i24_e32 v31, v31, v160
	s_delay_alu instid0(VALU_DEP_2) | instskip(NEXT) | instid1(VALU_DEP_1)
	v_mul_i32_i24_e32 v44, v44, v161
	v_add3_u32 v31, v33, v44, v31
	v_bfe_u32 v33, v176, 16, 4
	v_bfe_u32 v44, v176, 24, 4
	s_delay_alu instid0(VALU_DEP_2) | instskip(NEXT) | instid1(VALU_DEP_2)
	v_mul_i32_i24_e32 v33, v33, v157
	v_mul_i32_i24_e32 v44, v44, v156
	s_delay_alu instid0(VALU_DEP_1) | instskip(SKIP_2) | instid1(VALU_DEP_2)
	v_add3_u32 v19, v19, v33, v44
	v_ashrrev_i32_e32 v44, 4, v182
	v_bfe_u32 v33, v34, 8, 4
	v_and_b32_e32 v45, 15, v44
	s_delay_alu instid0(VALU_DEP_2) | instskip(NEXT) | instid1(VALU_DEP_2)
	v_mul_i32_i24_e32 v33, v33, v160
	v_mul_i32_i24_e32 v45, v45, v161
	s_delay_alu instid0(VALU_DEP_1) | instskip(SKIP_2) | instid1(VALU_DEP_2)
	v_add3_u32 v33, v36, v45, v33
	v_bfe_u32 v36, v3, 16, 4
	v_bfe_u32 v3, v3, 24, 4
	v_mul_i32_i24_e32 v36, v36, v148
	s_delay_alu instid0(VALU_DEP_2) | instskip(NEXT) | instid1(VALU_DEP_1)
	v_mul_i32_i24_e32 v3, v3, v149
	v_add3_u32 v3, v4, v36, v3
	v_ashrrev_i32_e32 v36, 4, v1
	v_bfe_u32 v4, v23, 8, 4
	s_delay_alu instid0(VALU_DEP_2) | instskip(NEXT) | instid1(VALU_DEP_2)
	v_and_b32_e32 v45, 15, v36
	v_mul_i32_i24_e32 v4, v4, v153
	s_delay_alu instid0(VALU_DEP_2) | instskip(NEXT) | instid1(VALU_DEP_1)
	v_mul_i32_i24_e32 v45, v45, v155
	v_add3_u32 v4, v21, v45, v4
	v_bfe_u32 v21, v171, 8, 4
	v_and_b32_e32 v45, 15, v179
	s_delay_alu instid0(VALU_DEP_2) | instskip(NEXT) | instid1(VALU_DEP_2)
	v_mul_i32_i24_e32 v21, v21, v152
	v_mul_i32_i24_e32 v45, v45, v154
	s_delay_alu instid0(VALU_DEP_1) | instskip(SKIP_2) | instid1(VALU_DEP_2)
	v_add3_u32 v5, v5, v45, v21
	v_bfe_u32 v21, v29, 16, 4
	v_bfe_u32 v29, v29, 24, 4
	v_mul_i32_i24_e32 v21, v21, v159
	s_delay_alu instid0(VALU_DEP_2) | instskip(NEXT) | instid1(VALU_DEP_1)
	v_mul_i32_i24_e32 v29, v29, v158
	v_add3_u32 v21, v28, v21, v29
	v_bfe_u32 v28, v173, 8, 4
	v_and_b32_e32 v29, 15, v175
	s_delay_alu instid0(VALU_DEP_2) | instskip(NEXT) | instid1(VALU_DEP_2)
	v_mul_i32_i24_e32 v28, v28, v152
	v_mul_i32_i24_e32 v29, v29, v154
	s_delay_alu instid0(VALU_DEP_1) | instskip(SKIP_3) | instid1(VALU_DEP_3)
	v_add3_u32 v16, v16, v29, v28
	v_bfe_u32 v28, v32, 16, 4
	v_bfe_u32 v29, v32, 24, 4
	v_and_b32_e32 v32, 15, v6
	v_mul_i32_i24_e32 v28, v28, v159
	s_delay_alu instid0(VALU_DEP_3) | instskip(NEXT) | instid1(VALU_DEP_3)
	v_mul_i32_i24_e32 v29, v29, v158
	v_mul_i32_i24_e32 v32, v32, v146
	s_delay_alu instid0(VALU_DEP_2) | instskip(SKIP_2) | instid1(VALU_DEP_2)
	v_add3_u32 v28, v31, v28, v29
	v_bfe_u32 v29, v177, 8, 4
	v_and_b32_e32 v31, 15, v183
	v_mul_i32_i24_e32 v29, v29, v152
	s_delay_alu instid0(VALU_DEP_2) | instskip(NEXT) | instid1(VALU_DEP_1)
	v_mul_i32_i24_e32 v31, v31, v154
	v_add3_u32 v19, v19, v31, v29
	v_bfe_u32 v29, v34, 16, 4
	v_bfe_u32 v31, v34, 24, 4
	s_delay_alu instid0(VALU_DEP_2) | instskip(NEXT) | instid1(VALU_DEP_2)
	v_mul_i32_i24_e32 v29, v29, v159
	v_mul_i32_i24_e32 v31, v31, v158
	s_delay_alu instid0(VALU_DEP_1) | instskip(SKIP_1) | instid1(VALU_DEP_1)
	v_add3_u32 v29, v33, v29, v31
	v_bfe_u32 v31, v0, 8, 4
	v_mul_i32_i24_e32 v31, v31, v144
	s_delay_alu instid0(VALU_DEP_1) | instskip(SKIP_2) | instid1(VALU_DEP_2)
	v_add3_u32 v3, v3, v32, v31
	v_bfe_u32 v31, v23, 16, 4
	v_bfe_u32 v23, v23, 24, 4
	v_mul_i32_i24_e32 v31, v31, v151
	s_delay_alu instid0(VALU_DEP_2) | instskip(NEXT) | instid1(VALU_DEP_1)
	v_mul_i32_i24_e32 v23, v23, v150
	v_add3_u32 v4, v4, v31, v23
	v_bfe_u32 v23, v171, 16, 4
	v_bfe_u32 v31, v171, 24, 4
	s_delay_alu instid0(VALU_DEP_2) | instskip(NEXT) | instid1(VALU_DEP_2)
	v_mul_i32_i24_e32 v23, v23, v148
	v_mul_i32_i24_e32 v31, v31, v149
	s_delay_alu instid0(VALU_DEP_1) | instskip(SKIP_2) | instid1(VALU_DEP_2)
	v_add3_u32 v5, v5, v23, v31
	v_ashrrev_i32_e32 v31, 4, v179
	v_bfe_u32 v23, v37, 8, 4
	v_and_b32_e32 v32, 15, v31
	s_delay_alu instid0(VALU_DEP_2) | instskip(NEXT) | instid1(VALU_DEP_2)
	v_mul_i32_i24_e32 v23, v23, v153
	v_mul_i32_i24_e32 v32, v32, v155
	s_delay_alu instid0(VALU_DEP_1) | instskip(SKIP_2) | instid1(VALU_DEP_2)
	v_add3_u32 v21, v21, v32, v23
	v_bfe_u32 v23, v173, 16, 4
	v_bfe_u32 v32, v173, 24, 4
	v_mul_i32_i24_e32 v23, v23, v148
	s_delay_alu instid0(VALU_DEP_2) | instskip(NEXT) | instid1(VALU_DEP_1)
	v_mul_i32_i24_e32 v32, v32, v149
	v_add3_u32 v16, v16, v23, v32
	v_ashrrev_i32_e32 v32, 4, v175
	v_bfe_u32 v23, v39, 8, 4
	s_delay_alu instid0(VALU_DEP_2) | instskip(NEXT) | instid1(VALU_DEP_2)
	v_and_b32_e32 v33, 15, v32
	v_mul_i32_i24_e32 v23, v23, v153
	s_delay_alu instid0(VALU_DEP_2) | instskip(NEXT) | instid1(VALU_DEP_1)
	v_mul_i32_i24_e32 v33, v33, v155
	v_add3_u32 v23, v28, v33, v23
	v_bfe_u32 v28, v177, 16, 4
	v_bfe_u32 v33, v177, 24, 4
	s_delay_alu instid0(VALU_DEP_2) | instskip(NEXT) | instid1(VALU_DEP_2)
	v_mul_i32_i24_e32 v28, v28, v148
	v_mul_i32_i24_e32 v33, v33, v149
	s_delay_alu instid0(VALU_DEP_1) | instskip(SKIP_2) | instid1(VALU_DEP_2)
	v_add3_u32 v19, v19, v28, v33
	v_ashrrev_i32_e32 v33, 4, v183
	v_bfe_u32 v28, v40, 8, 4
	v_and_b32_e32 v34, 15, v33
	s_delay_alu instid0(VALU_DEP_2) | instskip(NEXT) | instid1(VALU_DEP_2)
	v_mul_i32_i24_e32 v28, v28, v153
	v_mul_i32_i24_e32 v34, v34, v155
	s_delay_alu instid0(VALU_DEP_1) | instskip(SKIP_2) | instid1(VALU_DEP_2)
	v_add3_u32 v28, v29, v34, v28
	v_bfe_u32 v29, v0, 16, 4
	v_bfe_u32 v0, v0, 24, 4
	v_mul_i32_i24_e32 v29, v29, v141
	s_delay_alu instid0(VALU_DEP_2) | instskip(NEXT) | instid1(VALU_DEP_1)
	v_mul_i32_i24_e32 v0, v0, v140
	v_add3_u32 v0, v3, v29, v0
	v_ashrrev_i32_e32 v29, 4, v6
	v_bfe_u32 v3, v24, 8, 4
	s_delay_alu instid0(VALU_DEP_2) | instskip(NEXT) | instid1(VALU_DEP_2)
	v_and_b32_e32 v34, 15, v29
	v_mul_i32_i24_e32 v3, v3, v145
	s_delay_alu instid0(VALU_DEP_2) | instskip(NEXT) | instid1(VALU_DEP_1)
	v_mul_i32_i24_e32 v34, v34, v147
	v_add3_u32 v3, v4, v34, v3
	v_bfe_u32 v4, v178, 8, 4
	v_and_b32_e32 v34, 15, v180
	s_delay_alu instid0(VALU_DEP_2) | instskip(NEXT) | instid1(VALU_DEP_2)
	v_mul_i32_i24_e32 v4, v4, v144
	v_mul_i32_i24_e32 v34, v34, v146
	s_delay_alu instid0(VALU_DEP_1) | instskip(SKIP_2) | instid1(VALU_DEP_2)
	v_add3_u32 v4, v5, v34, v4
	v_bfe_u32 v5, v37, 16, 4
	v_bfe_u32 v34, v37, 24, 4
	v_mul_i32_i24_e32 v5, v5, v151
	s_delay_alu instid0(VALU_DEP_2) | instskip(NEXT) | instid1(VALU_DEP_1)
	v_mul_i32_i24_e32 v34, v34, v150
	v_add3_u32 v5, v21, v5, v34
	v_bfe_u32 v21, v174, 8, 4
	v_and_b32_e32 v34, 15, v14
	s_delay_alu instid0(VALU_DEP_2) | instskip(NEXT) | instid1(VALU_DEP_2)
	v_mul_i32_i24_e32 v21, v21, v144
	v_mul_i32_i24_e32 v34, v34, v146
	s_delay_alu instid0(VALU_DEP_1) | instskip(SKIP_2) | instid1(VALU_DEP_2)
	v_add3_u32 v16, v16, v34, v21
	v_bfe_u32 v21, v39, 16, 4
	v_bfe_u32 v34, v39, 24, 4
	v_mul_i32_i24_e32 v21, v21, v151
	s_delay_alu instid0(VALU_DEP_2) | instskip(NEXT) | instid1(VALU_DEP_1)
	v_mul_i32_i24_e32 v34, v34, v150
	v_add3_u32 v21, v23, v21, v34
	v_bfe_u32 v23, v182, 8, 4
	s_waitcnt lgkmcnt(2)
	v_and_b32_e32 v34, 15, v184
	s_delay_alu instid0(VALU_DEP_2) | instskip(NEXT) | instid1(VALU_DEP_2)
	v_mul_i32_i24_e32 v23, v23, v144
	v_mul_i32_i24_e32 v34, v34, v146
	s_delay_alu instid0(VALU_DEP_1) | instskip(SKIP_2) | instid1(VALU_DEP_2)
	v_add3_u32 v19, v19, v34, v23
	v_bfe_u32 v23, v40, 16, 4
	v_bfe_u32 v34, v40, 24, 4
	v_mul_i32_i24_e32 v23, v23, v151
	s_delay_alu instid0(VALU_DEP_2) | instskip(NEXT) | instid1(VALU_DEP_1)
	v_mul_i32_i24_e32 v34, v34, v150
	v_add3_u32 v23, v28, v23, v34
	v_bfe_u32 v28, v1, 8, 4
	v_and_b32_e32 v34, 15, v7
	s_delay_alu instid0(VALU_DEP_2) | instskip(NEXT) | instid1(VALU_DEP_2)
	v_mul_i32_i24_e32 v28, v28, v136
	v_mul_i32_i24_e32 v34, v34, v138
	s_delay_alu instid0(VALU_DEP_1) | instskip(SKIP_2) | instid1(VALU_DEP_2)
	v_add3_u32 v0, v0, v34, v28
	v_bfe_u32 v28, v24, 16, 4
	v_bfe_u32 v24, v24, 24, 4
	v_mul_i32_i24_e32 v28, v28, v143
	s_delay_alu instid0(VALU_DEP_2) | instskip(NEXT) | instid1(VALU_DEP_1)
	v_mul_i32_i24_e32 v24, v24, v142
	v_add3_u32 v3, v3, v28, v24
	v_bfe_u32 v24, v178, 16, 4
	v_bfe_u32 v28, v178, 24, 4
	s_delay_alu instid0(VALU_DEP_2) | instskip(NEXT) | instid1(VALU_DEP_2)
	v_mul_i32_i24_e32 v24, v24, v141
	v_mul_i32_i24_e32 v28, v28, v140
	s_delay_alu instid0(VALU_DEP_1) | instskip(SKIP_2) | instid1(VALU_DEP_2)
	v_add3_u32 v4, v4, v24, v28
	v_ashrrev_i32_e32 v28, 4, v180
	v_bfe_u32 v24, v41, 8, 4
	v_and_b32_e32 v34, 15, v28
	s_delay_alu instid0(VALU_DEP_2) | instskip(NEXT) | instid1(VALU_DEP_2)
	v_mul_i32_i24_e32 v24, v24, v145
	v_mul_i32_i24_e32 v34, v34, v147
	s_delay_alu instid0(VALU_DEP_1) | instskip(SKIP_2) | instid1(VALU_DEP_2)
	v_add3_u32 v5, v5, v34, v24
	v_bfe_u32 v24, v174, 16, 4
	v_bfe_u32 v34, v174, 24, 4
	v_mul_i32_i24_e32 v24, v24, v141
	s_delay_alu instid0(VALU_DEP_2) | instskip(NEXT) | instid1(VALU_DEP_1)
	v_mul_i32_i24_e32 v34, v34, v140
	v_add3_u32 v16, v16, v24, v34
	v_ashrrev_i32_e32 v34, 4, v14
	v_bfe_u32 v24, v43, 8, 4
	s_delay_alu instid0(VALU_DEP_2) | instskip(NEXT) | instid1(VALU_DEP_2)
	v_and_b32_e32 v37, 15, v34
	v_mul_i32_i24_e32 v24, v24, v145
	s_delay_alu instid0(VALU_DEP_2) | instskip(NEXT) | instid1(VALU_DEP_1)
	v_mul_i32_i24_e32 v37, v37, v147
	v_add3_u32 v21, v21, v37, v24
	v_bfe_u32 v24, v182, 16, 4
	v_bfe_u32 v37, v182, 24, 4
	s_delay_alu instid0(VALU_DEP_2) | instskip(NEXT) | instid1(VALU_DEP_2)
	v_mul_i32_i24_e32 v24, v24, v141
	v_mul_i32_i24_e32 v37, v37, v140
	s_delay_alu instid0(VALU_DEP_1) | instskip(SKIP_2) | instid1(VALU_DEP_2)
	v_add3_u32 v19, v19, v24, v37
	v_ashrrev_i32_e32 v37, 4, v184
	v_bfe_u32 v24, v44, 8, 4
	v_and_b32_e32 v39, 15, v37
	s_delay_alu instid0(VALU_DEP_2) | instskip(NEXT) | instid1(VALU_DEP_2)
	v_mul_i32_i24_e32 v24, v24, v145
	v_mul_i32_i24_e32 v39, v39, v147
	s_delay_alu instid0(VALU_DEP_1) | instskip(SKIP_3) | instid1(VALU_DEP_3)
	v_add3_u32 v23, v23, v39, v24
	v_bfe_u32 v24, v1, 16, 4
	v_bfe_u32 v1, v1, 24, 4
	v_ashrrev_i32_e32 v39, 4, v7
	v_mul_i32_i24_e32 v24, v24, v134
	s_delay_alu instid0(VALU_DEP_3) | instskip(NEXT) | instid1(VALU_DEP_1)
	v_mul_i32_i24_e32 v1, v1, v135
	v_add3_u32 v24, v0, v24, v1
	v_bfe_u32 v0, v36, 8, 4
	v_and_b32_e32 v1, 15, v39
	s_delay_alu instid0(VALU_DEP_2) | instskip(NEXT) | instid1(VALU_DEP_2)
	v_mul_i32_i24_e32 v0, v0, v137
	v_mul_i32_i24_e32 v1, v1, v139
	s_delay_alu instid0(VALU_DEP_1) | instskip(SKIP_2) | instid1(VALU_DEP_2)
	v_add3_u32 v3, v3, v1, v0
	v_bfe_u32 v0, v179, 8, 4
	v_and_b32_e32 v1, 15, v181
	v_mul_i32_i24_e32 v0, v0, v136
	s_delay_alu instid0(VALU_DEP_2) | instskip(NEXT) | instid1(VALU_DEP_1)
	v_mul_i32_i24_e32 v1, v1, v138
	v_add3_u32 v4, v4, v1, v0
	v_bfe_u32 v0, v41, 16, 4
	v_bfe_u32 v1, v41, 24, 4
	s_delay_alu instid0(VALU_DEP_2) | instskip(NEXT) | instid1(VALU_DEP_2)
	v_mul_i32_i24_e32 v0, v0, v143
	v_mul_i32_i24_e32 v1, v1, v142
	s_delay_alu instid0(VALU_DEP_1) | instskip(SKIP_2) | instid1(VALU_DEP_2)
	v_add3_u32 v5, v5, v0, v1
	v_bfe_u32 v0, v175, 8, 4
	v_and_b32_e32 v1, 15, v15
	v_mul_i32_i24_e32 v0, v0, v136
	s_delay_alu instid0(VALU_DEP_2) | instskip(NEXT) | instid1(VALU_DEP_1)
	v_mul_i32_i24_e32 v1, v1, v138
	v_add3_u32 v16, v16, v1, v0
	v_bfe_u32 v0, v43, 16, 4
	v_bfe_u32 v1, v43, 24, 4
	;; [unrolled: 13-line block ×3, first 2 shown]
	s_delay_alu instid0(VALU_DEP_2) | instskip(NEXT) | instid1(VALU_DEP_2)
	v_mul_i32_i24_e32 v0, v0, v143
	v_mul_i32_i24_e32 v1, v1, v142
	s_delay_alu instid0(VALU_DEP_1) | instskip(SKIP_1) | instid1(VALU_DEP_1)
	v_add3_u32 v23, v23, v0, v1
	v_bfe_u32 v0, v6, 8, 4
	v_mul_i32_i24_e32 v40, v0, v128
	ds_load_2addr_b32 v[0:1], v103 offset0:6 offset1:7
	s_waitcnt lgkmcnt(0)
	v_and_b32_e32 v41, 15, v0
	s_delay_alu instid0(VALU_DEP_1) | instskip(NEXT) | instid1(VALU_DEP_1)
	v_mul_i32_i24_e32 v41, v41, v130
	v_add3_u32 v24, v24, v41, v40
	v_bfe_u32 v40, v36, 16, 4
	v_bfe_u32 v36, v36, 24, 4
	s_delay_alu instid0(VALU_DEP_2) | instskip(NEXT) | instid1(VALU_DEP_2)
	v_mul_i32_i24_e32 v40, v40, v133
	v_mul_i32_i24_e32 v36, v36, v132
	s_delay_alu instid0(VALU_DEP_1) | instskip(SKIP_2) | instid1(VALU_DEP_2)
	v_add3_u32 v3, v3, v40, v36
	v_bfe_u32 v36, v179, 16, 4
	v_bfe_u32 v40, v179, 24, 4
	v_mul_i32_i24_e32 v36, v36, v134
	s_delay_alu instid0(VALU_DEP_2) | instskip(NEXT) | instid1(VALU_DEP_1)
	v_mul_i32_i24_e32 v40, v40, v135
	v_add3_u32 v4, v4, v36, v40
	v_ashrrev_i32_e32 v40, 4, v181
	v_bfe_u32 v36, v31, 8, 4
	s_delay_alu instid0(VALU_DEP_2) | instskip(NEXT) | instid1(VALU_DEP_2)
	v_and_b32_e32 v41, 15, v40
	v_mul_i32_i24_e32 v36, v36, v137
	s_delay_alu instid0(VALU_DEP_2) | instskip(NEXT) | instid1(VALU_DEP_1)
	v_mul_i32_i24_e32 v41, v41, v139
	v_add3_u32 v5, v5, v41, v36
	v_bfe_u32 v36, v175, 16, 4
	v_bfe_u32 v41, v175, 24, 4
	s_delay_alu instid0(VALU_DEP_2) | instskip(NEXT) | instid1(VALU_DEP_2)
	v_mul_i32_i24_e32 v36, v36, v134
	v_mul_i32_i24_e32 v41, v41, v135
	s_delay_alu instid0(VALU_DEP_1) | instskip(SKIP_2) | instid1(VALU_DEP_2)
	v_add3_u32 v16, v16, v36, v41
	v_ashrrev_i32_e32 v41, 4, v15
	v_bfe_u32 v36, v32, 8, 4
	v_and_b32_e32 v43, 15, v41
	s_delay_alu instid0(VALU_DEP_2) | instskip(NEXT) | instid1(VALU_DEP_2)
	v_mul_i32_i24_e32 v36, v36, v137
	v_mul_i32_i24_e32 v43, v43, v139
	s_delay_alu instid0(VALU_DEP_1) | instskip(SKIP_2) | instid1(VALU_DEP_2)
	v_add3_u32 v21, v21, v43, v36
	v_bfe_u32 v36, v183, 16, 4
	v_bfe_u32 v43, v183, 24, 4
	v_mul_i32_i24_e32 v36, v36, v134
	s_delay_alu instid0(VALU_DEP_2) | instskip(NEXT) | instid1(VALU_DEP_1)
	v_mul_i32_i24_e32 v43, v43, v135
	v_add3_u32 v19, v19, v36, v43
	v_ashrrev_i32_e32 v43, 4, v185
	v_bfe_u32 v36, v33, 8, 4
	s_delay_alu instid0(VALU_DEP_2) | instskip(NEXT) | instid1(VALU_DEP_2)
	v_and_b32_e32 v44, 15, v43
	v_mul_i32_i24_e32 v36, v36, v137
	s_delay_alu instid0(VALU_DEP_2) | instskip(NEXT) | instid1(VALU_DEP_1)
	v_mul_i32_i24_e32 v44, v44, v139
	v_add3_u32 v23, v23, v44, v36
	v_bfe_u32 v36, v6, 16, 4
	v_bfe_u32 v6, v6, 24, 4
	s_delay_alu instid0(VALU_DEP_2) | instskip(NEXT) | instid1(VALU_DEP_2)
	v_mul_i32_i24_e32 v36, v36, v125
	v_mul_i32_i24_e32 v6, v6, v124
	s_delay_alu instid0(VALU_DEP_1) | instskip(SKIP_2) | instid1(VALU_DEP_2)
	v_add3_u32 v6, v24, v36, v6
	v_ashrrev_i32_e32 v36, 4, v0
	v_bfe_u32 v24, v29, 8, 4
	v_and_b32_e32 v44, 15, v36
	s_delay_alu instid0(VALU_DEP_2) | instskip(NEXT) | instid1(VALU_DEP_2)
	v_mul_i32_i24_e32 v24, v24, v129
	v_mul_i32_i24_e32 v44, v44, v131
	s_delay_alu instid0(VALU_DEP_1) | instskip(SKIP_2) | instid1(VALU_DEP_2)
	v_add3_u32 v3, v3, v44, v24
	v_bfe_u32 v24, v180, 8, 4
	v_and_b32_e32 v44, 15, v12
	v_mul_i32_i24_e32 v24, v24, v128
	s_delay_alu instid0(VALU_DEP_2) | instskip(NEXT) | instid1(VALU_DEP_1)
	v_mul_i32_i24_e32 v44, v44, v130
	v_add3_u32 v4, v4, v44, v24
	v_bfe_u32 v24, v31, 16, 4
	v_bfe_u32 v31, v31, 24, 4
	s_delay_alu instid0(VALU_DEP_2) | instskip(NEXT) | instid1(VALU_DEP_2)
	v_mul_i32_i24_e32 v24, v24, v133
	v_mul_i32_i24_e32 v31, v31, v132
	s_delay_alu instid0(VALU_DEP_1)
	v_add3_u32 v5, v5, v24, v31
	v_add_nc_u32_e32 v31, 0x2118, v103
	v_bfe_u32 v24, v14, 8, 4
	v_add_nc_u32_e32 v103, 32, v103
	ds_load_2addr_b32 v[134:135], v31 offset1:1
	v_mul_i32_i24_e32 v24, v24, v128
	s_waitcnt lgkmcnt(0)
	v_and_b32_e32 v31, 15, v134
	s_delay_alu instid0(VALU_DEP_1) | instskip(NEXT) | instid1(VALU_DEP_1)
	v_mul_i32_i24_e32 v31, v31, v130
	v_add3_u32 v16, v16, v31, v24
	v_bfe_u32 v24, v32, 16, 4
	v_bfe_u32 v31, v32, 24, 4
	s_delay_alu instid0(VALU_DEP_2) | instskip(NEXT) | instid1(VALU_DEP_2)
	v_mul_i32_i24_e32 v24, v24, v133
	v_mul_i32_i24_e32 v31, v31, v132
	s_delay_alu instid0(VALU_DEP_1) | instskip(SKIP_2) | instid1(VALU_DEP_2)
	v_add3_u32 v21, v21, v24, v31
	v_bfe_u32 v24, v184, 8, 4
	v_and_b32_e32 v31, 15, v10
	v_mul_i32_i24_e32 v24, v24, v128
	s_delay_alu instid0(VALU_DEP_2) | instskip(NEXT) | instid1(VALU_DEP_1)
	v_mul_i32_i24_e32 v31, v31, v130
	v_add3_u32 v19, v19, v31, v24
	v_bfe_u32 v24, v33, 16, 4
	v_bfe_u32 v31, v33, 24, 4
	s_delay_alu instid0(VALU_DEP_2) | instskip(NEXT) | instid1(VALU_DEP_2)
	v_mul_i32_i24_e32 v24, v24, v133
	v_mul_i32_i24_e32 v31, v31, v132
	s_delay_alu instid0(VALU_DEP_1) | instskip(SKIP_2) | instid1(VALU_DEP_2)
	v_add3_u32 v23, v23, v24, v31
	v_bfe_u32 v24, v7, 8, 4
	v_and_b32_e32 v31, 15, v1
	v_mul_i32_i24_e32 v24, v24, v120
	s_delay_alu instid0(VALU_DEP_2) | instskip(NEXT) | instid1(VALU_DEP_1)
	v_mul_i32_i24_e32 v31, v31, v122
	v_add3_u32 v6, v6, v31, v24
	v_bfe_u32 v24, v29, 16, 4
	v_bfe_u32 v29, v29, 24, 4
	s_delay_alu instid0(VALU_DEP_2) | instskip(NEXT) | instid1(VALU_DEP_2)
	v_mul_i32_i24_e32 v24, v24, v127
	v_mul_i32_i24_e32 v29, v29, v126
	s_delay_alu instid0(VALU_DEP_1) | instskip(SKIP_2) | instid1(VALU_DEP_2)
	v_add3_u32 v3, v3, v24, v29
	v_bfe_u32 v24, v180, 16, 4
	v_bfe_u32 v29, v180, 24, 4
	v_mul_i32_i24_e32 v24, v24, v125
	s_delay_alu instid0(VALU_DEP_2) | instskip(NEXT) | instid1(VALU_DEP_1)
	v_mul_i32_i24_e32 v29, v29, v124
	v_add3_u32 v4, v4, v24, v29
	v_ashrrev_i32_e32 v29, 4, v12
	v_bfe_u32 v24, v28, 8, 4
	s_delay_alu instid0(VALU_DEP_2) | instskip(NEXT) | instid1(VALU_DEP_2)
	v_and_b32_e32 v31, 15, v29
	v_mul_i32_i24_e32 v24, v24, v129
	s_delay_alu instid0(VALU_DEP_2) | instskip(NEXT) | instid1(VALU_DEP_1)
	v_mul_i32_i24_e32 v31, v31, v131
	v_add3_u32 v5, v5, v31, v24
	v_bfe_u32 v24, v14, 16, 4
	v_bfe_u32 v14, v14, 24, 4
	s_delay_alu instid0(VALU_DEP_2) | instskip(NEXT) | instid1(VALU_DEP_2)
	v_mul_i32_i24_e32 v24, v24, v125
	v_mul_i32_i24_e32 v14, v14, v124
	s_delay_alu instid0(VALU_DEP_1) | instskip(SKIP_2) | instid1(VALU_DEP_2)
	v_add3_u32 v14, v16, v24, v14
	v_ashrrev_i32_e32 v24, 4, v134
	v_bfe_u32 v16, v34, 8, 4
	v_and_b32_e32 v31, 15, v24
	s_delay_alu instid0(VALU_DEP_2) | instskip(NEXT) | instid1(VALU_DEP_2)
	v_mul_i32_i24_e32 v16, v16, v129
	v_mul_i32_i24_e32 v31, v31, v131
	s_delay_alu instid0(VALU_DEP_1) | instskip(SKIP_2) | instid1(VALU_DEP_2)
	v_add3_u32 v16, v21, v31, v16
	v_bfe_u32 v21, v184, 16, 4
	v_bfe_u32 v31, v184, 24, 4
	v_mul_i32_i24_e32 v21, v21, v125
	s_delay_alu instid0(VALU_DEP_2) | instskip(NEXT) | instid1(VALU_DEP_1)
	v_mul_i32_i24_e32 v31, v31, v124
	v_add3_u32 v19, v19, v21, v31
	v_ashrrev_i32_e32 v31, 4, v10
	v_bfe_u32 v21, v37, 8, 4
	s_delay_alu instid0(VALU_DEP_2) | instskip(NEXT) | instid1(VALU_DEP_2)
	v_and_b32_e32 v32, 15, v31
	v_mul_i32_i24_e32 v21, v21, v129
	s_delay_alu instid0(VALU_DEP_2) | instskip(NEXT) | instid1(VALU_DEP_1)
	v_mul_i32_i24_e32 v32, v32, v131
	v_add3_u32 v21, v23, v32, v21
	v_bfe_u32 v23, v7, 16, 4
	v_bfe_u32 v7, v7, 24, 4
	s_delay_alu instid0(VALU_DEP_2) | instskip(NEXT) | instid1(VALU_DEP_2)
	v_mul_i32_i24_e32 v23, v23, v116
	v_mul_i32_i24_e32 v7, v7, v117
	s_delay_alu instid0(VALU_DEP_1) | instskip(SKIP_2) | instid1(VALU_DEP_2)
	v_add3_u32 v6, v6, v23, v7
	v_ashrrev_i32_e32 v23, 4, v1
	v_bfe_u32 v7, v39, 8, 4
	v_and_b32_e32 v32, 15, v23
	s_delay_alu instid0(VALU_DEP_2) | instskip(NEXT) | instid1(VALU_DEP_2)
	v_mul_i32_i24_e32 v7, v7, v121
	v_mul_i32_i24_e32 v32, v32, v123
	s_delay_alu instid0(VALU_DEP_1) | instskip(SKIP_2) | instid1(VALU_DEP_2)
	v_add3_u32 v3, v3, v32, v7
	v_bfe_u32 v7, v181, 8, 4
	v_and_b32_e32 v32, 15, v13
	v_mul_i32_i24_e32 v7, v7, v120
	s_delay_alu instid0(VALU_DEP_2) | instskip(NEXT) | instid1(VALU_DEP_1)
	v_mul_i32_i24_e32 v32, v32, v122
	v_add3_u32 v4, v4, v32, v7
	v_bfe_u32 v7, v28, 16, 4
	v_bfe_u32 v28, v28, 24, 4
	s_delay_alu instid0(VALU_DEP_2) | instskip(NEXT) | instid1(VALU_DEP_2)
	v_mul_i32_i24_e32 v7, v7, v127
	v_mul_i32_i24_e32 v28, v28, v126
	s_delay_alu instid0(VALU_DEP_1) | instskip(SKIP_2) | instid1(VALU_DEP_2)
	v_add3_u32 v5, v5, v7, v28
	v_bfe_u32 v7, v15, 8, 4
	v_and_b32_e32 v28, 15, v135
	v_mul_i32_i24_e32 v7, v7, v120
	s_delay_alu instid0(VALU_DEP_2) | instskip(NEXT) | instid1(VALU_DEP_1)
	v_mul_i32_i24_e32 v28, v28, v122
	v_add3_u32 v7, v14, v28, v7
	v_bfe_u32 v14, v34, 16, 4
	v_bfe_u32 v28, v34, 24, 4
	;; [unrolled: 13-line block ×3, first 2 shown]
	s_delay_alu instid0(VALU_DEP_2) | instskip(NEXT) | instid1(VALU_DEP_2)
	v_mul_i32_i24_e32 v19, v19, v127
	v_mul_i32_i24_e32 v28, v28, v126
	s_delay_alu instid0(VALU_DEP_1) | instskip(SKIP_3) | instid1(VALU_DEP_3)
	v_add3_u32 v19, v21, v19, v28
	v_bfe_u32 v21, v0, 8, 4
	v_bfe_u32 v28, v0, 16, 4
	;; [unrolled: 1-line block ×3, first 2 shown]
	v_mul_i32_i24_e32 v21, v21, v113
	s_delay_alu instid0(VALU_DEP_3) | instskip(NEXT) | instid1(VALU_DEP_3)
	v_mul_i32_i24_e32 v28, v28, v112
	v_mul_i32_i24_e32 v0, v0, v108
	s_delay_alu instid0(VALU_DEP_2) | instskip(SKIP_2) | instid1(VALU_DEP_2)
	v_add3_u32 v6, v6, v21, v28
	v_bfe_u32 v21, v39, 16, 4
	v_bfe_u32 v28, v39, 24, 4
	v_mul_i32_i24_e32 v21, v21, v119
	s_delay_alu instid0(VALU_DEP_2) | instskip(NEXT) | instid1(VALU_DEP_1)
	v_mul_i32_i24_e32 v28, v28, v118
	v_add3_u32 v3, v3, v21, v28
	v_bfe_u32 v21, v181, 16, 4
	v_bfe_u32 v28, v181, 24, 4
	s_delay_alu instid0(VALU_DEP_2) | instskip(NEXT) | instid1(VALU_DEP_2)
	v_mul_i32_i24_e32 v21, v21, v116
	v_mul_i32_i24_e32 v28, v28, v117
	s_delay_alu instid0(VALU_DEP_1) | instskip(SKIP_2) | instid1(VALU_DEP_2)
	v_add3_u32 v4, v4, v21, v28
	v_ashrrev_i32_e32 v28, 4, v13
	v_bfe_u32 v21, v40, 8, 4
	v_and_b32_e32 v32, 15, v28
	s_delay_alu instid0(VALU_DEP_2) | instskip(NEXT) | instid1(VALU_DEP_2)
	v_mul_i32_i24_e32 v21, v21, v121
	v_mul_i32_i24_e32 v32, v32, v123
	s_delay_alu instid0(VALU_DEP_1) | instskip(SKIP_2) | instid1(VALU_DEP_2)
	v_add3_u32 v5, v5, v32, v21
	v_bfe_u32 v21, v15, 16, 4
	v_bfe_u32 v15, v15, 24, 4
	v_mul_i32_i24_e32 v21, v21, v116
	s_delay_alu instid0(VALU_DEP_2) | instskip(NEXT) | instid1(VALU_DEP_1)
	v_mul_i32_i24_e32 v15, v15, v117
	v_add3_u32 v7, v7, v21, v15
	v_ashrrev_i32_e32 v21, 4, v135
	v_bfe_u32 v15, v41, 8, 4
	s_delay_alu instid0(VALU_DEP_2) | instskip(NEXT) | instid1(VALU_DEP_2)
	v_and_b32_e32 v32, 15, v21
	v_mul_i32_i24_e32 v15, v15, v121
	s_delay_alu instid0(VALU_DEP_2) | instskip(NEXT) | instid1(VALU_DEP_1)
	v_mul_i32_i24_e32 v32, v32, v123
	v_add3_u32 v14, v14, v32, v15
	v_bfe_u32 v15, v185, 16, 4
	v_bfe_u32 v32, v185, 24, 4
	s_delay_alu instid0(VALU_DEP_2) | instskip(NEXT) | instid1(VALU_DEP_2)
	v_mul_i32_i24_e32 v15, v15, v116
	v_mul_i32_i24_e32 v32, v32, v117
	s_delay_alu instid0(VALU_DEP_1) | instskip(SKIP_2) | instid1(VALU_DEP_2)
	v_add3_u32 v15, v16, v15, v32
	v_ashrrev_i32_e32 v32, 4, v11
	v_bfe_u32 v16, v43, 8, 4
	v_and_b32_e32 v33, 15, v32
	s_delay_alu instid0(VALU_DEP_2) | instskip(NEXT) | instid1(VALU_DEP_2)
	v_mul_i32_i24_e32 v16, v16, v121
	v_mul_i32_i24_e32 v33, v33, v123
	s_delay_alu instid0(VALU_DEP_1) | instskip(SKIP_1) | instid1(VALU_DEP_1)
	v_add3_u32 v16, v19, v33, v16
	v_bfe_u32 v19, v1, 8, 4
	v_mul_i32_i24_e32 v19, v19, v109
	s_delay_alu instid0(VALU_DEP_1) | instskip(SKIP_2) | instid1(VALU_DEP_2)
	v_add3_u32 v0, v6, v0, v19
	v_bfe_u32 v6, v36, 8, 4
	v_bfe_u32 v19, v36, 16, 4
	v_mul_i32_i24_e32 v6, v6, v115
	s_delay_alu instid0(VALU_DEP_2) | instskip(NEXT) | instid1(VALU_DEP_1)
	v_mul_i32_i24_e32 v19, v19, v114
	v_add3_u32 v3, v3, v6, v19
	v_bfe_u32 v6, v12, 8, 4
	v_bfe_u32 v19, v12, 16, 4
	s_delay_alu instid0(VALU_DEP_2) | instskip(NEXT) | instid1(VALU_DEP_2)
	v_mul_i32_i24_e32 v6, v6, v113
	v_mul_i32_i24_e32 v19, v19, v112
	s_delay_alu instid0(VALU_DEP_1) | instskip(SKIP_2) | instid1(VALU_DEP_2)
	v_add3_u32 v4, v4, v6, v19
	v_bfe_u32 v6, v40, 16, 4
	v_bfe_u32 v19, v40, 24, 4
	v_mul_i32_i24_e32 v6, v6, v119
	s_delay_alu instid0(VALU_DEP_2) | instskip(NEXT) | instid1(VALU_DEP_1)
	v_mul_i32_i24_e32 v19, v19, v118
	v_add3_u32 v5, v5, v6, v19
	v_bfe_u32 v6, v134, 8, 4
	v_bfe_u32 v19, v134, 16, 4
	s_delay_alu instid0(VALU_DEP_2) | instskip(NEXT) | instid1(VALU_DEP_2)
	v_mul_i32_i24_e32 v6, v6, v113
	;; [unrolled: 13-line block ×3, first 2 shown]
	v_mul_i32_i24_e32 v19, v19, v112
	s_delay_alu instid0(VALU_DEP_1) | instskip(SKIP_2) | instid1(VALU_DEP_2)
	v_add3_u32 v14, v15, v14, v19
	v_bfe_u32 v15, v43, 16, 4
	v_bfe_u32 v19, v43, 24, 4
	v_mul_i32_i24_e32 v15, v15, v119
	s_delay_alu instid0(VALU_DEP_2) | instskip(NEXT) | instid1(VALU_DEP_1)
	v_mul_i32_i24_e32 v19, v19, v118
	v_add3_u32 v15, v16, v15, v19
	v_bfe_u32 v16, v1, 16, 4
	v_bfe_u32 v1, v1, 24, 4
	;; [unrolled: 1-line block ×3, first 2 shown]
	s_delay_alu instid0(VALU_DEP_3) | instskip(NEXT) | instid1(VALU_DEP_3)
	v_mul_i32_i24_e32 v16, v16, v106
	v_mul_i32_i24_e32 v1, v1, v107
	s_delay_alu instid0(VALU_DEP_3) | instskip(NEXT) | instid1(VALU_DEP_2)
	v_mul_i32_i24_e32 v19, v19, v104
	v_add3_u32 v0, v0, v16, v1
	v_bfe_u32 v1, v36, 24, 4
	v_bfe_u32 v16, v23, 8, 4
	s_delay_alu instid0(VALU_DEP_2) | instskip(NEXT) | instid1(VALU_DEP_2)
	v_mul_i32_i24_e32 v1, v1, v110
	v_mul_i32_i24_e32 v16, v16, v111
	s_delay_alu instid0(VALU_DEP_1) | instskip(SKIP_3) | instid1(VALU_DEP_3)
	v_add3_u32 v1, v3, v1, v16
	v_bfe_u32 v3, v12, 24, 4
	v_bfe_u32 v12, v13, 8, 4
	;; [unrolled: 1-line block ×3, first 2 shown]
	v_mul_i32_i24_e32 v3, v3, v108
	s_delay_alu instid0(VALU_DEP_3) | instskip(NEXT) | instid1(VALU_DEP_3)
	v_mul_i32_i24_e32 v12, v12, v109
	v_mul_i32_i24_e32 v16, v16, v105
	s_delay_alu instid0(VALU_DEP_2) | instskip(SKIP_2) | instid1(VALU_DEP_2)
	v_add3_u32 v3, v4, v3, v12
	v_bfe_u32 v4, v29, 8, 4
	v_bfe_u32 v12, v29, 16, 4
	v_mul_i32_i24_e32 v4, v4, v115
	s_delay_alu instid0(VALU_DEP_2) | instskip(NEXT) | instid1(VALU_DEP_1)
	v_mul_i32_i24_e32 v12, v12, v114
	v_add3_u32 v4, v5, v4, v12
	v_bfe_u32 v5, v134, 24, 4
	v_bfe_u32 v12, v135, 8, 4
	s_delay_alu instid0(VALU_DEP_2) | instskip(NEXT) | instid1(VALU_DEP_2)
	v_mul_i32_i24_e32 v5, v5, v108
	v_mul_i32_i24_e32 v12, v12, v109
	s_delay_alu instid0(VALU_DEP_1) | instskip(SKIP_2) | instid1(VALU_DEP_2)
	v_add3_u32 v5, v6, v5, v12
	v_bfe_u32 v6, v24, 8, 4
	v_bfe_u32 v12, v24, 16, 4
	v_mul_i32_i24_e32 v6, v6, v115
	s_delay_alu instid0(VALU_DEP_2) | instskip(NEXT) | instid1(VALU_DEP_1)
	v_mul_i32_i24_e32 v12, v12, v114
	v_add3_u32 v6, v7, v6, v12
	v_bfe_u32 v7, v10, 24, 4
	v_bfe_u32 v10, v11, 8, 4
	;; [unrolled: 1-line block ×3, first 2 shown]
	s_delay_alu instid0(VALU_DEP_3) | instskip(NEXT) | instid1(VALU_DEP_3)
	v_mul_i32_i24_e32 v7, v7, v108
	v_mul_i32_i24_e32 v10, v10, v109
	s_delay_alu instid0(VALU_DEP_3) | instskip(NEXT) | instid1(VALU_DEP_2)
	v_mul_i32_i24_e32 v12, v12, v114
	v_add3_u32 v7, v14, v7, v10
	v_bfe_u32 v10, v31, 8, 4
	v_bfe_u32 v14, v23, 24, 4
	s_delay_alu instid0(VALU_DEP_2) | instskip(NEXT) | instid1(VALU_DEP_2)
	v_mul_i32_i24_e32 v10, v10, v115
	v_mul_i32_i24_e32 v14, v14, v104
	s_delay_alu instid0(VALU_DEP_2) | instskip(SKIP_3) | instid1(VALU_DEP_3)
	v_add3_u32 v10, v15, v10, v12
	v_bfe_u32 v12, v23, 16, 4
	v_bfe_u32 v15, v28, 24, 4
	v_cvt_f32_ubyte0_e32 v23, v166
	v_mul_i32_i24_e32 v12, v12, v105
	s_delay_alu instid0(VALU_DEP_3) | instskip(NEXT) | instid1(VALU_DEP_3)
	v_mul_i32_i24_e32 v15, v15, v104
	v_fma_mix_f32 v23, v8, v23, 0 op_sel:[1,0,0] op_sel_hi:[1,0,0]
	s_delay_alu instid0(VALU_DEP_3)
	v_add3_u32 v1, v1, v12, v14
	v_bfe_u32 v12, v13, 16, 4
	v_bfe_u32 v13, v13, 24, 4
	ds_load_u16 v14, v168 offset:17408
	v_mul_i32_i24_e32 v12, v12, v106
	v_mul_i32_i24_e32 v13, v13, v107
	s_delay_alu instid0(VALU_DEP_1) | instskip(SKIP_3) | instid1(VALU_DEP_3)
	v_add3_u32 v3, v3, v12, v13
	v_bfe_u32 v12, v29, 24, 4
	v_bfe_u32 v13, v28, 8, 4
	v_cvt_f32_ubyte1_e32 v29, v169
	v_mul_i32_i24_e32 v12, v12, v110
	s_delay_alu instid0(VALU_DEP_3) | instskip(NEXT) | instid1(VALU_DEP_1)
	v_mul_i32_i24_e32 v13, v13, v111
	v_add3_u32 v4, v4, v12, v13
	v_bfe_u32 v12, v135, 16, 4
	v_bfe_u32 v13, v135, 24, 4
	s_delay_alu instid0(VALU_DEP_2) | instskip(NEXT) | instid1(VALU_DEP_2)
	v_mul_i32_i24_e32 v12, v12, v106
	v_mul_i32_i24_e32 v13, v13, v107
	s_delay_alu instid0(VALU_DEP_1) | instskip(SKIP_3) | instid1(VALU_DEP_3)
	v_add3_u32 v5, v5, v12, v13
	v_bfe_u32 v12, v24, 24, 4
	v_bfe_u32 v13, v21, 8, 4
	v_cvt_f32_ubyte1_e32 v24, v166
	v_mul_i32_i24_e32 v12, v12, v110
	s_delay_alu instid0(VALU_DEP_3) | instskip(NEXT) | instid1(VALU_DEP_3)
	v_mul_i32_i24_e32 v13, v13, v111
	v_fma_mix_f32 v23, v9, v24, v23 op_sel:[1,0,0] op_sel_hi:[1,0,0]
	v_and_b32_e32 v24, 0xff, v2
	v_lshrrev_b16 v2, 8, v2
	s_delay_alu instid0(VALU_DEP_4)
	v_add3_u32 v6, v6, v12, v13
	v_bfe_u32 v12, v11, 16, 4
	v_bfe_u32 v11, v11, 24, 4
	v_add3_u32 v13, v84, s21, v167
	v_and_b32_e32 v2, 0xffff, v2
	v_mul_lo_u32 v5, v5, v24
	v_mul_i32_i24_e32 v12, v12, v106
	v_mul_i32_i24_e32 v11, v11, v107
	v_mul_f32_e32 v23, v23, v101
	s_delay_alu instid0(VALU_DEP_2) | instskip(SKIP_3) | instid1(VALU_DEP_3)
	v_add3_u32 v7, v7, v12, v11
	v_bfe_u32 v11, v31, 24, 4
	v_bfe_u32 v12, v32, 8, 4
	v_cvt_f32_i32_e32 v5, v5
	v_mul_i32_i24_e32 v11, v11, v110
	s_delay_alu instid0(VALU_DEP_3) | instskip(NEXT) | instid1(VALU_DEP_3)
	v_mul_i32_i24_e32 v12, v12, v111
	v_fma_mix_f32 v5, v8, v5, 0 op_sel_hi:[1,0,0]
	s_delay_alu instid0(VALU_DEP_2)
	v_add3_u32 v10, v10, v11, v12
	ds_load_u16 v11, v13 offset:8
	ds_load_u16 v12, v13
	v_bfe_u32 v13, v28, 16, 4
	v_cvt_f32_ubyte0_e32 v28, v169
	v_add3_u32 v10, v10, v16, v19
	s_delay_alu instid0(VALU_DEP_3) | instskip(NEXT) | instid1(VALU_DEP_3)
	v_mul_i32_i24_e32 v13, v13, v105
	v_fma_mix_f32 v28, v8, v28, 0 op_sel:[1,0,0] op_sel_hi:[1,0,0]
	s_delay_alu instid0(VALU_DEP_2)
	v_add3_u32 v4, v4, v13, v15
	v_bfe_u32 v13, v21, 16, 4
	v_bfe_u32 v15, v21, 24, 4
	v_cvt_f32_ubyte1_e32 v21, v165
	v_fma_mix_f32 v28, v9, v29, v28 op_sel:[1,0,0] op_sel_hi:[1,0,0]
	v_lshrrev_b16 v29, 8, v17
	v_mul_i32_i24_e32 v13, v13, v105
	v_mul_i32_i24_e32 v15, v15, v104
	v_and_b32_e32 v17, 0xff, v17
	s_delay_alu instid0(VALU_DEP_4) | instskip(NEXT) | instid1(VALU_DEP_3)
	v_and_b32_e32 v29, 0xffff, v29
	v_add3_u32 v6, v6, v13, v15
	s_waitcnt lgkmcnt(1)
	v_cvt_f32_ubyte0_e32 v13, v11
	v_cvt_f32_ubyte0_e32 v15, v165
	v_cvt_f32_ubyte1_e32 v11, v11
	v_mul_lo_u32 v7, v7, v17
	v_mul_lo_u32 v2, v6, v2
	v_fma_mix_f32 v13, v8, v13, 0 op_sel:[1,0,0] op_sel_hi:[1,0,0]
	v_fma_mix_f32 v15, v8, v15, 0 op_sel:[1,0,0] op_sel_hi:[1,0,0]
	v_mul_lo_u32 v6, v10, v29
	s_delay_alu instid0(VALU_DEP_3)
	v_fma_mix_f32 v11, v9, v11, v13 op_sel:[1,0,0] op_sel_hi:[1,0,0]
	s_waitcnt lgkmcnt(0)
	v_and_b32_e32 v13, 0xff, v12
	v_lshrrev_b16 v12, 8, v12
	v_fma_mix_f32 v15, v9, v21, v15 op_sel:[1,0,0] op_sel_hi:[1,0,0]
	v_and_b32_e32 v21, 0xff, v14
	v_lshrrev_b16 v14, 8, v14
	v_mul_lo_u32 v0, v0, v13
	v_and_b32_e32 v12, 0xffff, v12
	v_cvt_f32_i32_e32 v7, v7
	v_mul_lo_u32 v3, v3, v21
	v_and_b32_e32 v14, 0xffff, v14
	v_cvt_f32_i32_e32 v2, v2
	v_mul_lo_u32 v1, v1, v12
	v_fma_mix_f32 v7, v8, v7, 0 op_sel_hi:[1,0,0]
	v_cvt_f32_i32_e32 v0, v0
	v_mul_lo_u32 v4, v4, v14
	v_cvt_f32_i32_e32 v6, v6
	v_cvt_f32_i32_e32 v3, v3
	v_mul_f32_e32 v11, v11, v99
	v_fma_mix_f32 v0, v8, v0, 0 op_sel_hi:[1,0,0]
	v_cvt_f32_i32_e32 v1, v1
	v_mul_f32_e32 v15, v15, v100
	v_fma_mix_f32 v3, v8, v3, 0 op_sel_hi:[1,0,0]
	;; [unrolled: 3-line block ×3, first 2 shown]
	v_fma_mix_f32 v2, v9, v2, v5 op_sel_hi:[1,0,0]
	s_delay_alu instid0(VALU_DEP_4) | instskip(SKIP_1) | instid1(VALU_DEP_4)
	v_fma_mix_f32 v1, v9, v4, v3 op_sel_hi:[1,0,0]
	v_fma_mix_f32 v3, v9, v6, v7 op_sel_hi:[1,0,0]
	v_fma_f32 v0, v0, v95, -v11
	s_delay_alu instid0(VALU_DEP_4) | instskip(NEXT) | instid1(VALU_DEP_4)
	v_fma_f32 v2, v2, v97, -v23
	v_fma_f32 v1, v1, v96, -v15
	s_delay_alu instid0(VALU_DEP_4) | instskip(NEXT) | instid1(VALU_DEP_4)
	v_fma_f32 v3, v3, v98, -v8
	v_add_f32_e32 v18, v18, v0
	s_delay_alu instid0(VALU_DEP_3) | instskip(NEXT) | instid1(VALU_DEP_3)
	v_dual_add_f32 v90, v90, v2 :: v_dual_add_f32 v89, v89, v1
	v_add_f32_e32 v91, v91, v3
	s_cbranch_scc1 .LBB211_21
; %bb.22:                               ;   in Loop: Header=BB211_6 Depth=1
	s_barrier
	buffer_gl0_inv
	s_clause 0x15
	scratch_load_b32 v16, off, off offset:20
	scratch_load_b32 v17, off, off offset:24
	scratch_load_b32 v19, off, off offset:28
	scratch_load_b32 v21, off, off offset:32
	scratch_load_b32 v23, off, off offset:36
	scratch_load_b32 v24, off, off offset:40
	scratch_load_b32 v28, off, off offset:44
	scratch_load_b32 v29, off, off offset:48
	scratch_load_b32 v31, off, off offset:52
	scratch_load_b32 v32, off, off offset:56
	scratch_load_b32 v33, off, off offset:60
	scratch_load_b32 v34, off, off offset:64
	scratch_load_b32 v36, off, off offset:68
	scratch_load_b32 v37, off, off offset:72
	scratch_load_b32 v39, off, off offset:76
	scratch_load_b32 v40, off, off offset:80
	scratch_load_b32 v41, off, off offset:84
	scratch_load_b32 v43, off, off offset:88
	scratch_load_b32 v44, off, off offset:92
	scratch_load_b32 v45, off, off offset:96
	scratch_load_b32 v4, off, off offset:116
	scratch_load_b32 v5, off, off offset:120
	s_branch .LBB211_5
.LBB211_23:
	scratch_load_b32 v14, off, off offset:168 ; 4-byte Folded Reload
	s_waitcnt vmcnt(1)
	v_cvt_f16_f32_e32 v5, v18
	v_cvt_f16_f32_e32 v4, v89
	;; [unrolled: 1-line block ×4, first 2 shown]
.LBB211_24:
	s_mul_i32 s0, s7, s4
	s_waitcnt vmcnt(0)
	v_cmp_gt_i32_e32 vcc_lo, s0, v14
	s_and_saveexec_b32 s0, vcc_lo
	s_cbranch_execz .LBB211_33
; %bb.25:
	scratch_load_b32 v1, off, off offset:128 ; 4-byte Folded Reload
	s_mov_b32 s0, exec_lo
	s_waitcnt vmcnt(0)
	v_add_nc_u32_e32 v3, s16, v1
	v_mul_lo_u32 v1, v14, s6
	s_delay_alu instid0(VALU_DEP_2)
	v_cmpx_gt_u32_e64 s6, v3
	s_cbranch_execz .LBB211_27
; %bb.26:
	s_delay_alu instid0(VALU_DEP_2) | instskip(NEXT) | instid1(VALU_DEP_1)
	v_dual_mov_b32 v7, 0 :: v_dual_add_nc_u32 v6, v1, v3
	v_lshlrev_b64 v[6:7], 1, v[6:7]
	s_delay_alu instid0(VALU_DEP_1) | instskip(NEXT) | instid1(VALU_DEP_2)
	v_add_co_u32 v6, vcc_lo, s8, v6
	v_add_co_ci_u32_e32 v7, vcc_lo, s9, v7, vcc_lo
	global_store_b16 v[6:7], v5, off
.LBB211_27:
	s_or_b32 exec_lo, exec_lo, s0
	v_add_nc_u32_e32 v5, 32, v3
	s_mov_b32 s0, exec_lo
	s_delay_alu instid0(VALU_DEP_1)
	v_cmpx_gt_u32_e64 s6, v5
	s_cbranch_execz .LBB211_29
; %bb.28:
	v_dual_mov_b32 v6, 0 :: v_dual_add_nc_u32 v5, v1, v5
	s_delay_alu instid0(VALU_DEP_1) | instskip(NEXT) | instid1(VALU_DEP_1)
	v_lshlrev_b64 v[5:6], 1, v[5:6]
	v_add_co_u32 v5, vcc_lo, s8, v5
	s_delay_alu instid0(VALU_DEP_2)
	v_add_co_ci_u32_e32 v6, vcc_lo, s9, v6, vcc_lo
	global_store_b16 v[5:6], v4, off
.LBB211_29:
	s_or_b32 exec_lo, exec_lo, s0
	v_add_nc_u32_e32 v4, 64, v3
	s_mov_b32 s0, exec_lo
	s_delay_alu instid0(VALU_DEP_1)
	v_cmpx_gt_u32_e64 s6, v4
	s_cbranch_execz .LBB211_31
; %bb.30:
	v_dual_mov_b32 v5, 0 :: v_dual_add_nc_u32 v4, v1, v4
	s_delay_alu instid0(VALU_DEP_1) | instskip(NEXT) | instid1(VALU_DEP_1)
	v_lshlrev_b64 v[4:5], 1, v[4:5]
	v_add_co_u32 v4, vcc_lo, s8, v4
	s_delay_alu instid0(VALU_DEP_2)
	v_add_co_ci_u32_e32 v5, vcc_lo, s9, v5, vcc_lo
	global_store_b16 v[4:5], v0, off
.LBB211_31:
	s_or_b32 exec_lo, exec_lo, s0
	v_add_nc_u32_e32 v0, 0x60, v3
	s_delay_alu instid0(VALU_DEP_1)
	v_cmp_gt_u32_e32 vcc_lo, s6, v0
	s_and_b32 exec_lo, exec_lo, vcc_lo
	s_cbranch_execz .LBB211_33
; %bb.32:
	v_dual_mov_b32 v1, 0 :: v_dual_add_nc_u32 v0, v1, v0
	s_delay_alu instid0(VALU_DEP_1) | instskip(NEXT) | instid1(VALU_DEP_1)
	v_lshlrev_b64 v[0:1], 1, v[0:1]
	v_add_co_u32 v0, vcc_lo, s8, v0
	s_delay_alu instid0(VALU_DEP_2)
	v_add_co_ci_u32_e32 v1, vcc_lo, s9, v1, vcc_lo
	global_store_b16 v[0:1], v2, off
.LBB211_33:
	s_endpgm
	.section	.rodata,"a",@progbits
	.p2align	6, 0x0
	.amdhsa_kernel _ZL8moe_q4_KIN3c104HalfELb0EEvPKvS3_PT_PKiS7_S7_iiiiiii
		.amdhsa_group_segment_fixed_size 20688
		.amdhsa_private_segment_fixed_size 176
		.amdhsa_kernarg_size 76
		.amdhsa_user_sgpr_count 14
		.amdhsa_user_sgpr_dispatch_ptr 0
		.amdhsa_user_sgpr_queue_ptr 0
		.amdhsa_user_sgpr_kernarg_segment_ptr 1
		.amdhsa_user_sgpr_dispatch_id 0
		.amdhsa_user_sgpr_private_segment_size 0
		.amdhsa_wavefront_size32 1
		.amdhsa_uses_dynamic_stack 0
		.amdhsa_enable_private_segment 1
		.amdhsa_system_sgpr_workgroup_id_x 1
		.amdhsa_system_sgpr_workgroup_id_y 1
		.amdhsa_system_sgpr_workgroup_id_z 0
		.amdhsa_system_sgpr_workgroup_info 0
		.amdhsa_system_vgpr_workitem_id 1
		.amdhsa_next_free_vgpr 256
		.amdhsa_next_free_sgpr 23
		.amdhsa_reserve_vcc 1
		.amdhsa_float_round_mode_32 0
		.amdhsa_float_round_mode_16_64 0
		.amdhsa_float_denorm_mode_32 3
		.amdhsa_float_denorm_mode_16_64 3
		.amdhsa_dx10_clamp 1
		.amdhsa_ieee_mode 1
		.amdhsa_fp16_overflow 0
		.amdhsa_workgroup_processor_mode 1
		.amdhsa_memory_ordered 1
		.amdhsa_forward_progress 0
		.amdhsa_shared_vgpr_count 0
		.amdhsa_exception_fp_ieee_invalid_op 0
		.amdhsa_exception_fp_denorm_src 0
		.amdhsa_exception_fp_ieee_div_zero 0
		.amdhsa_exception_fp_ieee_overflow 0
		.amdhsa_exception_fp_ieee_underflow 0
		.amdhsa_exception_fp_ieee_inexact 0
		.amdhsa_exception_int_div_zero 0
	.end_amdhsa_kernel
	.section	.text._ZL8moe_q4_KIN3c104HalfELb0EEvPKvS3_PT_PKiS7_S7_iiiiiii,"axG",@progbits,_ZL8moe_q4_KIN3c104HalfELb0EEvPKvS3_PT_PKiS7_S7_iiiiiii,comdat
.Lfunc_end211:
	.size	_ZL8moe_q4_KIN3c104HalfELb0EEvPKvS3_PT_PKiS7_S7_iiiiiii, .Lfunc_end211-_ZL8moe_q4_KIN3c104HalfELb0EEvPKvS3_PT_PKiS7_S7_iiiiiii
                                        ; -- End function
	.section	.AMDGPU.csdata,"",@progbits
; Kernel info:
; codeLenInByte = 15544
; NumSgprs: 25
; NumVgprs: 256
; ScratchSize: 176
; MemoryBound: 0
; FloatMode: 240
; IeeeMode: 1
; LDSByteSize: 20688 bytes/workgroup (compile time only)
; SGPRBlocks: 3
; VGPRBlocks: 31
; NumSGPRsForWavesPerEU: 25
; NumVGPRsForWavesPerEU: 256
; Occupancy: 5
; WaveLimiterHint : 1
; COMPUTE_PGM_RSRC2:SCRATCH_EN: 1
; COMPUTE_PGM_RSRC2:USER_SGPR: 14
; COMPUTE_PGM_RSRC2:TRAP_HANDLER: 0
; COMPUTE_PGM_RSRC2:TGID_X_EN: 1
; COMPUTE_PGM_RSRC2:TGID_Y_EN: 1
; COMPUTE_PGM_RSRC2:TGID_Z_EN: 0
; COMPUTE_PGM_RSRC2:TIDIG_COMP_CNT: 1
	.section	.text._ZL8moe_q4_KIN3c104HalfELb1EEvPKvS3_PT_PKiS7_S7_iiiiiii,"axG",@progbits,_ZL8moe_q4_KIN3c104HalfELb1EEvPKvS3_PT_PKiS7_S7_iiiiiii,comdat
	.globl	_ZL8moe_q4_KIN3c104HalfELb1EEvPKvS3_PT_PKiS7_S7_iiiiiii ; -- Begin function _ZL8moe_q4_KIN3c104HalfELb1EEvPKvS3_PT_PKiS7_S7_iiiiiii
	.p2align	8
	.type	_ZL8moe_q4_KIN3c104HalfELb1EEvPKvS3_PT_PKiS7_S7_iiiiiii,@function
_ZL8moe_q4_KIN3c104HalfELb1EEvPKvS3_PT_PKiS7_S7_iiiiiii: ; @_ZL8moe_q4_KIN3c104HalfELb1EEvPKvS3_PT_PKiS7_S7_iiiiiii
; %bb.0:
	s_load_b128 s[4:7], s[0:1], 0x18
	s_mov_b32 s2, s15
	s_mov_b32 s3, 0
	s_delay_alu instid0(SALU_CYCLE_1)
	s_lshl_b64 s[8:9], s[2:3], 2
	s_waitcnt lgkmcnt(0)
	s_add_u32 s6, s6, s8
	s_addc_u32 s7, s7, s9
	s_load_b32 s15, s[6:7], 0x0
	s_waitcnt lgkmcnt(0)
	s_cmpk_gt_u32 s15, 0xff
	s_cbranch_scc1 .LBB212_34
; %bb.1:
	s_load_b64 s[6:7], s[0:1], 0x28
	s_lshl_b32 s2, s2, 3
	s_waitcnt lgkmcnt(0)
	s_load_b32 s3, s[6:7], 0x0
	s_waitcnt lgkmcnt(0)
	s_cmp_gt_u32 s2, s3
	s_cbranch_scc1 .LBB212_34
; %bb.2:
	v_bfe_u32 v3, v0, 10, 10
	v_mov_b32_e32 v2, 0
	s_mov_b32 s18, 0
	s_delay_alu instid0(VALU_DEP_2) | instskip(SKIP_1) | instid1(VALU_DEP_2)
	v_add_nc_u32_e32 v1, s2, v3
	v_and_b32_e32 v0, 0x3ff, v0
	v_lshlrev_b64 v[4:5], 2, v[1:2]
	s_delay_alu instid0(VALU_DEP_1) | instskip(NEXT) | instid1(VALU_DEP_2)
	v_add_co_u32 v4, vcc_lo, s4, v4
	v_add_co_ci_u32_e32 v5, vcc_lo, s5, v5, vcc_lo
	global_load_b32 v6, v[4:5], off
	v_mov_b32_e32 v5, v2
	s_clause 0x1
	s_load_b256 s[4:11], s[0:1], 0x30
	s_load_b64 s[12:13], s[0:1], 0x10
	scratch_store_b32 off, v0, off offset:160 ; 4-byte Folded Spill
	v_mov_b32_e32 v0, v2
	v_mov_b32_e32 v4, v2
	s_waitcnt lgkmcnt(0)
	s_lshl_b32 s11, s14, 7
	s_cmpk_lt_i32 s5, 0x100
	s_cbranch_scc1 .LBB212_25
; %bb.3:
	scratch_load_b32 v5, off, off offset:160 ; 4-byte Folded Reload
	s_load_b128 s[0:3], s[0:1], 0x0
	s_ashr_i32 s14, s5, 31
	s_mul_i32 s15, s15, s4
	s_lshr_b32 s4, s14, 24
	s_ashr_i32 s16, s8, 31
	s_add_i32 s4, s5, s4
	s_lshr_b32 s14, s16, 27
	s_ashr_i32 s4, s4, 8
	s_add_i32 s8, s8, s14
	s_mul_i32 s14, s4, s11
	s_ashr_i32 s16, s15, 31
	s_ashr_i32 s8, s8, 5
	s_mul_hi_i32 s17, s14, 0x90
	s_mulk_i32 s14, 0x90
	v_dual_mov_b32 v35, 0 :: v_dual_add_nc_u32 v0, 8, v3
	v_add_nc_u32_e32 v2, 16, v3
	v_add_nc_u32_e32 v8, 24, v3
	v_dual_mov_b32 v89, 0 :: v_dual_lshlrev_b32 v48, 5, v3
	s_waitcnt lgkmcnt(0)
	s_add_u32 s0, s0, s15
	s_addc_u32 s1, s1, s16
	s_add_u32 s19, s0, s14
	s_addc_u32 s20, s1, s17
	s_not_b32 s0, s11
	s_abs_i32 s1, s10
	s_add_i32 s0, s0, s6
	v_cvt_f32_u32_e32 v24, s1
	v_min_i32_e32 v1, s0, v3
	v_min_i32_e32 v0, s0, v0
	s_movk_i32 s6, 0x3180
	v_dual_mov_b32 v91, 0 :: v_dual_mov_b32 v90, 0
	s_delay_alu instid0(VALU_DEP_3)
	v_mul_lo_u32 v9, v1, s4
	s_waitcnt vmcnt(1)
	scratch_store_b32 off, v6, off offset:200 ; 4-byte Folded Spill
	s_waitcnt vmcnt(0)
	v_lshlrev_b32_e32 v4, 2, v5
	v_add_nc_u32_e32 v22, v48, v5
	v_lshrrev_b32_e32 v21, 2, v5
	v_lshrrev_b32_e32 v7, 5, v5
	v_add_nc_u32_e32 v32, 0x60, v5
	v_mad_u64_u32 v[10:11], null, 0x84, v1, v[4:5]
	v_min_i32_e32 v1, s0, v2
	v_add_nc_u32_e32 v2, 32, v3
	v_mad_u64_u32 v[12:13], null, 0x84, v0, v[4:5]
	v_mul_lo_u32 v11, v0, s4
	v_min_i32_e32 v0, s0, v8
	v_mul_lo_u32 v13, v1, s4
	v_mad_u64_u32 v[14:15], null, 0x84, v1, v[4:5]
	v_min_i32_e32 v1, s0, v2
	v_add_nc_u32_e32 v2, 40, v3
	v_mul_lo_u32 v15, v0, s4
	v_mad_u64_u32 v[16:17], null, 0x84, v0, v[4:5]
	v_add_nc_u32_e32 v0, 48, v3
	s_delay_alu instid0(VALU_DEP_4)
	v_min_i32_e32 v2, s0, v2
	v_mul_lo_u32 v17, v1, s4
	v_mad_u64_u32 v[36:37], null, 0x84, v1, v[4:5]
	v_add_nc_u32_e32 v1, 56, v3
	v_min_i32_e32 v0, s0, v0
	v_mul_lo_u32 v8, v2, s4
	v_mad_u64_u32 v[57:58], null, 0x84, v2, v[4:5]
	v_add_nc_u32_e32 v2, 64, v3
	;; [unrolled: 4-line block ×3, first 2 shown]
	v_min_i32_e32 v2, s0, v2
	v_mad_u64_u32 v[37:38], null, 0x84, v1, v[4:5]
	v_mul_lo_u32 v84, v1, s4
	s_delay_alu instid0(VALU_DEP_4)
	v_min_i32_e32 v0, s0, v0
	v_add_nc_u32_e32 v1, 0x50, v3
	v_mul_lo_u32 v34, v2, s4
	v_mad_u64_u32 v[38:39], null, 0x84, v2, v[4:5]
	v_add_nc_u32_e32 v2, 0x58, v3
	v_mul_lo_u32 v39, v0, s4
	v_min_i32_e32 v1, s0, v1
	v_mad_u64_u32 v[40:41], null, 0x84, v0, v[4:5]
	s_delay_alu instid0(VALU_DEP_4) | instskip(SKIP_1) | instid1(VALU_DEP_4)
	v_min_i32_e32 v0, s0, v2
	v_add_nc_u32_e32 v2, 0x60, v3
	v_mul_lo_u32 v41, v1, s4
	v_mad_u64_u32 v[42:43], null, 0x84, v1, v[4:5]
	v_and_b32_e32 v18, 0x7f, v22
	s_delay_alu instid0(VALU_DEP_4) | instskip(SKIP_4) | instid1(VALU_DEP_4)
	v_min_i32_e32 v1, s0, v2
	v_add_nc_u32_e32 v2, 0x68, v3
	v_mul_lo_u32 v43, v0, s4
	v_mad_u64_u32 v[44:45], null, 0x84, v0, v[4:5]
	v_min_i32_e32 v23, s0, v18
	v_min_i32_e32 v0, s0, v2
	v_add_nc_u32_e32 v2, 0x70, v3
	v_mul_lo_u32 v45, v1, s4
	v_mad_u64_u32 v[46:47], null, 0x84, v1, v[4:5]
	v_ashrrev_i32_e32 v20, 31, v23
	s_delay_alu instid0(VALU_DEP_4) | instskip(SKIP_4) | instid1(VALU_DEP_4)
	v_min_i32_e32 v1, s0, v2
	v_add_nc_u32_e32 v2, 0x78, v3
	v_mul_lo_u32 v18, v0, s4
	v_mad_u64_u32 v[49:50], null, 0x84, v0, v[4:5]
	v_lshl_add_u32 v21, v3, 3, v21
	v_min_i32_e32 v0, s0, v2
	v_lshrrev_b32_e32 v2, 27, v20
	v_mul_lo_u32 v47, v1, s4
	v_mad_u64_u32 v[50:51], null, 0x84, v1, v[4:5]
	s_delay_alu instid0(VALU_DEP_4) | instskip(NEXT) | instid1(VALU_DEP_4)
	v_mul_lo_u32 v20, v0, s4
	v_add_nc_u32_e32 v1, v23, v2
	v_and_b32_e32 v2, 0x7f, v21
	v_rcp_iflag_f32_e32 v21, v24
	v_mad_u64_u32 v[51:52], null, 0x84, v0, v[4:5]
	v_and_b32_e32 v0, 3, v5
	v_ashrrev_i32_e32 v1, 5, v1
	v_mul_lo_u32 v52, v23, s4
	v_lshlrev_b32_e32 v23, 2, v23
	v_min_i32_e32 v24, s0, v2
	v_add_nc_u32_e32 v25, 0xfe, v0
	v_cmp_gt_u32_e32 vcc_lo, 2, v0
	s_delay_alu instid0(TRANS32_DEP_1)
	v_mul_f32_e32 v21, 0x4f7ffffe, v21
	v_lshlrev_b32_e32 v1, 2, v1
	v_xor_b32_e32 v2, 64, v2
	v_ashrrev_i32_e32 v26, 31, v24
	v_cndmask_b32_e32 v25, v25, v0, vcc_lo
	v_cvt_u32_f32_e32 v21, v21
	v_add3_u32 v53, v1, v23, 0x4e40
	v_cmp_ne_u32_e32 vcc_lo, 0, v0
	v_min_i32_e32 v2, s0, v2
	v_and_b32_e32 v23, 0xff, v25
	s_sub_i32 s0, 0, s1
	v_and_b32_e32 v25, 4, v4
	v_mul_lo_u32 v27, s0, v21
	v_lshrrev_b32_e32 v1, 29, v26
	v_add_co_ci_u32_e32 v28, vcc_lo, 0, v23, vcc_lo
	v_cmp_lt_u32_e32 vcc_lo, 1, v0
	v_ashrrev_i32_e32 v26, 31, v2
	v_and_b32_e32 v33, 0x7c, v4
	v_add_nc_u32_e32 v1, v24, v1
	v_lshlrev_b32_e32 v0, 2, v0
	v_cndmask_b32_e32 v54, 0, v25, vcc_lo
	v_mul_hi_u32 v25, v21, v27
	v_sub_nc_u32_e32 v27, 0, v6
	v_lshrrev_b32_e32 v26, 29, v26
	v_ashrrev_i32_e32 v1, 3, v1
	v_lshlrev_b32_e32 v55, 1, v23
	v_cndmask_b32_e64 v29, 0, 1, vcc_lo
	v_max_i32_e32 v27, v6, v27
	v_add_nc_u32_e32 v26, v2, v26
	v_add_nc_u32_e32 v21, v21, v25
	v_lshlrev_b32_e32 v1, 2, v1
	v_lshrrev_b32_e32 v79, 3, v32
	v_mul_lo_u32 v56, v24, s4
	v_ashrrev_i32_e32 v26, 3, v26
	v_mul_hi_u32 v25, v27, v21
	v_and_b32_e32 v21, 28, v4
	v_add3_u32 v1, v1, v0, 0x4200
	v_lshlrev_b32_e32 v24, 4, v24
	v_lshlrev_b32_e32 v23, 2, v26
	v_mad_i32_i24 v26, 0xffffffe4, v3, v22
	v_add_co_u32 v21, s0, s2, v21
	v_mul_lo_u32 v30, v25, s1
	s_delay_alu instid0(VALU_DEP_4)
	v_add3_u32 v0, v23, v0, 0x4200
	v_and_or_b32 v23, v5, 31, v48
	v_add_co_ci_u32_e64 v22, null, s3, 0, s0
	v_mul_lo_u32 v58, v2, s4
	v_lshlrev_b32_e32 v2, 4, v2
	v_lshrrev_b32_e32 v63, 3, v5
	scratch_store_b64 off, v[21:22], off offset:164 ; 8-byte Folded Spill
	v_lshl_add_u32 v21, v23, 2, 0x4a40
	v_sub_nc_u32_e32 v23, v27, v30
	v_lshlrev_b32_e32 v27, 2, v7
	v_add_nc_u32_e32 v30, 32, v5
	v_cmp_gt_u32_e64 s0, 4, v5
	scratch_store_b32 off, v21, off offset:172 ; 4-byte Folded Spill
	v_lshl_add_u32 v21, v26, 2, 0x5050
	v_add_nc_u32_e32 v26, 1, v25
	v_subrev_nc_u32_e32 v31, s1, v23
	v_cmp_le_u32_e32 vcc_lo, s1, v23
	v_mul_u32_u24_e32 v70, 0x84, v5
	scratch_store_b32 off, v21, off offset:192 ; 4-byte Folded Spill
	v_add3_u32 v21, v27, v4, 0x4e40
	v_mad_u32_u24 v73, 0x84, v5, s6
	v_cndmask_b32_e32 v25, v25, v26, vcc_lo
	v_cndmask_b32_e32 v23, v23, v31, vcc_lo
	v_add_nc_u32_e32 v31, 64, v5
	scratch_store_b32 off, v21, off         ; 4-byte Folded Spill
	v_lshrrev_b32_e32 v21, 3, v30
	v_add_nc_u32_e32 v27, 1, v25
	v_cmp_le_u32_e32 vcc_lo, s1, v23
	v_xor_b32_e32 v26, s10, v6
	v_lshlrev_b32_e32 v30, 2, v30
	s_movk_i32 s1, 0x1080
	v_dual_cndmask_b32 v23, v25, v27 :: v_dual_lshlrev_b32 v78, 4, v5
	v_lshrrev_b32_e32 v25, 3, v31
	v_and_b32_e32 v27, 60, v21
	v_ashrrev_i32_e32 v26, 31, v26
	v_lshlrev_b32_e32 v31, 2, v31
	v_mad_u32_u24 v71, 0x84, v5, s1
	v_and_b32_e32 v67, 60, v25
	v_add3_u32 v6, v4, v27, 0x4e40
	v_xor_b32_e32 v23, v23, v26
	v_and_b32_e32 v27, 60, v79
	s_movk_i32 s1, 0x2100
	v_lshlrev_b32_e32 v79, 2, v79
	s_clause 0x1
	scratch_store_b32 off, v6, off offset:4
	scratch_store_b32 off, v21, off offset:176
	v_add3_u32 v6, v4, v67, 0x4e40
	v_sub_nc_u32_e32 v23, v23, v26
	v_lshlrev_b32_e32 v26, 2, v32
	v_mad_u32_u24 v72, 0x84, v5, s1
	v_lshlrev_b32_e32 v80, 2, v25
	scratch_store_b32 off, v6, off offset:8 ; 4-byte Folded Spill
	v_add3_u32 v6, v4, v27, 0x4e40
	v_cmp_gt_i32_e64 s1, s7, v23
	v_lshlrev_b32_e32 v81, 2, v21
	v_lshl_or_b32 v82, v63, 2, 0x4200
	v_add_nc_u32_e32 v21, v1, v24
	scratch_store_b32 off, v6, off offset:12 ; 4-byte Folded Spill
	v_mul_lo_u32 v6, v23, s8
	v_add_nc_u32_e32 v22, v0, v2
	v_lshlrev_b32_e32 v87, 2, v30
	v_lshlrev_b32_e32 v88, 2, v31
	;; [unrolled: 1-line block ×3, first 2 shown]
	s_add_u32 s14, s2, 0x90
	s_addc_u32 s15, s3, 0
	scratch_store_b32 off, v6, off offset:16 ; 4-byte Folded Spill
	v_ashrrev_i32_e32 v6, 31, v6
	scratch_store_b32 off, v6, off offset:196 ; 4-byte Folded Spill
	v_mad_u32_u24 v6, 0x84, v5, 64
	v_lshlrev_b32_e32 v5, 2, v28
	scratch_store_b32 off, v6, off offset:180 ; 4-byte Folded Spill
	v_lshl_add_u32 v6, v3, 4, 0x5050
	v_lshl_add_u32 v3, v3, 7, 0x4a40
	s_clause 0x1
	scratch_store_b32 off, v6, off offset:184
	scratch_store_b32 off, v3, off offset:188
	v_lshlrev_b32_e32 v6, 2, v29
	s_clause 0x19
	scratch_store_b64 off, v[37:38], off offset:20
	scratch_store_b64 off, v[38:39], off offset:28
	scratch_store_b32 off, v39, off offset:36
	scratch_store_b64 off, v[40:41], off offset:40
	scratch_store_b32 off, v41, off offset:48
	;; [unrolled: 2-line block ×5, first 2 shown]
	scratch_store_b64 off, v[49:50], off offset:88
	scratch_store_b64 off, v[50:51], off offset:96
	scratch_store_b32 off, v47, off offset:104
	scratch_store_b32 off, v20, off offset:108
	scratch_store_b64 off, v[51:52], off offset:112
	scratch_store_b32 off, v52, off offset:120
	scratch_store_b32 off, v34, off offset:124
	;; [unrolled: 1-line block ×10, first 2 shown]
	s_branch .LBB212_7
.LBB212_4:                              ;   in Loop: Header=BB212_7 Depth=1
	s_clause 0x6
	scratch_load_b64 v[37:38], off, off offset:20
	scratch_load_b32 v34, off, off offset:124
	scratch_load_b64 v[40:41], off, off offset:40
	scratch_load_b64 v[42:43], off, off offset:52
	scratch_load_b64 v[44:45], off, off offset:64
	scratch_load_b64 v[46:47], off, off offset:76
	scratch_load_b64 v[49:50], off, off offset:88
	v_dual_mov_b32 v33, v8 :: v_dual_mov_b32 v36, v18
	v_dual_mov_b32 v8, v20 :: v_dual_mov_b32 v53, v58
	s_clause 0x3
	scratch_load_b32 v54, off, off offset:128
	scratch_load_b32 v55, off, off offset:132
	;; [unrolled: 1-line block ×4, first 2 shown]
.LBB212_5:                              ;   in Loop: Header=BB212_7 Depth=1
	s_clause 0xe
	scratch_load_b32 v5, off, off offset:144
	scratch_load_b32 v6, off, off offset:148
	;; [unrolled: 1-line block ×4, first 2 shown]
	scratch_load_b64 v[38:39], off, off offset:28
	scratch_load_b32 v39, off, off offset:36
	scratch_load_b32 v41, off, off offset:48
	;; [unrolled: 1-line block ×5, first 2 shown]
	scratch_load_b64 v[50:51], off, off offset:96
	scratch_load_b32 v47, off, off offset:104
	scratch_load_b32 v20, off, off offset:108
	scratch_load_b64 v[51:52], off, off offset:112
	scratch_load_b32 v52, off, off offset:120
.LBB212_6:                              ;   in Loop: Header=BB212_7 Depth=1
	s_add_i32 s18, s18, 1
	s_delay_alu instid0(SALU_CYCLE_1)
	s_cmp_eq_u32 s18, s4
	s_cbranch_scc1 .LBB212_24
.LBB212_7:                              ; =>This Loop Header: Depth=1
                                        ;     Child Loop BB212_14 Depth 2
                                        ;     Child Loop BB212_22 Depth 2
	s_mul_i32 s6, s18, 0x90
	s_mul_hi_u32 s17, s18, 0x90
	s_add_u32 s16, s19, s6
	s_addc_u32 s17, s20, s17
	s_lshl_b32 s6, s18, 8
	v_mad_u64_u32 v[0:1], null, 0x90, v7, s[16:17]
	s_waitcnt vmcnt(16)
	v_mad_i64_i32 v[97:98], null, 0x90, v56, s[16:17]
	s_cmp_lt_i32 s6, s5
	s_delay_alu instid0(VALU_DEP_2) | instskip(NEXT) | instid1(VALU_DEP_3)
	v_add_co_u32 v0, vcc_lo, v0, v33
	v_add_co_ci_u32_e32 v1, vcc_lo, 0, v1, vcc_lo
	s_delay_alu instid0(VALU_DEP_2) | instskip(NEXT) | instid1(VALU_DEP_2)
	v_add_co_u32 v0, vcc_lo, v0, 16
	v_add_co_ci_u32_e32 v1, vcc_lo, 0, v1, vcc_lo
	s_delay_alu instid0(VALU_DEP_1)
	v_mad_i64_i32 v[2:3], null, 0x90, v9, v[0:1]
	v_mad_i64_i32 v[23:24], null, 0x90, v11, v[0:1]
	;; [unrolled: 1-line block ×8, first 2 shown]
	s_clause 0x7
	global_load_b32 v99, v[2:3], off
	global_load_b32 v100, v[23:24], off
	;; [unrolled: 1-line block ×8, first 2 shown]
	v_add_co_u32 v31, vcc_lo, v97, 4
	s_waitcnt vmcnt(23)
	v_mad_i64_i32 v[25:26], null, 0x90, v58, s[16:17]
	v_add_co_ci_u32_e32 v32, vcc_lo, 0, v98, vcc_lo
	s_waitcnt vmcnt(22)
	v_add_co_u32 v29, vcc_lo, v31, v5
	v_mad_i64_i32 v[2:3], null, 0x90, v34, v[0:1]
	s_delay_alu instid0(VALU_DEP_3)
	v_add_co_ci_u32_e32 v30, vcc_lo, 0, v32, vcc_lo
	v_add_co_u32 v93, vcc_lo, v25, 4
	v_add_co_ci_u32_e32 v94, vcc_lo, 0, v26, vcc_lo
	s_waitcnt vmcnt(21)
	v_add_co_u32 v25, vcc_lo, v31, v6
	v_add_co_ci_u32_e32 v26, vcc_lo, 0, v32, vcc_lo
	v_add_co_u32 v31, vcc_lo, v93, v5
	v_add_co_ci_u32_e32 v32, vcc_lo, 0, v94, vcc_lo
	;; [unrolled: 2-line block ×3, first 2 shown]
	s_clause 0x2
	global_load_b32 v97, v[29:30], off
	global_load_b32 v98, v[25:26], off
	;; [unrolled: 1-line block ×3, first 2 shown]
	s_waitcnt vmcnt(20)
	v_mad_i64_i32 v[23:24], null, 0x90, v39, v[0:1]
	s_waitcnt vmcnt(19)
	v_mad_i64_i32 v[27:28], null, 0x90, v41, v[0:1]
	global_load_b32 v108, v[93:94], off
	s_waitcnt vmcnt(19)
	v_mad_i64_i32 v[25:26], null, 0x90, v43, v[0:1]
	s_waitcnt vmcnt(18)
	v_mad_i64_i32 v[29:30], null, 0x90, v45, v[0:1]
	;; [unrolled: 2-line block ×6, first 2 shown]
	s_clause 0x8
	global_load_b32 v2, v[2:3], off
	global_load_b32 v3, v[23:24], off
	;; [unrolled: 1-line block ×9, first 2 shown]
	s_waitcnt vmcnt(20)
	ds_store_b32 v10, v99
	s_waitcnt vmcnt(19)
	ds_store_b32 v12, v100
	s_waitcnt vmcnt(18)
	ds_store_b32 v14, v101
	s_waitcnt vmcnt(17)
	ds_store_b32 v16, v102
	s_waitcnt vmcnt(16)
	ds_store_b32 v36, v103
	s_waitcnt vmcnt(15)
	ds_store_b32 v57, v104
	s_waitcnt vmcnt(14)
	ds_store_b32 v83, v105
	s_waitcnt vmcnt(13)
	ds_store_b32 v37, v106
	s_waitcnt vmcnt(8)
	ds_store_b32 v38, v2
	s_waitcnt vmcnt(7)
	ds_store_b32 v40, v3
	s_waitcnt vmcnt(6)
	ds_store_b32 v42, v23
	s_waitcnt vmcnt(5)
	ds_store_b32 v44, v24
	s_waitcnt vmcnt(4)
	ds_store_b32 v46, v25
	s_waitcnt vmcnt(3)
	ds_store_b32 v49, v26
	v_ashrrev_i32_e32 v1, v54, v97
	v_ashrrev_i32_e32 v29, v54, v107
	;; [unrolled: 1-line block ×4, first 2 shown]
	s_delay_alu instid0(VALU_DEP_4) | instskip(NEXT) | instid1(VALU_DEP_4)
	v_and_b32_e32 v1, 0xf0f0f0f, v1
	v_and_b32_e32 v29, 0xf0f0f0f, v29
	s_delay_alu instid0(VALU_DEP_2) | instskip(NEXT) | instid1(VALU_DEP_2)
	v_and_or_b32 v1, 0x30303030, v30, v1
	v_and_or_b32 v2, 0x30303030, v31, v29
	s_waitcnt vmcnt(2)
	ds_store_b32 v50, v27
	s_waitcnt vmcnt(1)
	ds_store_b32 v51, v28
	;; [unrolled: 2-line block ×3, first 2 shown]
	ds_store_b32 v21, v1
	ds_store_b32 v22, v2
	s_cbranch_scc0 .LBB212_6
; %bb.8:                                ;   in Loop: Header=BB212_7 Depth=1
	s_lshl_b32 s16, s18, 3
	s_delay_alu instid0(SALU_CYCLE_1) | instskip(NEXT) | instid1(VALU_DEP_1)
	v_add_nc_u32_e32 v0, s16, v63
	v_cmp_gt_i32_e32 vcc_lo, s8, v0
	s_and_b32 s21, s1, vcc_lo
	s_delay_alu instid0(SALU_CYCLE_1)
	s_and_saveexec_b32 s17, s21
	s_cbranch_execz .LBB212_10
; %bb.9:                                ;   in Loop: Header=BB212_7 Depth=1
	s_clause 0x1
	scratch_load_b32 v1, off, off offset:16
	scratch_load_b64 v[5:6], off, off offset:164
	s_waitcnt vmcnt(1)
	v_add_nc_u32_e32 v2, v1, v0
	s_waitcnt vmcnt(0)
	s_delay_alu instid0(VALU_DEP_1)
	v_mad_i64_i32 v[0:1], null, v2, 36, v[5:6]
	global_load_b32 v0, v[0:1], off offset:4
	scratch_load_b32 v1, off, off offset:172 ; 4-byte Folded Reload
	s_waitcnt vmcnt(0)
	ds_store_b32 v1, v0
.LBB212_10:                             ;   in Loop: Header=BB212_7 Depth=1
	s_or_b32 exec_lo, exec_lo, s17
	v_mov_b32_e32 v58, v53
	v_mov_b32_e32 v20, v8
	v_mov_b32_e32 v18, v36
	v_mov_b32_e32 v8, v33
	s_and_saveexec_b32 s17, s0
	s_cbranch_execz .LBB212_13
; %bb.11:                               ;   in Loop: Header=BB212_7 Depth=1
	scratch_load_b32 v0, off, off offset:160 ; 4-byte Folded Reload
	s_waitcnt vmcnt(0)
	v_or_b32_e32 v0, s16, v0
	s_delay_alu instid0(VALU_DEP_1) | instskip(SKIP_1) | instid1(SALU_CYCLE_1)
	v_cmp_gt_i32_e32 vcc_lo, s8, v0
	s_and_b32 s21, s1, vcc_lo
	s_and_b32 exec_lo, exec_lo, s21
	s_cbranch_execz .LBB212_13
; %bb.12:                               ;   in Loop: Header=BB212_7 Depth=1
	scratch_load_b32 v1, off, off offset:16 ; 4-byte Folded Reload
	s_waitcnt vmcnt(0)
	v_add_nc_u32_e32 v2, v1, v0
	s_delay_alu instid0(VALU_DEP_1)
	v_mad_i64_i32 v[0:1], null, v2, 36, s[2:3]
	global_load_b32 v0, v[0:1], off
	scratch_load_b32 v1, off, off offset:192 ; 4-byte Folded Reload
	s_waitcnt vmcnt(0)
	ds_store_b32 v1, v0
.LBB212_13:                             ;   in Loop: Header=BB212_7 Depth=1
	s_or_b32 exec_lo, exec_lo, s17
	s_waitcnt lgkmcnt(0)
	s_waitcnt_vscnt null, 0x0
	s_barrier
	buffer_gl0_inv
	s_clause 0x2
	scratch_load_b32 v0, off, off
	scratch_load_b32 v1, off, off offset:4
	scratch_load_b32 v2, off, off offset:8
	s_mov_b32 s22, 0
	s_mov_b32 s17, -1
	s_waitcnt vmcnt(2)
	ds_load_b32 v0, v0
	s_waitcnt vmcnt(1)
	ds_load_b32 v1, v1 offset:128
	s_waitcnt vmcnt(0)
	ds_load_b32 v24, v2 offset:256
	scratch_load_b32 v2, off, off offset:12 ; 4-byte Folded Reload
	s_waitcnt lgkmcnt(1)
	v_cvt_f32_f16_e32 v3, v1
	v_lshrrev_b32_e32 v1, 16, v1
	s_waitcnt lgkmcnt(0)
	v_lshrrev_b32_e32 v27, 16, v24
	v_cvt_f32_f16_e32 v23, v24
	s_delay_alu instid0(VALU_DEP_3) | instskip(NEXT) | instid1(VALU_DEP_3)
	v_cvt_f32_f16_e32 v26, v1
	v_cvt_f32_f16_e32 v27, v27
	s_waitcnt vmcnt(0)
	ds_load_b32 v25, v2 offset:384
	v_cvt_f32_f16_e32 v2, v0
	v_lshrrev_b32_e32 v0, 16, v0
	s_waitcnt lgkmcnt(0)
	v_lshrrev_b32_e32 v28, 16, v25
	v_cvt_f32_f16_e32 v24, v25
	s_delay_alu instid0(VALU_DEP_3) | instskip(NEXT) | instid1(VALU_DEP_3)
	v_cvt_f32_f16_e32 v25, v0
	v_cvt_f32_f16_e32 v28, v28
.LBB212_14:                             ;   Parent Loop BB212_7 Depth=1
                                        ; =>  This Inner Loop Header: Depth=2
	s_lshr_b32 s21, s22, 2
	v_lshl_or_b32 v0, s22, 1, v48
	s_lshl_b32 s22, s22, 2
	v_lshlrev_b32_e32 v1, 2, v63
	v_lshlrev_b32_e32 v29, 2, v4
	v_add_nc_u32_e32 v30, s22, v70
	s_addk_i32 s21, 0x4200
	v_add_nc_u32_e32 v31, s22, v71
	v_add_nc_u32_e32 v102, s22, v72
	v_add_nc_u32_e32 v32, s22, v73
	v_add3_u32 v103, s21, v79, v92
	v_add3_u32 v143, s21, v81, v87
	;; [unrolled: 1-line block ×3, first 2 shown]
	v_lshlrev_b32_e32 v110, 2, v0
	v_add3_u32 v29, s21, v1, v29
	v_lshrrev_b32_e32 v145, 1, v0
	ds_load_2addr_b32 v[0:1], v30 offset1:1
	ds_load_2addr_b32 v[96:97], v30 offset0:2 offset1:3
	ds_load_2addr_b32 v[119:120], v30 offset0:4 offset1:5
	;; [unrolled: 1-line block ×3, first 2 shown]
	ds_load_2addr_b32 v[98:99], v102 offset1:1
	ds_load_2addr_b32 v[123:124], v102 offset0:2 offset1:3
	ds_load_2addr_b32 v[100:101], v31 offset1:1
	ds_load_2addr_b32 v[125:126], v32 offset0:2 offset1:3
	ds_load_2addr_b32 v[127:128], v32 offset0:4 offset1:5
	;; [unrolled: 1-line block ×7, first 2 shown]
	ds_load_u8 v95, v143 offset:9
	ds_load_u8 v93, v144 offset:9
	;; [unrolled: 1-line block ×3, first 2 shown]
	ds_load_2addr_b32 v[139:140], v32 offset1:1
	ds_load_u16 v32, v144
	ds_load_u8 v94, v103 offset:8
	ds_load_u16 v30, v103
	ds_load_2addr_b32 v[141:142], v102 offset0:6 offset1:7
	ds_load_b128 v[102:105], v110 offset:19008
	ds_load_b128 v[106:109], v110 offset:19024
	;; [unrolled: 1-line block ×4, first 2 shown]
	s_waitcnt lgkmcnt(21)
	v_and_b32_e32 v148, 15, v98
	v_and_b32_e32 v149, 15, v1
	v_ashrrev_i32_e32 v155, 4, v1
	v_bfe_u32 v174, v1, 8, 4
	v_bfe_u32 v185, v1, 16, 4
	;; [unrolled: 1-line block ×3, first 2 shown]
	v_and_b32_e32 v151, 15, v99
	v_bfe_u32 v162, v98, 8, 4
	s_waitcnt lgkmcnt(20)
	v_and_b32_e32 v163, 15, v123
	v_and_b32_e32 v146, 15, v0
	s_waitcnt lgkmcnt(19)
	v_and_b32_e32 v147, 15, v100
	s_waitcnt lgkmcnt(8)
	v_and_b32_e32 v86, 15, v139
	v_and_b32_e32 v150, 15, v101
	v_ashrrev_i32_e32 v152, 4, v0
	v_ashrrev_i32_e32 v153, 4, v100
	;; [unrolled: 1-line block ×3, first 2 shown]
	s_waitcnt lgkmcnt(3)
	v_bfe_i32 v1, v102, 0, 8
	v_bfe_i32 v248, v102, 8, 8
	;; [unrolled: 1-line block ×4, first 2 shown]
	v_and_b32_e32 v164, 15, v125
	v_mul_i32_i24_e32 v148, v148, v1
	v_mul_i32_i24_e32 v162, v162, v248
	v_and_b32_e32 v5, 15, v140
	v_mul_i32_i24_e32 v163, v163, v255
	v_mul_i32_i24_e32 v146, v146, v1
	v_mad_i32_i24 v148, v151, v251, v148
	v_mul_i32_i24_e32 v147, v147, v1
	v_mul_i32_i24_e32 v1, v86, v1
	v_ashrrev_i32_e32 v86, 4, v139
	v_ashrrev_i32_e32 v165, 4, v96
	v_add3_u32 v148, v148, v163, v162
	v_bfe_u32 v162, v139, 8, 4
	s_waitcnt lgkmcnt(1)
	v_bfe_i32 v44, v111, 0, 8
	v_mad_i32_i24 v146, v149, v251, v146
	v_mad_i32_i24 v147, v150, v251, v147
	v_and_b32_e32 v150, 15, v152
	v_and_b32_e32 v151, 15, v153
	v_mad_i32_i24 v1, v5, v251, v1
	v_and_b32_e32 v5, 15, v154
	v_and_b32_e32 v251, 15, v86
	v_mul_i32_i24_e32 v162, v162, v248
	v_mul_i32_i24_e32 v164, v164, v255
	v_bfe_i32 v76, v105, 0, 8
	v_bfe_i32 v77, v105, 8, 8
	;; [unrolled: 1-line block ×3, first 2 shown]
	v_ashrrev_i32_e32 v61, 24, v105
	v_bfe_i32 v34, v108, 0, 8
	v_bfe_i32 v37, v108, 8, 8
	;; [unrolled: 1-line block ×3, first 2 shown]
	v_ashrrev_i32_e32 v39, 24, v108
	v_bfe_i32 v45, v111, 8, 8
	v_bfe_i32 v47, v112, 0, 8
	;; [unrolled: 1-line block ×4, first 2 shown]
	v_ashrrev_i32_e32 v105, 24, v112
	v_bfe_i32 v112, v113, 0, 8
	v_mul_i32_i24_e32 v150, v150, v44
	v_mul_i32_i24_e32 v151, v151, v44
	;; [unrolled: 1-line block ×4, first 2 shown]
	v_and_b32_e32 v251, 15, v155
	v_add3_u32 v162, v1, v164, v162
	v_bfe_u32 v1, v152, 8, 4
	v_and_b32_e32 v164, 15, v165
	v_ashrrev_i32_e32 v156, 4, v101
	v_ashrrev_i32_e32 v166, 4, v129
	v_mad_i32_i24 v150, v251, v47, v150
	v_mul_i32_i24_e32 v1, v1, v45
	v_mul_i32_i24_e32 v164, v164, v112
	v_and_b32_e32 v251, 15, v156
	v_ashrrev_i32_e32 v157, 4, v99
	v_ashrrev_i32_e32 v167, 4, v123
	;; [unrolled: 1-line block ×3, first 2 shown]
	v_add3_u32 v150, v150, v164, v1
	v_bfe_u32 v1, v153, 8, 4
	v_and_b32_e32 v164, 15, v166
	v_mad_i32_i24 v151, v251, v47, v151
	v_and_b32_e32 v251, 15, v157
	v_ashrrev_i32_e32 v149, 4, v140
	v_mul_i32_i24_e32 v1, v1, v45
	v_mul_i32_i24_e32 v164, v164, v112
	v_bfe_u32 v158, v0, 8, 4
	v_mad_i32_i24 v5, v251, v47, v5
	v_and_b32_e32 v159, 15, v96
	v_and_b32_e32 v251, 15, v149
	v_add3_u32 v151, v151, v164, v1
	v_bfe_u32 v1, v154, 8, 4
	v_and_b32_e32 v164, 15, v167
	v_bfe_u32 v169, v0, 16, 4
	v_bfe_u32 v0, v0, 24, 4
	v_bfe_i32 v249, v102, 16, 8
	v_mul_i32_i24_e32 v1, v1, v45
	v_mul_i32_i24_e32 v164, v164, v112
	v_ashrrev_i32_e32 v250, 24, v102
	v_mad_i32_i24 v44, v251, v47, v44
	v_mul_i32_i24_e32 v158, v158, v248
	v_mul_i32_i24_e32 v159, v159, v255
	v_add3_u32 v5, v5, v164, v1
	v_and_b32_e32 v1, 15, v168
	v_bfe_u32 v170, v100, 16, 4
	v_bfe_u32 v171, v100, 24, 4
	;; [unrolled: 1-line block ×3, first 2 shown]
	v_add3_u32 v146, v146, v159, v158
	v_mul_i32_i24_e32 v1, v1, v112
	v_bfe_u32 v112, v86, 8, 4
	v_mul_i32_i24_e32 v0, v0, v250
	v_bfe_i32 v46, v111, 16, 8
	v_ashrrev_i32_e32 v111, 24, v111
	v_bfe_u32 v160, v100, 8, 4
	v_mul_i32_i24_e32 v45, v112, v45
	ds_load_u16 v112, v143
	ds_load_u8 v143, v143 offset:8
	ds_load_u8 v144, v144 offset:8
	v_and_b32_e32 v161, 15, v129
	v_and_b32_e32 v175, 15, v97
	v_bfe_i32 v252, v103, 8, 8
	v_add3_u32 v44, v44, v1, v45
	v_bfe_u32 v45, v139, 16, 4
	v_mul_i32_i24_e32 v1, v169, v249
	v_bfe_u32 v139, v139, 24, 4
	v_ashrrev_i32_e32 v181, 4, v97
	v_ashrrev_i32_e32 v182, 4, v130
	v_mul_i32_i24_e32 v45, v45, v249
	v_add3_u32 v146, v146, v1, v0
	ds_load_b64 v[0:1], v145 offset:20560
	v_mul_i32_i24_e32 v145, v170, v249
	v_mul_i32_i24_e32 v170, v171, v250
	;; [unrolled: 1-line block ×3, first 2 shown]
	v_bfe_u32 v249, v153, 16, 4
	v_bfe_u32 v153, v153, 24, 4
	v_mul_i32_i24_e32 v139, v139, v250
	v_ashrrev_i32_e32 v183, 4, v124
	v_ashrrev_i32_e32 v184, 4, v126
	v_mul_i32_i24_e32 v249, v249, v46
	v_mul_i32_i24_e32 v153, v153, v111
	v_add3_u32 v45, v162, v45, v139
	v_bfe_u32 v162, v152, 16, 4
	v_mul_i32_i24_e32 v160, v160, v248
	v_mul_i32_i24_e32 v161, v161, v255
	v_add3_u32 v151, v151, v249, v153
	v_bfe_u32 v153, v154, 16, 4
	v_bfe_u32 v154, v154, 24, 4
	;; [unrolled: 1-line block ×3, first 2 shown]
	v_mul_i32_i24_e32 v162, v162, v46
	v_mul_i32_i24_e32 v174, v174, v252
	;; [unrolled: 1-line block ×5, first 2 shown]
	v_bfe_u32 v173, v98, 24, 4
	v_bfe_u32 v176, v101, 8, 4
	v_and_b32_e32 v177, 15, v130
	v_add3_u32 v5, v5, v153, v154
	v_bfe_u32 v154, v86, 16, 4
	v_bfe_u32 v86, v86, 24, 4
	v_bfe_i32 v52, v114, 0, 8
	v_add3_u32 v147, v147, v161, v160
	v_mul_i32_i24_e32 v152, v152, v111
	v_mul_i32_i24_e32 v46, v154, v46
	v_mul_i32_i24_e32 v86, v86, v111
	v_and_b32_e32 v153, 15, v181
	v_and_b32_e32 v111, 15, v182
	v_add3_u32 v146, v146, v175, v174
	v_and_b32_e32 v174, 15, v184
	v_add3_u32 v44, v44, v46, v86
	v_and_b32_e32 v86, 15, v183
	v_bfe_u32 v178, v99, 8, 4
	v_and_b32_e32 v179, 15, v124
	v_and_b32_e32 v180, 15, v126
	v_bfe_u32 v187, v101, 16, 4
	v_bfe_u32 v188, v101, 24, 4
	v_bfe_i32 v253, v103, 16, 8
	v_ashrrev_i32_e32 v254, 24, v103
	v_bfe_u32 v169, v140, 8, 4
	v_add3_u32 v145, v147, v145, v170
	v_mul_i32_i24_e32 v172, v173, v250
	v_bfe_u32 v249, v155, 8, 4
	v_bfe_u32 v154, v156, 8, 4
	;; [unrolled: 1-line block ×3, first 2 shown]
	v_mul_i32_i24_e32 v176, v176, v252
	v_mul_i32_i24_e32 v177, v177, v76
	;; [unrolled: 1-line block ×6, first 2 shown]
	v_bfe_u32 v174, v149, 8, 4
	v_bfe_u32 v189, v99, 16, 4
	;; [unrolled: 1-line block ×3, first 2 shown]
	v_and_b32_e32 v192, 15, v119
	v_bfe_u32 v193, v129, 8, 4
	v_and_b32_e32 v194, 15, v131
	v_bfe_u32 v195, v123, 8, 4
	;; [unrolled: 2-line block ×3, first 2 shown]
	v_and_b32_e32 v198, 15, v127
	v_ashrrev_i32_e32 v199, 4, v119
	v_ashrrev_i32_e32 v200, 4, v131
	;; [unrolled: 1-line block ×4, first 2 shown]
	v_bfe_u32 v203, v96, 16, 4
	v_bfe_u32 v204, v96, 24, 4
	;; [unrolled: 1-line block ×12, first 2 shown]
	v_and_b32_e32 v212, 15, v120
	v_bfe_u32 v213, v130, 8, 4
	v_and_b32_e32 v214, 15, v132
	v_bfe_u32 v215, v124, 8, 4
	;; [unrolled: 2-line block ×4, first 2 shown]
	v_bfe_u32 v119, v119, 24, 4
	v_bfe_u32 v221, v120, 8, 4
	;; [unrolled: 1-line block ×6, first 2 shown]
	v_and_b32_e32 v229, 15, v122
	v_bfe_u32 v230, v122, 8, 4
	v_bfe_u32 v231, v126, 16, 4
	v_bfe_u32 v126, v126, 24, 4
	v_bfe_u32 v232, v122, 16, 4
	v_bfe_u32 v233, v122, 24, 4
	v_ashrrev_i32_e32 v96, 4, v122
	v_bfe_u32 v122, v131, 8, 4
	v_bfe_u32 v234, v131, 16, 4
	;; [unrolled: 1-line block ×6, first 2 shown]
	v_and_b32_e32 v244, 15, v134
	v_bfe_u32 v245, v134, 8, 4
	v_bfe_u32 v246, v134, 16, 4
	;; [unrolled: 1-line block ×3, first 2 shown]
	v_ashrrev_i32_e32 v97, 4, v134
	v_bfe_u32 v134, v135, 16, 4
	v_bfe_u32 v135, v135, 24, 4
	v_bfe_i32 v74, v104, 8, 8
	v_bfe_i32 v62, v104, 16, 8
	v_ashrrev_i32_e32 v75, 24, v104
	v_bfe_i32 v33, v106, 0, 8
	v_bfe_i32 v69, v106, 8, 8
	v_bfe_i32 v64, v106, 16, 8
	v_ashrrev_i32_e32 v66, 24, v106
	v_bfe_i32 v67, v107, 0, 8
	;; [unrolled: 4-line block ×3, first 2 shown]
	v_bfe_i32 v41, v109, 8, 8
	v_bfe_i32 v42, v109, 16, 8
	v_ashrrev_i32_e32 v43, 24, v109
	s_waitcnt lgkmcnt(4)
	v_bfe_i32 v109, v117, 0, 8
	v_bfe_i32 v107, v117, 8, 8
	;; [unrolled: 1-line block ×3, first 2 shown]
	v_ashrrev_i32_e32 v104, 24, v117
	v_bfe_u32 v117, v136, 8, 4
	v_bfe_u32 v47, v127, 16, 4
	;; [unrolled: 1-line block ×4, first 2 shown]
	v_and_b32_e32 v163, 15, v138
	v_bfe_u32 v6, v140, 16, 4
	v_add3_u32 v148, v148, v171, v172
	v_and_b32_e32 v173, 15, v142
	v_add3_u32 v150, v150, v162, v152
	v_add3_u32 v145, v145, v177, v176
	v_mul_i32_i24_e32 v178, v178, v252
	v_mul_i32_i24_e32 v179, v179, v76
	;; [unrolled: 1-line block ×12, first 2 shown]
	v_bfe_u32 v190, v99, 24, 4
	v_ashrrev_i32_e32 v220, 4, v120
	v_ashrrev_i32_e32 v110, 4, v132
	;; [unrolled: 1-line block ×4, first 2 shown]
	v_bfe_u32 v222, v120, 16, 4
	v_bfe_u32 v120, v120, 24, 4
	;; [unrolled: 1-line block ×4, first 2 shown]
	v_bfe_i32 v53, v114, 8, 8
	v_bfe_i32 v54, v114, 16, 8
	v_ashrrev_i32_e32 v114, 24, v114
	v_bfe_i32 v36, v115, 0, 8
	v_bfe_i32 v55, v115, 8, 8
	;; [unrolled: 1-line block ×6, first 2 shown]
	v_ashrrev_i32_e32 v98, 24, v118
	v_bfe_u32 v118, v136, 16, 4
	v_bfe_u32 v136, v136, 24, 4
	;; [unrolled: 1-line block ×6, first 2 shown]
	v_add3_u32 v148, v148, v179, v178
	v_and_b32_e32 v179, 15, v199
	v_and_b32_e32 v180, 15, v200
	v_add3_u32 v45, v45, v76, v169
	v_and_b32_e32 v169, 15, v201
	v_add3_u32 v150, v150, v153, v249
	v_and_b32_e32 v249, 15, v202
	v_bfe_u32 v174, v181, 8, 4
	v_add3_u32 v44, v44, v52, v49
	v_bfe_u32 v52, v182, 8, 4
	v_add3_u32 v146, v146, v185, v186
	v_bfe_u32 v186, v183, 8, 4
	v_add3_u32 v145, v145, v187, v188
	v_bfe_u32 v188, v184, 8, 4
	v_mul_i32_i24_e32 v189, v189, v253
	v_mul_i32_i24_e32 v6, v6, v253
	v_bfe_u32 v253, v181, 16, 4
	v_bfe_u32 v181, v181, 24, 4
	v_mul_i32_i24_e32 v191, v191, v74
	v_mul_i32_i24_e32 v193, v193, v74
	v_mul_i32_i24_e32 v195, v195, v74
	v_mul_i32_i24_e32 v74, v197, v74
	v_bfe_u32 v197, v182, 16, 4
	v_bfe_u32 v182, v182, 24, 4
	v_mul_i32_i24_e32 v192, v192, v33
	v_mul_i32_i24_e32 v194, v194, v33
	;; [unrolled: 6-line block ×4, first 2 shown]
	v_mul_i32_i24_e32 v123, v123, v75
	v_mul_i32_i24_e32 v75, v125, v75
	v_bfe_u32 v125, v199, 8, 4
	v_mul_i32_i24_e32 v212, v212, v67
	v_mul_i32_i24_e32 v214, v214, v67
	v_mul_i32_i24_e32 v216, v216, v67
	v_mul_i32_i24_e32 v67, v218, v67
	v_bfe_u32 v218, v200, 8, 4
	v_mul_i32_i24_e32 v210, v210, v61
	v_mul_i32_i24_e32 v130, v130, v61
	;; [unrolled: 5-line block ×7, first 2 shown]
	v_mul_i32_i24_e32 v173, v173, v40
	v_mul_i32_i24_e32 v40, v163, v40
	v_bfe_u32 v163, v202, 16, 4
	v_bfe_i32 v59, v116, 0, 8
	v_bfe_i32 v60, v116, 8, 8
	;; [unrolled: 1-line block ×3, first 2 shown]
	v_ashrrev_i32_e32 v116, 24, v116
	v_and_b32_e32 v49, 15, v220
	v_and_b32_e32 v185, 15, v110
	;; [unrolled: 1-line block ×4, first 2 shown]
	v_mul_i32_i24_e32 v222, v222, v21
	v_mul_i32_i24_e32 v236, v236, v21
	v_mul_i32_i24_e32 v118, v118, v21
	v_mul_i32_i24_e32 v21, v159, v21
	v_bfe_u32 v159, v220, 8, 4
	v_mul_i32_i24_e32 v120, v120, v22
	v_mul_i32_i24_e32 v132, v132, v22
	v_mul_i32_i24_e32 v136, v136, v22
	v_mul_i32_i24_e32 v22, v128, v22
	v_bfe_u32 v128, v220, 16, 4
	v_bfe_u32 v220, v220, 24, 4
	v_mul_i32_i24_e32 v232, v232, v42
	v_mul_i32_i24_e32 v246, v246, v42
	v_mul_i32_i24_e32 v152, v152, v42
	v_mul_i32_i24_e32 v42, v164, v42
	v_bfe_u32 v164, v110, 8, 4
	v_mul_i32_i24_e32 v179, v179, v36
	v_mul_i32_i24_e32 v180, v180, v36
	v_mul_i32_i24_e32 v169, v169, v36
	v_mul_i32_i24_e32 v36, v249, v36
	v_bfe_u32 v249, v110, 16, 4
	v_bfe_u32 v110, v110, 24, 4
	;; [unrolled: 11-line block ×4, first 2 shown]
	v_bfe_u32 v140, v140, 24, 4
	v_and_b32_e32 v223, 15, v121
	v_bfe_u32 v224, v121, 8, 4
	v_bfe_u32 v227, v121, 16, 4
	;; [unrolled: 1-line block ×3, first 2 shown]
	v_ashrrev_i32_e32 v121, 4, v121
	v_and_b32_e32 v237, 15, v133
	v_bfe_u32 v238, v133, 8, 4
	v_bfe_u32 v239, v133, 16, 4
	;; [unrolled: 1-line block ×3, first 2 shown]
	v_and_b32_e32 v243, 15, v137
	v_ashrrev_i32_e32 v133, 4, v133
	v_ashrrev_i32_e32 v251, 4, v137
	v_and_b32_e32 v147, 15, v141
	v_ashrrev_i32_e32 v170, 4, v141
	v_bfe_u32 v175, v155, 16, 4
	v_bfe_u32 v155, v155, 24, 4
	;; [unrolled: 1-line block ×6, first 2 shown]
	v_mul_i32_i24_e32 v220, v220, v116
	v_mul_i32_i24_e32 v110, v110, v116
	;; [unrolled: 1-line block ×4, first 2 shown]
	v_bfe_u32 v116, v149, 16, 4
	v_bfe_u32 v149, v149, 24, 4
	v_mul_i32_i24_e32 v190, v190, v254
	v_mul_i32_i24_e32 v140, v140, v254
	v_bfe_i32 v51, v113, 16, 8
	v_ashrrev_i32_e32 v115, 24, v115
	v_bfe_u32 v160, v137, 8, 4
	v_bfe_u32 v171, v141, 8, 4
	;; [unrolled: 1-line block ×4, first 2 shown]
	v_add3_u32 v111, v151, v111, v154
	v_bfe_u32 v151, v165, 16, 4
	v_bfe_u32 v154, v165, 24, 4
	v_bfe_u32 v165, v166, 16, 4
	v_add3_u32 v5, v5, v86, v46
	v_bfe_u32 v46, v167, 16, 4
	v_bfe_u32 v86, v167, 24, 4
	;; [unrolled: 1-line block ×3, first 2 shown]
	v_mul_i32_i24_e32 v208, v208, v77
	v_mul_i32_i24_e32 v213, v213, v77
	v_mul_i32_i24_e32 v215, v215, v77
	v_mul_i32_i24_e32 v77, v217, v77
	v_and_b32_e32 v217, 15, v121
	v_mul_i32_i24_e32 v209, v209, v65
	v_mul_i32_i24_e32 v225, v225, v65
	v_mul_i32_i24_e32 v226, v226, v65
	v_mul_i32_i24_e32 v65, v231, v65
	v_and_b32_e32 v231, 15, v133
	;; [unrolled: 5-line block ×3, first 2 shown]
	v_bfe_u32 v199, v199, 24, 4
	v_bfe_u32 v200, v200, 24, 4
	;; [unrolled: 1-line block ×4, first 2 shown]
	v_mul_i32_i24_e32 v155, v155, v105
	v_mul_i32_i24_e32 v156, v156, v105
	;; [unrolled: 1-line block ×4, first 2 shown]
	v_and_b32_e32 v149, 15, v170
	v_bfe_i32 v50, v113, 8, 8
	v_bfe_u32 v250, v166, 8, 4
	v_bfe_u32 v153, v168, 8, 4
	v_mul_i32_i24_e32 v175, v175, v108
	v_mul_i32_i24_e32 v176, v176, v108
	;; [unrolled: 1-line block ×4, first 2 shown]
	v_add3_u32 v148, v148, v189, v190
	v_add3_u32 v6, v45, v6, v140
	v_ashrrev_i32_e32 v113, 24, v113
	v_bfe_u32 v161, v137, 16, 4
	v_bfe_u32 v172, v141, 16, 4
	;; [unrolled: 1-line block ×4, first 2 shown]
	v_mul_i32_i24_e32 v224, v224, v37
	v_mul_i32_i24_e32 v238, v238, v37
	v_mul_i32_i24_e32 v171, v171, v37
	v_mul_i32_i24_e32 v37, v160, v37
	v_bfe_u32 v160, v121, 8, 4
	v_mul_i32_i24_e32 v151, v151, v51
	v_mul_i32_i24_e32 v165, v165, v51
	v_mul_i32_i24_e32 v46, v46, v51
	v_mul_i32_i24_e32 v51, v167, v51
	v_bfe_u32 v167, v133, 8, 4
	;; [unrolled: 5-line block ×4, first 2 shown]
	v_mul_i32_i24_e32 v178, v178, v50
	v_mul_i32_i24_e32 v250, v250, v50
	;; [unrolled: 1-line block ×4, first 2 shown]
	v_add3_u32 v45, v150, v175, v155
	v_add3_u32 v111, v111, v176, v156
	;; [unrolled: 1-line block ×8, first 2 shown]
	v_bfe_u32 v137, v137, 24, 4
	v_bfe_u32 v248, v138, 8, 4
	;; [unrolled: 1-line block ×3, first 2 shown]
	v_ashrrev_i32_e32 v138, 4, v138
	v_bfe_u32 v141, v141, 24, 4
	v_bfe_u32 v139, v142, 8, 4
	;; [unrolled: 1-line block ×3, first 2 shown]
	v_ashrrev_i32_e32 v142, 4, v142
	v_mul_i32_i24_e32 v227, v227, v38
	v_mul_i32_i24_e32 v239, v239, v38
	v_mul_i32_i24_e32 v172, v172, v38
	v_mul_i32_i24_e32 v38, v161, v38
	v_bfe_u32 v161, v121, 16, 4
	v_bfe_u32 v121, v121, 24, 4
	v_mul_i32_i24_e32 v154, v154, v113
	v_mul_i32_i24_e32 v166, v166, v113
	v_mul_i32_i24_e32 v86, v86, v113
	v_mul_i32_i24_e32 v113, v168, v113
	v_bfe_u32 v168, v133, 16, 4
	v_bfe_u32 v133, v133, 24, 4
	;; [unrolled: 6-line block ×4, first 2 shown]
	v_add3_u32 v33, v45, v179, v178
	v_add3_u32 v45, v111, v180, v250
	;; [unrolled: 1-line block ×8, first 2 shown]
	v_mul_i32_i24_e32 v228, v228, v39
	v_mul_i32_i24_e32 v240, v240, v39
	;; [unrolled: 1-line block ×4, first 2 shown]
	v_and_b32_e32 v137, 15, v96
	v_and_b32_e32 v254, 15, v97
	v_mul_i32_i24_e32 v128, v128, v85
	v_mul_i32_i24_e32 v249, v249, v85
	v_mul_i32_i24_e32 v184, v184, v85
	v_mul_i32_i24_e32 v85, v163, v85
	v_and_b32_e32 v163, 15, v138
	v_mul_i32_i24_e32 v121, v121, v104
	v_mul_i32_i24_e32 v133, v133, v104
	v_mul_i32_i24_e32 v251, v251, v104
	v_mul_i32_i24_e32 v104, v170, v104
	;; [unrolled: 5-line block ×3, first 2 shown]
	v_mul_i32_i24_e32 v49, v49, v59
	v_mul_i32_i24_e32 v185, v185, v59
	;; [unrolled: 1-line block ×4, first 2 shown]
	v_add3_u32 v33, v33, v151, v154
	v_add3_u32 v45, v45, v165, v166
	;; [unrolled: 1-line block ×8, first 2 shown]
	v_mul_i32_i24_e32 v230, v230, v41
	v_mul_i32_i24_e32 v245, v245, v41
	;; [unrolled: 1-line block ×4, first 2 shown]
	v_bfe_u32 v248, v96, 8, 4
	v_bfe_u32 v188, v97, 8, 4
	;; [unrolled: 1-line block ×3, first 2 shown]
	v_mul_i32_i24_e32 v137, v137, v103
	v_mul_i32_i24_e32 v254, v254, v103
	v_mul_i32_i24_e32 v163, v163, v103
	v_mul_i32_i24_e32 v103, v170, v103
	v_bfe_u32 v170, v142, 8, 4
	v_add3_u32 v33, v33, v49, v174
	v_add3_u32 v45, v45, v185, v52
	;; [unrolled: 1-line block ×8, first 2 shown]
	v_bfe_u32 v153, v96, 16, 4
	v_bfe_u32 v252, v97, 16, 4
	v_mul_i32_i24_e32 v161, v161, v106
	v_mul_i32_i24_e32 v168, v168, v106
	;; [unrolled: 1-line block ×4, first 2 shown]
	v_bfe_u32 v149, v138, 16, 4
	v_mul_i32_i24_e32 v248, v248, v102
	v_mul_i32_i24_e32 v188, v188, v102
	;; [unrolled: 1-line block ×4, first 2 shown]
	v_bfe_u32 v170, v142, 16, 4
	v_bfe_u32 v96, v96, 24, 4
	;; [unrolled: 1-line block ×5, first 2 shown]
	v_add3_u32 v33, v33, v253, v181
	v_add3_u32 v45, v45, v197, v182
	;; [unrolled: 1-line block ×8, first 2 shown]
	v_mul_i32_i24_e32 v153, v153, v100
	v_mul_i32_i24_e32 v252, v252, v100
	;; [unrolled: 1-line block ×4, first 2 shown]
	ds_load_u16 v170, v29
	v_mul_i32_i24_e32 v96, v96, v98
	v_mul_i32_i24_e32 v97, v97, v98
	;; [unrolled: 1-line block ×4, first 2 shown]
	ds_load_u8 v142, v29 offset:8
	ds_load_u8 v29, v29 offset:9
	v_add3_u32 v33, v33, v217, v125
	v_add3_u32 v34, v45, v231, v218
	;; [unrolled: 1-line block ×24, first 2 shown]
	s_waitcnt lgkmcnt(5)
	v_cvt_f32_ubyte0_e32 v143, v143
	s_waitcnt lgkmcnt(4)
	v_cvt_f32_ubyte0_e32 v144, v144
	v_cvt_f32_ubyte0_e32 v94, v94
	s_waitcnt lgkmcnt(1)
	v_cvt_f32_ubyte0_e32 v142, v142
	v_add3_u32 v21, v33, v128, v220
	v_add3_u32 v22, v34, v249, v110
	;; [unrolled: 1-line block ×8, first 2 shown]
	v_mul_i32_i24_e32 v233, v233, v43
	v_mul_i32_i24_e32 v247, v247, v43
	;; [unrolled: 1-line block ×4, first 2 shown]
	v_cvt_f32_ubyte0_e32 v95, v95
	v_fma_mix_f32 v143, v0, v143, 0 op_sel:[1,0,0] op_sel_hi:[1,0,0]
	v_cvt_f32_ubyte0_e32 v93, v93
	v_fma_mix_f32 v144, v0, v144, 0 op_sel:[1,0,0] op_sel_hi:[1,0,0]
	;; [unrolled: 2-line block ×3, first 2 shown]
	s_waitcnt lgkmcnt(0)
	v_cvt_f32_ubyte0_e32 v29, v29
	v_fma_mix_f32 v142, v0, v142, 0 op_sel:[1,0,0] op_sel_hi:[1,0,0]
	v_add3_u32 v21, v21, v160, v161
	v_add3_u32 v22, v22, v167, v168
	v_add3_u32 v5, v5, v107, v106
	v_add3_u32 v33, v33, v202, v242
	v_add3_u32 v34, v34, v228, v230
	v_add3_u32 v36, v36, v240, v245
	v_add3_u32 v37, v40, v141, v139
	v_add3_u32 v6, v6, v39, v41
	v_fma_mix_f32 v95, v1, v95, v143 op_sel:[1,0,0] op_sel_hi:[1,0,0]
	v_lshrrev_b16 v143, 8, v112
	v_and_b32_e32 v112, 0xff, v112
	v_fma_mix_f32 v93, v1, v93, v144 op_sel:[1,0,0] op_sel_hi:[1,0,0]
	v_lshrrev_b16 v144, 8, v32
	v_and_b32_e32 v32, 0xff, v32
	;; [unrolled: 3-line block ×4, first 2 shown]
	v_add3_u32 v21, v21, v121, v248
	v_add3_u32 v22, v22, v133, v188
	;; [unrolled: 1-line block ×8, first 2 shown]
	v_and_b32_e32 v143, 0xffff, v143
	v_and_b32_e32 v144, 0xffff, v144
	v_and_b32_e32 v94, 0xffff, v94
	v_and_b32_e32 v142, 0xffff, v142
	v_add3_u32 v21, v21, v153, v96
	v_add3_u32 v22, v22, v252, v97
	;; [unrolled: 1-line block ×4, first 2 shown]
	v_mul_lo_u32 v34, v34, v170
	v_mul_lo_u32 v36, v36, v112
	;; [unrolled: 1-line block ×8, first 2 shown]
	v_cvt_f32_i32_e32 v33, v34
	v_cvt_f32_i32_e32 v34, v36
	;; [unrolled: 1-line block ×8, first 2 shown]
	v_fma_mix_f32 v33, v0, v33, 0 op_sel_hi:[1,0,0]
	v_fma_mix_f32 v34, v0, v34, 0 op_sel_hi:[1,0,0]
	;; [unrolled: 1-line block ×4, first 2 shown]
	v_mul_f32_e32 v95, v95, v26
	v_mul_f32_e32 v93, v93, v27
	v_dual_mul_f32 v31, v31, v28 :: v_dual_mul_f32 v6, v29, v25
	v_fma_mix_f32 v21, v1, v21, v33 op_sel_hi:[1,0,0]
	v_fma_mix_f32 v22, v1, v22, v34 op_sel_hi:[1,0,0]
	v_fma_mix_f32 v5, v1, v5, v32 op_sel_hi:[1,0,0]
	v_fma_mix_f32 v0, v1, v30, v0 op_sel_hi:[1,0,0]
	s_mov_b32 s22, 8
	v_fma_f32 v1, v21, v2, -v6
	v_fma_f32 v6, v22, v3, -v95
	;; [unrolled: 1-line block ×4, first 2 shown]
	s_and_b32 vcc_lo, exec_lo, s17
	v_add_f32_e32 v35, v35, v1
	s_delay_alu instid0(VALU_DEP_3) | instskip(NEXT) | instid1(VALU_DEP_3)
	v_dual_add_f32 v89, v89, v6 :: v_dual_add_f32 v90, v90, v5
	v_add_f32_e32 v91, v91, v0
	s_mov_b32 s17, 0
	s_cbranch_vccnz .LBB212_14
; %bb.15:                               ;   in Loop: Header=BB212_7 Depth=1
	s_bitset1_b32 s6, 7
	s_delay_alu instid0(SALU_CYCLE_1)
	s_cmp_ge_i32 s6, s5
	s_barrier
	buffer_gl0_inv
	s_cbranch_scc1 .LBB212_4
; %bb.16:                               ;   in Loop: Header=BB212_7 Depth=1
	scratch_load_b32 v0, off, off offset:176 ; 4-byte Folded Reload
	s_waitcnt vmcnt(0)
	v_add_nc_u32_e32 v0, s16, v0
	s_delay_alu instid0(VALU_DEP_1)
	v_cmp_gt_i32_e32 vcc_lo, s8, v0
	s_and_b32 s17, s1, vcc_lo
	s_mov_b32 s6, exec_lo
	v_mov_b32_e32 v53, v58
	s_clause 0x3
	scratch_load_b32 v54, off, off offset:128
	scratch_load_b32 v55, off, off offset:132
	;; [unrolled: 1-line block ×4, first 2 shown]
	s_and_b32 s17, s6, s17
	s_delay_alu instid0(SALU_CYCLE_1)
	s_mov_b32 exec_lo, s17
	s_cbranch_execz .LBB212_18
; %bb.17:                               ;   in Loop: Header=BB212_7 Depth=1
	s_clause 0x1
	scratch_load_b32 v1, off, off offset:16
	scratch_load_b64 v[5:6], off, off offset:164
	s_waitcnt vmcnt(1)
	v_add_nc_u32_e32 v2, v1, v0
	s_waitcnt vmcnt(0)
	s_delay_alu instid0(VALU_DEP_1)
	v_mad_i64_i32 v[0:1], null, v2, 36, v[5:6]
	global_load_b32 v0, v[0:1], off offset:4
	scratch_load_b32 v1, off, off offset:172 ; 4-byte Folded Reload
	s_waitcnt vmcnt(0)
	ds_store_b32 v1, v0
.LBB212_18:                             ;   in Loop: Header=BB212_7 Depth=1
	s_or_b32 exec_lo, exec_lo, s6
	s_and_saveexec_b32 s6, s0
	s_cbranch_execz .LBB212_21
; %bb.19:                               ;   in Loop: Header=BB212_7 Depth=1
	scratch_load_b32 v0, off, off offset:160 ; 4-byte Folded Reload
	s_waitcnt vmcnt(0)
	v_or_b32_e32 v0, s16, v0
	s_delay_alu instid0(VALU_DEP_1) | instskip(NEXT) | instid1(VALU_DEP_1)
	v_or_b32_e32 v1, 4, v0
	v_cmp_gt_i32_e32 vcc_lo, s8, v1
	s_and_b32 s16, s1, vcc_lo
	s_delay_alu instid0(SALU_CYCLE_1)
	s_and_b32 exec_lo, exec_lo, s16
	s_cbranch_execz .LBB212_21
; %bb.20:                               ;   in Loop: Header=BB212_7 Depth=1
	scratch_load_b32 v2, off, off offset:16 ; 4-byte Folded Reload
	v_ashrrev_i32_e32 v1, 31, v0
	s_waitcnt vmcnt(0)
	v_add_co_u32 v2, vcc_lo, v2, v0
	scratch_load_b32 v0, off, off offset:196 ; 4-byte Folded Reload
	s_waitcnt vmcnt(0)
	v_add_co_ci_u32_e32 v3, vcc_lo, v0, v1, vcc_lo
	v_mad_u64_u32 v[0:1], null, v2, 36, s[14:15]
	s_delay_alu instid0(VALU_DEP_1)
	v_mad_i32_i24 v1, v3, 36, v1
	global_load_b32 v0, v[0:1], off
	scratch_load_b32 v1, off, off offset:192 ; 4-byte Folded Reload
	s_waitcnt vmcnt(0)
	ds_store_b32 v1, v0
.LBB212_21:                             ;   in Loop: Header=BB212_7 Depth=1
	s_or_b32 exec_lo, exec_lo, s6
	s_waitcnt vmcnt(0) lgkmcnt(0)
	s_barrier
	buffer_gl0_inv
	s_clause 0x3
	scratch_load_b32 v0, off, off
	scratch_load_b32 v1, off, off offset:4
	scratch_load_b32 v2, off, off offset:8
	;; [unrolled: 1-line block ×3, first 2 shown]
	s_mov_b32 s6, 16
	s_mov_b32 s16, 0
	;; [unrolled: 1-line block ×3, first 2 shown]
	s_waitcnt vmcnt(3)
	ds_load_b32 v0, v0
	s_waitcnt vmcnt(2)
	ds_load_b32 v1, v1 offset:128
	s_waitcnt vmcnt(1)
	ds_load_b32 v2, v2 offset:256
	;; [unrolled: 2-line block ×3, first 2 shown]
	s_clause 0x2
	scratch_load_b32 v93, off, off offset:188
	scratch_load_b32 v94, off, off offset:184
	;; [unrolled: 1-line block ×3, first 2 shown]
	s_waitcnt lgkmcnt(3)
	v_cvt_f32_f16_e32 v95, v0
	v_lshrrev_b32_e32 v0, 16, v0
	s_waitcnt lgkmcnt(2)
	v_cvt_f32_f16_e32 v96, v1
	v_lshrrev_b32_e32 v1, 16, v1
	;; [unrolled: 3-line block ×3, first 2 shown]
	s_waitcnt lgkmcnt(0)
	v_lshrrev_b32_e32 v5, 16, v3
	v_cvt_f32_f16_e32 v98, v3
	v_cvt_f32_f16_e32 v99, v0
	;; [unrolled: 1-line block ×5, first 2 shown]
.LBB212_22:                             ;   Parent Loop BB212_7 Depth=1
                                        ; =>  This Inner Loop Header: Depth=2
	s_waitcnt vmcnt(2)
	ds_load_b128 v[0:3], v93
	ds_load_b128 v[23:26], v93 offset:16
	v_add_nc_u32_e32 v167, s16, v78
	s_lshr_b32 s21, s6, 2
	s_waitcnt vmcnt(0)
	v_add_nc_u32_e32 v22, 0x2108, v103
	s_and_b32 s21, s21, 0x3ffffffc
	v_add_nc_u32_e32 v30, 0x2110, v103
	v_add3_u32 v168, v81, s21, v167
	v_add3_u32 v33, v79, s21, v167
	v_add_nc_u32_e32 v40, 0x3198, v103
	s_add_i32 s22, s17, 8
	s_add_i32 s17, s17, 16
	;; [unrolled: 1-line block ×4, first 2 shown]
	s_cmp_lt_u32 s17, 24
	s_mov_b32 s17, s22
	s_waitcnt lgkmcnt(1)
	v_bfe_i32 v29, v0, 0, 8
	v_bfe_i32 v27, v0, 8, 8
	v_bfe_i32 v157, v0, 16, 8
	v_ashrrev_i32_e32 v156, 24, v0
	v_bfe_i32 v28, v1, 0, 8
	v_bfe_i32 v152, v1, 8, 8
	v_bfe_i32 v148, v1, 16, 8
	v_ashrrev_i32_e32 v149, 24, v1
	v_bfe_i32 v162, v2, 0, 8
	v_bfe_i32 v144, v2, 8, 8
	v_bfe_i32 v141, v2, 16, 8
	v_ashrrev_i32_e32 v140, 24, v2
	v_bfe_i32 v154, v3, 0, 8
	v_bfe_i32 v136, v3, 8, 8
	v_bfe_i32 v134, v3, 16, 8
	v_ashrrev_i32_e32 v135, 24, v3
	s_waitcnt lgkmcnt(0)
	v_bfe_i32 v146, v23, 0, 8
	v_bfe_i32 v128, v23, 8, 8
	v_bfe_i32 v125, v23, 16, 8
	v_ashrrev_i32_e32 v124, 24, v23
	v_bfe_i32 v138, v24, 0, 8
	v_bfe_i32 v120, v24, 8, 8
	v_bfe_i32 v116, v24, 16, 8
	v_ashrrev_i32_e32 v117, 24, v24
	;; [unrolled: 4-line block ×4, first 2 shown]
	ds_load_b128 v[0:3], v93 offset:32
	ds_load_b128 v[23:26], v93 offset:48
	v_add_nc_u32_e32 v93, 64, v93
	s_waitcnt lgkmcnt(1)
	v_bfe_i32 v164, v0, 0, 8
	v_bfe_i32 v160, v0, 8, 8
	v_bfe_i32 v159, v0, 16, 8
	v_ashrrev_i32_e32 v158, 24, v0
	v_bfe_i32 v163, v1, 0, 8
	v_bfe_i32 v153, v1, 8, 8
	v_bfe_i32 v151, v1, 16, 8
	v_ashrrev_i32_e32 v150, 24, v1
	;; [unrolled: 4-line block ×4, first 2 shown]
	s_waitcnt lgkmcnt(0)
	v_bfe_i32 v147, v23, 0, 8
	v_bfe_i32 v129, v23, 8, 8
	v_bfe_i32 v127, v23, 16, 8
	v_ashrrev_i32_e32 v126, 24, v23
	v_bfe_i32 v139, v24, 0, 8
	v_bfe_i32 v121, v24, 8, 8
	v_bfe_i32 v119, v24, 16, 8
	v_ashrrev_i32_e32 v118, 24, v24
	;; [unrolled: 4-line block ×4, first 2 shown]
	ds_load_2addr_b32 v[2:3], v103 offset1:1
	ds_load_2addr_b32 v[0:1], v103 offset0:2 offset1:3
	ds_load_2addr_b32 v[23:24], v103 offset0:4 offset1:5
	ds_load_b64 v[25:26], v94
	ds_load_u16 v165, v168 offset:17416
	v_add_nc_u32_e32 v94, 8, v94
	s_waitcnt lgkmcnt(4)
	v_and_b32_e32 v5, 15, v2
	v_and_b32_e32 v6, 15, v3
	s_waitcnt lgkmcnt(3)
	v_and_b32_e32 v21, 15, v0
	v_ashrrev_i32_e32 v36, 4, v2
	v_ashrrev_i32_e32 v37, 4, v3
	v_mul_i32_i24_e32 v5, v5, v29
	v_ashrrev_i32_e32 v38, 4, v0
	v_mul_i32_i24_e32 v21, v21, v162
	v_and_b32_e32 v50, 15, v1
	s_delay_alu instid0(VALU_DEP_4) | instskip(SKIP_1) | instid1(VALU_DEP_3)
	v_mad_i32_i24 v5, v6, v28, v5
	v_bfe_u32 v6, v2, 8, 4
	v_mul_i32_i24_e32 v50, v50, v154
	s_delay_alu instid0(VALU_DEP_2) | instskip(NEXT) | instid1(VALU_DEP_1)
	v_mul_i32_i24_e32 v6, v6, v27
	v_add3_u32 v5, v5, v21, v6
	v_add_nc_u32_e32 v6, 0x1080, v103
	v_add_nc_u32_e32 v21, 0x2100, v103
	ds_load_2addr_b32 v[170:171], v6 offset1:1
	ds_load_2addr_b32 v[172:173], v21 offset1:1
	v_add3_u32 v21, v80, s21, v167
	ds_load_2addr_b32 v[174:175], v22 offset1:1
	ds_load_2addr_b32 v[31:32], v30 offset1:1
	ds_load_u16 v166, v21 offset:17928
	v_add_nc_u32_e32 v30, 0x3180, v103
	ds_load_u16 v169, v33 offset:18440
	ds_load_2addr_b32 v[176:177], v30 offset1:1
	s_waitcnt lgkmcnt(6)
	v_and_b32_e32 v6, 15, v170
	s_waitcnt lgkmcnt(5)
	v_and_b32_e32 v22, 15, v172
	v_ashrrev_i32_e32 v45, 4, v171
	v_ashrrev_i32_e32 v41, 4, v172
	v_mul_i32_i24_e32 v6, v6, v29
	s_delay_alu instid0(VALU_DEP_4) | instskip(NEXT) | instid1(VALU_DEP_4)
	v_mul_i32_i24_e32 v22, v22, v29
	v_and_b32_e32 v46, 15, v45
	s_delay_alu instid0(VALU_DEP_4) | instskip(SKIP_3) | instid1(VALU_DEP_3)
	v_and_b32_e32 v42, 15, v41
	s_waitcnt lgkmcnt(0)
	v_and_b32_e32 v30, 15, v176
	v_ashrrev_i32_e32 v43, 4, v176
	v_mul_i32_i24_e32 v42, v42, v164
	s_delay_alu instid0(VALU_DEP_3) | instskip(SKIP_1) | instid1(VALU_DEP_4)
	v_mul_i32_i24_e32 v29, v30, v29
	v_and_b32_e32 v30, 15, v171
	v_and_b32_e32 v44, 15, v43
	s_delay_alu instid0(VALU_DEP_2) | instskip(SKIP_1) | instid1(VALU_DEP_3)
	v_mad_i32_i24 v6, v30, v28, v6
	v_and_b32_e32 v30, 15, v173
	v_mul_i32_i24_e32 v44, v44, v164
	s_delay_alu instid0(VALU_DEP_2) | instskip(SKIP_1) | instid1(VALU_DEP_1)
	v_mad_i32_i24 v22, v30, v28, v22
	v_and_b32_e32 v30, 15, v177
	v_mad_i32_i24 v34, v30, v28, v29
	v_bfe_u32 v28, v2, 16, 4
	v_bfe_u32 v29, v2, 24, 4
	v_and_b32_e32 v2, 15, v36
	v_add_nc_u32_e32 v30, 0x1098, v103
	s_delay_alu instid0(VALU_DEP_4) | instskip(NEXT) | instid1(VALU_DEP_4)
	v_mul_i32_i24_e32 v28, v28, v157
	v_mul_i32_i24_e32 v29, v29, v156
	s_delay_alu instid0(VALU_DEP_4) | instskip(NEXT) | instid1(VALU_DEP_2)
	v_mul_i32_i24_e32 v2, v2, v164
	v_add3_u32 v5, v5, v28, v29
	v_and_b32_e32 v28, 15, v37
	v_and_b32_e32 v29, 15, v38
	s_delay_alu instid0(VALU_DEP_2) | instskip(SKIP_1) | instid1(VALU_DEP_3)
	v_mad_i32_i24 v2, v28, v163, v2
	v_bfe_u32 v28, v36, 8, 4
	v_mul_i32_i24_e32 v29, v29, v161
	s_delay_alu instid0(VALU_DEP_2) | instskip(NEXT) | instid1(VALU_DEP_1)
	v_mul_i32_i24_e32 v28, v28, v160
	v_add3_u32 v39, v2, v29, v28
	v_add_nc_u32_e32 v28, 0x1088, v103
	v_add_nc_u32_e32 v29, 0x1090, v103
	ds_load_u16 v2, v21 offset:17920
	ds_load_2addr_b32 v[178:179], v28 offset1:1
	ds_load_2addr_b32 v[180:181], v29 offset1:1
	;; [unrolled: 1-line block ×3, first 2 shown]
	v_bfe_u32 v21, v170, 8, 4
	s_delay_alu instid0(VALU_DEP_1) | instskip(SKIP_2) | instid1(VALU_DEP_1)
	v_mul_i32_i24_e32 v21, v21, v27
	s_waitcnt lgkmcnt(2)
	v_and_b32_e32 v28, 15, v178
	v_mul_i32_i24_e32 v28, v28, v162
	s_delay_alu instid0(VALU_DEP_1) | instskip(SKIP_2) | instid1(VALU_DEP_2)
	v_add3_u32 v6, v6, v28, v21
	v_bfe_u32 v21, v172, 8, 4
	v_and_b32_e32 v28, 15, v174
	v_mul_i32_i24_e32 v21, v21, v27
	s_delay_alu instid0(VALU_DEP_2) | instskip(NEXT) | instid1(VALU_DEP_1)
	v_mul_i32_i24_e32 v28, v28, v162
	v_add3_u32 v21, v22, v28, v21
	v_bfe_u32 v22, v176, 8, 4
	v_add_nc_u32_e32 v28, 0x3190, v103
	s_delay_alu instid0(VALU_DEP_2)
	v_mul_i32_i24_e32 v22, v22, v27
	v_add_nc_u32_e32 v27, 0x3188, v103
	ds_load_2addr_b32 v[182:183], v27 offset1:1
	ds_load_2addr_b32 v[184:185], v28 offset1:1
	;; [unrolled: 1-line block ×3, first 2 shown]
	ds_load_u16 v33, v33 offset:18432
	s_waitcnt lgkmcnt(3)
	v_and_b32_e32 v40, 15, v182
	s_delay_alu instid0(VALU_DEP_1) | instskip(NEXT) | instid1(VALU_DEP_1)
	v_mul_i32_i24_e32 v40, v40, v162
	v_add3_u32 v22, v34, v40, v22
	v_ashrrev_i32_e32 v34, 4, v170
	s_delay_alu instid0(VALU_DEP_1) | instskip(NEXT) | instid1(VALU_DEP_1)
	v_and_b32_e32 v40, 15, v34
	v_mul_i32_i24_e32 v40, v40, v164
	s_delay_alu instid0(VALU_DEP_1) | instskip(SKIP_1) | instid1(VALU_DEP_1)
	v_mad_i32_i24 v40, v46, v163, v40
	v_ashrrev_i32_e32 v46, 4, v173
	v_and_b32_e32 v47, 15, v46
	s_delay_alu instid0(VALU_DEP_1) | instskip(SKIP_1) | instid1(VALU_DEP_1)
	v_mad_i32_i24 v42, v47, v163, v42
	v_ashrrev_i32_e32 v47, 4, v177
	v_and_b32_e32 v49, 15, v47
	s_delay_alu instid0(VALU_DEP_1) | instskip(SKIP_1) | instid1(VALU_DEP_1)
	v_mad_i32_i24 v44, v49, v163, v44
	v_bfe_u32 v49, v3, 8, 4
	v_mul_i32_i24_e32 v49, v49, v152
	s_delay_alu instid0(VALU_DEP_1) | instskip(SKIP_2) | instid1(VALU_DEP_2)
	v_add3_u32 v5, v5, v50, v49
	v_bfe_u32 v49, v36, 16, 4
	v_bfe_u32 v36, v36, 24, 4
	v_mul_i32_i24_e32 v49, v49, v159
	s_delay_alu instid0(VALU_DEP_2) | instskip(NEXT) | instid1(VALU_DEP_1)
	v_mul_i32_i24_e32 v36, v36, v158
	v_add3_u32 v36, v39, v49, v36
	v_bfe_u32 v39, v170, 16, 4
	v_bfe_u32 v49, v170, 24, 4
	s_delay_alu instid0(VALU_DEP_2) | instskip(NEXT) | instid1(VALU_DEP_2)
	v_mul_i32_i24_e32 v39, v39, v157
	v_mul_i32_i24_e32 v49, v49, v156
	s_delay_alu instid0(VALU_DEP_1) | instskip(SKIP_2) | instid1(VALU_DEP_2)
	v_add3_u32 v6, v6, v39, v49
	v_ashrrev_i32_e32 v49, 4, v178
	v_bfe_u32 v39, v34, 8, 4
	v_and_b32_e32 v50, 15, v49
	s_delay_alu instid0(VALU_DEP_2) | instskip(NEXT) | instid1(VALU_DEP_2)
	v_mul_i32_i24_e32 v39, v39, v160
	v_mul_i32_i24_e32 v50, v50, v161
	s_delay_alu instid0(VALU_DEP_1) | instskip(SKIP_2) | instid1(VALU_DEP_2)
	v_add3_u32 v39, v40, v50, v39
	v_bfe_u32 v40, v172, 16, 4
	v_bfe_u32 v50, v172, 24, 4
	v_mul_i32_i24_e32 v40, v40, v157
	s_delay_alu instid0(VALU_DEP_2) | instskip(NEXT) | instid1(VALU_DEP_1)
	v_mul_i32_i24_e32 v50, v50, v156
	v_add3_u32 v21, v21, v40, v50
	v_ashrrev_i32_e32 v50, 4, v174
	v_bfe_u32 v40, v41, 8, 4
	s_delay_alu instid0(VALU_DEP_2) | instskip(NEXT) | instid1(VALU_DEP_2)
	v_and_b32_e32 v51, 15, v50
	v_mul_i32_i24_e32 v40, v40, v160
	s_delay_alu instid0(VALU_DEP_2) | instskip(NEXT) | instid1(VALU_DEP_1)
	v_mul_i32_i24_e32 v51, v51, v161
	v_add3_u32 v40, v42, v51, v40
	v_bfe_u32 v42, v176, 16, 4
	v_bfe_u32 v51, v176, 24, 4
	s_delay_alu instid0(VALU_DEP_2) | instskip(NEXT) | instid1(VALU_DEP_2)
	v_mul_i32_i24_e32 v42, v42, v157
	v_mul_i32_i24_e32 v51, v51, v156
	s_delay_alu instid0(VALU_DEP_1) | instskip(SKIP_2) | instid1(VALU_DEP_2)
	v_add3_u32 v22, v22, v42, v51
	v_ashrrev_i32_e32 v51, 4, v182
	v_bfe_u32 v42, v43, 8, 4
	v_and_b32_e32 v52, 15, v51
	s_delay_alu instid0(VALU_DEP_2) | instskip(NEXT) | instid1(VALU_DEP_2)
	v_mul_i32_i24_e32 v42, v42, v160
	v_mul_i32_i24_e32 v52, v52, v161
	s_delay_alu instid0(VALU_DEP_1) | instskip(SKIP_2) | instid1(VALU_DEP_2)
	v_add3_u32 v42, v44, v52, v42
	v_bfe_u32 v44, v3, 16, 4
	v_bfe_u32 v3, v3, 24, 4
	v_mul_i32_i24_e32 v44, v44, v148
	s_delay_alu instid0(VALU_DEP_2) | instskip(NEXT) | instid1(VALU_DEP_1)
	v_mul_i32_i24_e32 v3, v3, v149
	v_add3_u32 v3, v5, v44, v3
	v_ashrrev_i32_e32 v44, 4, v1
	v_bfe_u32 v5, v37, 8, 4
	s_delay_alu instid0(VALU_DEP_2) | instskip(NEXT) | instid1(VALU_DEP_2)
	v_and_b32_e32 v52, 15, v44
	v_mul_i32_i24_e32 v5, v5, v153
	s_delay_alu instid0(VALU_DEP_2) | instskip(NEXT) | instid1(VALU_DEP_1)
	v_mul_i32_i24_e32 v52, v52, v155
	v_add3_u32 v5, v36, v52, v5
	v_bfe_u32 v36, v171, 8, 4
	v_and_b32_e32 v52, 15, v179
	s_delay_alu instid0(VALU_DEP_2) | instskip(NEXT) | instid1(VALU_DEP_2)
	v_mul_i32_i24_e32 v36, v36, v152
	v_mul_i32_i24_e32 v52, v52, v154
	s_delay_alu instid0(VALU_DEP_1) | instskip(SKIP_2) | instid1(VALU_DEP_2)
	v_add3_u32 v6, v6, v52, v36
	v_bfe_u32 v36, v34, 16, 4
	v_bfe_u32 v34, v34, 24, 4
	v_mul_i32_i24_e32 v36, v36, v159
	s_delay_alu instid0(VALU_DEP_2) | instskip(NEXT) | instid1(VALU_DEP_1)
	v_mul_i32_i24_e32 v34, v34, v158
	v_add3_u32 v34, v39, v36, v34
	v_bfe_u32 v36, v173, 8, 4
	v_and_b32_e32 v39, 15, v175
	s_delay_alu instid0(VALU_DEP_2) | instskip(NEXT) | instid1(VALU_DEP_2)
	v_mul_i32_i24_e32 v36, v36, v152
	v_mul_i32_i24_e32 v39, v39, v154
	s_delay_alu instid0(VALU_DEP_1) | instskip(SKIP_3) | instid1(VALU_DEP_3)
	v_add3_u32 v21, v21, v39, v36
	v_bfe_u32 v36, v41, 16, 4
	v_bfe_u32 v39, v41, 24, 4
	v_and_b32_e32 v41, 15, v23
	v_mul_i32_i24_e32 v36, v36, v159
	s_delay_alu instid0(VALU_DEP_3) | instskip(NEXT) | instid1(VALU_DEP_3)
	v_mul_i32_i24_e32 v39, v39, v158
	v_mul_i32_i24_e32 v41, v41, v146
	s_delay_alu instid0(VALU_DEP_2) | instskip(SKIP_2) | instid1(VALU_DEP_2)
	v_add3_u32 v36, v40, v36, v39
	v_bfe_u32 v39, v177, 8, 4
	v_and_b32_e32 v40, 15, v183
	v_mul_i32_i24_e32 v39, v39, v152
	s_delay_alu instid0(VALU_DEP_2) | instskip(NEXT) | instid1(VALU_DEP_1)
	v_mul_i32_i24_e32 v40, v40, v154
	v_add3_u32 v22, v22, v40, v39
	v_bfe_u32 v39, v43, 16, 4
	v_bfe_u32 v40, v43, 24, 4
	s_delay_alu instid0(VALU_DEP_2) | instskip(NEXT) | instid1(VALU_DEP_2)
	v_mul_i32_i24_e32 v39, v39, v159
	v_mul_i32_i24_e32 v40, v40, v158
	s_delay_alu instid0(VALU_DEP_1) | instskip(SKIP_1) | instid1(VALU_DEP_1)
	v_add3_u32 v39, v42, v39, v40
	v_bfe_u32 v40, v0, 8, 4
	v_mul_i32_i24_e32 v40, v40, v144
	s_delay_alu instid0(VALU_DEP_1) | instskip(SKIP_2) | instid1(VALU_DEP_2)
	v_add3_u32 v3, v3, v41, v40
	v_bfe_u32 v40, v37, 16, 4
	v_bfe_u32 v37, v37, 24, 4
	v_mul_i32_i24_e32 v40, v40, v151
	s_delay_alu instid0(VALU_DEP_2) | instskip(NEXT) | instid1(VALU_DEP_1)
	v_mul_i32_i24_e32 v37, v37, v150
	v_add3_u32 v5, v5, v40, v37
	v_bfe_u32 v37, v171, 16, 4
	v_bfe_u32 v40, v171, 24, 4
	s_delay_alu instid0(VALU_DEP_2) | instskip(NEXT) | instid1(VALU_DEP_2)
	v_mul_i32_i24_e32 v37, v37, v148
	v_mul_i32_i24_e32 v40, v40, v149
	s_delay_alu instid0(VALU_DEP_1) | instskip(SKIP_2) | instid1(VALU_DEP_2)
	v_add3_u32 v6, v6, v37, v40
	v_ashrrev_i32_e32 v40, 4, v179
	v_bfe_u32 v37, v45, 8, 4
	v_and_b32_e32 v41, 15, v40
	s_delay_alu instid0(VALU_DEP_2) | instskip(NEXT) | instid1(VALU_DEP_2)
	v_mul_i32_i24_e32 v37, v37, v153
	v_mul_i32_i24_e32 v41, v41, v155
	s_delay_alu instid0(VALU_DEP_1) | instskip(SKIP_2) | instid1(VALU_DEP_2)
	v_add3_u32 v34, v34, v41, v37
	v_bfe_u32 v37, v173, 16, 4
	v_bfe_u32 v41, v173, 24, 4
	v_mul_i32_i24_e32 v37, v37, v148
	s_delay_alu instid0(VALU_DEP_2) | instskip(NEXT) | instid1(VALU_DEP_1)
	v_mul_i32_i24_e32 v41, v41, v149
	v_add3_u32 v21, v21, v37, v41
	v_ashrrev_i32_e32 v41, 4, v175
	v_bfe_u32 v37, v46, 8, 4
	s_delay_alu instid0(VALU_DEP_2) | instskip(NEXT) | instid1(VALU_DEP_2)
	v_and_b32_e32 v42, 15, v41
	v_mul_i32_i24_e32 v37, v37, v153
	s_delay_alu instid0(VALU_DEP_2) | instskip(NEXT) | instid1(VALU_DEP_1)
	v_mul_i32_i24_e32 v42, v42, v155
	v_add3_u32 v36, v36, v42, v37
	v_bfe_u32 v37, v177, 16, 4
	v_bfe_u32 v42, v177, 24, 4
	s_delay_alu instid0(VALU_DEP_2) | instskip(NEXT) | instid1(VALU_DEP_2)
	v_mul_i32_i24_e32 v37, v37, v148
	v_mul_i32_i24_e32 v42, v42, v149
	s_delay_alu instid0(VALU_DEP_1) | instskip(SKIP_2) | instid1(VALU_DEP_2)
	v_add3_u32 v22, v22, v37, v42
	v_ashrrev_i32_e32 v42, 4, v183
	v_bfe_u32 v37, v47, 8, 4
	v_and_b32_e32 v43, 15, v42
	s_delay_alu instid0(VALU_DEP_2) | instskip(NEXT) | instid1(VALU_DEP_2)
	v_mul_i32_i24_e32 v37, v37, v153
	v_mul_i32_i24_e32 v43, v43, v155
	s_delay_alu instid0(VALU_DEP_1) | instskip(SKIP_2) | instid1(VALU_DEP_2)
	v_add3_u32 v37, v39, v43, v37
	v_bfe_u32 v39, v0, 16, 4
	v_bfe_u32 v0, v0, 24, 4
	v_mul_i32_i24_e32 v39, v39, v141
	s_delay_alu instid0(VALU_DEP_2) | instskip(NEXT) | instid1(VALU_DEP_1)
	v_mul_i32_i24_e32 v0, v0, v140
	v_add3_u32 v0, v3, v39, v0
	v_ashrrev_i32_e32 v39, 4, v23
	v_bfe_u32 v3, v38, 8, 4
	s_delay_alu instid0(VALU_DEP_2) | instskip(NEXT) | instid1(VALU_DEP_2)
	v_and_b32_e32 v43, 15, v39
	v_mul_i32_i24_e32 v3, v3, v145
	s_delay_alu instid0(VALU_DEP_2) | instskip(NEXT) | instid1(VALU_DEP_1)
	v_mul_i32_i24_e32 v43, v43, v147
	v_add3_u32 v3, v5, v43, v3
	v_bfe_u32 v5, v178, 8, 4
	v_and_b32_e32 v43, 15, v180
	s_delay_alu instid0(VALU_DEP_2) | instskip(NEXT) | instid1(VALU_DEP_2)
	v_mul_i32_i24_e32 v5, v5, v144
	v_mul_i32_i24_e32 v43, v43, v146
	s_delay_alu instid0(VALU_DEP_1) | instskip(SKIP_2) | instid1(VALU_DEP_2)
	v_add3_u32 v5, v6, v43, v5
	v_bfe_u32 v6, v45, 16, 4
	v_bfe_u32 v43, v45, 24, 4
	v_mul_i32_i24_e32 v6, v6, v151
	s_delay_alu instid0(VALU_DEP_2) | instskip(NEXT) | instid1(VALU_DEP_1)
	v_mul_i32_i24_e32 v43, v43, v150
	v_add3_u32 v6, v34, v6, v43
	v_bfe_u32 v34, v174, 8, 4
	v_and_b32_e32 v43, 15, v31
	s_delay_alu instid0(VALU_DEP_2) | instskip(NEXT) | instid1(VALU_DEP_2)
	v_mul_i32_i24_e32 v34, v34, v144
	v_mul_i32_i24_e32 v43, v43, v146
	s_delay_alu instid0(VALU_DEP_1) | instskip(SKIP_2) | instid1(VALU_DEP_2)
	v_add3_u32 v21, v21, v43, v34
	v_bfe_u32 v34, v46, 16, 4
	v_bfe_u32 v43, v46, 24, 4
	v_mul_i32_i24_e32 v34, v34, v151
	s_delay_alu instid0(VALU_DEP_2) | instskip(NEXT) | instid1(VALU_DEP_1)
	v_mul_i32_i24_e32 v43, v43, v150
	v_add3_u32 v34, v36, v34, v43
	v_bfe_u32 v36, v182, 8, 4
	s_waitcnt lgkmcnt(2)
	v_and_b32_e32 v43, 15, v184
	s_delay_alu instid0(VALU_DEP_2) | instskip(NEXT) | instid1(VALU_DEP_2)
	v_mul_i32_i24_e32 v36, v36, v144
	v_mul_i32_i24_e32 v43, v43, v146
	s_delay_alu instid0(VALU_DEP_1) | instskip(SKIP_2) | instid1(VALU_DEP_2)
	v_add3_u32 v22, v22, v43, v36
	v_bfe_u32 v36, v47, 16, 4
	v_bfe_u32 v43, v47, 24, 4
	v_mul_i32_i24_e32 v36, v36, v151
	s_delay_alu instid0(VALU_DEP_2) | instskip(NEXT) | instid1(VALU_DEP_1)
	v_mul_i32_i24_e32 v43, v43, v150
	v_add3_u32 v36, v37, v36, v43
	v_bfe_u32 v37, v1, 8, 4
	v_and_b32_e32 v43, 15, v24
	s_delay_alu instid0(VALU_DEP_2) | instskip(NEXT) | instid1(VALU_DEP_2)
	v_mul_i32_i24_e32 v37, v37, v136
	v_mul_i32_i24_e32 v43, v43, v138
	s_delay_alu instid0(VALU_DEP_1) | instskip(SKIP_2) | instid1(VALU_DEP_2)
	v_add3_u32 v0, v0, v43, v37
	v_bfe_u32 v37, v38, 16, 4
	v_bfe_u32 v38, v38, 24, 4
	v_mul_i32_i24_e32 v37, v37, v143
	s_delay_alu instid0(VALU_DEP_2) | instskip(NEXT) | instid1(VALU_DEP_1)
	v_mul_i32_i24_e32 v38, v38, v142
	v_add3_u32 v3, v3, v37, v38
	v_bfe_u32 v37, v178, 16, 4
	v_bfe_u32 v38, v178, 24, 4
	s_delay_alu instid0(VALU_DEP_2) | instskip(NEXT) | instid1(VALU_DEP_2)
	v_mul_i32_i24_e32 v37, v37, v141
	v_mul_i32_i24_e32 v38, v38, v140
	s_delay_alu instid0(VALU_DEP_1) | instskip(SKIP_2) | instid1(VALU_DEP_2)
	v_add3_u32 v5, v5, v37, v38
	v_ashrrev_i32_e32 v38, 4, v180
	v_bfe_u32 v37, v49, 8, 4
	v_and_b32_e32 v43, 15, v38
	s_delay_alu instid0(VALU_DEP_2) | instskip(NEXT) | instid1(VALU_DEP_2)
	v_mul_i32_i24_e32 v37, v37, v145
	v_mul_i32_i24_e32 v43, v43, v147
	s_delay_alu instid0(VALU_DEP_1) | instskip(SKIP_2) | instid1(VALU_DEP_2)
	v_add3_u32 v6, v6, v43, v37
	v_bfe_u32 v37, v174, 16, 4
	v_bfe_u32 v43, v174, 24, 4
	v_mul_i32_i24_e32 v37, v37, v141
	s_delay_alu instid0(VALU_DEP_2) | instskip(NEXT) | instid1(VALU_DEP_1)
	v_mul_i32_i24_e32 v43, v43, v140
	v_add3_u32 v21, v21, v37, v43
	v_ashrrev_i32_e32 v43, 4, v31
	v_bfe_u32 v37, v50, 8, 4
	s_delay_alu instid0(VALU_DEP_2) | instskip(NEXT) | instid1(VALU_DEP_2)
	v_and_b32_e32 v45, 15, v43
	v_mul_i32_i24_e32 v37, v37, v145
	s_delay_alu instid0(VALU_DEP_2) | instskip(NEXT) | instid1(VALU_DEP_1)
	v_mul_i32_i24_e32 v45, v45, v147
	v_add3_u32 v34, v34, v45, v37
	v_bfe_u32 v37, v182, 16, 4
	v_bfe_u32 v45, v182, 24, 4
	s_delay_alu instid0(VALU_DEP_2) | instskip(NEXT) | instid1(VALU_DEP_2)
	v_mul_i32_i24_e32 v37, v37, v141
	v_mul_i32_i24_e32 v45, v45, v140
	s_delay_alu instid0(VALU_DEP_1) | instskip(SKIP_2) | instid1(VALU_DEP_2)
	v_add3_u32 v22, v22, v37, v45
	v_ashrrev_i32_e32 v45, 4, v184
	v_bfe_u32 v37, v51, 8, 4
	v_and_b32_e32 v46, 15, v45
	s_delay_alu instid0(VALU_DEP_2) | instskip(NEXT) | instid1(VALU_DEP_2)
	v_mul_i32_i24_e32 v37, v37, v145
	v_mul_i32_i24_e32 v46, v46, v147
	s_delay_alu instid0(VALU_DEP_1) | instskip(SKIP_3) | instid1(VALU_DEP_3)
	v_add3_u32 v36, v36, v46, v37
	v_bfe_u32 v37, v1, 16, 4
	v_bfe_u32 v1, v1, 24, 4
	v_ashrrev_i32_e32 v46, 4, v24
	v_mul_i32_i24_e32 v37, v37, v134
	s_delay_alu instid0(VALU_DEP_3) | instskip(NEXT) | instid1(VALU_DEP_1)
	v_mul_i32_i24_e32 v1, v1, v135
	v_add3_u32 v37, v0, v37, v1
	v_bfe_u32 v0, v44, 8, 4
	v_and_b32_e32 v1, 15, v46
	s_delay_alu instid0(VALU_DEP_2) | instskip(NEXT) | instid1(VALU_DEP_2)
	v_mul_i32_i24_e32 v0, v0, v137
	v_mul_i32_i24_e32 v1, v1, v139
	s_delay_alu instid0(VALU_DEP_1) | instskip(SKIP_2) | instid1(VALU_DEP_2)
	v_add3_u32 v3, v3, v1, v0
	v_bfe_u32 v0, v179, 8, 4
	v_and_b32_e32 v1, 15, v181
	v_mul_i32_i24_e32 v0, v0, v136
	s_delay_alu instid0(VALU_DEP_2) | instskip(NEXT) | instid1(VALU_DEP_1)
	v_mul_i32_i24_e32 v1, v1, v138
	v_add3_u32 v5, v5, v1, v0
	v_bfe_u32 v0, v49, 16, 4
	v_bfe_u32 v1, v49, 24, 4
	s_delay_alu instid0(VALU_DEP_2) | instskip(NEXT) | instid1(VALU_DEP_2)
	v_mul_i32_i24_e32 v0, v0, v143
	v_mul_i32_i24_e32 v1, v1, v142
	s_delay_alu instid0(VALU_DEP_1) | instskip(SKIP_2) | instid1(VALU_DEP_2)
	v_add3_u32 v6, v6, v0, v1
	v_bfe_u32 v0, v175, 8, 4
	v_and_b32_e32 v1, 15, v32
	v_mul_i32_i24_e32 v0, v0, v136
	s_delay_alu instid0(VALU_DEP_2) | instskip(NEXT) | instid1(VALU_DEP_1)
	v_mul_i32_i24_e32 v1, v1, v138
	v_add3_u32 v21, v21, v1, v0
	v_bfe_u32 v0, v50, 16, 4
	v_bfe_u32 v1, v50, 24, 4
	;; [unrolled: 13-line block ×3, first 2 shown]
	s_delay_alu instid0(VALU_DEP_2) | instskip(NEXT) | instid1(VALU_DEP_2)
	v_mul_i32_i24_e32 v0, v0, v143
	v_mul_i32_i24_e32 v1, v1, v142
	s_delay_alu instid0(VALU_DEP_1) | instskip(SKIP_1) | instid1(VALU_DEP_1)
	v_add3_u32 v36, v36, v0, v1
	v_bfe_u32 v0, v23, 8, 4
	v_mul_i32_i24_e32 v47, v0, v128
	ds_load_2addr_b32 v[0:1], v103 offset0:6 offset1:7
	s_waitcnt lgkmcnt(0)
	v_and_b32_e32 v49, 15, v0
	s_delay_alu instid0(VALU_DEP_1) | instskip(NEXT) | instid1(VALU_DEP_1)
	v_mul_i32_i24_e32 v49, v49, v130
	v_add3_u32 v37, v37, v49, v47
	v_bfe_u32 v47, v44, 16, 4
	v_bfe_u32 v44, v44, 24, 4
	s_delay_alu instid0(VALU_DEP_2) | instskip(NEXT) | instid1(VALU_DEP_2)
	v_mul_i32_i24_e32 v47, v47, v133
	v_mul_i32_i24_e32 v44, v44, v132
	s_delay_alu instid0(VALU_DEP_1) | instskip(SKIP_2) | instid1(VALU_DEP_2)
	v_add3_u32 v3, v3, v47, v44
	v_bfe_u32 v44, v179, 16, 4
	v_bfe_u32 v47, v179, 24, 4
	v_mul_i32_i24_e32 v44, v44, v134
	s_delay_alu instid0(VALU_DEP_2) | instskip(NEXT) | instid1(VALU_DEP_1)
	v_mul_i32_i24_e32 v47, v47, v135
	v_add3_u32 v5, v5, v44, v47
	v_ashrrev_i32_e32 v47, 4, v181
	v_bfe_u32 v44, v40, 8, 4
	s_delay_alu instid0(VALU_DEP_2) | instskip(NEXT) | instid1(VALU_DEP_2)
	v_and_b32_e32 v49, 15, v47
	v_mul_i32_i24_e32 v44, v44, v137
	s_delay_alu instid0(VALU_DEP_2) | instskip(NEXT) | instid1(VALU_DEP_1)
	v_mul_i32_i24_e32 v49, v49, v139
	v_add3_u32 v6, v6, v49, v44
	v_bfe_u32 v44, v175, 16, 4
	v_bfe_u32 v49, v175, 24, 4
	s_delay_alu instid0(VALU_DEP_2) | instskip(NEXT) | instid1(VALU_DEP_2)
	v_mul_i32_i24_e32 v44, v44, v134
	v_mul_i32_i24_e32 v49, v49, v135
	s_delay_alu instid0(VALU_DEP_1) | instskip(SKIP_2) | instid1(VALU_DEP_2)
	v_add3_u32 v21, v21, v44, v49
	v_ashrrev_i32_e32 v49, 4, v32
	v_bfe_u32 v44, v41, 8, 4
	v_and_b32_e32 v50, 15, v49
	s_delay_alu instid0(VALU_DEP_2) | instskip(NEXT) | instid1(VALU_DEP_2)
	v_mul_i32_i24_e32 v44, v44, v137
	v_mul_i32_i24_e32 v50, v50, v139
	s_delay_alu instid0(VALU_DEP_1) | instskip(SKIP_2) | instid1(VALU_DEP_2)
	v_add3_u32 v34, v34, v50, v44
	v_bfe_u32 v44, v183, 16, 4
	v_bfe_u32 v50, v183, 24, 4
	v_mul_i32_i24_e32 v44, v44, v134
	s_delay_alu instid0(VALU_DEP_2) | instskip(NEXT) | instid1(VALU_DEP_1)
	v_mul_i32_i24_e32 v50, v50, v135
	v_add3_u32 v22, v22, v44, v50
	v_ashrrev_i32_e32 v50, 4, v185
	v_bfe_u32 v44, v42, 8, 4
	s_delay_alu instid0(VALU_DEP_2) | instskip(NEXT) | instid1(VALU_DEP_2)
	v_and_b32_e32 v51, 15, v50
	v_mul_i32_i24_e32 v44, v44, v137
	s_delay_alu instid0(VALU_DEP_2) | instskip(NEXT) | instid1(VALU_DEP_1)
	v_mul_i32_i24_e32 v51, v51, v139
	v_add3_u32 v36, v36, v51, v44
	v_bfe_u32 v44, v23, 16, 4
	v_bfe_u32 v23, v23, 24, 4
	s_delay_alu instid0(VALU_DEP_2) | instskip(NEXT) | instid1(VALU_DEP_2)
	v_mul_i32_i24_e32 v44, v44, v125
	v_mul_i32_i24_e32 v23, v23, v124
	s_delay_alu instid0(VALU_DEP_1) | instskip(SKIP_2) | instid1(VALU_DEP_2)
	v_add3_u32 v23, v37, v44, v23
	v_ashrrev_i32_e32 v44, 4, v0
	v_bfe_u32 v37, v39, 8, 4
	v_and_b32_e32 v51, 15, v44
	s_delay_alu instid0(VALU_DEP_2) | instskip(NEXT) | instid1(VALU_DEP_2)
	v_mul_i32_i24_e32 v37, v37, v129
	v_mul_i32_i24_e32 v51, v51, v131
	s_delay_alu instid0(VALU_DEP_1) | instskip(SKIP_2) | instid1(VALU_DEP_2)
	v_add3_u32 v3, v3, v51, v37
	v_bfe_u32 v37, v180, 8, 4
	v_and_b32_e32 v51, 15, v29
	v_mul_i32_i24_e32 v37, v37, v128
	s_delay_alu instid0(VALU_DEP_2) | instskip(NEXT) | instid1(VALU_DEP_1)
	v_mul_i32_i24_e32 v51, v51, v130
	v_add3_u32 v5, v5, v51, v37
	v_bfe_u32 v37, v40, 16, 4
	v_bfe_u32 v40, v40, 24, 4
	s_delay_alu instid0(VALU_DEP_2) | instskip(NEXT) | instid1(VALU_DEP_2)
	v_mul_i32_i24_e32 v37, v37, v133
	v_mul_i32_i24_e32 v40, v40, v132
	s_delay_alu instid0(VALU_DEP_1)
	v_add3_u32 v6, v6, v37, v40
	v_add_nc_u32_e32 v40, 0x2118, v103
	v_bfe_u32 v37, v31, 8, 4
	v_add_nc_u32_e32 v103, 32, v103
	ds_load_2addr_b32 v[134:135], v40 offset1:1
	v_mul_i32_i24_e32 v37, v37, v128
	s_waitcnt lgkmcnt(0)
	v_and_b32_e32 v40, 15, v134
	s_delay_alu instid0(VALU_DEP_1) | instskip(NEXT) | instid1(VALU_DEP_1)
	v_mul_i32_i24_e32 v40, v40, v130
	v_add3_u32 v21, v21, v40, v37
	v_bfe_u32 v37, v41, 16, 4
	v_bfe_u32 v40, v41, 24, 4
	s_delay_alu instid0(VALU_DEP_2) | instskip(NEXT) | instid1(VALU_DEP_2)
	v_mul_i32_i24_e32 v37, v37, v133
	v_mul_i32_i24_e32 v40, v40, v132
	s_delay_alu instid0(VALU_DEP_1) | instskip(SKIP_2) | instid1(VALU_DEP_2)
	v_add3_u32 v34, v34, v37, v40
	v_bfe_u32 v37, v184, 8, 4
	v_and_b32_e32 v40, 15, v27
	v_mul_i32_i24_e32 v37, v37, v128
	s_delay_alu instid0(VALU_DEP_2) | instskip(NEXT) | instid1(VALU_DEP_1)
	v_mul_i32_i24_e32 v40, v40, v130
	v_add3_u32 v22, v22, v40, v37
	v_bfe_u32 v37, v42, 16, 4
	v_bfe_u32 v40, v42, 24, 4
	s_delay_alu instid0(VALU_DEP_2) | instskip(NEXT) | instid1(VALU_DEP_2)
	v_mul_i32_i24_e32 v37, v37, v133
	v_mul_i32_i24_e32 v40, v40, v132
	s_delay_alu instid0(VALU_DEP_1) | instskip(SKIP_2) | instid1(VALU_DEP_2)
	v_add3_u32 v36, v36, v37, v40
	v_bfe_u32 v37, v24, 8, 4
	v_and_b32_e32 v40, 15, v1
	v_mul_i32_i24_e32 v37, v37, v120
	s_delay_alu instid0(VALU_DEP_2) | instskip(NEXT) | instid1(VALU_DEP_1)
	v_mul_i32_i24_e32 v40, v40, v122
	v_add3_u32 v23, v23, v40, v37
	v_bfe_u32 v37, v39, 16, 4
	v_bfe_u32 v39, v39, 24, 4
	s_delay_alu instid0(VALU_DEP_2) | instskip(NEXT) | instid1(VALU_DEP_2)
	v_mul_i32_i24_e32 v37, v37, v127
	v_mul_i32_i24_e32 v39, v39, v126
	s_delay_alu instid0(VALU_DEP_1) | instskip(SKIP_2) | instid1(VALU_DEP_2)
	v_add3_u32 v3, v3, v37, v39
	v_bfe_u32 v37, v180, 16, 4
	v_bfe_u32 v39, v180, 24, 4
	v_mul_i32_i24_e32 v37, v37, v125
	s_delay_alu instid0(VALU_DEP_2) | instskip(NEXT) | instid1(VALU_DEP_1)
	v_mul_i32_i24_e32 v39, v39, v124
	v_add3_u32 v5, v5, v37, v39
	v_ashrrev_i32_e32 v39, 4, v29
	v_bfe_u32 v37, v38, 8, 4
	s_delay_alu instid0(VALU_DEP_2) | instskip(NEXT) | instid1(VALU_DEP_2)
	v_and_b32_e32 v40, 15, v39
	v_mul_i32_i24_e32 v37, v37, v129
	s_delay_alu instid0(VALU_DEP_2) | instskip(NEXT) | instid1(VALU_DEP_1)
	v_mul_i32_i24_e32 v40, v40, v131
	v_add3_u32 v6, v6, v40, v37
	v_bfe_u32 v37, v31, 16, 4
	v_bfe_u32 v31, v31, 24, 4
	s_delay_alu instid0(VALU_DEP_2) | instskip(NEXT) | instid1(VALU_DEP_2)
	v_mul_i32_i24_e32 v37, v37, v125
	v_mul_i32_i24_e32 v31, v31, v124
	s_delay_alu instid0(VALU_DEP_1) | instskip(SKIP_2) | instid1(VALU_DEP_2)
	v_add3_u32 v21, v21, v37, v31
	v_ashrrev_i32_e32 v37, 4, v134
	v_bfe_u32 v31, v43, 8, 4
	v_and_b32_e32 v40, 15, v37
	s_delay_alu instid0(VALU_DEP_2) | instskip(NEXT) | instid1(VALU_DEP_2)
	v_mul_i32_i24_e32 v31, v31, v129
	v_mul_i32_i24_e32 v40, v40, v131
	s_delay_alu instid0(VALU_DEP_1) | instskip(SKIP_2) | instid1(VALU_DEP_2)
	v_add3_u32 v31, v34, v40, v31
	v_bfe_u32 v34, v184, 16, 4
	v_bfe_u32 v40, v184, 24, 4
	v_mul_i32_i24_e32 v34, v34, v125
	s_delay_alu instid0(VALU_DEP_2) | instskip(NEXT) | instid1(VALU_DEP_1)
	v_mul_i32_i24_e32 v40, v40, v124
	v_add3_u32 v22, v22, v34, v40
	v_ashrrev_i32_e32 v40, 4, v27
	v_bfe_u32 v34, v45, 8, 4
	s_delay_alu instid0(VALU_DEP_2) | instskip(NEXT) | instid1(VALU_DEP_2)
	v_and_b32_e32 v41, 15, v40
	v_mul_i32_i24_e32 v34, v34, v129
	s_delay_alu instid0(VALU_DEP_2) | instskip(NEXT) | instid1(VALU_DEP_1)
	v_mul_i32_i24_e32 v41, v41, v131
	v_add3_u32 v34, v36, v41, v34
	v_bfe_u32 v36, v24, 16, 4
	v_bfe_u32 v24, v24, 24, 4
	s_delay_alu instid0(VALU_DEP_2) | instskip(NEXT) | instid1(VALU_DEP_2)
	v_mul_i32_i24_e32 v36, v36, v116
	v_mul_i32_i24_e32 v24, v24, v117
	s_delay_alu instid0(VALU_DEP_1) | instskip(SKIP_2) | instid1(VALU_DEP_2)
	v_add3_u32 v23, v23, v36, v24
	v_ashrrev_i32_e32 v36, 4, v1
	v_bfe_u32 v24, v46, 8, 4
	v_and_b32_e32 v41, 15, v36
	s_delay_alu instid0(VALU_DEP_2) | instskip(NEXT) | instid1(VALU_DEP_2)
	v_mul_i32_i24_e32 v24, v24, v121
	v_mul_i32_i24_e32 v41, v41, v123
	s_delay_alu instid0(VALU_DEP_1) | instskip(SKIP_2) | instid1(VALU_DEP_2)
	v_add3_u32 v3, v3, v41, v24
	v_bfe_u32 v24, v181, 8, 4
	v_and_b32_e32 v41, 15, v30
	v_mul_i32_i24_e32 v24, v24, v120
	s_delay_alu instid0(VALU_DEP_2) | instskip(NEXT) | instid1(VALU_DEP_1)
	v_mul_i32_i24_e32 v41, v41, v122
	v_add3_u32 v5, v5, v41, v24
	v_bfe_u32 v24, v38, 16, 4
	v_bfe_u32 v38, v38, 24, 4
	s_delay_alu instid0(VALU_DEP_2) | instskip(NEXT) | instid1(VALU_DEP_2)
	v_mul_i32_i24_e32 v24, v24, v127
	v_mul_i32_i24_e32 v38, v38, v126
	s_delay_alu instid0(VALU_DEP_1) | instskip(SKIP_2) | instid1(VALU_DEP_2)
	v_add3_u32 v6, v6, v24, v38
	v_bfe_u32 v24, v32, 8, 4
	v_and_b32_e32 v38, 15, v135
	v_mul_i32_i24_e32 v24, v24, v120
	s_delay_alu instid0(VALU_DEP_2) | instskip(NEXT) | instid1(VALU_DEP_1)
	v_mul_i32_i24_e32 v38, v38, v122
	v_add3_u32 v21, v21, v38, v24
	v_bfe_u32 v24, v43, 16, 4
	v_bfe_u32 v38, v43, 24, 4
	;; [unrolled: 13-line block ×3, first 2 shown]
	s_delay_alu instid0(VALU_DEP_2) | instskip(NEXT) | instid1(VALU_DEP_2)
	v_mul_i32_i24_e32 v31, v31, v127
	v_mul_i32_i24_e32 v38, v38, v126
	s_delay_alu instid0(VALU_DEP_1) | instskip(SKIP_3) | instid1(VALU_DEP_3)
	v_add3_u32 v31, v34, v31, v38
	v_bfe_u32 v34, v0, 8, 4
	v_bfe_u32 v38, v0, 16, 4
	;; [unrolled: 1-line block ×3, first 2 shown]
	v_mul_i32_i24_e32 v34, v34, v113
	s_delay_alu instid0(VALU_DEP_3) | instskip(NEXT) | instid1(VALU_DEP_3)
	v_mul_i32_i24_e32 v38, v38, v112
	v_mul_i32_i24_e32 v0, v0, v108
	s_delay_alu instid0(VALU_DEP_2) | instskip(SKIP_2) | instid1(VALU_DEP_2)
	v_add3_u32 v23, v23, v34, v38
	v_bfe_u32 v34, v46, 16, 4
	v_bfe_u32 v38, v46, 24, 4
	v_mul_i32_i24_e32 v34, v34, v119
	s_delay_alu instid0(VALU_DEP_2) | instskip(NEXT) | instid1(VALU_DEP_1)
	v_mul_i32_i24_e32 v38, v38, v118
	v_add3_u32 v3, v3, v34, v38
	v_bfe_u32 v34, v181, 16, 4
	v_bfe_u32 v38, v181, 24, 4
	s_delay_alu instid0(VALU_DEP_2) | instskip(NEXT) | instid1(VALU_DEP_2)
	v_mul_i32_i24_e32 v34, v34, v116
	v_mul_i32_i24_e32 v38, v38, v117
	s_delay_alu instid0(VALU_DEP_1) | instskip(SKIP_2) | instid1(VALU_DEP_2)
	v_add3_u32 v5, v5, v34, v38
	v_ashrrev_i32_e32 v38, 4, v30
	v_bfe_u32 v34, v47, 8, 4
	v_and_b32_e32 v41, 15, v38
	s_delay_alu instid0(VALU_DEP_2) | instskip(NEXT) | instid1(VALU_DEP_2)
	v_mul_i32_i24_e32 v34, v34, v121
	v_mul_i32_i24_e32 v41, v41, v123
	s_delay_alu instid0(VALU_DEP_1) | instskip(SKIP_2) | instid1(VALU_DEP_2)
	v_add3_u32 v6, v6, v41, v34
	v_bfe_u32 v34, v32, 16, 4
	v_bfe_u32 v32, v32, 24, 4
	v_mul_i32_i24_e32 v34, v34, v116
	s_delay_alu instid0(VALU_DEP_2) | instskip(NEXT) | instid1(VALU_DEP_1)
	v_mul_i32_i24_e32 v32, v32, v117
	v_add3_u32 v21, v21, v34, v32
	v_ashrrev_i32_e32 v34, 4, v135
	v_bfe_u32 v32, v49, 8, 4
	s_delay_alu instid0(VALU_DEP_2) | instskip(NEXT) | instid1(VALU_DEP_2)
	v_and_b32_e32 v41, 15, v34
	v_mul_i32_i24_e32 v32, v32, v121
	s_delay_alu instid0(VALU_DEP_2) | instskip(NEXT) | instid1(VALU_DEP_1)
	v_mul_i32_i24_e32 v41, v41, v123
	v_add3_u32 v24, v24, v41, v32
	v_bfe_u32 v32, v185, 16, 4
	v_bfe_u32 v41, v185, 24, 4
	s_delay_alu instid0(VALU_DEP_2) | instskip(NEXT) | instid1(VALU_DEP_2)
	v_mul_i32_i24_e32 v32, v32, v116
	v_mul_i32_i24_e32 v41, v41, v117
	s_delay_alu instid0(VALU_DEP_1) | instskip(SKIP_2) | instid1(VALU_DEP_2)
	v_add3_u32 v22, v22, v32, v41
	v_ashrrev_i32_e32 v41, 4, v28
	v_bfe_u32 v32, v50, 8, 4
	v_and_b32_e32 v42, 15, v41
	s_delay_alu instid0(VALU_DEP_2) | instskip(NEXT) | instid1(VALU_DEP_2)
	v_mul_i32_i24_e32 v32, v32, v121
	v_mul_i32_i24_e32 v42, v42, v123
	s_delay_alu instid0(VALU_DEP_1) | instskip(SKIP_1) | instid1(VALU_DEP_1)
	v_add3_u32 v31, v31, v42, v32
	v_bfe_u32 v32, v1, 8, 4
	v_mul_i32_i24_e32 v32, v32, v109
	s_delay_alu instid0(VALU_DEP_1) | instskip(SKIP_2) | instid1(VALU_DEP_2)
	v_add3_u32 v0, v23, v0, v32
	v_bfe_u32 v23, v44, 8, 4
	v_bfe_u32 v32, v44, 16, 4
	v_mul_i32_i24_e32 v23, v23, v115
	s_delay_alu instid0(VALU_DEP_2) | instskip(NEXT) | instid1(VALU_DEP_1)
	v_mul_i32_i24_e32 v32, v32, v114
	v_add3_u32 v3, v3, v23, v32
	v_bfe_u32 v23, v29, 8, 4
	v_bfe_u32 v32, v29, 16, 4
	s_delay_alu instid0(VALU_DEP_2) | instskip(NEXT) | instid1(VALU_DEP_2)
	v_mul_i32_i24_e32 v23, v23, v113
	v_mul_i32_i24_e32 v32, v32, v112
	s_delay_alu instid0(VALU_DEP_1) | instskip(SKIP_2) | instid1(VALU_DEP_2)
	v_add3_u32 v5, v5, v23, v32
	v_bfe_u32 v23, v47, 16, 4
	v_bfe_u32 v32, v47, 24, 4
	v_mul_i32_i24_e32 v23, v23, v119
	s_delay_alu instid0(VALU_DEP_2) | instskip(NEXT) | instid1(VALU_DEP_1)
	v_mul_i32_i24_e32 v32, v32, v118
	v_add3_u32 v6, v6, v23, v32
	v_bfe_u32 v23, v134, 8, 4
	v_bfe_u32 v32, v134, 16, 4
	s_delay_alu instid0(VALU_DEP_2) | instskip(NEXT) | instid1(VALU_DEP_2)
	v_mul_i32_i24_e32 v23, v23, v113
	v_mul_i32_i24_e32 v32, v32, v112
	s_delay_alu instid0(VALU_DEP_1) | instskip(SKIP_2) | instid1(VALU_DEP_2)
	v_add3_u32 v21, v21, v23, v32
	v_bfe_u32 v23, v49, 16, 4
	v_bfe_u32 v32, v49, 24, 4
	v_mul_i32_i24_e32 v23, v23, v119
	s_delay_alu instid0(VALU_DEP_2) | instskip(NEXT) | instid1(VALU_DEP_1)
	v_mul_i32_i24_e32 v32, v32, v118
	v_add3_u32 v23, v24, v23, v32
	v_bfe_u32 v24, v27, 8, 4
	v_bfe_u32 v32, v27, 16, 4
	s_delay_alu instid0(VALU_DEP_2) | instskip(NEXT) | instid1(VALU_DEP_2)
	v_mul_i32_i24_e32 v24, v24, v113
	v_mul_i32_i24_e32 v32, v32, v112
	s_delay_alu instid0(VALU_DEP_1) | instskip(SKIP_2) | instid1(VALU_DEP_2)
	v_add3_u32 v22, v22, v24, v32
	v_bfe_u32 v24, v50, 16, 4
	v_bfe_u32 v32, v50, 24, 4
	v_mul_i32_i24_e32 v24, v24, v119
	s_delay_alu instid0(VALU_DEP_2) | instskip(NEXT) | instid1(VALU_DEP_1)
	v_mul_i32_i24_e32 v32, v32, v118
	v_add3_u32 v24, v31, v24, v32
	v_bfe_u32 v31, v1, 16, 4
	v_bfe_u32 v1, v1, 24, 4
	;; [unrolled: 1-line block ×3, first 2 shown]
	s_delay_alu instid0(VALU_DEP_3) | instskip(NEXT) | instid1(VALU_DEP_3)
	v_mul_i32_i24_e32 v31, v31, v106
	v_mul_i32_i24_e32 v1, v1, v107
	s_delay_alu instid0(VALU_DEP_3) | instskip(NEXT) | instid1(VALU_DEP_2)
	v_mul_i32_i24_e32 v32, v32, v104
	v_add3_u32 v0, v0, v31, v1
	v_bfe_u32 v1, v44, 24, 4
	v_bfe_u32 v31, v36, 8, 4
	s_delay_alu instid0(VALU_DEP_2) | instskip(NEXT) | instid1(VALU_DEP_2)
	v_mul_i32_i24_e32 v1, v1, v110
	v_mul_i32_i24_e32 v31, v31, v111
	s_delay_alu instid0(VALU_DEP_1) | instskip(SKIP_3) | instid1(VALU_DEP_3)
	v_add3_u32 v1, v3, v1, v31
	v_bfe_u32 v3, v29, 24, 4
	v_bfe_u32 v29, v30, 8, 4
	;; [unrolled: 1-line block ×3, first 2 shown]
	v_mul_i32_i24_e32 v3, v3, v108
	s_delay_alu instid0(VALU_DEP_3) | instskip(NEXT) | instid1(VALU_DEP_3)
	v_mul_i32_i24_e32 v29, v29, v109
	v_mul_i32_i24_e32 v31, v31, v105
	s_delay_alu instid0(VALU_DEP_2) | instskip(SKIP_2) | instid1(VALU_DEP_2)
	v_add3_u32 v3, v5, v3, v29
	v_bfe_u32 v5, v39, 8, 4
	v_bfe_u32 v29, v39, 16, 4
	v_mul_i32_i24_e32 v5, v5, v115
	s_delay_alu instid0(VALU_DEP_2) | instskip(NEXT) | instid1(VALU_DEP_1)
	v_mul_i32_i24_e32 v29, v29, v114
	v_add3_u32 v5, v6, v5, v29
	v_bfe_u32 v6, v134, 24, 4
	v_bfe_u32 v29, v135, 8, 4
	s_delay_alu instid0(VALU_DEP_2) | instskip(NEXT) | instid1(VALU_DEP_2)
	v_mul_i32_i24_e32 v6, v6, v108
	v_mul_i32_i24_e32 v29, v29, v109
	s_delay_alu instid0(VALU_DEP_1) | instskip(SKIP_2) | instid1(VALU_DEP_2)
	v_add3_u32 v6, v21, v6, v29
	v_bfe_u32 v21, v37, 8, 4
	v_bfe_u32 v29, v37, 16, 4
	v_mul_i32_i24_e32 v21, v21, v115
	s_delay_alu instid0(VALU_DEP_2) | instskip(NEXT) | instid1(VALU_DEP_1)
	v_mul_i32_i24_e32 v29, v29, v114
	v_add3_u32 v21, v23, v21, v29
	v_bfe_u32 v23, v27, 24, 4
	v_bfe_u32 v27, v28, 8, 4
	ds_load_u16 v29, v168 offset:17408
	v_mul_i32_i24_e32 v23, v23, v108
	v_mul_i32_i24_e32 v27, v27, v109
	s_delay_alu instid0(VALU_DEP_1) | instskip(SKIP_2) | instid1(VALU_DEP_2)
	v_add3_u32 v22, v22, v23, v27
	v_bfe_u32 v23, v40, 8, 4
	v_bfe_u32 v27, v40, 16, 4
	v_mul_i32_i24_e32 v23, v23, v115
	s_delay_alu instid0(VALU_DEP_2) | instskip(NEXT) | instid1(VALU_DEP_1)
	v_mul_i32_i24_e32 v27, v27, v114
	v_add3_u32 v23, v24, v23, v27
	v_bfe_u32 v24, v36, 16, 4
	v_bfe_u32 v27, v36, 24, 4
	v_cvt_f32_ubyte0_e32 v36, v166
	s_delay_alu instid0(VALU_DEP_3) | instskip(NEXT) | instid1(VALU_DEP_3)
	v_mul_i32_i24_e32 v24, v24, v105
	v_mul_i32_i24_e32 v27, v27, v104
	s_delay_alu instid0(VALU_DEP_3) | instskip(NEXT) | instid1(VALU_DEP_2)
	v_fma_mix_f32 v36, v25, v36, 0 op_sel:[1,0,0] op_sel_hi:[1,0,0]
	v_add3_u32 v1, v1, v24, v27
	v_bfe_u32 v24, v30, 16, 4
	v_bfe_u32 v27, v30, 24, 4
	;; [unrolled: 1-line block ×3, first 2 shown]
	s_delay_alu instid0(VALU_DEP_3) | instskip(NEXT) | instid1(VALU_DEP_3)
	v_mul_i32_i24_e32 v24, v24, v106
	v_mul_i32_i24_e32 v27, v27, v107
	s_delay_alu instid0(VALU_DEP_3) | instskip(NEXT) | instid1(VALU_DEP_2)
	v_mul_i32_i24_e32 v30, v30, v104
	v_add3_u32 v3, v3, v24, v27
	v_bfe_u32 v24, v39, 24, 4
	v_bfe_u32 v27, v38, 8, 4
	v_cvt_f32_ubyte1_e32 v39, v169
	s_delay_alu instid0(VALU_DEP_3) | instskip(NEXT) | instid1(VALU_DEP_3)
	v_mul_i32_i24_e32 v24, v24, v110
	v_mul_i32_i24_e32 v27, v27, v111
	s_delay_alu instid0(VALU_DEP_1) | instskip(SKIP_2) | instid1(VALU_DEP_2)
	v_add3_u32 v5, v5, v24, v27
	v_bfe_u32 v24, v135, 16, 4
	v_bfe_u32 v27, v135, 24, 4
	v_mul_i32_i24_e32 v24, v24, v106
	s_delay_alu instid0(VALU_DEP_2) | instskip(NEXT) | instid1(VALU_DEP_1)
	v_mul_i32_i24_e32 v27, v27, v107
	v_add3_u32 v6, v6, v24, v27
	v_bfe_u32 v24, v37, 24, 4
	v_bfe_u32 v27, v34, 8, 4
	v_cvt_f32_ubyte1_e32 v37, v166
	s_delay_alu instid0(VALU_DEP_3) | instskip(NEXT) | instid1(VALU_DEP_3)
	v_mul_i32_i24_e32 v24, v24, v110
	v_mul_i32_i24_e32 v27, v27, v111
	s_delay_alu instid0(VALU_DEP_3) | instskip(SKIP_2) | instid1(VALU_DEP_4)
	v_fma_mix_f32 v36, v26, v37, v36 op_sel:[1,0,0] op_sel_hi:[1,0,0]
	v_and_b32_e32 v37, 0xff, v2
	v_lshrrev_b16 v2, 8, v2
	v_add3_u32 v21, v21, v24, v27
	v_bfe_u32 v24, v28, 16, 4
	v_bfe_u32 v27, v28, 24, 4
	v_add3_u32 v28, v82, s21, v167
	v_and_b32_e32 v2, 0xffff, v2
	v_mul_lo_u32 v6, v6, v37
	v_mul_i32_i24_e32 v24, v24, v106
	v_mul_i32_i24_e32 v27, v27, v107
	v_mul_f32_e32 v36, v36, v101
	s_delay_alu instid0(VALU_DEP_2) | instskip(SKIP_3) | instid1(VALU_DEP_3)
	v_add3_u32 v22, v22, v24, v27
	v_bfe_u32 v24, v40, 24, 4
	v_bfe_u32 v27, v41, 8, 4
	v_cvt_f32_i32_e32 v6, v6
	v_mul_i32_i24_e32 v24, v24, v110
	s_delay_alu instid0(VALU_DEP_3) | instskip(NEXT) | instid1(VALU_DEP_3)
	v_mul_i32_i24_e32 v27, v27, v111
	v_fma_mix_f32 v6, v25, v6, 0 op_sel_hi:[1,0,0]
	s_delay_alu instid0(VALU_DEP_2)
	v_add3_u32 v23, v23, v24, v27
	ds_load_u16 v24, v28 offset:8
	ds_load_u16 v27, v28
	v_bfe_u32 v28, v38, 16, 4
	v_cvt_f32_ubyte0_e32 v38, v169
	v_add3_u32 v23, v23, v31, v32
	s_delay_alu instid0(VALU_DEP_3) | instskip(NEXT) | instid1(VALU_DEP_3)
	v_mul_i32_i24_e32 v28, v28, v105
	v_fma_mix_f32 v38, v25, v38, 0 op_sel:[1,0,0] op_sel_hi:[1,0,0]
	s_delay_alu instid0(VALU_DEP_2)
	v_add3_u32 v5, v5, v28, v30
	v_bfe_u32 v28, v34, 16, 4
	v_bfe_u32 v30, v34, 24, 4
	v_cvt_f32_ubyte1_e32 v34, v165
	v_fma_mix_f32 v38, v26, v39, v38 op_sel:[1,0,0] op_sel_hi:[1,0,0]
	v_lshrrev_b16 v39, 8, v33
	v_mul_i32_i24_e32 v28, v28, v105
	v_mul_i32_i24_e32 v30, v30, v104
	v_and_b32_e32 v33, 0xff, v33
	s_delay_alu instid0(VALU_DEP_4) | instskip(NEXT) | instid1(VALU_DEP_3)
	v_and_b32_e32 v39, 0xffff, v39
	v_add3_u32 v21, v21, v28, v30
	s_waitcnt lgkmcnt(1)
	v_cvt_f32_ubyte0_e32 v28, v24
	v_cvt_f32_ubyte0_e32 v30, v165
	v_cvt_f32_ubyte1_e32 v24, v24
	v_mul_lo_u32 v22, v22, v33
	v_mul_lo_u32 v2, v21, v2
	v_fma_mix_f32 v28, v25, v28, 0 op_sel:[1,0,0] op_sel_hi:[1,0,0]
	v_fma_mix_f32 v30, v25, v30, 0 op_sel:[1,0,0] op_sel_hi:[1,0,0]
	v_mul_lo_u32 v21, v23, v39
	v_mul_f32_e32 v23, v38, v102
	s_delay_alu instid0(VALU_DEP_4)
	v_fma_mix_f32 v24, v26, v24, v28 op_sel:[1,0,0] op_sel_hi:[1,0,0]
	s_waitcnt lgkmcnt(0)
	v_and_b32_e32 v28, 0xff, v27
	v_lshrrev_b16 v27, 8, v27
	v_fma_mix_f32 v30, v26, v34, v30 op_sel:[1,0,0] op_sel_hi:[1,0,0]
	v_and_b32_e32 v34, 0xff, v29
	v_lshrrev_b16 v29, 8, v29
	v_mul_lo_u32 v0, v0, v28
	v_and_b32_e32 v27, 0xffff, v27
	v_cvt_f32_i32_e32 v22, v22
	v_mul_lo_u32 v3, v3, v34
	v_and_b32_e32 v29, 0xffff, v29
	v_cvt_f32_i32_e32 v2, v2
	v_mul_lo_u32 v1, v1, v27
	v_fma_mix_f32 v22, v25, v22, 0 op_sel_hi:[1,0,0]
	v_cvt_f32_i32_e32 v0, v0
	v_mul_lo_u32 v5, v5, v29
	v_cvt_f32_i32_e32 v21, v21
	v_cvt_f32_i32_e32 v3, v3
	v_mul_f32_e32 v24, v24, v99
	v_fma_mix_f32 v0, v25, v0, 0 op_sel_hi:[1,0,0]
	v_cvt_f32_i32_e32 v1, v1
	v_mul_f32_e32 v30, v30, v100
	v_fma_mix_f32 v3, v25, v3, 0 op_sel_hi:[1,0,0]
	v_cvt_f32_i32_e32 v5, v5
	v_fma_mix_f32 v2, v26, v2, v6 op_sel_hi:[1,0,0]
	v_fma_mix_f32 v0, v26, v1, v0 op_sel_hi:[1,0,0]
	s_delay_alu instid0(VALU_DEP_3) | instskip(SKIP_1) | instid1(VALU_DEP_3)
	v_fma_mix_f32 v1, v26, v5, v3 op_sel_hi:[1,0,0]
	v_fma_mix_f32 v3, v26, v21, v22 op_sel_hi:[1,0,0]
	v_fma_f32 v0, v0, v95, -v24
	v_fma_f32 v2, v2, v97, -v36
	s_delay_alu instid0(VALU_DEP_4) | instskip(NEXT) | instid1(VALU_DEP_4)
	v_fma_f32 v1, v1, v96, -v30
	v_fma_f32 v3, v3, v98, -v23
	s_delay_alu instid0(VALU_DEP_3) | instskip(NEXT) | instid1(VALU_DEP_3)
	v_dual_add_f32 v35, v35, v0 :: v_dual_add_f32 v90, v90, v2
	v_add_f32_e32 v89, v89, v1
	s_delay_alu instid0(VALU_DEP_3)
	v_add_f32_e32 v91, v91, v3
	s_cbranch_scc1 .LBB212_22
; %bb.23:                               ;   in Loop: Header=BB212_7 Depth=1
	s_barrier
	buffer_gl0_inv
	s_clause 0x6
	scratch_load_b64 v[37:38], off, off offset:20
	scratch_load_b32 v34, off, off offset:124
	scratch_load_b64 v[40:41], off, off offset:40
	scratch_load_b64 v[42:43], off, off offset:52
	scratch_load_b64 v[44:45], off, off offset:64
	scratch_load_b64 v[46:47], off, off offset:76
	scratch_load_b64 v[49:50], off, off offset:88
	v_dual_mov_b32 v33, v8 :: v_dual_mov_b32 v36, v18
	v_mov_b32_e32 v8, v20
	s_branch .LBB212_5
.LBB212_24:
	scratch_load_b32 v6, off, off offset:200 ; 4-byte Folded Reload
	s_waitcnt vmcnt(15)
	v_cvt_f16_f32_e32 v5, v35
	v_cvt_f16_f32_e32 v4, v89
	;; [unrolled: 1-line block ×4, first 2 shown]
.LBB212_25:
	s_mul_i32 s0, s10, s7
	s_waitcnt vmcnt(0)
	v_cmp_gt_i32_e32 vcc_lo, s0, v6
	s_and_saveexec_b32 s0, vcc_lo
	s_cbranch_execz .LBB212_34
; %bb.26:
	scratch_load_b32 v1, off, off offset:160 ; 4-byte Folded Reload
	s_mov_b32 s0, exec_lo
	s_waitcnt vmcnt(0)
	v_add_nc_u32_e32 v3, s11, v1
	v_mul_lo_u32 v1, v6, s9
	s_delay_alu instid0(VALU_DEP_2)
	v_cmpx_gt_u32_e64 s9, v3
	s_cbranch_execz .LBB212_28
; %bb.27:
	s_delay_alu instid0(VALU_DEP_2) | instskip(NEXT) | instid1(VALU_DEP_1)
	v_dual_mov_b32 v7, 0 :: v_dual_add_nc_u32 v6, v1, v3
	v_lshlrev_b64 v[6:7], 1, v[6:7]
	s_delay_alu instid0(VALU_DEP_1) | instskip(NEXT) | instid1(VALU_DEP_2)
	v_add_co_u32 v6, vcc_lo, s12, v6
	v_add_co_ci_u32_e32 v7, vcc_lo, s13, v7, vcc_lo
	global_store_b16 v[6:7], v5, off
.LBB212_28:
	s_or_b32 exec_lo, exec_lo, s0
	v_add_nc_u32_e32 v5, 32, v3
	s_mov_b32 s0, exec_lo
	s_delay_alu instid0(VALU_DEP_1)
	v_cmpx_gt_u32_e64 s9, v5
	s_cbranch_execz .LBB212_30
; %bb.29:
	v_dual_mov_b32 v6, 0 :: v_dual_add_nc_u32 v5, v1, v5
	s_delay_alu instid0(VALU_DEP_1) | instskip(NEXT) | instid1(VALU_DEP_1)
	v_lshlrev_b64 v[5:6], 1, v[5:6]
	v_add_co_u32 v5, vcc_lo, s12, v5
	s_delay_alu instid0(VALU_DEP_2)
	v_add_co_ci_u32_e32 v6, vcc_lo, s13, v6, vcc_lo
	global_store_b16 v[5:6], v4, off
.LBB212_30:
	s_or_b32 exec_lo, exec_lo, s0
	v_add_nc_u32_e32 v4, 64, v3
	s_mov_b32 s0, exec_lo
	s_delay_alu instid0(VALU_DEP_1)
	v_cmpx_gt_u32_e64 s9, v4
	s_cbranch_execz .LBB212_32
; %bb.31:
	v_dual_mov_b32 v5, 0 :: v_dual_add_nc_u32 v4, v1, v4
	s_delay_alu instid0(VALU_DEP_1) | instskip(NEXT) | instid1(VALU_DEP_1)
	v_lshlrev_b64 v[4:5], 1, v[4:5]
	v_add_co_u32 v4, vcc_lo, s12, v4
	s_delay_alu instid0(VALU_DEP_2)
	v_add_co_ci_u32_e32 v5, vcc_lo, s13, v5, vcc_lo
	global_store_b16 v[4:5], v0, off
.LBB212_32:
	s_or_b32 exec_lo, exec_lo, s0
	v_add_nc_u32_e32 v0, 0x60, v3
	s_delay_alu instid0(VALU_DEP_1)
	v_cmp_gt_u32_e32 vcc_lo, s9, v0
	s_and_b32 exec_lo, exec_lo, vcc_lo
	s_cbranch_execz .LBB212_34
; %bb.33:
	v_dual_mov_b32 v1, 0 :: v_dual_add_nc_u32 v0, v1, v0
	s_delay_alu instid0(VALU_DEP_1) | instskip(NEXT) | instid1(VALU_DEP_1)
	v_lshlrev_b64 v[0:1], 1, v[0:1]
	v_add_co_u32 v0, vcc_lo, s12, v0
	s_delay_alu instid0(VALU_DEP_2)
	v_add_co_ci_u32_e32 v1, vcc_lo, s13, v1, vcc_lo
	global_store_b16 v[0:1], v2, off
.LBB212_34:
	s_endpgm
	.section	.rodata,"a",@progbits
	.p2align	6, 0x0
	.amdhsa_kernel _ZL8moe_q4_KIN3c104HalfELb1EEvPKvS3_PT_PKiS7_S7_iiiiiii
		.amdhsa_group_segment_fixed_size 20688
		.amdhsa_private_segment_fixed_size 208
		.amdhsa_kernarg_size 76
		.amdhsa_user_sgpr_count 14
		.amdhsa_user_sgpr_dispatch_ptr 0
		.amdhsa_user_sgpr_queue_ptr 0
		.amdhsa_user_sgpr_kernarg_segment_ptr 1
		.amdhsa_user_sgpr_dispatch_id 0
		.amdhsa_user_sgpr_private_segment_size 0
		.amdhsa_wavefront_size32 1
		.amdhsa_uses_dynamic_stack 0
		.amdhsa_enable_private_segment 1
		.amdhsa_system_sgpr_workgroup_id_x 1
		.amdhsa_system_sgpr_workgroup_id_y 1
		.amdhsa_system_sgpr_workgroup_id_z 0
		.amdhsa_system_sgpr_workgroup_info 0
		.amdhsa_system_vgpr_workitem_id 1
		.amdhsa_next_free_vgpr 256
		.amdhsa_next_free_sgpr 23
		.amdhsa_reserve_vcc 1
		.amdhsa_float_round_mode_32 0
		.amdhsa_float_round_mode_16_64 0
		.amdhsa_float_denorm_mode_32 3
		.amdhsa_float_denorm_mode_16_64 3
		.amdhsa_dx10_clamp 1
		.amdhsa_ieee_mode 1
		.amdhsa_fp16_overflow 0
		.amdhsa_workgroup_processor_mode 1
		.amdhsa_memory_ordered 1
		.amdhsa_forward_progress 0
		.amdhsa_shared_vgpr_count 0
		.amdhsa_exception_fp_ieee_invalid_op 0
		.amdhsa_exception_fp_denorm_src 0
		.amdhsa_exception_fp_ieee_div_zero 0
		.amdhsa_exception_fp_ieee_overflow 0
		.amdhsa_exception_fp_ieee_underflow 0
		.amdhsa_exception_fp_ieee_inexact 0
		.amdhsa_exception_int_div_zero 0
	.end_amdhsa_kernel
	.section	.text._ZL8moe_q4_KIN3c104HalfELb1EEvPKvS3_PT_PKiS7_S7_iiiiiii,"axG",@progbits,_ZL8moe_q4_KIN3c104HalfELb1EEvPKvS3_PT_PKiS7_S7_iiiiiii,comdat
.Lfunc_end212:
	.size	_ZL8moe_q4_KIN3c104HalfELb1EEvPKvS3_PT_PKiS7_S7_iiiiiii, .Lfunc_end212-_ZL8moe_q4_KIN3c104HalfELb1EEvPKvS3_PT_PKiS7_S7_iiiiiii
                                        ; -- End function
	.section	.AMDGPU.csdata,"",@progbits
; Kernel info:
; codeLenInByte = 15796
; NumSgprs: 25
; NumVgprs: 256
; ScratchSize: 208
; MemoryBound: 0
; FloatMode: 240
; IeeeMode: 1
; LDSByteSize: 20688 bytes/workgroup (compile time only)
; SGPRBlocks: 3
; VGPRBlocks: 31
; NumSGPRsForWavesPerEU: 25
; NumVGPRsForWavesPerEU: 256
; Occupancy: 5
; WaveLimiterHint : 1
; COMPUTE_PGM_RSRC2:SCRATCH_EN: 1
; COMPUTE_PGM_RSRC2:USER_SGPR: 14
; COMPUTE_PGM_RSRC2:TRAP_HANDLER: 0
; COMPUTE_PGM_RSRC2:TGID_X_EN: 1
; COMPUTE_PGM_RSRC2:TGID_Y_EN: 1
; COMPUTE_PGM_RSRC2:TGID_Z_EN: 0
; COMPUTE_PGM_RSRC2:TIDIG_COMP_CNT: 1
	.section	.text._ZL8moe_q5_KIN3c104HalfELb0EEvPKvS3_PT_PKiS7_S7_iiiiiii,"axG",@progbits,_ZL8moe_q5_KIN3c104HalfELb0EEvPKvS3_PT_PKiS7_S7_iiiiiii,comdat
	.globl	_ZL8moe_q5_KIN3c104HalfELb0EEvPKvS3_PT_PKiS7_S7_iiiiiii ; -- Begin function _ZL8moe_q5_KIN3c104HalfELb0EEvPKvS3_PT_PKiS7_S7_iiiiiii
	.p2align	8
	.type	_ZL8moe_q5_KIN3c104HalfELb0EEvPKvS3_PT_PKiS7_S7_iiiiiii,@function
_ZL8moe_q5_KIN3c104HalfELb0EEvPKvS3_PT_PKiS7_S7_iiiiiii: ; @_ZL8moe_q5_KIN3c104HalfELb0EEvPKvS3_PT_PKiS7_S7_iiiiiii
; %bb.0:
	s_load_b128 s[4:7], s[0:1], 0x18
	s_mov_b32 s2, s15
	s_mov_b32 s3, 0
	s_delay_alu instid0(SALU_CYCLE_1)
	s_lshl_b64 s[8:9], s[2:3], 2
	s_waitcnt lgkmcnt(0)
	s_add_u32 s6, s6, s8
	s_addc_u32 s7, s7, s9
	s_load_b32 s12, s[6:7], 0x0
	s_waitcnt lgkmcnt(0)
	s_cmpk_gt_u32 s12, 0xff
	s_cbranch_scc1 .LBB213_32
; %bb.1:
	s_load_b64 s[6:7], s[0:1], 0x28
	s_lshl_b32 s2, s2, 3
	s_waitcnt lgkmcnt(0)
	s_load_b32 s3, s[6:7], 0x0
	s_waitcnt lgkmcnt(0)
	s_cmp_gt_u32 s2, s3
	s_cbranch_scc1 .LBB213_32
; %bb.2:
	v_bfe_u32 v67, v0, 10, 10
	v_mov_b32_e32 v2, 0
	s_lshl_b32 s16, s14, 7
	s_mov_b32 s17, 0
	s_delay_alu instid0(VALU_DEP_1) | instskip(SKIP_1) | instid1(VALU_DEP_2)
	v_dual_mov_b32 v6, v2 :: v_dual_add_nc_u32 v1, s2, v67
	v_mov_b32_e32 v5, v2
	v_lshlrev_b64 v[3:4], 2, v[1:2]
	s_delay_alu instid0(VALU_DEP_1) | instskip(NEXT) | instid1(VALU_DEP_2)
	v_add_co_u32 v3, vcc_lo, s4, v3
	v_add_co_ci_u32_e32 v4, vcc_lo, s5, v4, vcc_lo
	global_load_b32 v3, v[3:4], off
	s_clause 0x2
	s_load_b64 s[10:11], s[0:1], 0x30
	s_load_b64 s[8:9], s[0:1], 0x10
	s_load_b128 s[4:7], s[0:1], 0x3c
	v_and_b32_e32 v4, 0x3ff, v0
	v_mov_b32_e32 v0, v2
	s_waitcnt lgkmcnt(0)
	s_cmpk_lt_i32 s11, 0x100
	s_cbranch_scc1 .LBB213_23
; %bb.3:
	s_load_b128 s[0:3], s[0:1], 0x0
	s_ashr_i32 s13, s11, 31
	s_mul_i32 s12, s12, s10
	s_lshr_b32 s10, s13, 24
	s_ashr_i32 s14, s5, 31
	s_add_i32 s10, s11, s10
	s_lshr_b32 s13, s14, 27
	s_ashr_i32 s10, s10, 8
	s_add_i32 s5, s5, s13
	s_mul_i32 s13, s10, s16
	s_ashr_i32 s14, s12, 31
	s_ashr_i32 s5, s5, 5
	s_mul_hi_i32 s15, s13, 0xb0
	s_mulk_i32 s13, 0xb0
	v_lshlrev_b32_e32 v0, 1, v4
	v_dual_mov_b32 v80, 0 :: v_dual_lshlrev_b32 v7, 5, v67
	v_and_b32_e32 v46, 3, v4
	v_mul_u32_u24_e32 v17, 0x41, v67
	v_dual_mov_b32 v2, 0 :: v_dual_lshlrev_b32 v79, 2, v4
	s_waitcnt lgkmcnt(0)
	s_add_u32 s0, s0, s12
	s_addc_u32 s1, s1, s14
	s_add_u32 s18, s0, s13
	s_addc_u32 s19, s1, s15
	s_abs_i32 s12, s7
	v_add_nc_u32_e32 v51, v7, v4
	v_cvt_f32_u32_e32 v25, s12
	v_add_nc_u32_e32 v19, 0xfe, v46
	v_cmp_gt_u32_e64 s0, 2, v46
	v_lshrrev_b32_e32 v1, 2, v4
	v_lshrrev_b32_e32 v40, 3, v51
	v_rcp_iflag_f32_e32 v34, v25
	v_and_b32_e32 v13, 7, v4
	v_cndmask_b32_e64 v43, v19, v46, s0
	s_sub_i32 s0, 0, s12
	v_and_b32_e32 v20, 4, v79
	v_cmp_lt_u32_e32 vcc_lo, 1, v46
	v_lshlrev_b32_e32 v14, 3, v67
	v_and_b32_e32 v44, 12, v40
	s_waitcnt vmcnt(0)
	v_sub_nc_u32_e32 v47, 0, v3
	v_and_b32_e32 v11, 6, v1
	v_dual_cndmask_b32 v19, 0, v20 :: v_dual_mul_f32 v38, 0x4f7ffffe, v34
	v_and_or_b32 v0, v0, 48, v13
	v_add_nc_u32_e32 v21, v1, v14
	v_add_nc_u16 v1, v1, v14
	v_max_i32_e32 v53, v3, v47
	v_cvt_u32_f32_e32 v49, v38
	v_add_lshl_u32 v17, v0, v17, 2
	v_and_b32_e32 v0, 0x7f, v51
	v_and_b32_e32 v48, 0x7f, v21
	v_cndmask_b32_e64 v74, 0, 1, vcc_lo
	v_mul_lo_u32 v45, s0, v49
	v_cmp_ne_u32_e32 vcc_lo, 0, v46
	v_lshlrev_b32_e32 v50, 2, v0
	v_mul_i32_i24_e32 v42, s10, v0
	v_and_b32_e32 v0, 0xff, v43
	v_xor_b32_e32 v52, 64, v48
	v_lshlrev_b32_e32 v46, 2, v46
	v_add3_u32 v43, v50, v44, 0x8e40
	v_mul_hi_u32 v50, v49, v45
	v_lshrrev_b16 v1, 1, v1
	v_add_co_ci_u32_e32 v73, vcc_lo, 0, v0, vcc_lo
	v_lshl_or_b32 v54, v52, 4, v46
	v_lshrrev_b32_e32 v5, 5, v4
	s_delay_alu instid0(VALU_DEP_4)
	v_and_b32_e32 v1, 60, v1
	v_xor_b32_e32 v60, s7, v3
	v_add_nc_u32_e32 v47, v49, v50
	v_lshrrev_b32_e32 v49, 1, v52
	v_lshl_or_b32 v50, v48, 4, v46
	v_add_nc_u32_e32 v61, 64, v4
	v_add_nc_u32_e32 v62, 0x60, v4
	v_mul_hi_u32 v55, v53, v47
	v_and_b32_e32 v56, 60, v49
	v_mul_i32_i24_e32 v47, s10, v48
	v_add3_u32 v48, v50, v1, 0x8200
	v_mul_i32_i24_e32 v49, s10, v52
	v_and_or_b32 v52, v4, 31, v7
	v_add3_u32 v50, v54, v56, 0x8200
	v_mad_i32_i24 v56, 0xffffffe4, v67, v51
	v_mul_lo_u32 v54, v55, s12
	s_lshl_b32 s1, s10, 3
	v_lshl_add_u32 v51, v52, 2, 0x8a40
	v_mad_i32_i24 v6, s10, v67, s1
	v_lshl_add_u32 v52, v56, 2, 0x9050
	v_add_nc_u32_e32 v56, 32, v4
	v_lshlrev_b32_e32 v59, 2, v5
	v_ashrrev_i32_e32 v60, 31, v60
	v_sub_nc_u32_e32 v57, v53, v54
	v_add_nc_u32_e32 v54, 1, v55
	v_lshrrev_b32_e32 v70, 3, v61
	v_lshrrev_b32_e32 v69, 3, v62
	v_add_nc_u32_e32 v8, s1, v6
	v_subrev_nc_u32_e32 v58, s12, v57
	v_cmp_le_u32_e32 vcc_lo, s12, v57
	v_lshlrev_b32_e32 v75, 2, v56
	v_and_b32_e32 v9, 0x7c, v79
	v_lshlrev_b32_e32 v82, 2, v79
	v_lshrrev_b32_e32 v53, 3, v4
	v_cndmask_b32_e32 v55, v55, v54, vcc_lo
	v_cndmask_b32_e32 v57, v57, v58, vcc_lo
	v_lshrrev_b32_e32 v54, 3, v56
	v_lshlrev_b32_e32 v76, 2, v61
	v_lshlrev_b32_e32 v77, 2, v62
	v_add_nc_u32_e32 v58, 1, v55
	v_cmp_le_u32_e32 vcc_lo, s12, v57
	v_and_b32_e32 v10, 28, v79
	v_lshlrev_b32_e32 v46, 1, v0
	s_movk_i32 s12, 0x80
	v_mul_i32_i24_e32 v14, s10, v67
	v_cndmask_b32_e32 v57, v55, v58, vcc_lo
	v_and_b32_e32 v58, 60, v54
	v_add3_u32 v55, v59, v79, 0x8e40
	v_and_b32_e32 v59, 60, v70
	v_add_co_u32 v0, s0, s2, v10
	v_xor_b32_e32 v57, v57, v60
	v_add3_u32 v56, v79, v58, 0x8e40
	v_dual_mov_b32 v81, 0 :: v_dual_and_b32 v58, 60, v69
	v_or_b32_e32 v16, 1, v11
	s_delay_alu instid0(VALU_DEP_4) | instskip(SKIP_1) | instid1(VALU_DEP_4)
	v_sub_nc_u32_e32 v64, v57, v60
	v_add3_u32 v57, v79, v59, 0x8e40
	v_add3_u32 v58, v79, v58, 0x8e40
	v_dual_mov_b32 v79, 0 :: v_dual_add_nc_u32 v12, s1, v8
	s_delay_alu instid0(VALU_DEP_4)
	v_mul_lo_u32 v59, v64, s5
	v_add_nc_u32_e32 v21, 0x820, v17
	v_add_nc_u32_e32 v23, 0x1040, v17
	;; [unrolled: 1-line block ×19, first 2 shown]
	v_add_co_ci_u32_e64 v1, null, s3, 0, s0
	v_cmp_gt_u32_e64 s0, 4, v4
	v_mul_u32_u24_e32 v60, 0x104, v4
	s_delay_alu instid0(VALU_DEP_4)
	v_add_nc_u32_e32 v22, s1, v20
	v_mad_u32_u24 v65, 0x104, v4, s12
	v_lshl_add_u32 v66, v67, 4, 0x9050
	v_lshl_add_u32 v67, v67, 7, 0x8a40
	v_lshlrev_b32_e32 v68, 4, v4
	v_add_nc_u32_e32 v26, s1, v22
	v_lshlrev_b32_e32 v69, 2, v69
	v_lshlrev_b32_e32 v70, 2, v70
	;; [unrolled: 1-line block ×3, first 2 shown]
	v_lshl_or_b32 v72, v53, 2, 0x8200
	v_add_nc_u32_e32 v31, s1, v26
	v_lshlrev_b32_e32 v73, 2, v73
	v_lshlrev_b32_e32 v74, 2, v74
	;; [unrolled: 1-line block ×4, first 2 shown]
	v_add_nc_u32_e32 v35, s1, v31
	v_lshlrev_b32_e32 v77, 2, v77
	v_lshlrev_b32_e32 v78, 2, v53
	s_add_u32 s12, s2, 0x90
	s_addc_u32 s13, s3, 0
	v_add_nc_u32_e32 v39, s1, v35
	s_delay_alu instid0(VALU_DEP_1) | instskip(NEXT) | instid1(VALU_DEP_1)
	v_add_nc_u32_e32 v40, s1, v39
	v_add_nc_u32_e32 v44, s1, v40
	s_delay_alu instid0(VALU_DEP_1) | instskip(SKIP_1) | instid1(SALU_CYCLE_1)
	v_add_nc_u32_e32 v45, s1, v44
	s_movk_i32 s1, 0x104
	v_mad_u32_u24 v61, v4, s1, 0x2080
	v_mad_u32_u24 v62, v4, s1, 0x4100
	;; [unrolled: 1-line block ×3, first 2 shown]
	v_cmp_gt_i32_e64 s1, s4, v64
	v_ashrrev_i32_e32 v64, 31, v59
	s_branch .LBB213_5
.LBB213_4:                              ;   in Loop: Header=BB213_5 Depth=1
	s_add_i32 s17, s17, 1
	s_delay_alu instid0(SALU_CYCLE_1)
	s_cmp_eq_u32 s17, s10
	s_cbranch_scc1 .LBB213_22
.LBB213_5:                              ; =>This Loop Header: Depth=1
                                        ;     Child Loop BB213_12 Depth 2
                                        ;     Child Loop BB213_20 Depth 2
	s_mul_i32 s14, s17, 0xb0
	s_mul_hi_u32 s15, s17, 0xb0
	s_add_u32 s14, s18, s14
	s_addc_u32 s15, s19, s15
	s_delay_alu instid0(SALU_CYCLE_1) | instskip(NEXT) | instid1(VALU_DEP_1)
	v_mad_u64_u32 v[83:84], null, 0xb0, v5, s[14:15]
	v_mad_u64_u32 v[85:86], null, 0xb0, v14, v[83:84]
	;; [unrolled: 1-line block ×5, first 2 shown]
	s_delay_alu instid0(VALU_DEP_4)
	v_add_co_u32 v89, vcc_lo, v85, v9
	v_add_co_ci_u32_e32 v90, vcc_lo, 0, v86, vcc_lo
	v_add_co_u32 v85, vcc_lo, v85, v10
	v_add_co_ci_u32_e32 v86, vcc_lo, 0, v86, vcc_lo
	;; [unrolled: 2-line block ×6, first 2 shown]
	v_mad_u64_u32 v[101:102], null, 0xb0, v13, v[83:84]
	v_add_co_u32 v99, vcc_lo, v95, v9
	v_add_co_ci_u32_e32 v100, vcc_lo, 0, v96, vcc_lo
	v_add_co_u32 v95, vcc_lo, v95, v10
	v_add_co_ci_u32_e32 v96, vcc_lo, 0, v96, vcc_lo
	s_clause 0x7
	global_load_b32 v107, v[89:90], off offset:48
	global_load_b32 v108, v[85:86], off offset:16
	global_load_b32 v109, v[91:92], off offset:48
	global_load_b32 v110, v[87:88], off offset:16
	global_load_b32 v111, v[97:98], off offset:48
	global_load_b32 v112, v[93:94], off offset:16
	global_load_b32 v113, v[99:100], off offset:48
	global_load_b32 v114, v[95:96], off offset:16
	v_mad_u64_u32 v[85:86], null, 0xb0, v15, v[83:84]
	v_add_co_u32 v87, vcc_lo, v101, v9
	v_add_co_ci_u32_e32 v88, vcc_lo, 0, v102, vcc_lo
	v_add_co_u32 v89, vcc_lo, v101, v10
	v_mad_u64_u32 v[93:94], null, 0xb0, v18, v[83:84]
	v_add_co_ci_u32_e32 v90, vcc_lo, 0, v102, vcc_lo
	v_add_co_u32 v91, vcc_lo, v85, v9
	v_add_co_ci_u32_e32 v92, vcc_lo, 0, v86, vcc_lo
	v_add_co_u32 v85, vcc_lo, v85, v10
	v_mad_u64_u32 v[95:96], null, 0xb0, v20, v[83:84]
	v_add_co_ci_u32_e32 v86, vcc_lo, 0, v86, vcc_lo
	v_add_co_u32 v97, vcc_lo, v93, v9
	v_add_co_ci_u32_e32 v98, vcc_lo, 0, v94, vcc_lo
	v_add_co_u32 v93, vcc_lo, v93, v10
	v_add_co_ci_u32_e32 v94, vcc_lo, 0, v94, vcc_lo
	v_mad_u64_u32 v[101:102], null, 0xb0, v22, v[83:84]
	v_add_co_u32 v99, vcc_lo, v95, v9
	v_add_co_ci_u32_e32 v100, vcc_lo, 0, v96, vcc_lo
	v_add_co_u32 v95, vcc_lo, v95, v10
	v_add_co_ci_u32_e32 v96, vcc_lo, 0, v96, vcc_lo
	s_clause 0x7
	global_load_b32 v115, v[87:88], off offset:48
	global_load_b32 v116, v[89:90], off offset:16
	;; [unrolled: 1-line block ×8, first 2 shown]
	v_mad_u64_u32 v[87:88], null, 0xb0, v26, v[83:84]
	v_add_co_u32 v85, vcc_lo, v101, v9
	v_add_co_ci_u32_e32 v86, vcc_lo, 0, v102, vcc_lo
	v_add_co_u32 v89, vcc_lo, v101, v10
	v_mad_u64_u32 v[91:92], null, 0xb0, v31, v[83:84]
	v_add_co_ci_u32_e32 v90, vcc_lo, 0, v102, vcc_lo
	v_add_co_u32 v93, vcc_lo, v87, v9
	v_add_co_ci_u32_e32 v94, vcc_lo, 0, v88, vcc_lo
	v_add_co_u32 v87, vcc_lo, v87, v10
	v_mad_u64_u32 v[97:98], null, 0xb0, v35, v[83:84]
	v_add_co_ci_u32_e32 v88, vcc_lo, 0, v88, vcc_lo
	;; [unrolled: 5-line block ×4, first 2 shown]
	v_add_co_u32 v103, vcc_lo, v99, v9
	v_add_co_ci_u32_e32 v104, vcc_lo, 0, v100, vcc_lo
	s_clause 0x8
	global_load_b32 v123, v[85:86], off offset:48
	global_load_b32 v124, v[89:90], off offset:16
	;; [unrolled: 1-line block ×9, first 2 shown]
	v_add_co_u32 v85, vcc_lo, v99, v10
	v_add_co_ci_u32_e32 v86, vcc_lo, 0, v100, vcc_lo
	v_add_co_u32 v87, vcc_lo, v105, v9
	v_add_co_ci_u32_e32 v88, vcc_lo, 0, v106, vcc_lo
	;; [unrolled: 2-line block ×3, first 2 shown]
	s_clause 0x2
	global_load_b32 v99, v[85:86], off offset:16
	global_load_b32 v100, v[87:88], off offset:48
	;; [unrolled: 1-line block ×3, first 2 shown]
	v_mad_u64_u32 v[85:86], null, 0xb0, v44, v[83:84]
	v_mad_u64_u32 v[89:90], null, 0xb0, v45, v[83:84]
	s_delay_alu instid0(VALU_DEP_2) | instskip(NEXT) | instid1(VALU_DEP_3)
	v_add_co_u32 v87, vcc_lo, v85, v9
	v_add_co_ci_u32_e32 v88, vcc_lo, 0, v86, vcc_lo
	v_add_co_u32 v83, vcc_lo, v85, v10
	v_add_co_ci_u32_e32 v84, vcc_lo, 0, v86, vcc_lo
	v_mad_u64_u32 v[85:86], null, 0xb0, v47, s[14:15]
	v_add_co_u32 v91, vcc_lo, v89, v9
	v_add_co_ci_u32_e32 v92, vcc_lo, 0, v90, vcc_lo
	v_add_co_u32 v89, vcc_lo, v89, v10
	v_add_co_ci_u32_e32 v90, vcc_lo, 0, v90, vcc_lo
	v_add_co_u32 v103, vcc_lo, v85, 4
	v_add_co_ci_u32_e32 v104, vcc_lo, 0, v86, vcc_lo
	v_mad_u64_u32 v[85:86], null, 0xb0, v49, s[14:15]
	s_clause 0x3
	global_load_b32 v87, v[87:88], off offset:48
	global_load_b32 v88, v[83:84], off offset:16
	;; [unrolled: 1-line block ×4, first 2 shown]
	v_add_co_u32 v83, vcc_lo, v103, v73
	v_add_co_ci_u32_e32 v84, vcc_lo, 0, v104, vcc_lo
	v_add_co_u32 v90, vcc_lo, v85, 4
	v_add_co_ci_u32_e32 v92, vcc_lo, 0, v86, vcc_lo
	global_load_b32 v105, v[83:84], off
	v_add_co_u32 v83, vcc_lo, v90, v73
	v_add_co_ci_u32_e32 v84, vcc_lo, 0, v92, vcc_lo
	v_add_co_u32 v85, vcc_lo, v103, v74
	v_add_co_ci_u32_e32 v86, vcc_lo, 0, v104, vcc_lo
	global_load_b32 v103, v[83:84], off
	v_add_co_u32 v83, vcc_lo, v90, v74
	v_add_co_ci_u32_e32 v84, vcc_lo, 0, v92, vcc_lo
	s_clause 0x1
	global_load_b32 v85, v[85:86], off
	global_load_b32 v86, v[83:84], off
	v_mad_u64_u32 v[83:84], null, 0xb0, v42, s[14:15]
	s_lshl_b32 s15, s17, 8
	s_delay_alu instid0(SALU_CYCLE_1)
	s_cmp_lt_i32 s15, s11
	global_load_b32 v83, v[83:84], off
	s_waitcnt vmcnt(36)
	v_lshrrev_b32_e32 v90, 4, v107
	s_waitcnt vmcnt(35)
	v_ashrrev_i32_e32 v92, v11, v108
	v_ashrrev_i32_e32 v104, v16, v108
	v_and_b32_e32 v84, 0xf0f0f0f, v107
	s_waitcnt vmcnt(34)
	v_and_b32_e32 v106, 0xf0f0f0f, v109
	v_lshrrev_b32_e32 v107, 4, v109
	s_waitcnt vmcnt(33)
	v_ashrrev_i32_e32 v108, v11, v110
	v_ashrrev_i32_e32 v109, v16, v110
	s_waitcnt vmcnt(32)
	v_and_b32_e32 v110, 0xf0f0f0f, v111
	v_lshrrev_b32_e32 v111, 4, v111
	s_waitcnt vmcnt(31)
	v_ashrrev_i32_e32 v125, v11, v112
	v_ashrrev_i32_e32 v112, v16, v112
	;; [unrolled: 6-line block ×3, first 2 shown]
	v_and_b32_e32 v90, 0xf0f0f0f, v90
	v_lshlrev_b32_e32 v92, 4, v92
	v_lshlrev_b32_e32 v104, 4, v104
	v_and_b32_e32 v107, 0xf0f0f0f, v107
	v_lshlrev_b32_e32 v108, 4, v108
	v_lshlrev_b32_e32 v109, 4, v109
	;; [unrolled: 3-line block ×4, first 2 shown]
	v_and_or_b32 v84, 0x10101010, v92, v84
	v_and_or_b32 v90, 0x10101010, v104, v90
	;; [unrolled: 1-line block ×8, first 2 shown]
	s_waitcnt vmcnt(28)
	v_and_b32_e32 v128, 0xf0f0f0f, v115
	v_lshrrev_b32_e32 v115, 4, v115
	s_waitcnt vmcnt(27)
	v_ashrrev_i32_e32 v129, v11, v116
	v_ashrrev_i32_e32 v116, v16, v116
	s_waitcnt vmcnt(26)
	v_and_b32_e32 v130, 0xf0f0f0f, v117
	v_lshrrev_b32_e32 v117, 4, v117
	s_waitcnt vmcnt(25)
	v_ashrrev_i32_e32 v131, v11, v118
	v_ashrrev_i32_e32 v118, v16, v118
	;; [unrolled: 6-line block ×4, first 2 shown]
	v_and_b32_e32 v115, 0xf0f0f0f, v115
	v_lshlrev_b32_e32 v129, 4, v129
	v_lshlrev_b32_e32 v116, 4, v116
	v_and_b32_e32 v117, 0xf0f0f0f, v117
	v_lshlrev_b32_e32 v131, 4, v131
	v_lshlrev_b32_e32 v118, 4, v118
	;; [unrolled: 3-line block ×4, first 2 shown]
	v_and_or_b32 v110, 0x10101010, v129, v128
	v_and_or_b32 v111, 0x10101010, v116, v115
	;; [unrolled: 1-line block ×8, first 2 shown]
	s_waitcnt vmcnt(20)
	v_and_b32_e32 v136, 0xf0f0f0f, v123
	v_lshrrev_b32_e32 v123, 4, v123
	s_waitcnt vmcnt(19)
	v_ashrrev_i32_e32 v137, v11, v124
	v_ashrrev_i32_e32 v124, v16, v124
	s_waitcnt vmcnt(18)
	v_and_b32_e32 v138, 0xf0f0f0f, v93
	v_lshrrev_b32_e32 v93, 4, v93
	s_waitcnt vmcnt(17)
	v_ashrrev_i32_e32 v139, v11, v94
	v_ashrrev_i32_e32 v94, v16, v94
	;; [unrolled: 6-line block ×3, first 2 shown]
	s_waitcnt vmcnt(12)
	v_and_b32_e32 v144, 0xf0f0f0f, v98
	v_lshrrev_b32_e32 v98, 4, v98
	v_and_b32_e32 v123, 0xf0f0f0f, v123
	v_lshlrev_b32_e32 v137, 4, v137
	v_lshlrev_b32_e32 v124, 4, v124
	v_and_b32_e32 v93, 0xf0f0f0f, v93
	v_lshlrev_b32_e32 v139, 4, v139
	v_lshlrev_b32_e32 v94, 4, v94
	s_waitcnt vmcnt(11)
	v_ashrrev_i32_e32 v145, v11, v99
	v_ashrrev_i32_e32 v99, v16, v99
	v_and_b32_e32 v95, 0xf0f0f0f, v95
	v_lshlrev_b32_e32 v141, 4, v141
	v_lshlrev_b32_e32 v96, 4, v96
	v_and_b32_e32 v142, 0xf0f0f0f, v101
	v_lshrrev_b32_e32 v101, 4, v101
	v_ashrrev_i32_e32 v143, v11, v97
	v_ashrrev_i32_e32 v97, v16, v97
	s_waitcnt vmcnt(10)
	v_and_b32_e32 v146, 0xf0f0f0f, v100
	v_lshrrev_b32_e32 v100, 4, v100
	v_and_b32_e32 v98, 0xf0f0f0f, v98
	v_lshlrev_b32_e32 v99, 4, v99
	v_and_or_b32 v118, 0x10101010, v137, v136
	v_and_or_b32 v119, 0x10101010, v124, v123
	;; [unrolled: 1-line block ×6, first 2 shown]
	ds_store_2addr_b32 v17, v84, v90 offset1:8
	ds_store_2addr_b32 v21, v92, v104 offset1:8
	;; [unrolled: 1-line block ×11, first 2 shown]
	s_waitcnt vmcnt(9)
	v_ashrrev_i32_e32 v84, v16, v102
	v_ashrrev_i32_e32 v147, v11, v102
	v_and_b32_e32 v101, 0xf0f0f0f, v101
	v_lshlrev_b32_e32 v143, 4, v143
	v_lshlrev_b32_e32 v97, 4, v97
	v_and_or_b32 v93, 0x10101010, v99, v98
	v_and_b32_e32 v94, 0xf0f0f0f, v100
	v_lshlrev_b32_e32 v84, 4, v84
	v_lshlrev_b32_e32 v145, 4, v145
	;; [unrolled: 1-line block ×3, first 2 shown]
	v_and_or_b32 v96, 0x10101010, v143, v142
	v_and_or_b32 v97, 0x10101010, v97, v101
	s_waitcnt vmcnt(8)
	v_lshrrev_b32_e32 v95, 4, v87
	s_waitcnt vmcnt(7)
	v_ashrrev_i32_e32 v98, v11, v88
	v_ashrrev_i32_e32 v88, v16, v88
	v_and_or_b32 v84, 0x10101010, v84, v94
	v_and_b32_e32 v87, 0xf0f0f0f, v87
	v_and_b32_e32 v94, 0xf0f0f0f, v95
	v_lshlrev_b32_e32 v95, 4, v98
	v_lshlrev_b32_e32 v88, 4, v88
	v_and_or_b32 v92, 0x10101010, v145, v144
	v_and_or_b32 v90, 0x10101010, v90, v146
	ds_store_2addr_b32 v34, v96, v97 offset1:8
	ds_store_2addr_b32 v36, v92, v93 offset1:8
	;; [unrolled: 1-line block ×3, first 2 shown]
	v_and_or_b32 v84, 0x10101010, v95, v87
	v_and_or_b32 v87, 0x10101010, v88, v94
	s_waitcnt vmcnt(6)
	v_lshrrev_b32_e32 v88, 4, v91
	v_and_b32_e32 v90, 0xf0f0f0f, v91
	s_waitcnt vmcnt(5)
	v_ashrrev_i32_e32 v91, v11, v89
	v_ashrrev_i32_e32 v89, v16, v89
	s_waitcnt vmcnt(4)
	v_ashrrev_i32_e32 v92, v19, v105
	v_and_b32_e32 v88, 0xf0f0f0f, v88
	ds_store_2addr_b32 v38, v84, v87 offset1:8
	s_waitcnt vmcnt(3)
	v_ashrrev_i32_e32 v93, v19, v103
	v_lshlrev_b32_e32 v91, 4, v91
	v_lshlrev_b32_e32 v89, 4, v89
	v_and_b32_e32 v92, 0xf0f0f0f, v92
	s_delay_alu instid0(VALU_DEP_4)
	v_and_b32_e32 v93, 0xf0f0f0f, v93
	s_waitcnt vmcnt(2)
	v_ashrrev_i32_e32 v85, v46, v85
	s_waitcnt vmcnt(1)
	v_ashrrev_i32_e32 v86, v46, v86
	v_and_or_b32 v90, 0x10101010, v91, v90
	v_and_or_b32 v88, 0x10101010, v89, v88
	;; [unrolled: 1-line block ×3, first 2 shown]
	s_delay_alu instid0(VALU_DEP_4)
	v_and_or_b32 v85, 0x30303030, v86, v93
	ds_store_2addr_b32 v41, v90, v88 offset1:8
	s_waitcnt vmcnt(0)
	ds_store_b32 v43, v83
	ds_store_b32 v48, v84
	;; [unrolled: 1-line block ×3, first 2 shown]
	s_cbranch_scc0 .LBB213_4
; %bb.6:                                ;   in Loop: Header=BB213_5 Depth=1
	s_lshl_b32 s14, s17, 3
	s_delay_alu instid0(SALU_CYCLE_1) | instskip(NEXT) | instid1(VALU_DEP_1)
	v_add_nc_u32_e32 v83, s14, v53
	v_cmp_gt_i32_e32 vcc_lo, s5, v83
	s_and_b32 s21, s1, vcc_lo
	s_delay_alu instid0(SALU_CYCLE_1)
	s_and_saveexec_b32 s20, s21
	s_cbranch_execz .LBB213_8
; %bb.7:                                ;   in Loop: Header=BB213_5 Depth=1
	v_add_nc_u32_e32 v85, v59, v83
	s_delay_alu instid0(VALU_DEP_1)
	v_mad_i64_i32 v[83:84], null, v85, 36, v[0:1]
	global_load_b32 v83, v[83:84], off offset:4
	s_waitcnt vmcnt(0)
	ds_store_b32 v51, v83
.LBB213_8:                              ;   in Loop: Header=BB213_5 Depth=1
	s_or_b32 exec_lo, exec_lo, s20
	s_and_saveexec_b32 s20, s0
	s_cbranch_execz .LBB213_11
; %bb.9:                                ;   in Loop: Header=BB213_5 Depth=1
	v_or_b32_e32 v83, s14, v4
	s_delay_alu instid0(VALU_DEP_1) | instskip(SKIP_1) | instid1(SALU_CYCLE_1)
	v_cmp_gt_i32_e32 vcc_lo, s5, v83
	s_and_b32 s21, s1, vcc_lo
	s_and_b32 exec_lo, exec_lo, s21
	s_cbranch_execz .LBB213_11
; %bb.10:                               ;   in Loop: Header=BB213_5 Depth=1
	v_add_nc_u32_e32 v85, v59, v83
	s_delay_alu instid0(VALU_DEP_1)
	v_mad_i64_i32 v[83:84], null, v85, 36, s[2:3]
	global_load_b32 v83, v[83:84], off
	s_waitcnt vmcnt(0)
	ds_store_b32 v52, v83
.LBB213_11:                             ;   in Loop: Header=BB213_5 Depth=1
	s_or_b32 exec_lo, exec_lo, s20
	s_waitcnt lgkmcnt(0)
	s_barrier
	buffer_gl0_inv
	ds_load_b32 v84, v55
	ds_load_b32 v85, v56 offset:128
	ds_load_b32 v86, v57 offset:256
	ds_load_b32 v87, v58 offset:384
	s_mov_b32 s21, 0
	s_mov_b32 s20, -1
	s_waitcnt lgkmcnt(3)
	v_lshrrev_b32_e32 v88, 16, v84
	s_waitcnt lgkmcnt(2)
	v_lshrrev_b32_e32 v89, 16, v85
	;; [unrolled: 2-line block ×4, first 2 shown]
	v_cvt_f32_f16_e32 v83, v84
	v_cvt_f32_f16_e32 v84, v85
	;; [unrolled: 1-line block ×8, first 2 shown]
.LBB213_12:                             ;   Parent Loop BB213_5 Depth=1
                                        ; =>  This Inner Loop Header: Depth=2
	s_lshr_b32 s22, s21, 2
	v_lshl_or_b32 v91, s21, 1, v7
	s_lshl_b32 s21, s21, 3
	s_add_i32 s22, s22, 0x8200
	v_add_nc_u32_e32 v92, s21, v60
	v_add_nc_u32_e32 v93, s21, v61
	;; [unrolled: 1-line block ×4, first 2 shown]
	v_add3_u32 v99, s22, v78, v82
	v_add3_u32 v96, s22, v71, v75
	;; [unrolled: 1-line block ×4, first 2 shown]
	v_lshlrev_b32_e32 v103, 2, v91
	v_lshrrev_b32_e32 v100, 1, v91
	ds_load_2addr_b32 v[107:108], v92 offset1:1
	ds_load_2addr_b32 v[109:110], v92 offset0:2 offset1:3
	ds_load_2addr_b32 v[111:112], v92 offset0:4 offset1:5
	ds_load_2addr_b32 v[113:114], v92 offset0:6 offset1:7
	ds_load_2addr_b32 v[115:116], v92 offset0:8 offset1:9
	ds_load_2addr_b32 v[117:118], v92 offset0:10 offset1:11
	ds_load_2addr_b32 v[119:120], v92 offset0:12 offset1:13
	ds_load_2addr_b32 v[121:122], v92 offset0:14 offset1:15
	ds_load_2addr_b32 v[123:124], v93 offset1:1
	ds_load_2addr_b32 v[125:126], v93 offset0:2 offset1:3
	ds_load_2addr_b32 v[127:128], v93 offset0:4 offset1:5
	ds_load_2addr_b32 v[129:130], v93 offset0:6 offset1:7
	ds_load_2addr_b32 v[131:132], v93 offset0:8 offset1:9
	ds_load_2addr_b32 v[133:134], v93 offset0:10 offset1:11
	ds_load_2addr_b32 v[135:136], v93 offset0:12 offset1:13
	ds_load_2addr_b32 v[137:138], v93 offset0:14 offset1:15
	;; [unrolled: 8-line block ×4, first 2 shown]
	ds_load_u16 v173, v96
	ds_load_u8 v174, v96 offset:8
	ds_load_u8 v175, v96 offset:9
	ds_load_u16 v176, v97
	ds_load_u8 v177, v97 offset:8
	ds_load_u8 v178, v97 offset:9
	;; [unrolled: 3-line block ×3, first 2 shown]
	ds_load_b128 v[91:94], v103 offset:35392
	ds_load_u16 v182, v99
	ds_load_b64 v[171:172], v100 offset:36944
	ds_load_u8 v183, v99 offset:8
	ds_load_b128 v[95:98], v103 offset:35424
	ds_load_u8 v184, v99 offset:9
	ds_load_b128 v[99:102], v103 offset:35408
	ds_load_b128 v[103:106], v103 offset:35440
	s_mov_b32 s21, 8
	s_and_b32 vcc_lo, exec_lo, s20
	s_mov_b32 s20, 0
	s_waitcnt lgkmcnt(16)
	v_lshrrev_b16 v185, 8, v173
	s_waitcnt lgkmcnt(15)
	v_cvt_f32_ubyte0_e32 v174, v174
	s_waitcnt lgkmcnt(14)
	v_cvt_f32_ubyte0_e32 v175, v175
	s_waitcnt lgkmcnt(13)
	v_lshrrev_b16 v186, 8, v176
	s_waitcnt lgkmcnt(12)
	v_cvt_f32_ubyte0_e32 v177, v177
	s_waitcnt lgkmcnt(11)
	v_cvt_f32_ubyte0_e32 v178, v178
	s_waitcnt lgkmcnt(10)
	v_lshrrev_b16 v187, 8, v179
	v_and_b32_e32 v179, 0xff, v179
	s_waitcnt lgkmcnt(9)
	v_cvt_f32_ubyte0_e32 v180, v180
	s_waitcnt lgkmcnt(7)
	v_dot4_i32_iu8 v107, v107, v91, 0 neg_lo:[1,1,0]
	v_dot4_i32_iu8 v123, v123, v91, 0 neg_lo:[1,1,0]
	;; [unrolled: 1-line block ×4, first 2 shown]
	s_waitcnt lgkmcnt(3)
	v_dot4_i32_iu8 v115, v115, v95, 0 neg_lo:[1,1,0]
	v_dot4_i32_iu8 v131, v131, v95, 0 neg_lo:[1,1,0]
	;; [unrolled: 1-line block ×18, first 2 shown]
	v_and_b32_e32 v163, 0xffff, v185
	v_dot4_i32_iu8 v92, v166, v98, v92 neg_lo:[1,1,0]
	s_waitcnt lgkmcnt(1)
	v_dot4_i32_iu8 v91, v159, v99, v91 neg_lo:[1,1,0]
	v_and_b32_e32 v185, 0xffff, v187
	v_dot4_i32_iu8 v117, v133, v97, v124 neg_lo:[1,1,0]
	v_dot4_i32_iu8 v123, v141, v93, v131 neg_lo:[1,1,0]
	s_waitcnt lgkmcnt(0)
	v_dot4_i32_iu8 v92, v167, v103, v92 neg_lo:[1,1,0]
	v_dot4_i32_iu8 v91, v160, v100, v91 neg_lo:[1,1,0]
	;; [unrolled: 1-line block ×8, first 2 shown]
	v_cvt_f32_ubyte0_e32 v181, v181
	v_fma_mix_f32 v155, v171, v174, 0 op_sel:[1,0,0] op_sel_hi:[1,0,0]
	v_dot4_i32_iu8 v92, v169, v105, v92 neg_lo:[1,1,0]
	v_dot4_i32_iu8 v91, v162, v102, v91 neg_lo:[1,1,0]
	v_fma_mix_f32 v174, v171, v177, 0 op_sel:[1,0,0] op_sel_hi:[1,0,0]
	v_fma_mix_f32 v180, v171, v180, 0 op_sel:[1,0,0] op_sel_hi:[1,0,0]
	v_dot4_i32_iu8 v110, v134, v98, v117 neg_lo:[1,1,0]
	v_dot4_i32_iu8 v92, v170, v106, v92 neg_lo:[1,1,0]
	v_mul_lo_u32 v91, v91, v179
	v_dot4_i32_iu8 v115, v142, v94, v123 neg_lo:[1,1,0]
	v_dot4_i32_iu8 v117, v150, v98, v124 neg_lo:[1,1,0]
	;; [unrolled: 1-line block ×3, first 2 shown]
	v_mul_lo_u32 v92, v92, v185
	v_dot4_i32_iu8 v98, v127, v99, v109 neg_lo:[1,1,0]
	v_cvt_f32_ubyte0_e32 v183, v183
	v_fma_mix_f32 v95, v172, v175, v155 op_sel:[1,0,0] op_sel_hi:[1,0,0]
	v_cvt_f32_i32_e32 v91, v91
	v_fma_mix_f32 v96, v172, v178, v174 op_sel:[1,0,0] op_sel_hi:[1,0,0]
	v_fma_mix_f32 v139, v172, v181, v180 op_sel:[1,0,0] op_sel_hi:[1,0,0]
	v_dot4_i32_iu8 v97, v119, v103, v107 neg_lo:[1,1,0]
	v_dot4_i32_iu8 v107, v135, v103, v110 neg_lo:[1,1,0]
	;; [unrolled: 1-line block ×5, first 2 shown]
	v_cvt_f32_i32_e32 v92, v92
	v_fma_mix_f32 v91, v171, v91, 0 op_sel_hi:[1,0,0]
	v_cvt_f32_ubyte0_e32 v184, v184
	v_fma_mix_f32 v108, v171, v183, 0 op_sel:[1,0,0] op_sel_hi:[1,0,0]
	v_mul_f32_e32 v93, v95, v88
	v_dual_mul_f32 v95, v96, v89 :: v_dual_mul_f32 v96, v139, v90
	v_dot4_i32_iu8 v110, v151, v103, v117 neg_lo:[1,1,0]
	v_dot4_i32_iu8 v97, v120, v104, v97 neg_lo:[1,1,0]
	;; [unrolled: 1-line block ×6, first 2 shown]
	v_fma_mix_f32 v91, v172, v92, v91 op_sel_hi:[1,0,0]
	v_lshrrev_b16 v188, 8, v182
	v_fma_mix_f32 v108, v172, v184, v108 op_sel:[1,0,0] op_sel_hi:[1,0,0]
	v_and_b32_e32 v173, 0xff, v173
	v_dot4_i32_iu8 v97, v121, v105, v97 neg_lo:[1,1,0]
	v_dot4_i32_iu8 v99, v137, v105, v99 neg_lo:[1,1,0]
	;; [unrolled: 1-line block ×5, first 2 shown]
	v_fma_f32 v91, v91, v86, -v96
	v_and_b32_e32 v182, 0xff, v182
	v_and_b32_e32 v116, 0xffff, v188
	v_dot4_i32_iu8 v97, v122, v106, v97 neg_lo:[1,1,0]
	v_dot4_i32_iu8 v99, v138, v106, v99 neg_lo:[1,1,0]
	v_add_f32_e32 v81, v81, v91
	v_dot4_i32_iu8 v100, v146, v102, v100 neg_lo:[1,1,0]
	v_mul_lo_u32 v94, v94, v182
	v_mul_f32_e32 v102, v108, v87
	v_mul_lo_u32 v98, v98, v173
	v_mul_lo_u32 v97, v97, v116
	;; [unrolled: 1-line block ×3, first 2 shown]
	v_dot4_i32_iu8 v107, v152, v104, v110 neg_lo:[1,1,0]
	v_and_b32_e32 v177, 0xffff, v186
	v_cvt_f32_i32_e32 v94, v94
	v_cvt_f32_i32_e32 v98, v98
	;; [unrolled: 1-line block ×4, first 2 shown]
	s_delay_alu instid0(VALU_DEP_4) | instskip(SKIP_2) | instid1(VALU_DEP_3)
	v_fma_mix_f32 v94, v171, v94, 0 op_sel_hi:[1,0,0]
	v_dot4_i32_iu8 v103, v153, v105, v107 neg_lo:[1,1,0]
	v_fma_mix_f32 v98, v171, v98, 0 op_sel_hi:[1,0,0]
	v_fma_mix_f32 v94, v172, v97, v94 op_sel_hi:[1,0,0]
	s_delay_alu instid0(VALU_DEP_3) | instskip(NEXT) | instid1(VALU_DEP_3)
	v_dot4_i32_iu8 v101, v154, v106, v103 neg_lo:[1,1,0]
	v_fma_mix_f32 v97, v172, v99, v98 op_sel_hi:[1,0,0]
	s_delay_alu instid0(VALU_DEP_3) | instskip(NEXT) | instid1(VALU_DEP_3)
	v_fma_f32 v92, v94, v83, -v102
	v_mul_lo_u32 v101, v101, v177
	s_delay_alu instid0(VALU_DEP_3) | instskip(SKIP_1) | instid1(VALU_DEP_2)
	v_fma_f32 v93, v97, v84, -v93
	v_and_b32_e32 v176, 0xff, v176
	v_dual_add_f32 v2, v2, v92 :: v_dual_add_f32 v79, v79, v93
	s_delay_alu instid0(VALU_DEP_2) | instskip(SKIP_1) | instid1(VALU_DEP_2)
	v_mul_lo_u32 v100, v100, v176
	v_cvt_f32_i32_e32 v101, v101
	v_cvt_f32_i32_e32 v100, v100
	s_delay_alu instid0(VALU_DEP_1) | instskip(NEXT) | instid1(VALU_DEP_1)
	v_fma_mix_f32 v100, v171, v100, 0 op_sel_hi:[1,0,0]
	v_fma_mix_f32 v98, v172, v101, v100 op_sel_hi:[1,0,0]
	s_delay_alu instid0(VALU_DEP_1) | instskip(NEXT) | instid1(VALU_DEP_1)
	v_fma_f32 v94, v98, v85, -v95
	v_add_f32_e32 v80, v80, v94
	s_cbranch_vccnz .LBB213_12
; %bb.13:                               ;   in Loop: Header=BB213_5 Depth=1
	s_bitset1_b32 s15, 7
	s_delay_alu instid0(SALU_CYCLE_1)
	s_cmp_ge_i32 s15, s11
	s_barrier
	buffer_gl0_inv
	s_cbranch_scc1 .LBB213_4
; %bb.14:                               ;   in Loop: Header=BB213_5 Depth=1
	v_add_nc_u32_e32 v83, s14, v54
	s_delay_alu instid0(VALU_DEP_1) | instskip(SKIP_1) | instid1(SALU_CYCLE_1)
	v_cmp_gt_i32_e32 vcc_lo, s5, v83
	s_and_b32 s20, s1, vcc_lo
	s_and_saveexec_b32 s15, s20
	s_cbranch_execz .LBB213_16
; %bb.15:                               ;   in Loop: Header=BB213_5 Depth=1
	v_add_nc_u32_e32 v85, v59, v83
	s_delay_alu instid0(VALU_DEP_1)
	v_mad_i64_i32 v[83:84], null, v85, 36, v[0:1]
	global_load_b32 v83, v[83:84], off offset:4
	s_waitcnt vmcnt(0)
	ds_store_b32 v51, v83
.LBB213_16:                             ;   in Loop: Header=BB213_5 Depth=1
	s_or_b32 exec_lo, exec_lo, s15
	s_and_saveexec_b32 s15, s0
	s_cbranch_execz .LBB213_19
; %bb.17:                               ;   in Loop: Header=BB213_5 Depth=1
	v_or_b32_e32 v83, s14, v4
	s_delay_alu instid0(VALU_DEP_1) | instskip(NEXT) | instid1(VALU_DEP_1)
	v_or_b32_e32 v84, 4, v83
	v_cmp_gt_i32_e32 vcc_lo, s5, v84
	s_and_b32 s14, s1, vcc_lo
	s_delay_alu instid0(SALU_CYCLE_1)
	s_and_b32 exec_lo, exec_lo, s14
	s_cbranch_execz .LBB213_19
; %bb.18:                               ;   in Loop: Header=BB213_5 Depth=1
	v_ashrrev_i32_e32 v84, 31, v83
	v_add_co_u32 v85, vcc_lo, v59, v83
	s_delay_alu instid0(VALU_DEP_2) | instskip(NEXT) | instid1(VALU_DEP_2)
	v_add_co_ci_u32_e32 v86, vcc_lo, v64, v84, vcc_lo
	v_mad_u64_u32 v[83:84], null, v85, 36, s[12:13]
	s_delay_alu instid0(VALU_DEP_1)
	v_mad_i32_i24 v84, v86, 36, v84
	global_load_b32 v83, v[83:84], off
	s_waitcnt vmcnt(0)
	ds_store_b32 v52, v83
.LBB213_19:                             ;   in Loop: Header=BB213_5 Depth=1
	s_or_b32 exec_lo, exec_lo, s15
	s_waitcnt lgkmcnt(0)
	s_barrier
	buffer_gl0_inv
	ds_load_b32 v86, v55
	ds_load_b32 v87, v56 offset:128
	ds_load_b32 v88, v57 offset:256
	;; [unrolled: 1-line block ×3, first 2 shown]
	v_dual_mov_b32 v83, v67 :: v_dual_mov_b32 v84, v66
	s_mov_b32 s14, 16
	s_mov_b32 s15, 0
	;; [unrolled: 1-line block ×3, first 2 shown]
	s_waitcnt lgkmcnt(3)
	v_lshrrev_b32_e32 v90, 16, v86
	s_waitcnt lgkmcnt(2)
	v_lshrrev_b32_e32 v91, 16, v87
	;; [unrolled: 2-line block ×4, first 2 shown]
	v_cvt_f32_f16_e32 v85, v86
	v_cvt_f32_f16_e32 v86, v87
	;; [unrolled: 1-line block ×8, first 2 shown]
	v_mov_b32_e32 v93, v65
.LBB213_20:                             ;   Parent Loop BB213_5 Depth=1
                                        ; =>  This Inner Loop Header: Depth=2
	ds_load_b128 v[94:97], v83
	ds_load_b128 v[98:101], v83 offset:16
	ds_load_b128 v[102:105], v83 offset:32
	;; [unrolled: 1-line block ×3, first 2 shown]
	ds_load_b64 v[110:111], v84
	ds_load_2addr_b32 v[112:113], v93 offset1:1
	ds_load_2addr_b32 v[114:115], v93 offset0:2 offset1:3
	ds_load_2addr_b32 v[116:117], v93 offset0:4 offset1:5
	ds_load_2addr_b32 v[118:119], v93 offset0:6 offset1:7
	ds_load_2addr_b32 v[120:121], v93 offset0:8 offset1:9
	ds_load_2addr_b32 v[122:123], v93 offset0:10 offset1:11
	ds_load_2addr_b32 v[124:125], v93 offset0:12 offset1:13
	ds_load_2addr_b32 v[126:127], v93 offset0:14 offset1:15
	v_add_nc_u32_e32 v128, 0x2080, v93
	v_add_nc_u32_e32 v130, 0x2088, v93
	v_add_nc_u32_e32 v132, 0x2090, v93
	v_add_nc_u32_e32 v134, 0x2098, v93
	v_add_nc_u32_e32 v136, 0x20a0, v93
	v_add_nc_u32_e32 v138, 0x20a8, v93
	v_add_nc_u32_e32 v140, 0x20b0, v93
	v_add_nc_u32_e32 v142, 0x20b8, v93
	v_add_nc_u32_e32 v144, 0x4100, v93
	v_add_nc_u32_e32 v146, 0x4108, v93
	ds_load_2addr_b32 v[128:129], v128 offset1:1
	ds_load_2addr_b32 v[130:131], v130 offset1:1
	;; [unrolled: 1-line block ×8, first 2 shown]
	v_add_nc_u32_e32 v160, s15, v68
	v_add_nc_u32_e32 v148, 0x4110, v93
	s_lshr_b32 s21, s14, 2
	v_add_nc_u32_e32 v150, 0x4118, v93
	v_add_nc_u32_e32 v161, 0x6180, v93
	;; [unrolled: 1-line block ×8, first 2 shown]
	s_and_b32 s21, s21, 0x3ffffffc
	ds_load_2addr_b32 v[144:145], v144 offset1:1
	ds_load_2addr_b32 v[146:147], v146 offset1:1
	;; [unrolled: 1-line block ×8, first 2 shown]
	v_add_nc_u32_e32 v166, 0x6198, v93
	v_add_nc_u32_e32 v168, 0x61a0, v93
	;; [unrolled: 1-line block ×5, first 2 shown]
	v_add3_u32 v176, v72, s21, v160
	v_add3_u32 v177, v71, s21, v160
	;; [unrolled: 1-line block ×4, first 2 shown]
	ds_load_2addr_b32 v[160:161], v161 offset1:1
	ds_load_2addr_b32 v[162:163], v162 offset1:1
	;; [unrolled: 1-line block ×8, first 2 shown]
	ds_load_u16 v180, v176
	ds_load_u16 v176, v176 offset:8
	ds_load_u16 v181, v177 offset:33792
	ds_load_u16 v177, v177 offset:33800
	ds_load_u16 v182, v178 offset:34304
	ds_load_u16 v178, v178 offset:34312
	ds_load_u16 v183, v179 offset:34816
	ds_load_u16 v179, v179 offset:34824
	s_waitcnt lgkmcnt(39)
	v_dot4_i32_iu8 v112, v112, v94, 0 neg_lo:[1,1,0]
	s_waitcnt lgkmcnt(35)
	v_dot4_i32_iu8 v120, v120, v102, 0 neg_lo:[1,1,0]
	v_add_nc_u32_e32 v84, 8, v84
	v_add_nc_u32_e32 v83, 64, v83
	s_add_i32 s22, s20, 8
	v_dot4_i32_iu8 v112, v113, v95, v112 neg_lo:[1,1,0]
	v_dot4_i32_iu8 v113, v121, v103, v120 neg_lo:[1,1,0]
	s_waitcnt lgkmcnt(31)
	v_dot4_i32_iu8 v120, v128, v94, 0 neg_lo:[1,1,0]
	s_waitcnt lgkmcnt(27)
	;; [unrolled: 2-line block ×4, first 2 shown]
	v_dot4_i32_iu8 v94, v160, v94, 0 neg_lo:[1,1,0]
	v_dot4_i32_iu8 v136, v152, v102, 0 neg_lo:[1,1,0]
	s_waitcnt lgkmcnt(11)
	v_dot4_i32_iu8 v102, v168, v102, 0 neg_lo:[1,1,0]
	v_dot4_i32_iu8 v112, v114, v96, v112 neg_lo:[1,1,0]
	s_waitcnt lgkmcnt(6)
	v_cvt_f32_ubyte0_e32 v152, v176
	v_dot4_i32_iu8 v113, v122, v104, v113 neg_lo:[1,1,0]
	v_dot4_i32_iu8 v120, v129, v95, v120 neg_lo:[1,1,0]
	;; [unrolled: 1-line block ×5, first 2 shown]
	v_cvt_f32_ubyte1_e32 v122, v176
	s_waitcnt lgkmcnt(4)
	v_cvt_f32_ubyte0_e32 v168, v177
	v_cvt_f32_ubyte1_e32 v137, v177
	s_waitcnt lgkmcnt(2)
	v_cvt_f32_ubyte0_e32 v177, v178
	v_dot4_i32_iu8 v136, v153, v103, v136 neg_lo:[1,1,0]
	v_cvt_f32_ubyte1_e32 v153, v178
	s_waitcnt lgkmcnt(0)
	v_cvt_f32_ubyte0_e32 v178, v179
	v_dot4_i32_iu8 v102, v169, v103, v102 neg_lo:[1,1,0]
	v_dot4_i32_iu8 v112, v115, v97, v112 neg_lo:[1,1,0]
	v_fma_mix_f32 v115, v110, v152, 0 op_sel:[1,0,0] op_sel_hi:[1,0,0]
	v_dot4_i32_iu8 v113, v123, v105, v113 neg_lo:[1,1,0]
	v_dot4_i32_iu8 v120, v130, v96, v120 neg_lo:[1,1,0]
	;; [unrolled: 1-line block ×5, first 2 shown]
	v_cvt_f32_ubyte1_e32 v103, v179
	v_dot4_i32_iu8 v136, v154, v104, v136 neg_lo:[1,1,0]
	v_fma_mix_f32 v96, v110, v178, 0 op_sel:[1,0,0] op_sel_hi:[1,0,0]
	v_dot4_i32_iu8 v102, v170, v104, v102 neg_lo:[1,1,0]
	v_dot4_i32_iu8 v104, v116, v98, v112 neg_lo:[1,1,0]
	;; [unrolled: 1-line block ×3, first 2 shown]
	v_fma_mix_f32 v113, v111, v122, v115 op_sel:[1,0,0] op_sel_hi:[1,0,0]
	v_dot4_i32_iu8 v115, v131, v97, v120 neg_lo:[1,1,0]
	v_dot4_i32_iu8 v116, v139, v105, v121 neg_lo:[1,1,0]
	;; [unrolled: 1-line block ×6, first 2 shown]
	v_fma_mix_f32 v96, v111, v103, v96 op_sel:[1,0,0] op_sel_hi:[1,0,0]
	v_dot4_i32_iu8 v102, v117, v99, v104 neg_lo:[1,1,0]
	v_dot4_i32_iu8 v103, v125, v107, v112 neg_lo:[1,1,0]
	;; [unrolled: 1-line block ×4, first 2 shown]
	v_mul_f32_e32 v96, v96, v92
	v_dot4_i32_iu8 v115, v148, v98, v121 neg_lo:[1,1,0]
	v_dot4_i32_iu8 v94, v164, v98, v94 neg_lo:[1,1,0]
	;; [unrolled: 1-line block ×10, first 2 shown]
	v_lshrrev_b16 v114, 8, v180
	v_lshrrev_b16 v129, 8, v181
	v_dot4_i32_iu8 v112, v157, v107, v116 neg_lo:[1,1,0]
	v_dot4_i32_iu8 v97, v173, v107, v97 neg_lo:[1,1,0]
	;; [unrolled: 1-line block ×7, first 2 shown]
	v_and_b32_e32 v144, 0xff, v180
	v_and_b32_e32 v160, 0xff, v181
	v_lshrrev_b16 v145, 8, v182
	v_and_b32_e32 v176, 0xff, v182
	v_lshrrev_b16 v95, 8, v183
	v_dual_mul_f32 v104, v113, v89 :: v_dual_and_b32 v161, 0xff, v183
	v_and_b32_e32 v114, 0xffff, v114
	v_and_b32_e32 v129, 0xffff, v129
	v_dot4_i32_iu8 v98, v119, v101, v98 neg_lo:[1,1,0]
	v_dot4_i32_iu8 v106, v158, v108, v112 neg_lo:[1,1,0]
	v_dot4_i32_iu8 v97, v174, v108, v97 neg_lo:[1,1,0]
	v_dot4_i32_iu8 v100, v135, v101, v102 neg_lo:[1,1,0]
	v_dot4_i32_iu8 v102, v143, v109, v103 neg_lo:[1,1,0]
	v_dot4_i32_iu8 v103, v151, v101, v105 neg_lo:[1,1,0]
	v_dot4_i32_iu8 v94, v167, v101, v94 neg_lo:[1,1,0]
	v_and_b32_e32 v138, 0xffff, v145
	v_and_b32_e32 v95, 0xffff, v95
	v_mul_lo_u32 v98, v98, v144
	v_mul_lo_u32 v99, v99, v114
	v_dot4_i32_iu8 v105, v159, v109, v106 neg_lo:[1,1,0]
	v_dot4_i32_iu8 v97, v175, v109, v97 neg_lo:[1,1,0]
	v_mul_lo_u32 v100, v100, v160
	v_mul_lo_u32 v101, v102, v129
	v_mul_lo_u32 v102, v103, v176
	v_mul_lo_u32 v94, v94, v161
	v_mul_lo_u32 v103, v105, v138
	v_mul_lo_u32 v95, v97, v95
	v_fma_mix_f32 v123, v110, v168, 0 op_sel:[1,0,0] op_sel_hi:[1,0,0]
	v_fma_mix_f32 v130, v110, v177, 0 op_sel:[1,0,0] op_sel_hi:[1,0,0]
	v_cvt_f32_i32_e32 v97, v98
	v_cvt_f32_i32_e32 v98, v99
	;; [unrolled: 1-line block ×6, first 2 shown]
	v_fma_mix_f32 v120, v111, v137, v123 op_sel:[1,0,0] op_sel_hi:[1,0,0]
	v_fma_mix_f32 v123, v111, v153, v130 op_sel:[1,0,0] op_sel_hi:[1,0,0]
	v_fma_mix_f32 v97, v110, v97, 0 op_sel_hi:[1,0,0]
	v_cvt_f32_i32_e32 v102, v103
	v_cvt_f32_i32_e32 v95, v95
	v_fma_mix_f32 v99, v110, v99, 0 op_sel_hi:[1,0,0]
	v_fma_mix_f32 v101, v110, v101, 0 op_sel_hi:[1,0,0]
	;; [unrolled: 1-line block ×3, first 2 shown]
	v_mul_f32_e32 v113, v120, v90
	v_mul_f32_e32 v117, v123, v91
	v_fma_mix_f32 v97, v111, v98, v97 op_sel_hi:[1,0,0]
	v_fma_mix_f32 v98, v111, v100, v99 op_sel_hi:[1,0,0]
	;; [unrolled: 1-line block ×4, first 2 shown]
	s_add_i32 s20, s20, 16
	v_fma_f32 v95, v97, v85, -v104
	v_fma_f32 v97, v98, v86, -v113
	;; [unrolled: 1-line block ×4, first 2 shown]
	s_delay_alu instid0(VALU_DEP_4) | instskip(NEXT) | instid1(VALU_DEP_3)
	v_dual_add_f32 v2, v2, v95 :: v_dual_add_nc_u32 v93, 64, v93
	v_dual_add_f32 v79, v79, v97 :: v_dual_add_f32 v80, v80, v98
	s_delay_alu instid0(VALU_DEP_3)
	v_add_f32_e32 v81, v81, v94
	s_add_i32 s14, s14, 8
	s_add_i32 s15, s15, 2
	s_cmp_lt_u32 s20, 24
	s_mov_b32 s20, s22
	s_cbranch_scc1 .LBB213_20
; %bb.21:                               ;   in Loop: Header=BB213_5 Depth=1
	s_barrier
	buffer_gl0_inv
	s_branch .LBB213_4
.LBB213_22:
	v_cvt_f16_f32_e32 v6, v2
	v_cvt_f16_f32_e32 v5, v79
	v_cvt_f16_f32_e32 v0, v80
	v_cvt_f16_f32_e32 v2, v81
.LBB213_23:
	s_mul_i32 s0, s7, s4
	s_waitcnt vmcnt(0)
	v_cmp_gt_i32_e32 vcc_lo, s0, v3
	s_and_saveexec_b32 s0, vcc_lo
	s_cbranch_execz .LBB213_32
; %bb.24:
	v_mul_lo_u32 v1, v3, s6
	v_add_nc_u32_e32 v4, s16, v4
	s_mov_b32 s0, exec_lo
	s_delay_alu instid0(VALU_DEP_1)
	v_cmpx_gt_u32_e64 s6, v4
	s_cbranch_execz .LBB213_26
; %bb.25:
	s_delay_alu instid0(VALU_DEP_3) | instskip(NEXT) | instid1(VALU_DEP_1)
	v_dual_mov_b32 v8, 0 :: v_dual_add_nc_u32 v7, v1, v4
	v_lshlrev_b64 v[7:8], 1, v[7:8]
	s_delay_alu instid0(VALU_DEP_1) | instskip(NEXT) | instid1(VALU_DEP_2)
	v_add_co_u32 v7, vcc_lo, s8, v7
	v_add_co_ci_u32_e32 v8, vcc_lo, s9, v8, vcc_lo
	global_store_b16 v[7:8], v6, off
.LBB213_26:
	s_or_b32 exec_lo, exec_lo, s0
	v_add_nc_u32_e32 v3, 32, v4
	s_mov_b32 s0, exec_lo
	s_delay_alu instid0(VALU_DEP_1)
	v_cmpx_gt_u32_e64 s6, v3
	s_cbranch_execz .LBB213_28
; %bb.27:
	v_dual_mov_b32 v7, 0 :: v_dual_add_nc_u32 v6, v1, v3
	s_delay_alu instid0(VALU_DEP_1) | instskip(NEXT) | instid1(VALU_DEP_1)
	v_lshlrev_b64 v[6:7], 1, v[6:7]
	v_add_co_u32 v6, vcc_lo, s8, v6
	s_delay_alu instid0(VALU_DEP_2)
	v_add_co_ci_u32_e32 v7, vcc_lo, s9, v7, vcc_lo
	global_store_b16 v[6:7], v5, off
.LBB213_28:
	s_or_b32 exec_lo, exec_lo, s0
	v_add_nc_u32_e32 v3, 64, v4
	s_mov_b32 s0, exec_lo
	s_delay_alu instid0(VALU_DEP_1)
	v_cmpx_gt_u32_e64 s6, v3
	s_cbranch_execz .LBB213_30
; %bb.29:
	v_dual_mov_b32 v6, 0 :: v_dual_add_nc_u32 v5, v1, v3
	s_delay_alu instid0(VALU_DEP_1) | instskip(NEXT) | instid1(VALU_DEP_1)
	v_lshlrev_b64 v[5:6], 1, v[5:6]
	v_add_co_u32 v5, vcc_lo, s8, v5
	s_delay_alu instid0(VALU_DEP_2)
	v_add_co_ci_u32_e32 v6, vcc_lo, s9, v6, vcc_lo
	global_store_b16 v[5:6], v0, off
.LBB213_30:
	s_or_b32 exec_lo, exec_lo, s0
	v_add_nc_u32_e32 v0, 0x60, v4
	s_delay_alu instid0(VALU_DEP_1)
	v_cmp_gt_u32_e32 vcc_lo, s6, v0
	s_and_b32 exec_lo, exec_lo, vcc_lo
	s_cbranch_execz .LBB213_32
; %bb.31:
	v_dual_mov_b32 v1, 0 :: v_dual_add_nc_u32 v0, v1, v0
	s_delay_alu instid0(VALU_DEP_1) | instskip(NEXT) | instid1(VALU_DEP_1)
	v_lshlrev_b64 v[0:1], 1, v[0:1]
	v_add_co_u32 v0, vcc_lo, s8, v0
	s_delay_alu instid0(VALU_DEP_2)
	v_add_co_ci_u32_e32 v1, vcc_lo, s9, v1, vcc_lo
	global_store_b16 v[0:1], v2, off
.LBB213_32:
	s_nop 0
	s_sendmsg sendmsg(MSG_DEALLOC_VGPRS)
	s_endpgm
	.section	.rodata,"a",@progbits
	.p2align	6, 0x0
	.amdhsa_kernel _ZL8moe_q5_KIN3c104HalfELb0EEvPKvS3_PT_PKiS7_S7_iiiiiii
		.amdhsa_group_segment_fixed_size 37072
		.amdhsa_private_segment_fixed_size 0
		.amdhsa_kernarg_size 76
		.amdhsa_user_sgpr_count 14
		.amdhsa_user_sgpr_dispatch_ptr 0
		.amdhsa_user_sgpr_queue_ptr 0
		.amdhsa_user_sgpr_kernarg_segment_ptr 1
		.amdhsa_user_sgpr_dispatch_id 0
		.amdhsa_user_sgpr_private_segment_size 0
		.amdhsa_wavefront_size32 1
		.amdhsa_uses_dynamic_stack 0
		.amdhsa_enable_private_segment 0
		.amdhsa_system_sgpr_workgroup_id_x 1
		.amdhsa_system_sgpr_workgroup_id_y 1
		.amdhsa_system_sgpr_workgroup_id_z 0
		.amdhsa_system_sgpr_workgroup_info 0
		.amdhsa_system_vgpr_workitem_id 1
		.amdhsa_next_free_vgpr 189
		.amdhsa_next_free_sgpr 23
		.amdhsa_reserve_vcc 1
		.amdhsa_float_round_mode_32 0
		.amdhsa_float_round_mode_16_64 0
		.amdhsa_float_denorm_mode_32 3
		.amdhsa_float_denorm_mode_16_64 3
		.amdhsa_dx10_clamp 1
		.amdhsa_ieee_mode 1
		.amdhsa_fp16_overflow 0
		.amdhsa_workgroup_processor_mode 1
		.amdhsa_memory_ordered 1
		.amdhsa_forward_progress 0
		.amdhsa_shared_vgpr_count 0
		.amdhsa_exception_fp_ieee_invalid_op 0
		.amdhsa_exception_fp_denorm_src 0
		.amdhsa_exception_fp_ieee_div_zero 0
		.amdhsa_exception_fp_ieee_overflow 0
		.amdhsa_exception_fp_ieee_underflow 0
		.amdhsa_exception_fp_ieee_inexact 0
		.amdhsa_exception_int_div_zero 0
	.end_amdhsa_kernel
	.section	.text._ZL8moe_q5_KIN3c104HalfELb0EEvPKvS3_PT_PKiS7_S7_iiiiiii,"axG",@progbits,_ZL8moe_q5_KIN3c104HalfELb0EEvPKvS3_PT_PKiS7_S7_iiiiiii,comdat
.Lfunc_end213:
	.size	_ZL8moe_q5_KIN3c104HalfELb0EEvPKvS3_PT_PKiS7_S7_iiiiiii, .Lfunc_end213-_ZL8moe_q5_KIN3c104HalfELb0EEvPKvS3_PT_PKiS7_S7_iiiiiii
                                        ; -- End function
	.section	.AMDGPU.csdata,"",@progbits
; Kernel info:
; codeLenInByte = 7752
; NumSgprs: 25
; NumVgprs: 189
; ScratchSize: 0
; MemoryBound: 0
; FloatMode: 240
; IeeeMode: 1
; LDSByteSize: 37072 bytes/workgroup (compile time only)
; SGPRBlocks: 3
; VGPRBlocks: 23
; NumSGPRsForWavesPerEU: 25
; NumVGPRsForWavesPerEU: 189
; Occupancy: 6
; WaveLimiterHint : 1
; COMPUTE_PGM_RSRC2:SCRATCH_EN: 0
; COMPUTE_PGM_RSRC2:USER_SGPR: 14
; COMPUTE_PGM_RSRC2:TRAP_HANDLER: 0
; COMPUTE_PGM_RSRC2:TGID_X_EN: 1
; COMPUTE_PGM_RSRC2:TGID_Y_EN: 1
; COMPUTE_PGM_RSRC2:TGID_Z_EN: 0
; COMPUTE_PGM_RSRC2:TIDIG_COMP_CNT: 1
	.section	.text._ZL8moe_q5_KIN3c104HalfELb1EEvPKvS3_PT_PKiS7_S7_iiiiiii,"axG",@progbits,_ZL8moe_q5_KIN3c104HalfELb1EEvPKvS3_PT_PKiS7_S7_iiiiiii,comdat
	.globl	_ZL8moe_q5_KIN3c104HalfELb1EEvPKvS3_PT_PKiS7_S7_iiiiiii ; -- Begin function _ZL8moe_q5_KIN3c104HalfELb1EEvPKvS3_PT_PKiS7_S7_iiiiiii
	.p2align	8
	.type	_ZL8moe_q5_KIN3c104HalfELb1EEvPKvS3_PT_PKiS7_S7_iiiiiii,@function
_ZL8moe_q5_KIN3c104HalfELb1EEvPKvS3_PT_PKiS7_S7_iiiiiii: ; @_ZL8moe_q5_KIN3c104HalfELb1EEvPKvS3_PT_PKiS7_S7_iiiiiii
; %bb.0:
	s_load_b128 s[4:7], s[0:1], 0x18
	s_mov_b32 s2, s15
	s_mov_b32 s3, 0
	s_delay_alu instid0(SALU_CYCLE_1)
	s_lshl_b64 s[8:9], s[2:3], 2
	s_waitcnt lgkmcnt(0)
	s_add_u32 s6, s6, s8
	s_addc_u32 s7, s7, s9
	s_load_b32 s15, s[6:7], 0x0
	s_waitcnt lgkmcnt(0)
	s_cmpk_gt_u32 s15, 0xff
	s_cbranch_scc1 .LBB214_32
; %bb.1:
	s_load_b64 s[6:7], s[0:1], 0x28
	s_lshl_b32 s2, s2, 3
	s_waitcnt lgkmcnt(0)
	s_load_b32 s3, s[6:7], 0x0
	s_waitcnt lgkmcnt(0)
	s_cmp_gt_u32 s2, s3
	s_cbranch_scc1 .LBB214_32
; %bb.2:
	v_bfe_u32 v66, v0, 10, 10
	v_mov_b32_e32 v2, 0
	s_mov_b32 s18, 0
	s_delay_alu instid0(VALU_DEP_2) | instskip(NEXT) | instid1(VALU_DEP_2)
	v_add_nc_u32_e32 v1, s2, v66
	v_dual_mov_b32 v0, v2 :: v_dual_and_b32 v19, 0x3ff, v0
	v_mov_b32_e32 v5, v2
	s_delay_alu instid0(VALU_DEP_3) | instskip(NEXT) | instid1(VALU_DEP_1)
	v_lshlrev_b64 v[3:4], 2, v[1:2]
	v_add_co_u32 v3, vcc_lo, s4, v3
	s_delay_alu instid0(VALU_DEP_2)
	v_add_co_ci_u32_e32 v4, vcc_lo, s5, v4, vcc_lo
	global_load_b32 v18, v[3:4], off
	s_clause 0x1
	s_load_b256 s[4:11], s[0:1], 0x30
	s_load_b64 s[12:13], s[0:1], 0x10
	v_mov_b32_e32 v3, v2
	s_waitcnt lgkmcnt(0)
	s_lshl_b32 s11, s14, 7
	s_cmpk_lt_i32 s5, 0x100
	s_cbranch_scc1 .LBB214_23
; %bb.3:
	s_load_b128 s[0:3], s[0:1], 0x0
	s_ashr_i32 s14, s5, 31
	s_mul_i32 s15, s15, s4
	s_lshr_b32 s4, s14, 24
	s_ashr_i32 s16, s8, 31
	s_add_i32 s4, s5, s4
	s_lshr_b32 s14, s16, 27
	s_ashr_i32 s4, s4, 8
	s_add_i32 s8, s8, s14
	s_mul_i32 s14, s4, s11
	v_dual_mov_b32 v20, 0 :: v_dual_and_b32 v1, 7, v19
	v_lshlrev_b32_e32 v0, 1, v19
	s_ashr_i32 s16, s15, 31
	s_ashr_i32 s8, s8, 5
	s_mul_hi_i32 s17, s14, 0xb0
	s_mulk_i32 s14, 0xb0
	v_add_nc_u32_e32 v61, 0x60, v19
	v_and_or_b32 v0, v0, 48, v1
	v_add_nc_u32_e32 v1, 8, v66
	s_waitcnt lgkmcnt(0)
	s_add_u32 s0, s0, s15
	s_addc_u32 s1, s1, s16
	s_add_u32 s19, s0, s14
	s_addc_u32 s20, s1, s17
	s_abs_i32 s1, s10
	s_not_b32 s0, s11
	v_cvt_f32_u32_e32 v47, s1
	v_lshlrev_b32_e32 v80, 2, v61
	s_add_i32 s0, s0, s6
	v_lshlrev_b32_e32 v17, 2, v0
	v_min_i32_e32 v2, s0, v66
	v_add_nc_u32_e32 v3, 16, v66
	v_rcp_iflag_f32_e32 v47, v47
	v_dual_mov_b32 v80, 0 :: v_dual_lshlrev_b32 v81, 2, v80
	v_min_i32_e32 v4, s0, v1
	s_waitcnt vmcnt(0)
	v_mad_u64_u32 v[0:1], null, 0x104, v2, v[17:18]
	v_min_i32_e32 v5, s0, v3
	v_add_nc_u32_e32 v3, 24, v66
	v_mul_lo_u32 v27, v2, s4
	v_mul_lo_u32 v28, v4, s4
	v_mad_u64_u32 v[1:2], null, 0x104, v4, v[17:18]
	v_dual_mul_f32 v47, 0x4f7ffffe, v47 :: v_dual_add_nc_u32 v4, 32, v66
	v_min_i32_e32 v6, s0, v3
	v_mul_lo_u32 v29, v5, s4
	v_mad_u64_u32 v[2:3], null, 0x104, v5, v[17:18]
	v_add_nc_u32_e32 v5, 40, v66
	v_min_i32_e32 v7, s0, v4
	v_mul_lo_u32 v30, v6, s4
	v_mad_u64_u32 v[3:4], null, 0x104, v6, v[17:18]
	v_add_nc_u32_e32 v6, 48, v66
	;; [unrolled: 4-line block ×3, first 2 shown]
	v_lshlrev_b32_e32 v36, 5, v66
	v_min_i32_e32 v9, s0, v6
	v_mul_lo_u32 v32, v8, s4
	v_mad_u64_u32 v[5:6], null, 0x104, v8, v[17:18]
	v_add_nc_u32_e32 v8, 64, v66
	v_min_i32_e32 v10, s0, v7
	v_add_nc_u32_e32 v50, v36, v19
	v_mul_lo_u32 v33, v9, s4
	v_mad_u64_u32 v[6:7], null, 0x104, v9, v[17:18]
	v_add_nc_u32_e32 v9, 0x48, v66
	v_min_i32_e32 v11, s0, v8
	v_mul_lo_u32 v34, v10, s4
	v_mad_u64_u32 v[7:8], null, 0x104, v10, v[17:18]
	v_add_nc_u32_e32 v10, 0x50, v66
	v_and_b32_e32 v16, 0x7f, v50
	v_min_i32_e32 v12, s0, v9
	v_mul_lo_u32 v35, v11, s4
	v_mad_u64_u32 v[8:9], null, 0x104, v11, v[17:18]
	v_min_i32_e32 v13, s0, v10
	v_add_nc_u32_e32 v11, 0x58, v66
	v_min_i32_e32 v45, s0, v16
	v_mul_lo_u32 v37, v12, s4
	v_mad_u64_u32 v[9:10], null, 0x104, v12, v[17:18]
	v_add_nc_u32_e32 v12, 0x60, v66
	v_mul_lo_u32 v38, v13, s4
	v_min_i32_e32 v14, s0, v11
	v_mad_u64_u32 v[10:11], null, 0x104, v13, v[17:18]
	v_add_nc_u32_e32 v13, 0x68, v66
	v_ashrrev_i32_e32 v42, 31, v45
	v_min_i32_e32 v41, s0, v12
	v_lshrrev_b32_e32 v15, 2, v19
	v_mul_lo_u32 v39, v14, s4
	v_mad_u64_u32 v[11:12], null, 0x104, v14, v[17:18]
	v_min_i32_e32 v16, s0, v13
	v_add_nc_u32_e32 v14, 0x70, v66
	v_lshrrev_b32_e32 v46, 27, v42
	v_mad_u64_u32 v[12:13], null, 0x104, v41, v[17:18]
	v_mul_lo_u32 v40, v41, s4
	v_mul_lo_u32 v41, v16, s4
	v_min_i32_e32 v43, s0, v14
	v_add_nc_u32_e32 v44, 0x78, v66
	v_mad_u64_u32 v[13:14], null, 0x104, v16, v[17:18]
	v_add_nc_u32_e32 v16, v45, v46
	v_lshl_add_u32 v46, v66, 3, v15
	v_lshlrev_b32_e32 v22, 2, v19
	v_min_i32_e32 v44, s0, v44
	v_cvt_u32_f32_e32 v47, v47
	v_ashrrev_i32_e32 v48, 5, v16
	v_and_b32_e32 v46, 0x7f, v46
	v_and_b32_e32 v53, 4, v22
	;; [unrolled: 1-line block ×3, first 2 shown]
	v_mad_u64_u32 v[14:15], null, 0x104, v43, v[17:18]
	v_mad_u64_u32 v[15:16], null, 0x104, v44, v[17:18]
	v_min_i32_e32 v17, s0, v46
	v_and_b32_e32 v16, 3, v19
	v_xor_b32_e32 v46, 64, v46
	v_mul_lo_u32 v42, v43, s4
	v_mul_lo_u32 v43, v44, s4
	v_ashrrev_i32_e32 v51, 31, v17
	v_add_nc_u32_e32 v49, 0xfe, v16
	v_cmp_gt_u32_e32 vcc_lo, 2, v16
	v_min_i32_e32 v52, s0, v46
	s_sub_i32 s0, 0, s1
	v_lshrrev_b32_e32 v51, 29, v51
	v_mul_lo_u32 v44, v45, s4
	v_lshlrev_b32_e32 v48, 2, v48
	v_lshlrev_b32_e32 v45, 2, v45
	v_cndmask_b32_e32 v49, v49, v16, vcc_lo
	v_add_nc_u32_e32 v46, v17, v51
	v_mul_lo_u32 v51, s0, v47
	v_cmp_ne_u32_e32 vcc_lo, 0, v16
	v_add3_u32 v45, v48, v45, 0x8e40
	v_and_b32_e32 v48, 0xff, v49
	v_ashrrev_i32_e32 v54, 3, v46
	v_sub_nc_u32_e32 v55, 0, v18
	v_ashrrev_i32_e32 v49, 31, v52
	v_lshrrev_b32_e32 v21, 5, v19
	v_mul_hi_u32 v51, v47, v51
	v_add_co_ci_u32_e32 v72, vcc_lo, 0, v48, vcc_lo
	v_cmp_lt_u32_e32 vcc_lo, 1, v16
	v_lshlrev_b32_e32 v16, 2, v16
	v_lshrrev_b32_e32 v49, 29, v49
	v_xor_b32_e32 v60, s10, v18
	v_dual_cndmask_b32 v46, 0, v53 :: v_dual_add_nc_u32 v59, 64, v19
	v_lshlrev_b32_e32 v53, 2, v54
	v_max_i32_e32 v54, v18, v55
	v_add_nc_u32_e32 v51, v47, v51
	v_add_nc_u32_e32 v49, v52, v49
	v_cndmask_b32_e64 v73, 0, 1, vcc_lo
	v_add3_u32 v74, v53, v16, 0x8200
	v_ashrrev_i32_e32 v60, 31, v60
	v_mul_hi_u32 v56, v54, v51
	v_ashrrev_i32_e32 v49, 3, v49
	v_lshlrev_b32_e32 v77, 4, v52
	v_and_or_b32 v51, v19, 31, v36
	v_lshrrev_b32_e32 v69, 3, v59
	v_lshrrev_b32_e32 v68, 3, v61
	v_lshlrev_b32_e32 v55, 2, v49
	v_mul_lo_u32 v49, v52, s4
	v_mul_lo_u32 v53, v56, s1
	v_mad_i32_i24 v52, 0xffffffe4, v66, v50
	v_lshlrev_b32_e32 v79, 2, v59
	v_add3_u32 v76, v55, v16, 0x8200
	v_lshlrev_b32_e32 v55, 2, v21
	v_lshlrev_b32_e32 v75, 4, v17
	v_lshl_add_u32 v50, v51, 2, 0x8a40
	v_lshl_add_u32 v51, v52, 2, 0x9050
	v_sub_nc_u32_e32 v57, v54, v53
	v_add_nc_u32_e32 v54, 1, v56
	v_lshrrev_b32_e32 v52, 3, v19
	s_movk_i32 s6, 0x6180
	v_lshlrev_b32_e32 v47, 1, v48
	v_subrev_nc_u32_e32 v58, s1, v57
	v_cmp_le_u32_e32 vcc_lo, s1, v57
	v_mul_lo_u32 v48, v17, s4
	v_add_nc_u32_e32 v74, v74, v75
	v_add_nc_u32_e32 v75, v76, v77
	v_or_b32_e32 v26, 1, v23
	v_cndmask_b32_e32 v56, v56, v54, vcc_lo
	v_cndmask_b32_e32 v57, v57, v58, vcc_lo
	v_add3_u32 v53, v55, v22, 0x8e40
	v_add_nc_u32_e32 v55, 32, v19
	v_and_b32_e32 v25, 28, v22
	v_add_nc_u32_e32 v58, 1, v56
	v_cmp_le_u32_e32 vcc_lo, s1, v57
	s_movk_i32 s1, 0x2080
	v_lshrrev_b32_e32 v54, 3, v55
	v_lshlrev_b32_e32 v78, 2, v55
	v_and_b32_e32 v24, 0x7c, v22
	v_cndmask_b32_e32 v56, v56, v58, vcc_lo
	v_and_b32_e32 v58, 60, v69
	v_and_b32_e32 v57, 60, v54
	v_lshlrev_b32_e32 v76, 2, v78
	v_mov_b32_e32 v78, 0
	v_xor_b32_e32 v62, v56, v60
	v_add_co_u32 v16, s0, s2, v25
	v_add3_u32 v55, v22, v57, 0x8e40
	v_and_b32_e32 v57, 60, v68
	s_delay_alu instid0(VALU_DEP_4)
	v_sub_nc_u32_e32 v63, v62, v60
	v_mad_u32_u24 v60, 0x104, v19, s1
	s_movk_i32 s1, 0x4100
	v_mad_u32_u24 v62, 0x104, v19, s6
	s_movk_i32 s6, 0x80
	v_mul_lo_u32 v59, v63, s8
	v_add_co_ci_u32_e64 v17, null, s3, 0, s0
	v_cmp_gt_u32_e64 s0, 4, v19
	v_add3_u32 v56, v22, v58, 0x8e40
	v_add3_u32 v57, v22, v57, 0x8e40
	v_mul_u32_u24_e32 v58, 0x104, v19
	v_mad_u32_u24 v61, 0x104, v19, s1
	v_cmp_gt_i32_e64 s1, s7, v63
	v_ashrrev_i32_e32 v63, 31, v59
	v_mad_u32_u24 v64, 0x104, v19, s6
	v_lshl_add_u32 v65, v66, 4, 0x9050
	v_lshl_add_u32 v66, v66, 7, 0x8a40
	v_lshlrev_b32_e32 v67, 4, v19
	v_lshlrev_b32_e32 v68, 2, v68
	;; [unrolled: 1-line block ×4, first 2 shown]
	v_lshl_or_b32 v71, v52, 2, 0x8200
	v_lshlrev_b32_e32 v72, 2, v72
	v_lshlrev_b32_e32 v73, 2, v73
	;; [unrolled: 1-line block ×3, first 2 shown]
	v_mov_b32_e32 v79, 0
	s_add_u32 s14, s2, 0x90
	s_addc_u32 s15, s3, 0
	s_branch .LBB214_5
.LBB214_4:                              ;   in Loop: Header=BB214_5 Depth=1
	s_add_i32 s18, s18, 1
	s_delay_alu instid0(SALU_CYCLE_1)
	s_cmp_eq_u32 s18, s4
	s_cbranch_scc1 .LBB214_22
.LBB214_5:                              ; =>This Loop Header: Depth=1
                                        ;     Child Loop BB214_12 Depth 2
                                        ;     Child Loop BB214_20 Depth 2
	s_mul_i32 s6, s18, 0xb0
	s_mul_hi_u32 s17, s18, 0xb0
	s_add_u32 s16, s19, s6
	s_addc_u32 s17, s20, s17
	s_delay_alu instid0(SALU_CYCLE_1) | instskip(NEXT) | instid1(VALU_DEP_1)
	v_mad_u64_u32 v[82:83], null, 0xb0, v21, s[16:17]
	v_mad_i64_i32 v[84:85], null, 0xb0, v27, v[82:83]
	v_mad_i64_i32 v[86:87], null, 0xb0, v28, v[82:83]
	;; [unrolled: 1-line block ×4, first 2 shown]
	s_delay_alu instid0(VALU_DEP_4)
	v_add_co_u32 v88, vcc_lo, v84, v24
	v_add_co_ci_u32_e32 v89, vcc_lo, 0, v85, vcc_lo
	v_add_co_u32 v84, vcc_lo, v84, v25
	v_add_co_ci_u32_e32 v85, vcc_lo, 0, v85, vcc_lo
	;; [unrolled: 2-line block ×6, first 2 shown]
	v_mad_i64_i32 v[100:101], null, 0xb0, v31, v[82:83]
	v_add_co_u32 v98, vcc_lo, v94, v24
	v_add_co_ci_u32_e32 v99, vcc_lo, 0, v95, vcc_lo
	v_add_co_u32 v94, vcc_lo, v94, v25
	v_add_co_ci_u32_e32 v95, vcc_lo, 0, v95, vcc_lo
	s_clause 0x7
	global_load_b32 v102, v[88:89], off offset:48
	global_load_b32 v103, v[84:85], off offset:16
	global_load_b32 v104, v[90:91], off offset:48
	global_load_b32 v105, v[86:87], off offset:16
	global_load_b32 v106, v[96:97], off offset:48
	global_load_b32 v107, v[92:93], off offset:16
	global_load_b32 v108, v[98:99], off offset:48
	global_load_b32 v109, v[94:95], off offset:16
	v_mad_i64_i32 v[84:85], null, 0xb0, v32, v[82:83]
	v_add_co_u32 v86, vcc_lo, v100, v24
	v_add_co_ci_u32_e32 v87, vcc_lo, 0, v101, vcc_lo
	v_add_co_u32 v88, vcc_lo, v100, v25
	v_mad_i64_i32 v[92:93], null, 0xb0, v33, v[82:83]
	v_add_co_ci_u32_e32 v89, vcc_lo, 0, v101, vcc_lo
	v_add_co_u32 v90, vcc_lo, v84, v24
	v_add_co_ci_u32_e32 v91, vcc_lo, 0, v85, vcc_lo
	v_add_co_u32 v84, vcc_lo, v84, v25
	v_mad_i64_i32 v[94:95], null, 0xb0, v34, v[82:83]
	v_add_co_ci_u32_e32 v85, vcc_lo, 0, v85, vcc_lo
	v_add_co_u32 v96, vcc_lo, v92, v24
	v_add_co_ci_u32_e32 v97, vcc_lo, 0, v93, vcc_lo
	v_add_co_u32 v92, vcc_lo, v92, v25
	v_add_co_ci_u32_e32 v93, vcc_lo, 0, v93, vcc_lo
	v_mad_i64_i32 v[100:101], null, 0xb0, v35, v[82:83]
	v_add_co_u32 v98, vcc_lo, v94, v24
	v_add_co_ci_u32_e32 v99, vcc_lo, 0, v95, vcc_lo
	v_add_co_u32 v94, vcc_lo, v94, v25
	v_add_co_ci_u32_e32 v95, vcc_lo, 0, v95, vcc_lo
	s_clause 0x7
	global_load_b32 v110, v[86:87], off offset:48
	global_load_b32 v111, v[88:89], off offset:16
	;; [unrolled: 1-line block ×8, first 2 shown]
	v_mad_i64_i32 v[84:85], null, 0xb0, v37, v[82:83]
	v_add_co_u32 v86, vcc_lo, v100, v24
	v_add_co_ci_u32_e32 v87, vcc_lo, 0, v101, vcc_lo
	v_add_co_u32 v88, vcc_lo, v100, v25
	v_mad_i64_i32 v[92:93], null, 0xb0, v38, v[82:83]
	v_add_co_ci_u32_e32 v89, vcc_lo, 0, v101, vcc_lo
	v_add_co_u32 v90, vcc_lo, v84, v24
	v_add_co_ci_u32_e32 v91, vcc_lo, 0, v85, vcc_lo
	v_add_co_u32 v84, vcc_lo, v84, v25
	v_mad_i64_i32 v[94:95], null, 0xb0, v39, v[82:83]
	v_add_co_ci_u32_e32 v85, vcc_lo, 0, v85, vcc_lo
	v_add_co_u32 v96, vcc_lo, v92, v24
	v_add_co_ci_u32_e32 v97, vcc_lo, 0, v93, vcc_lo
	v_add_co_u32 v92, vcc_lo, v92, v25
	v_add_co_ci_u32_e32 v93, vcc_lo, 0, v93, vcc_lo
	v_mad_i64_i32 v[100:101], null, 0xb0, v40, v[82:83]
	v_add_co_u32 v98, vcc_lo, v94, v24
	v_add_co_ci_u32_e32 v99, vcc_lo, 0, v95, vcc_lo
	v_add_co_u32 v94, vcc_lo, v94, v25
	v_add_co_ci_u32_e32 v95, vcc_lo, 0, v95, vcc_lo
	s_clause 0x7
	global_load_b32 v118, v[86:87], off offset:48
	global_load_b32 v119, v[88:89], off offset:16
	;; [unrolled: 1-line block ×8, first 2 shown]
	v_mad_i64_i32 v[84:85], null, 0xb0, v41, v[82:83]
	v_add_co_u32 v86, vcc_lo, v100, v24
	v_add_co_ci_u32_e32 v87, vcc_lo, 0, v101, vcc_lo
	v_add_co_u32 v88, vcc_lo, v100, v25
	v_add_co_ci_u32_e32 v89, vcc_lo, 0, v101, vcc_lo
	;; [unrolled: 2-line block ×3, first 2 shown]
	s_clause 0x2
	global_load_b32 v95, v[86:87], off offset:48
	global_load_b32 v97, v[88:89], off offset:16
	;; [unrolled: 1-line block ×3, first 2 shown]
	v_mad_i64_i32 v[86:87], null, 0xb0, v42, v[82:83]
	v_add_co_u32 v84, vcc_lo, v84, v24
	v_add_co_ci_u32_e32 v85, vcc_lo, 0, v85, vcc_lo
	v_mad_i64_i32 v[88:89], null, 0xb0, v43, v[82:83]
	global_load_b32 v99, v[84:85], off offset:48
	v_add_co_u32 v84, vcc_lo, v86, v24
	v_add_co_ci_u32_e32 v85, vcc_lo, 0, v87, vcc_lo
	v_add_co_u32 v82, vcc_lo, v86, v25
	v_add_co_ci_u32_e32 v83, vcc_lo, 0, v87, vcc_lo
	v_mad_i64_i32 v[86:87], null, 0xb0, v48, s[16:17]
	v_add_co_u32 v90, vcc_lo, v88, v24
	v_add_co_ci_u32_e32 v91, vcc_lo, 0, v89, vcc_lo
	v_add_co_u32 v88, vcc_lo, v88, v25
	v_add_co_ci_u32_e32 v89, vcc_lo, 0, v89, vcc_lo
	;; [unrolled: 2-line block ×3, first 2 shown]
	v_mad_i64_i32 v[86:87], null, 0xb0, v49, s[16:17]
	s_clause 0x3
	global_load_b32 v122, v[84:85], off offset:48
	global_load_b32 v123, v[82:83], off offset:16
	;; [unrolled: 1-line block ×4, first 2 shown]
	v_add_co_u32 v82, vcc_lo, v100, v72
	v_add_co_ci_u32_e32 v83, vcc_lo, 0, v101, vcc_lo
	v_add_co_u32 v86, vcc_lo, v86, 4
	v_add_co_ci_u32_e32 v87, vcc_lo, 0, v87, vcc_lo
	global_load_b32 v89, v[82:83], off
	v_add_co_u32 v82, vcc_lo, v86, v72
	v_add_co_ci_u32_e32 v83, vcc_lo, 0, v87, vcc_lo
	v_add_co_u32 v84, vcc_lo, v100, v73
	v_add_co_ci_u32_e32 v85, vcc_lo, 0, v101, vcc_lo
	global_load_b32 v91, v[82:83], off
	v_add_co_u32 v82, vcc_lo, v86, v73
	global_load_b32 v86, v[84:85], off
	v_mad_i64_i32 v[84:85], null, 0xb0, v44, s[16:17]
	v_add_co_ci_u32_e32 v83, vcc_lo, 0, v87, vcc_lo
	s_clause 0x1
	global_load_b32 v82, v[82:83], off
	global_load_b32 v83, v[84:85], off
	s_lshl_b32 s16, s18, 8
	s_delay_alu instid0(SALU_CYCLE_1)
	s_cmp_lt_i32 s16, s5
	s_waitcnt vmcnt(36)
	v_lshrrev_b32_e32 v85, 4, v102
	s_waitcnt vmcnt(35)
	v_ashrrev_i32_e32 v87, v23, v103
	v_ashrrev_i32_e32 v100, v26, v103
	v_and_b32_e32 v84, 0xf0f0f0f, v102
	s_waitcnt vmcnt(34)
	v_and_b32_e32 v101, 0xf0f0f0f, v104
	v_lshrrev_b32_e32 v102, 4, v104
	s_waitcnt vmcnt(33)
	v_ashrrev_i32_e32 v103, v23, v105
	v_ashrrev_i32_e32 v104, v26, v105
	s_waitcnt vmcnt(32)
	v_and_b32_e32 v105, 0xf0f0f0f, v106
	v_lshrrev_b32_e32 v106, 4, v106
	s_waitcnt vmcnt(31)
	v_ashrrev_i32_e32 v124, v23, v107
	v_ashrrev_i32_e32 v107, v26, v107
	;; [unrolled: 6-line block ×3, first 2 shown]
	v_and_b32_e32 v85, 0xf0f0f0f, v85
	v_lshlrev_b32_e32 v87, 4, v87
	v_lshlrev_b32_e32 v100, 4, v100
	v_and_b32_e32 v102, 0xf0f0f0f, v102
	v_lshlrev_b32_e32 v103, 4, v103
	v_lshlrev_b32_e32 v104, 4, v104
	;; [unrolled: 3-line block ×4, first 2 shown]
	v_and_or_b32 v84, 0x10101010, v87, v84
	v_and_or_b32 v85, 0x10101010, v100, v85
	;; [unrolled: 1-line block ×8, first 2 shown]
	s_waitcnt vmcnt(28)
	v_and_b32_e32 v127, 0xf0f0f0f, v110
	v_lshrrev_b32_e32 v110, 4, v110
	s_waitcnt vmcnt(27)
	v_ashrrev_i32_e32 v128, v23, v111
	v_ashrrev_i32_e32 v111, v26, v111
	s_waitcnt vmcnt(26)
	v_and_b32_e32 v129, 0xf0f0f0f, v112
	v_lshrrev_b32_e32 v112, 4, v112
	s_waitcnt vmcnt(25)
	v_ashrrev_i32_e32 v130, v23, v113
	v_ashrrev_i32_e32 v113, v26, v113
	;; [unrolled: 6-line block ×4, first 2 shown]
	v_and_b32_e32 v110, 0xf0f0f0f, v110
	v_lshlrev_b32_e32 v128, 4, v128
	v_lshlrev_b32_e32 v111, 4, v111
	v_and_b32_e32 v112, 0xf0f0f0f, v112
	v_lshlrev_b32_e32 v130, 4, v130
	v_lshlrev_b32_e32 v113, 4, v113
	;; [unrolled: 3-line block ×4, first 2 shown]
	v_and_or_b32 v105, 0x10101010, v128, v127
	v_and_or_b32 v106, 0x10101010, v111, v110
	;; [unrolled: 1-line block ×8, first 2 shown]
	s_waitcnt vmcnt(20)
	v_and_b32_e32 v135, 0xf0f0f0f, v118
	v_lshrrev_b32_e32 v118, 4, v118
	s_waitcnt vmcnt(19)
	v_ashrrev_i32_e32 v136, v23, v119
	v_ashrrev_i32_e32 v119, v26, v119
	s_waitcnt vmcnt(18)
	v_and_b32_e32 v137, 0xf0f0f0f, v120
	v_lshrrev_b32_e32 v120, 4, v120
	s_waitcnt vmcnt(17)
	v_ashrrev_i32_e32 v138, v23, v121
	v_ashrrev_i32_e32 v121, v26, v121
	;; [unrolled: 6-line block ×4, first 2 shown]
	v_and_b32_e32 v118, 0xf0f0f0f, v118
	v_lshlrev_b32_e32 v136, 4, v136
	v_lshlrev_b32_e32 v119, 4, v119
	v_and_b32_e32 v120, 0xf0f0f0f, v120
	v_lshlrev_b32_e32 v138, 4, v138
	s_waitcnt vmcnt(12)
	v_and_b32_e32 v143, 0xf0f0f0f, v95
	v_lshrrev_b32_e32 v95, 4, v95
	s_waitcnt vmcnt(11)
	v_ashrrev_i32_e32 v144, v23, v97
	v_ashrrev_i32_e32 v97, v26, v97
	v_lshlrev_b32_e32 v121, 4, v121
	v_and_b32_e32 v96, 0xf0f0f0f, v96
	v_lshlrev_b32_e32 v140, 4, v140
	v_lshlrev_b32_e32 v92, 4, v92
	v_and_b32_e32 v93, 0xf0f0f0f, v93
	v_lshlrev_b32_e32 v142, 4, v142
	;; [unrolled: 3-line block ×3, first 2 shown]
	v_lshlrev_b32_e32 v97, 4, v97
	s_waitcnt vmcnt(10)
	v_ashrrev_i32_e32 v145, v23, v98
	v_and_or_b32 v113, 0x10101010, v136, v135
	v_and_or_b32 v114, 0x10101010, v119, v118
	;; [unrolled: 1-line block ×8, first 2 shown]
	ds_store_2addr_b32 v0, v84, v85 offset1:8
	ds_store_2addr_b32 v1, v87, v100 offset1:8
	;; [unrolled: 1-line block ×11, first 2 shown]
	s_waitcnt vmcnt(9)
	v_lshrrev_b32_e32 v85, 4, v99
	v_ashrrev_i32_e32 v87, v26, v98
	v_and_or_b32 v94, 0x10101010, v144, v143
	v_and_or_b32 v95, 0x10101010, v97, v95
	v_and_b32_e32 v84, 0xf0f0f0f, v99
	v_lshlrev_b32_e32 v92, 4, v145
	ds_store_2addr_b32 v11, v96, v93 offset1:8
	ds_store_2addr_b32 v12, v94, v95 offset1:8
	v_and_b32_e32 v85, 0xf0f0f0f, v85
	v_lshlrev_b32_e32 v87, 4, v87
	v_and_or_b32 v84, 0x10101010, v92, v84
	s_waitcnt vmcnt(7)
	v_ashrrev_i32_e32 v93, v23, v123
	v_lshrrev_b32_e32 v92, 4, v122
	v_ashrrev_i32_e32 v94, v26, v123
	v_and_or_b32 v85, 0x10101010, v87, v85
	v_and_b32_e32 v87, 0xf0f0f0f, v122
	v_lshlrev_b32_e32 v93, 4, v93
	s_waitcnt vmcnt(6)
	v_lshrrev_b32_e32 v95, 4, v90
	s_waitcnt vmcnt(5)
	v_ashrrev_i32_e32 v96, v23, v88
	v_ashrrev_i32_e32 v88, v26, v88
	v_and_b32_e32 v92, 0xf0f0f0f, v92
	v_lshlrev_b32_e32 v94, 4, v94
	v_and_or_b32 v87, 0x10101010, v93, v87
	s_waitcnt vmcnt(4)
	v_ashrrev_i32_e32 v89, v46, v89
	v_and_b32_e32 v90, 0xf0f0f0f, v90
	v_and_b32_e32 v93, 0xf0f0f0f, v95
	v_lshlrev_b32_e32 v95, 4, v96
	v_lshlrev_b32_e32 v88, 4, v88
	v_and_b32_e32 v89, 0xf0f0f0f, v89
	v_and_or_b32 v92, 0x10101010, v94, v92
	s_delay_alu instid0(VALU_DEP_4)
	v_and_or_b32 v90, 0x10101010, v95, v90
	s_waitcnt vmcnt(3)
	v_ashrrev_i32_e32 v91, v46, v91
	v_and_or_b32 v88, 0x10101010, v88, v93
	ds_store_2addr_b32 v13, v84, v85 offset1:8
	ds_store_2addr_b32 v14, v87, v92 offset1:8
	;; [unrolled: 1-line block ×3, first 2 shown]
	s_waitcnt vmcnt(2)
	v_ashrrev_i32_e32 v86, v47, v86
	v_and_b32_e32 v91, 0xf0f0f0f, v91
	s_waitcnt vmcnt(1)
	v_ashrrev_i32_e32 v82, v47, v82
	s_delay_alu instid0(VALU_DEP_3)
	v_and_or_b32 v84, 0x30303030, v86, v89
	s_waitcnt vmcnt(0)
	ds_store_b32 v45, v83
	v_and_or_b32 v82, 0x30303030, v82, v91
	ds_store_b32 v74, v84
	ds_store_b32 v75, v82
	s_cbranch_scc0 .LBB214_4
; %bb.6:                                ;   in Loop: Header=BB214_5 Depth=1
	s_lshl_b32 s6, s18, 3
	s_delay_alu instid0(SALU_CYCLE_1) | instskip(NEXT) | instid1(VALU_DEP_1)
	v_add_nc_u32_e32 v82, s6, v52
	v_cmp_gt_i32_e32 vcc_lo, s8, v82
	s_and_b32 s21, s1, vcc_lo
	s_delay_alu instid0(SALU_CYCLE_1)
	s_and_saveexec_b32 s17, s21
	s_cbranch_execz .LBB214_8
; %bb.7:                                ;   in Loop: Header=BB214_5 Depth=1
	v_add_nc_u32_e32 v84, v59, v82
	s_delay_alu instid0(VALU_DEP_1)
	v_mad_i64_i32 v[82:83], null, v84, 36, v[16:17]
	global_load_b32 v82, v[82:83], off offset:4
	s_waitcnt vmcnt(0)
	ds_store_b32 v50, v82
.LBB214_8:                              ;   in Loop: Header=BB214_5 Depth=1
	s_or_b32 exec_lo, exec_lo, s17
	s_and_saveexec_b32 s17, s0
	s_cbranch_execz .LBB214_11
; %bb.9:                                ;   in Loop: Header=BB214_5 Depth=1
	v_or_b32_e32 v82, s6, v19
	s_delay_alu instid0(VALU_DEP_1) | instskip(SKIP_1) | instid1(SALU_CYCLE_1)
	v_cmp_gt_i32_e32 vcc_lo, s8, v82
	s_and_b32 s21, s1, vcc_lo
	s_and_b32 exec_lo, exec_lo, s21
	s_cbranch_execz .LBB214_11
; %bb.10:                               ;   in Loop: Header=BB214_5 Depth=1
	v_add_nc_u32_e32 v84, v59, v82
	s_delay_alu instid0(VALU_DEP_1)
	v_mad_i64_i32 v[82:83], null, v84, 36, s[2:3]
	global_load_b32 v82, v[82:83], off
	s_waitcnt vmcnt(0)
	ds_store_b32 v51, v82
.LBB214_11:                             ;   in Loop: Header=BB214_5 Depth=1
	s_or_b32 exec_lo, exec_lo, s17
	s_waitcnt lgkmcnt(0)
	s_barrier
	buffer_gl0_inv
	ds_load_b32 v83, v53
	ds_load_b32 v84, v55 offset:128
	ds_load_b32 v85, v56 offset:256
	;; [unrolled: 1-line block ×3, first 2 shown]
	s_mov_b32 s21, 0
	s_mov_b32 s17, -1
	s_waitcnt lgkmcnt(3)
	v_lshrrev_b32_e32 v87, 16, v83
	s_waitcnt lgkmcnt(2)
	v_lshrrev_b32_e32 v88, 16, v84
	;; [unrolled: 2-line block ×4, first 2 shown]
	v_cvt_f32_f16_e32 v82, v83
	v_cvt_f32_f16_e32 v83, v84
	;; [unrolled: 1-line block ×8, first 2 shown]
.LBB214_12:                             ;   Parent Loop BB214_5 Depth=1
                                        ; =>  This Inner Loop Header: Depth=2
	s_lshr_b32 s22, s21, 2
	v_lshl_or_b32 v90, s21, 1, v36
	s_lshl_b32 s21, s21, 3
	v_lshlrev_b32_e32 v91, 2, v52
	v_lshlrev_b32_e32 v92, 2, v22
	v_add_nc_u32_e32 v93, s21, v58
	s_add_i32 s22, s22, 0x8200
	v_add_nc_u32_e32 v94, s21, v60
	v_add_nc_u32_e32 v95, s21, v61
	;; [unrolled: 1-line block ×3, first 2 shown]
	v_add3_u32 v97, s22, v70, v76
	v_add3_u32 v98, s22, v69, v77
	;; [unrolled: 1-line block ×3, first 2 shown]
	v_lshlrev_b32_e32 v102, 2, v90
	v_lshrrev_b32_e32 v100, 1, v90
	v_add3_u32 v101, s22, v91, v92
	ds_load_2addr_b32 v[106:107], v93 offset1:1
	ds_load_2addr_b32 v[108:109], v93 offset0:2 offset1:3
	ds_load_2addr_b32 v[110:111], v93 offset0:4 offset1:5
	ds_load_2addr_b32 v[112:113], v93 offset0:6 offset1:7
	ds_load_2addr_b32 v[114:115], v93 offset0:8 offset1:9
	ds_load_2addr_b32 v[116:117], v93 offset0:10 offset1:11
	ds_load_2addr_b32 v[118:119], v93 offset0:12 offset1:13
	ds_load_2addr_b32 v[120:121], v93 offset0:14 offset1:15
	ds_load_2addr_b32 v[122:123], v94 offset1:1
	ds_load_2addr_b32 v[124:125], v94 offset0:2 offset1:3
	ds_load_2addr_b32 v[126:127], v94 offset0:4 offset1:5
	ds_load_2addr_b32 v[128:129], v94 offset0:6 offset1:7
	ds_load_2addr_b32 v[130:131], v94 offset0:8 offset1:9
	ds_load_2addr_b32 v[132:133], v94 offset0:10 offset1:11
	ds_load_2addr_b32 v[134:135], v94 offset0:12 offset1:13
	ds_load_2addr_b32 v[136:137], v94 offset0:14 offset1:15
	ds_load_2addr_b32 v[138:139], v95 offset1:1
	ds_load_2addr_b32 v[140:141], v95 offset0:2 offset1:3
	ds_load_2addr_b32 v[142:143], v95 offset0:4 offset1:5
	ds_load_2addr_b32 v[144:145], v95 offset0:6 offset1:7
	ds_load_2addr_b32 v[146:147], v95 offset0:8 offset1:9
	ds_load_2addr_b32 v[148:149], v95 offset0:10 offset1:11
	ds_load_2addr_b32 v[150:151], v95 offset0:12 offset1:13
	ds_load_2addr_b32 v[152:153], v95 offset0:14 offset1:15
	ds_load_2addr_b32 v[154:155], v96 offset1:1
	ds_load_2addr_b32 v[156:157], v96 offset0:2 offset1:3
	ds_load_2addr_b32 v[158:159], v96 offset0:4 offset1:5
	ds_load_2addr_b32 v[160:161], v96 offset0:6 offset1:7
	ds_load_2addr_b32 v[162:163], v96 offset0:8 offset1:9
	ds_load_2addr_b32 v[164:165], v96 offset0:10 offset1:11
	ds_load_2addr_b32 v[166:167], v96 offset0:12 offset1:13
	ds_load_2addr_b32 v[168:169], v96 offset0:14 offset1:15
	ds_load_u16 v172, v97
	ds_load_u8 v173, v97 offset:8
	ds_load_u8 v174, v97 offset:9
	ds_load_u16 v175, v98
	ds_load_u8 v176, v98 offset:8
	ds_load_u8 v177, v98 offset:9
	;; [unrolled: 3-line block ×3, first 2 shown]
	ds_load_b128 v[90:93], v102 offset:35392
	ds_load_u16 v181, v101
	ds_load_b64 v[170:171], v100 offset:36944
	ds_load_u8 v182, v101 offset:8
	ds_load_b128 v[94:97], v102 offset:35424
	ds_load_u8 v183, v101 offset:9
	ds_load_b128 v[98:101], v102 offset:35408
	ds_load_b128 v[102:105], v102 offset:35440
	s_mov_b32 s21, 8
	s_and_b32 vcc_lo, exec_lo, s17
	s_mov_b32 s17, 0
	s_waitcnt lgkmcnt(16)
	v_lshrrev_b16 v184, 8, v172
	s_waitcnt lgkmcnt(15)
	v_cvt_f32_ubyte0_e32 v173, v173
	s_waitcnt lgkmcnt(14)
	v_cvt_f32_ubyte0_e32 v174, v174
	v_and_b32_e32 v172, 0xff, v172
	s_waitcnt lgkmcnt(12)
	v_cvt_f32_ubyte0_e32 v176, v176
	s_waitcnt lgkmcnt(11)
	v_cvt_f32_ubyte0_e32 v177, v177
	s_waitcnt lgkmcnt(10)
	v_lshrrev_b16 v186, 8, v178
	v_and_b32_e32 v178, 0xff, v178
	s_waitcnt lgkmcnt(9)
	v_cvt_f32_ubyte0_e32 v179, v179
	s_waitcnt lgkmcnt(7)
	v_dot4_i32_iu8 v106, v106, v90, 0 neg_lo:[1,1,0]
	v_dot4_i32_iu8 v122, v122, v90, 0 neg_lo:[1,1,0]
	;; [unrolled: 1-line block ×4, first 2 shown]
	s_waitcnt lgkmcnt(3)
	v_dot4_i32_iu8 v114, v114, v94, 0 neg_lo:[1,1,0]
	v_dot4_i32_iu8 v130, v130, v94, 0 neg_lo:[1,1,0]
	;; [unrolled: 1-line block ×18, first 2 shown]
	v_and_b32_e32 v162, 0xffff, v184
	v_dot4_i32_iu8 v91, v165, v97, v91 neg_lo:[1,1,0]
	s_waitcnt lgkmcnt(1)
	v_dot4_i32_iu8 v90, v158, v98, v90 neg_lo:[1,1,0]
	v_and_b32_e32 v184, 0xffff, v186
	v_dot4_i32_iu8 v116, v132, v96, v123 neg_lo:[1,1,0]
	v_dot4_i32_iu8 v122, v140, v92, v130 neg_lo:[1,1,0]
	s_waitcnt lgkmcnt(0)
	v_dot4_i32_iu8 v91, v166, v102, v91 neg_lo:[1,1,0]
	v_dot4_i32_iu8 v90, v159, v99, v90 neg_lo:[1,1,0]
	;; [unrolled: 1-line block ×8, first 2 shown]
	v_cvt_f32_ubyte0_e32 v180, v180
	v_fma_mix_f32 v154, v170, v173, 0 op_sel:[1,0,0] op_sel_hi:[1,0,0]
	v_dot4_i32_iu8 v91, v168, v104, v91 neg_lo:[1,1,0]
	v_dot4_i32_iu8 v90, v161, v101, v90 neg_lo:[1,1,0]
	v_fma_mix_f32 v173, v170, v176, 0 op_sel:[1,0,0] op_sel_hi:[1,0,0]
	v_fma_mix_f32 v179, v170, v179, 0 op_sel:[1,0,0] op_sel_hi:[1,0,0]
	v_dot4_i32_iu8 v109, v133, v97, v116 neg_lo:[1,1,0]
	v_dot4_i32_iu8 v91, v169, v105, v91 neg_lo:[1,1,0]
	v_mul_lo_u32 v90, v90, v178
	v_dot4_i32_iu8 v114, v141, v93, v122 neg_lo:[1,1,0]
	v_dot4_i32_iu8 v116, v149, v97, v123 neg_lo:[1,1,0]
	;; [unrolled: 1-line block ×3, first 2 shown]
	v_mul_lo_u32 v91, v91, v184
	v_dot4_i32_iu8 v97, v126, v98, v108 neg_lo:[1,1,0]
	v_fma_mix_f32 v94, v171, v174, v154 op_sel:[1,0,0] op_sel_hi:[1,0,0]
	v_fma_mix_f32 v95, v171, v177, v173 op_sel:[1,0,0] op_sel_hi:[1,0,0]
	v_cvt_f32_i32_e32 v90, v90
	v_fma_mix_f32 v138, v171, v180, v179 op_sel:[1,0,0] op_sel_hi:[1,0,0]
	v_dot4_i32_iu8 v96, v118, v102, v106 neg_lo:[1,1,0]
	v_dot4_i32_iu8 v106, v134, v102, v109 neg_lo:[1,1,0]
	;; [unrolled: 1-line block ×4, first 2 shown]
	v_cvt_f32_i32_e32 v91, v91
	v_fma_mix_f32 v90, v170, v90, 0 op_sel_hi:[1,0,0]
	v_mul_f32_e32 v92, v94, v87
	v_dual_mul_f32 v94, v95, v88 :: v_dual_mul_f32 v95, v138, v89
	v_dot4_i32_iu8 v108, v142, v98, v114 neg_lo:[1,1,0]
	v_dot4_i32_iu8 v96, v119, v103, v96 neg_lo:[1,1,0]
	v_dot4_i32_iu8 v98, v135, v103, v106 neg_lo:[1,1,0]
	v_dot4_i32_iu8 v93, v112, v100, v93 neg_lo:[1,1,0]
	v_dot4_i32_iu8 v97, v128, v100, v97 neg_lo:[1,1,0]
	v_fma_mix_f32 v90, v171, v91, v90 op_sel_hi:[1,0,0]
	v_lshrrev_b16 v187, 8, v181
	v_dot4_i32_iu8 v96, v120, v104, v96 neg_lo:[1,1,0]
	v_dot4_i32_iu8 v98, v136, v104, v98 neg_lo:[1,1,0]
	;; [unrolled: 1-line block ×4, first 2 shown]
	v_fma_f32 v90, v90, v85, -v95
	v_and_b32_e32 v181, 0xff, v181
	v_and_b32_e32 v115, 0xffff, v187
	v_dot4_i32_iu8 v96, v121, v105, v96 neg_lo:[1,1,0]
	v_dot4_i32_iu8 v98, v137, v105, v98 neg_lo:[1,1,0]
	v_add_f32_e32 v80, v80, v90
	v_mul_lo_u32 v93, v93, v181
	v_mul_lo_u32 v97, v97, v172
	;; [unrolled: 1-line block ×4, first 2 shown]
	v_dot4_i32_iu8 v109, v150, v102, v116 neg_lo:[1,1,0]
	v_dot4_i32_iu8 v102, v143, v99, v108 neg_lo:[1,1,0]
	v_lshrrev_b16 v185, 8, v175
	v_cvt_f32_ubyte0_e32 v182, v182
	v_cvt_f32_i32_e32 v93, v93
	v_cvt_f32_i32_e32 v97, v97
	;; [unrolled: 1-line block ×4, first 2 shown]
	v_dot4_i32_iu8 v106, v151, v103, v109 neg_lo:[1,1,0]
	v_fma_mix_f32 v93, v170, v93, 0 op_sel_hi:[1,0,0]
	v_fma_mix_f32 v97, v170, v97, 0 op_sel_hi:[1,0,0]
	v_dot4_i32_iu8 v99, v144, v100, v102 neg_lo:[1,1,0]
	v_and_b32_e32 v176, 0xffff, v185
	v_dot4_i32_iu8 v102, v152, v104, v106 neg_lo:[1,1,0]
	v_fma_mix_f32 v93, v171, v96, v93 op_sel_hi:[1,0,0]
	v_fma_mix_f32 v96, v171, v98, v97 op_sel_hi:[1,0,0]
	v_dot4_i32_iu8 v99, v145, v101, v99 neg_lo:[1,1,0]
	v_cvt_f32_ubyte0_e32 v183, v183
	v_dot4_i32_iu8 v100, v153, v105, v102 neg_lo:[1,1,0]
	v_fma_mix_f32 v107, v170, v182, 0 op_sel:[1,0,0] op_sel_hi:[1,0,0]
	v_fma_f32 v92, v96, v83, -v92
	v_and_b32_e32 v175, 0xff, v175
	s_delay_alu instid0(VALU_DEP_4) | instskip(NEXT) | instid1(VALU_DEP_4)
	v_mul_lo_u32 v100, v100, v176
	v_fma_mix_f32 v107, v171, v183, v107 op_sel:[1,0,0] op_sel_hi:[1,0,0]
	s_delay_alu instid0(VALU_DEP_4) | instskip(NEXT) | instid1(VALU_DEP_4)
	v_add_f32_e32 v78, v78, v92
	v_mul_lo_u32 v99, v99, v175
	s_delay_alu instid0(VALU_DEP_3) | instskip(SKIP_1) | instid1(VALU_DEP_3)
	v_mul_f32_e32 v101, v107, v86
	v_cvt_f32_i32_e32 v100, v100
	v_cvt_f32_i32_e32 v99, v99
	s_delay_alu instid0(VALU_DEP_3) | instskip(NEXT) | instid1(VALU_DEP_2)
	v_fma_f32 v91, v93, v82, -v101
	v_fma_mix_f32 v99, v170, v99, 0 op_sel_hi:[1,0,0]
	s_delay_alu instid0(VALU_DEP_2) | instskip(NEXT) | instid1(VALU_DEP_2)
	v_add_f32_e32 v20, v20, v91
	v_fma_mix_f32 v97, v171, v100, v99 op_sel_hi:[1,0,0]
	s_delay_alu instid0(VALU_DEP_1) | instskip(NEXT) | instid1(VALU_DEP_1)
	v_fma_f32 v93, v97, v84, -v94
	v_add_f32_e32 v79, v79, v93
	s_cbranch_vccnz .LBB214_12
; %bb.13:                               ;   in Loop: Header=BB214_5 Depth=1
	s_bitset1_b32 s16, 7
	s_delay_alu instid0(SALU_CYCLE_1)
	s_cmp_ge_i32 s16, s5
	s_barrier
	buffer_gl0_inv
	s_cbranch_scc1 .LBB214_4
; %bb.14:                               ;   in Loop: Header=BB214_5 Depth=1
	v_add_nc_u32_e32 v82, s6, v54
	s_delay_alu instid0(VALU_DEP_1) | instskip(SKIP_1) | instid1(SALU_CYCLE_1)
	v_cmp_gt_i32_e32 vcc_lo, s8, v82
	s_and_b32 s17, s1, vcc_lo
	s_and_saveexec_b32 s16, s17
	s_cbranch_execz .LBB214_16
; %bb.15:                               ;   in Loop: Header=BB214_5 Depth=1
	v_add_nc_u32_e32 v84, v59, v82
	s_delay_alu instid0(VALU_DEP_1)
	v_mad_i64_i32 v[82:83], null, v84, 36, v[16:17]
	global_load_b32 v82, v[82:83], off offset:4
	s_waitcnt vmcnt(0)
	ds_store_b32 v50, v82
.LBB214_16:                             ;   in Loop: Header=BB214_5 Depth=1
	s_or_b32 exec_lo, exec_lo, s16
	s_and_saveexec_b32 s16, s0
	s_cbranch_execz .LBB214_19
; %bb.17:                               ;   in Loop: Header=BB214_5 Depth=1
	v_or_b32_e32 v82, s6, v19
	s_delay_alu instid0(VALU_DEP_1) | instskip(NEXT) | instid1(VALU_DEP_1)
	v_or_b32_e32 v83, 4, v82
	v_cmp_gt_i32_e32 vcc_lo, s8, v83
	s_and_b32 s6, s1, vcc_lo
	s_delay_alu instid0(SALU_CYCLE_1)
	s_and_b32 exec_lo, exec_lo, s6
	s_cbranch_execz .LBB214_19
; %bb.18:                               ;   in Loop: Header=BB214_5 Depth=1
	v_ashrrev_i32_e32 v83, 31, v82
	v_add_co_u32 v84, vcc_lo, v59, v82
	s_delay_alu instid0(VALU_DEP_2) | instskip(NEXT) | instid1(VALU_DEP_2)
	v_add_co_ci_u32_e32 v85, vcc_lo, v63, v83, vcc_lo
	v_mad_u64_u32 v[82:83], null, v84, 36, s[14:15]
	s_delay_alu instid0(VALU_DEP_1)
	v_mad_i32_i24 v83, v85, 36, v83
	global_load_b32 v82, v[82:83], off
	s_waitcnt vmcnt(0)
	ds_store_b32 v51, v82
.LBB214_19:                             ;   in Loop: Header=BB214_5 Depth=1
	s_or_b32 exec_lo, exec_lo, s16
	s_waitcnt lgkmcnt(0)
	s_barrier
	buffer_gl0_inv
	ds_load_b32 v85, v53
	ds_load_b32 v86, v55 offset:128
	ds_load_b32 v87, v56 offset:256
	;; [unrolled: 1-line block ×3, first 2 shown]
	v_dual_mov_b32 v82, v66 :: v_dual_mov_b32 v83, v65
	s_mov_b32 s6, 16
	s_mov_b32 s16, 0
	;; [unrolled: 1-line block ×3, first 2 shown]
	s_waitcnt lgkmcnt(3)
	v_lshrrev_b32_e32 v89, 16, v85
	s_waitcnt lgkmcnt(2)
	v_lshrrev_b32_e32 v90, 16, v86
	;; [unrolled: 2-line block ×4, first 2 shown]
	v_cvt_f32_f16_e32 v84, v85
	v_cvt_f32_f16_e32 v85, v86
	;; [unrolled: 1-line block ×8, first 2 shown]
	v_mov_b32_e32 v92, v64
.LBB214_20:                             ;   Parent Loop BB214_5 Depth=1
                                        ; =>  This Inner Loop Header: Depth=2
	ds_load_b128 v[93:96], v82
	ds_load_b128 v[97:100], v82 offset:16
	ds_load_b128 v[101:104], v82 offset:32
	;; [unrolled: 1-line block ×3, first 2 shown]
	ds_load_b64 v[109:110], v83
	ds_load_2addr_b32 v[111:112], v92 offset1:1
	ds_load_2addr_b32 v[113:114], v92 offset0:2 offset1:3
	ds_load_2addr_b32 v[115:116], v92 offset0:4 offset1:5
	;; [unrolled: 1-line block ×7, first 2 shown]
	v_add_nc_u32_e32 v127, 0x2080, v92
	v_add_nc_u32_e32 v129, 0x2088, v92
	;; [unrolled: 1-line block ×10, first 2 shown]
	ds_load_2addr_b32 v[127:128], v127 offset1:1
	ds_load_2addr_b32 v[129:130], v129 offset1:1
	;; [unrolled: 1-line block ×8, first 2 shown]
	v_add_nc_u32_e32 v159, s16, v67
	v_add_nc_u32_e32 v147, 0x4110, v92
	s_lshr_b32 s21, s6, 2
	v_add_nc_u32_e32 v149, 0x4118, v92
	v_add_nc_u32_e32 v160, 0x6180, v92
	;; [unrolled: 1-line block ×8, first 2 shown]
	s_and_b32 s21, s21, 0x3ffffffc
	ds_load_2addr_b32 v[143:144], v143 offset1:1
	ds_load_2addr_b32 v[145:146], v145 offset1:1
	;; [unrolled: 1-line block ×8, first 2 shown]
	v_add_nc_u32_e32 v165, 0x6198, v92
	v_add_nc_u32_e32 v167, 0x61a0, v92
	;; [unrolled: 1-line block ×5, first 2 shown]
	v_add3_u32 v175, v71, s21, v159
	v_add3_u32 v176, v70, s21, v159
	v_add3_u32 v177, v69, s21, v159
	v_add3_u32 v178, v68, s21, v159
	ds_load_2addr_b32 v[159:160], v160 offset1:1
	ds_load_2addr_b32 v[161:162], v161 offset1:1
	;; [unrolled: 1-line block ×8, first 2 shown]
	ds_load_u16 v179, v175
	ds_load_u16 v175, v175 offset:8
	ds_load_u16 v180, v176 offset:33792
	;; [unrolled: 1-line block ×7, first 2 shown]
	s_waitcnt lgkmcnt(39)
	v_dot4_i32_iu8 v111, v111, v93, 0 neg_lo:[1,1,0]
	s_waitcnt lgkmcnt(35)
	v_dot4_i32_iu8 v119, v119, v101, 0 neg_lo:[1,1,0]
	v_add_nc_u32_e32 v83, 8, v83
	v_add_nc_u32_e32 v82, 64, v82
	s_add_i32 s22, s17, 8
	v_dot4_i32_iu8 v111, v112, v94, v111 neg_lo:[1,1,0]
	v_dot4_i32_iu8 v112, v120, v102, v119 neg_lo:[1,1,0]
	s_waitcnt lgkmcnt(31)
	v_dot4_i32_iu8 v119, v127, v93, 0 neg_lo:[1,1,0]
	s_waitcnt lgkmcnt(27)
	;; [unrolled: 2-line block ×4, first 2 shown]
	v_dot4_i32_iu8 v93, v159, v93, 0 neg_lo:[1,1,0]
	v_dot4_i32_iu8 v135, v151, v101, 0 neg_lo:[1,1,0]
	s_waitcnt lgkmcnt(11)
	v_dot4_i32_iu8 v101, v167, v101, 0 neg_lo:[1,1,0]
	v_dot4_i32_iu8 v111, v113, v95, v111 neg_lo:[1,1,0]
	s_waitcnt lgkmcnt(6)
	v_cvt_f32_ubyte0_e32 v151, v175
	v_dot4_i32_iu8 v112, v121, v103, v112 neg_lo:[1,1,0]
	v_dot4_i32_iu8 v119, v128, v94, v119 neg_lo:[1,1,0]
	;; [unrolled: 1-line block ×5, first 2 shown]
	v_cvt_f32_ubyte1_e32 v121, v175
	s_waitcnt lgkmcnt(4)
	v_cvt_f32_ubyte0_e32 v167, v176
	v_cvt_f32_ubyte1_e32 v136, v176
	s_waitcnt lgkmcnt(2)
	v_cvt_f32_ubyte0_e32 v176, v177
	v_dot4_i32_iu8 v135, v152, v102, v135 neg_lo:[1,1,0]
	v_cvt_f32_ubyte1_e32 v152, v177
	s_waitcnt lgkmcnt(0)
	v_cvt_f32_ubyte0_e32 v177, v178
	v_dot4_i32_iu8 v101, v168, v102, v101 neg_lo:[1,1,0]
	v_dot4_i32_iu8 v111, v114, v96, v111 neg_lo:[1,1,0]
	v_fma_mix_f32 v114, v109, v151, 0 op_sel:[1,0,0] op_sel_hi:[1,0,0]
	v_dot4_i32_iu8 v112, v122, v104, v112 neg_lo:[1,1,0]
	v_dot4_i32_iu8 v119, v129, v95, v119 neg_lo:[1,1,0]
	;; [unrolled: 1-line block ×5, first 2 shown]
	v_cvt_f32_ubyte1_e32 v102, v178
	v_dot4_i32_iu8 v135, v153, v103, v135 neg_lo:[1,1,0]
	v_fma_mix_f32 v95, v109, v177, 0 op_sel:[1,0,0] op_sel_hi:[1,0,0]
	v_dot4_i32_iu8 v101, v169, v103, v101 neg_lo:[1,1,0]
	v_dot4_i32_iu8 v103, v115, v97, v111 neg_lo:[1,1,0]
	;; [unrolled: 1-line block ×3, first 2 shown]
	v_fma_mix_f32 v112, v110, v121, v114 op_sel:[1,0,0] op_sel_hi:[1,0,0]
	v_dot4_i32_iu8 v114, v130, v96, v119 neg_lo:[1,1,0]
	v_dot4_i32_iu8 v115, v138, v104, v120 neg_lo:[1,1,0]
	;; [unrolled: 1-line block ×6, first 2 shown]
	v_fma_mix_f32 v95, v110, v102, v95 op_sel:[1,0,0] op_sel_hi:[1,0,0]
	v_dot4_i32_iu8 v101, v116, v98, v103 neg_lo:[1,1,0]
	v_dot4_i32_iu8 v102, v124, v106, v111 neg_lo:[1,1,0]
	;; [unrolled: 1-line block ×4, first 2 shown]
	v_mul_f32_e32 v95, v95, v91
	v_dot4_i32_iu8 v114, v147, v97, v120 neg_lo:[1,1,0]
	v_dot4_i32_iu8 v93, v163, v97, v93 neg_lo:[1,1,0]
	;; [unrolled: 1-line block ×10, first 2 shown]
	v_lshrrev_b16 v113, 8, v179
	v_lshrrev_b16 v128, 8, v180
	v_dot4_i32_iu8 v111, v156, v106, v115 neg_lo:[1,1,0]
	v_dot4_i32_iu8 v96, v172, v106, v96 neg_lo:[1,1,0]
	;; [unrolled: 1-line block ×7, first 2 shown]
	v_and_b32_e32 v143, 0xff, v179
	v_and_b32_e32 v159, 0xff, v180
	v_lshrrev_b16 v144, 8, v181
	v_and_b32_e32 v175, 0xff, v181
	v_lshrrev_b16 v94, 8, v182
	v_dual_mul_f32 v103, v112, v88 :: v_dual_and_b32 v160, 0xff, v182
	v_and_b32_e32 v113, 0xffff, v113
	v_and_b32_e32 v128, 0xffff, v128
	v_dot4_i32_iu8 v97, v118, v100, v97 neg_lo:[1,1,0]
	v_dot4_i32_iu8 v105, v157, v107, v111 neg_lo:[1,1,0]
	;; [unrolled: 1-line block ×7, first 2 shown]
	v_and_b32_e32 v137, 0xffff, v144
	v_and_b32_e32 v94, 0xffff, v94
	v_mul_lo_u32 v97, v97, v143
	v_mul_lo_u32 v98, v98, v113
	v_dot4_i32_iu8 v104, v158, v108, v105 neg_lo:[1,1,0]
	v_dot4_i32_iu8 v96, v174, v108, v96 neg_lo:[1,1,0]
	v_mul_lo_u32 v99, v99, v159
	v_mul_lo_u32 v100, v101, v128
	;; [unrolled: 1-line block ×6, first 2 shown]
	v_fma_mix_f32 v122, v109, v167, 0 op_sel:[1,0,0] op_sel_hi:[1,0,0]
	v_fma_mix_f32 v129, v109, v176, 0 op_sel:[1,0,0] op_sel_hi:[1,0,0]
	v_cvt_f32_i32_e32 v96, v97
	v_cvt_f32_i32_e32 v97, v98
	;; [unrolled: 1-line block ×6, first 2 shown]
	v_fma_mix_f32 v119, v110, v136, v122 op_sel:[1,0,0] op_sel_hi:[1,0,0]
	v_fma_mix_f32 v122, v110, v152, v129 op_sel:[1,0,0] op_sel_hi:[1,0,0]
	v_fma_mix_f32 v96, v109, v96, 0 op_sel_hi:[1,0,0]
	v_cvt_f32_i32_e32 v101, v102
	v_cvt_f32_i32_e32 v94, v94
	v_fma_mix_f32 v98, v109, v98, 0 op_sel_hi:[1,0,0]
	v_fma_mix_f32 v100, v109, v100, 0 op_sel_hi:[1,0,0]
	;; [unrolled: 1-line block ×3, first 2 shown]
	v_mul_f32_e32 v112, v119, v89
	v_mul_f32_e32 v116, v122, v90
	v_fma_mix_f32 v96, v110, v97, v96 op_sel_hi:[1,0,0]
	v_fma_mix_f32 v97, v110, v99, v98 op_sel_hi:[1,0,0]
	;; [unrolled: 1-line block ×4, first 2 shown]
	s_add_i32 s17, s17, 16
	v_fma_f32 v94, v96, v84, -v103
	v_fma_f32 v96, v97, v85, -v112
	;; [unrolled: 1-line block ×4, first 2 shown]
	v_add_nc_u32_e32 v92, 64, v92
	v_add_f32_e32 v20, v20, v94
	s_delay_alu instid0(VALU_DEP_4) | instskip(NEXT) | instid1(VALU_DEP_4)
	v_dual_add_f32 v78, v78, v96 :: v_dual_add_f32 v79, v79, v97
	v_add_f32_e32 v80, v80, v93
	s_add_i32 s6, s6, 8
	s_add_i32 s16, s16, 2
	s_cmp_lt_u32 s17, 24
	s_mov_b32 s17, s22
	s_cbranch_scc1 .LBB214_20
; %bb.21:                               ;   in Loop: Header=BB214_5 Depth=1
	s_barrier
	buffer_gl0_inv
	s_branch .LBB214_4
.LBB214_22:
	v_cvt_f16_f32_e32 v5, v20
	v_cvt_f16_f32_e32 v3, v78
	;; [unrolled: 1-line block ×4, first 2 shown]
.LBB214_23:
	s_mul_i32 s0, s10, s7
	s_waitcnt vmcnt(0)
	v_cmp_gt_i32_e32 vcc_lo, s0, v18
	s_and_saveexec_b32 s0, vcc_lo
	s_cbranch_execz .LBB214_32
; %bb.24:
	v_mul_lo_u32 v1, v18, s9
	v_add_nc_u32_e32 v4, s11, v19
	s_mov_b32 s0, exec_lo
	s_delay_alu instid0(VALU_DEP_1)
	v_cmpx_gt_u32_e64 s9, v4
	s_cbranch_execz .LBB214_26
; %bb.25:
	s_delay_alu instid0(VALU_DEP_3) | instskip(NEXT) | instid1(VALU_DEP_1)
	v_dual_mov_b32 v7, 0 :: v_dual_add_nc_u32 v6, v1, v4
	v_lshlrev_b64 v[6:7], 1, v[6:7]
	s_delay_alu instid0(VALU_DEP_1) | instskip(NEXT) | instid1(VALU_DEP_2)
	v_add_co_u32 v6, vcc_lo, s12, v6
	v_add_co_ci_u32_e32 v7, vcc_lo, s13, v7, vcc_lo
	global_store_b16 v[6:7], v5, off
.LBB214_26:
	s_or_b32 exec_lo, exec_lo, s0
	v_add_nc_u32_e32 v5, 32, v4
	s_mov_b32 s0, exec_lo
	s_delay_alu instid0(VALU_DEP_1)
	v_cmpx_gt_u32_e64 s9, v5
	s_cbranch_execz .LBB214_28
; %bb.27:
	v_dual_mov_b32 v6, 0 :: v_dual_add_nc_u32 v5, v1, v5
	s_delay_alu instid0(VALU_DEP_1) | instskip(NEXT) | instid1(VALU_DEP_1)
	v_lshlrev_b64 v[5:6], 1, v[5:6]
	v_add_co_u32 v5, vcc_lo, s12, v5
	s_delay_alu instid0(VALU_DEP_2)
	v_add_co_ci_u32_e32 v6, vcc_lo, s13, v6, vcc_lo
	global_store_b16 v[5:6], v3, off
.LBB214_28:
	s_or_b32 exec_lo, exec_lo, s0
	v_add_nc_u32_e32 v3, 64, v4
	s_mov_b32 s0, exec_lo
	s_delay_alu instid0(VALU_DEP_1)
	v_cmpx_gt_u32_e64 s9, v3
	s_cbranch_execz .LBB214_30
; %bb.29:
	v_dual_mov_b32 v6, 0 :: v_dual_add_nc_u32 v5, v1, v3
	s_delay_alu instid0(VALU_DEP_1) | instskip(NEXT) | instid1(VALU_DEP_1)
	v_lshlrev_b64 v[5:6], 1, v[5:6]
	v_add_co_u32 v5, vcc_lo, s12, v5
	s_delay_alu instid0(VALU_DEP_2)
	v_add_co_ci_u32_e32 v6, vcc_lo, s13, v6, vcc_lo
	global_store_b16 v[5:6], v0, off
.LBB214_30:
	s_or_b32 exec_lo, exec_lo, s0
	v_add_nc_u32_e32 v0, 0x60, v4
	s_delay_alu instid0(VALU_DEP_1)
	v_cmp_gt_u32_e32 vcc_lo, s9, v0
	s_and_b32 exec_lo, exec_lo, vcc_lo
	s_cbranch_execz .LBB214_32
; %bb.31:
	v_dual_mov_b32 v1, 0 :: v_dual_add_nc_u32 v0, v1, v0
	s_delay_alu instid0(VALU_DEP_1) | instskip(NEXT) | instid1(VALU_DEP_1)
	v_lshlrev_b64 v[0:1], 1, v[0:1]
	v_add_co_u32 v0, vcc_lo, s12, v0
	s_delay_alu instid0(VALU_DEP_2)
	v_add_co_ci_u32_e32 v1, vcc_lo, s13, v1, vcc_lo
	global_store_b16 v[0:1], v2, off
.LBB214_32:
	s_nop 0
	s_sendmsg sendmsg(MSG_DEALLOC_VGPRS)
	s_endpgm
	.section	.rodata,"a",@progbits
	.p2align	6, 0x0
	.amdhsa_kernel _ZL8moe_q5_KIN3c104HalfELb1EEvPKvS3_PT_PKiS7_S7_iiiiiii
		.amdhsa_group_segment_fixed_size 37072
		.amdhsa_private_segment_fixed_size 0
		.amdhsa_kernarg_size 76
		.amdhsa_user_sgpr_count 14
		.amdhsa_user_sgpr_dispatch_ptr 0
		.amdhsa_user_sgpr_queue_ptr 0
		.amdhsa_user_sgpr_kernarg_segment_ptr 1
		.amdhsa_user_sgpr_dispatch_id 0
		.amdhsa_user_sgpr_private_segment_size 0
		.amdhsa_wavefront_size32 1
		.amdhsa_uses_dynamic_stack 0
		.amdhsa_enable_private_segment 0
		.amdhsa_system_sgpr_workgroup_id_x 1
		.amdhsa_system_sgpr_workgroup_id_y 1
		.amdhsa_system_sgpr_workgroup_id_z 0
		.amdhsa_system_sgpr_workgroup_info 0
		.amdhsa_system_vgpr_workitem_id 1
		.amdhsa_next_free_vgpr 188
		.amdhsa_next_free_sgpr 23
		.amdhsa_reserve_vcc 1
		.amdhsa_float_round_mode_32 0
		.amdhsa_float_round_mode_16_64 0
		.amdhsa_float_denorm_mode_32 3
		.amdhsa_float_denorm_mode_16_64 3
		.amdhsa_dx10_clamp 1
		.amdhsa_ieee_mode 1
		.amdhsa_fp16_overflow 0
		.amdhsa_workgroup_processor_mode 1
		.amdhsa_memory_ordered 1
		.amdhsa_forward_progress 0
		.amdhsa_shared_vgpr_count 0
		.amdhsa_exception_fp_ieee_invalid_op 0
		.amdhsa_exception_fp_denorm_src 0
		.amdhsa_exception_fp_ieee_div_zero 0
		.amdhsa_exception_fp_ieee_overflow 0
		.amdhsa_exception_fp_ieee_underflow 0
		.amdhsa_exception_fp_ieee_inexact 0
		.amdhsa_exception_int_div_zero 0
	.end_amdhsa_kernel
	.section	.text._ZL8moe_q5_KIN3c104HalfELb1EEvPKvS3_PT_PKiS7_S7_iiiiiii,"axG",@progbits,_ZL8moe_q5_KIN3c104HalfELb1EEvPKvS3_PT_PKiS7_S7_iiiiiii,comdat
.Lfunc_end214:
	.size	_ZL8moe_q5_KIN3c104HalfELb1EEvPKvS3_PT_PKiS7_S7_iiiiiii, .Lfunc_end214-_ZL8moe_q5_KIN3c104HalfELb1EEvPKvS3_PT_PKiS7_S7_iiiiiii
                                        ; -- End function
	.section	.AMDGPU.csdata,"",@progbits
; Kernel info:
; codeLenInByte = 8040
; NumSgprs: 25
; NumVgprs: 188
; ScratchSize: 0
; MemoryBound: 0
; FloatMode: 240
; IeeeMode: 1
; LDSByteSize: 37072 bytes/workgroup (compile time only)
; SGPRBlocks: 3
; VGPRBlocks: 23
; NumSGPRsForWavesPerEU: 25
; NumVGPRsForWavesPerEU: 188
; Occupancy: 6
; WaveLimiterHint : 1
; COMPUTE_PGM_RSRC2:SCRATCH_EN: 0
; COMPUTE_PGM_RSRC2:USER_SGPR: 14
; COMPUTE_PGM_RSRC2:TRAP_HANDLER: 0
; COMPUTE_PGM_RSRC2:TGID_X_EN: 1
; COMPUTE_PGM_RSRC2:TGID_Y_EN: 1
; COMPUTE_PGM_RSRC2:TGID_Z_EN: 0
; COMPUTE_PGM_RSRC2:TIDIG_COMP_CNT: 1
	.section	.text._ZL8moe_q6_KIN3c104HalfELb0EEvPKvS3_PT_PKiS7_S7_iiiiiii,"axG",@progbits,_ZL8moe_q6_KIN3c104HalfELb0EEvPKvS3_PT_PKiS7_S7_iiiiiii,comdat
	.globl	_ZL8moe_q6_KIN3c104HalfELb0EEvPKvS3_PT_PKiS7_S7_iiiiiii ; -- Begin function _ZL8moe_q6_KIN3c104HalfELb0EEvPKvS3_PT_PKiS7_S7_iiiiiii
	.p2align	8
	.type	_ZL8moe_q6_KIN3c104HalfELb0EEvPKvS3_PT_PKiS7_S7_iiiiiii,@function
_ZL8moe_q6_KIN3c104HalfELb0EEvPKvS3_PT_PKiS7_S7_iiiiiii: ; @_ZL8moe_q6_KIN3c104HalfELb0EEvPKvS3_PT_PKiS7_S7_iiiiiii
; %bb.0:
	s_load_b128 s[4:7], s[0:1], 0x18
	s_mov_b32 s2, s15
	s_mov_b32 s3, 0
	s_delay_alu instid0(SALU_CYCLE_1)
	s_lshl_b64 s[8:9], s[2:3], 2
	s_waitcnt lgkmcnt(0)
	s_add_u32 s6, s6, s8
	s_addc_u32 s7, s7, s9
	s_load_b32 s12, s[6:7], 0x0
	s_waitcnt lgkmcnt(0)
	s_cmpk_gt_u32 s12, 0xff
	s_cbranch_scc1 .LBB215_32
; %bb.1:
	s_load_b64 s[6:7], s[0:1], 0x28
	s_lshl_b32 s2, s2, 3
	s_waitcnt lgkmcnt(0)
	s_load_b32 s3, s[6:7], 0x0
	s_waitcnt lgkmcnt(0)
	s_cmp_gt_u32 s2, s3
	s_cbranch_scc1 .LBB215_32
; %bb.2:
	v_bfe_u32 v3, v0, 10, 10
	v_mov_b32_e32 v2, 0
	s_lshl_b32 s16, s14, 7
	s_mov_b32 s17, 0
	s_delay_alu instid0(VALU_DEP_1) | instskip(SKIP_1) | instid1(VALU_DEP_2)
	v_dual_mov_b32 v6, v2 :: v_dual_add_nc_u32 v1, s2, v3
	v_mov_b32_e32 v7, v2
	v_lshlrev_b64 v[4:5], 2, v[1:2]
	s_delay_alu instid0(VALU_DEP_1) | instskip(NEXT) | instid1(VALU_DEP_2)
	v_add_co_u32 v4, vcc_lo, s4, v4
	v_add_co_ci_u32_e32 v5, vcc_lo, s5, v5, vcc_lo
	global_load_b32 v4, v[4:5], off
	s_clause 0x2
	s_load_b64 s[10:11], s[0:1], 0x30
	s_load_b64 s[8:9], s[0:1], 0x10
	s_load_b128 s[4:7], s[0:1], 0x3c
	v_dual_mov_b32 v0, v2 :: v_dual_and_b32 v5, 0x3ff, v0
	s_waitcnt lgkmcnt(0)
	s_cmpk_lt_i32 s11, 0x100
	s_cbranch_scc1 .LBB215_23
; %bb.3:
	s_delay_alu instid0(VALU_DEP_1) | instskip(SKIP_3) | instid1(VALU_DEP_1)
	v_dual_mov_b32 v7, 0 :: v_dual_and_b32 v0, 31, v5
	s_load_b128 s[0:3], s[0:1], 0x0
	s_ashr_i32 s13, s11, 31
	s_mul_i32 s12, s12, s10
	v_cmp_lt_u32_e32 vcc_lo, 15, v0
	v_add_nc_u16 v17, v0, -16
	s_lshr_b32 s10, s13, 24
	s_ashr_i32 s14, s5, 31
	s_add_i32 s10, s11, s10
	v_cndmask_b32_e64 v16, 0, 1, vcc_lo
	v_cmp_gt_u32_e32 vcc_lo, 16, v0
	v_lshlrev_b32_e32 v8, 5, v3
	v_and_b32_e32 v1, 7, v5
	s_lshr_b32 s13, s14, 27
	v_lshlrev_b32_e32 v20, 5, v16
	s_delay_alu instid0(VALU_DEP_3) | instskip(SKIP_3) | instid1(VALU_DEP_2)
	v_dual_cndmask_b32 v21, v17, v0 :: v_dual_add_nc_u32 v52, v8, v5
	v_mov_b32_e32 v77, 0
	s_ashr_i32 s10, s10, 8
	s_add_i32 s5, s5, s13
	v_cmp_lt_u16_e32 vcc_lo, 7, v21
	s_mul_i32 s13, s10, s16
	s_ashr_i32 s14, s12, 31
	s_ashr_i32 s5, s5, 5
	s_mul_hi_i32 s15, s13, 0xd2
	s_mulk_i32 s13, 0xd2
	s_waitcnt lgkmcnt(0)
	s_add_u32 s0, s0, s12
	v_lshrrev_b32_e32 v23, 3, v52
	v_lshl_or_b32 v17, v1, 2, v20
	v_cndmask_b32_e64 v1, 0, 1, vcc_lo
	s_addc_u32 s1, s1, s14
	s_add_u32 s18, s0, s13
	s_addc_u32 s19, s1, s15
	s_lshl_b32 s0, s10, 3
	s_abs_i32 s1, s7
	v_mad_i32_i24 v9, s10, v3, s0
	v_and_b32_e32 v27, 12, v23
	v_lshlrev_b32_e32 v23, 1, v1
	v_cvt_f32_u32_e32 v1, s1
	v_lshrrev_b32_e32 v15, 2, v5
	v_add_nc_u32_e32 v11, s0, v9
	v_and_b32_e32 v13, 3, v5
	v_and_b32_e32 v22, 0x7f, v52
	v_rcp_iflag_f32_e32 v1, v1
	v_lshlrev_b32_e32 v14, 3, v3
	v_add_nc_u32_e32 v12, s0, v11
	v_and_or_b32 v26, v5, 15, v20
	v_lshlrev_b32_e32 v13, 2, v13
	v_lshlrev_b32_e32 v28, 2, v22
	v_mul_u32_u24_e32 v2, 0x41, v3
	s_sub_i32 s12, 0, s1
	v_lshlrev_b32_e32 v58, 2, v5
	s_waitcnt vmcnt(0)
	v_sub_nc_u32_e32 v54, 0, v4
	v_dual_mul_f32 v1, 0x4f7ffffe, v1 :: v_dual_add_nc_u32 v18, v15, v14
	v_add_nc_u16 v19, v15, v14
	v_add_nc_u32_e32 v15, s0, v12
	s_delay_alu instid0(VALU_DEP_4) | instskip(NEXT) | instid1(VALU_DEP_4)
	v_max_i32_e32 v56, v4, v54
	v_cvt_u32_f32_e32 v1, v1
	v_and_b32_e32 v24, 0x7f, v18
	v_lshrrev_b16 v25, 1, v19
	v_add_nc_u32_e32 v16, s0, v15
	v_mul_i32_i24_e32 v19, s10, v22
	v_mul_lo_u32 v51, s12, v1
	v_mul_i32_i24_e32 v21, s10, v24
	v_lshl_or_b32 v48, v24, 4, v13
	v_add_nc_u32_e32 v18, s0, v16
	v_xor_b32_e32 v50, 64, v24
	v_and_b32_e32 v49, 60, v25
	v_add_lshl_u32 v25, v26, v2, 2
	v_add3_u32 v26, v28, v27, 0x8e40
	v_add_nc_u32_e32 v20, s0, v18
	v_lshrrev_b32_e32 v2, 1, v50
	v_mul_hi_u32 v51, v1, v51
	v_lshl_or_b32 v53, v50, 4, v13
	v_add3_u32 v48, v48, v49, 0x8200
	v_add_nc_u32_e32 v22, s0, v20
	v_and_b32_e32 v2, 60, v2
	v_mul_i32_i24_e32 v49, s10, v50
	v_lshlrev_b32_e32 v10, 2, v0
	v_add_nc_u32_e32 v60, 32, v5
	v_add_nc_u32_e32 v24, s0, v22
	v_add3_u32 v50, v53, v2, 0x8200
	v_and_b32_e32 v2, 28, v58
	v_add_nc_u32_e32 v51, v1, v51
	v_or_b32_e32 v53, v8, v0
	v_add_nc_u32_e32 v27, s0, v24
	v_add_nc_u32_e32 v62, 64, v5
	;; [unrolled: 1-line block ×3, first 2 shown]
	v_lshrrev_b32_e32 v6, 5, v5
	v_lshrrev_b32_e32 v54, 3, v5
	v_add_nc_u32_e32 v31, s0, v27
	v_lshrrev_b32_e32 v59, 3, v62
	v_lshlrev_b32_e32 v74, 4, v5
	v_lshlrev_b32_e32 v55, 2, v6
	s_movk_i32 s12, 0x80
	v_add_nc_u32_e32 v36, s0, v31
	v_and_b32_e32 v59, 60, v59
	v_lshl_add_u32 v75, v54, 2, v74
	v_mul_i32_i24_e32 v14, s10, v3
	v_add_nc_u32_e32 v28, 0x820, v25
	v_add_nc_u32_e32 v40, s0, v36
	;; [unrolled: 1-line block ×12, first 2 shown]
	v_add_co_u32 v0, s0, s2, v2
	v_mul_hi_u32 v2, v56, v51
	v_lshl_add_u32 v51, v53, 2, 0x8a40
	v_mad_i32_i24 v53, 0xffffffe4, v3, v52
	v_lshrrev_b32_e32 v52, 3, v60
	v_add_nc_u32_e32 v39, 0x5140, v25
	v_add_nc_u32_e32 v41, 0x5960, v25
	;; [unrolled: 1-line block ×4, first 2 shown]
	v_mul_lo_u32 v57, v2, s1
	v_and_b32_e32 v61, 60, v52
	v_lshlrev_b32_e32 v76, 2, v52
	v_add_nc_u32_e32 v45, 0x71c0, v25
	v_add_nc_u32_e32 v46, 0x79e0, v25
	v_add_co_ci_u32_e64 v1, null, s3, 0, s0
	v_cmp_gt_u32_e64 s0, 4, v5
	v_sub_nc_u32_e32 v64, v56, v57
	v_add3_u32 v56, v58, v61, 0x8e40
	v_add_nc_u32_e32 v61, 1, v2
	v_add3_u32 v57, v58, v59, 0x8e40
	v_lshrrev_b32_e32 v59, 3, v63
	v_subrev_nc_u32_e32 v65, s1, v64
	v_cmp_le_u32_e32 vcc_lo, s1, v64
	v_lshl_add_u32 v53, v53, 2, 0x9050
	v_add3_u32 v55, v55, v58, 0x8e40
	v_and_b32_e32 v59, 60, v59
	v_mad_u32_u24 v69, 0x104, v5, s12
	v_cndmask_b32_e32 v2, v2, v61, vcc_lo
	v_cndmask_b32_e32 v64, v64, v65, vcc_lo
	v_xor_b32_e32 v61, s7, v4
	v_add3_u32 v58, v58, v59, 0x8e40
	v_add_nc_u32_e32 v59, 0x8200, v75
	v_add_nc_u32_e32 v65, 1, v2
	v_cmp_le_u32_e32 vcc_lo, s1, v64
	v_ashrrev_i32_e32 v66, 31, v61
	v_lshrrev_b32_e32 v64, 1, v62
	v_lshlrev_b32_e32 v61, 4, v60
	s_movk_i32 s1, 0x104
	v_cndmask_b32_e32 v2, v2, v65, vcc_lo
	v_lshrrev_b32_e32 v65, 1, v63
	v_and_b32_e32 v73, 0xfc, v64
	v_lshlrev_b32_e32 v64, 4, v62
	v_mul_u32_u24_e32 v60, 0x104, v5
	v_xor_b32_e32 v2, v2, v66
	v_and_b32_e32 v72, 0xfc, v65
	v_add3_u32 v61, v76, v61, 0x8200
	v_add3_u32 v64, v64, v73, 0x8200
	v_mad_u32_u24 v65, v5, s1, 0x4100
	v_sub_nc_u32_e32 v2, v2, v66
	v_lshlrev_b32_e32 v66, 4, v63
	v_mad_u32_u24 v63, v5, s1, 0x2080
	v_mad_u32_u24 v67, v5, s1, 0x6180
	v_lshl_add_u32 v70, v3, 4, 0x9050
	v_mul_lo_u32 v62, v2, s5
	v_add3_u32 v66, v66, v72, 0x8200
	v_cmp_gt_i32_e64 s1, s4, v2
	v_lshl_add_u32 v71, v3, 7, 0x8a40
	v_add3_u32 v72, v74, v72, 0x8808
	v_add3_u32 v73, v74, v73, 0x8608
	;; [unrolled: 1-line block ×3, first 2 shown]
	v_add_nc_u32_e32 v78, 0x8208, v75
	v_ashrrev_i32_e32 v68, 31, v62
	v_dual_mov_b32 v75, 0 :: v_dual_mov_b32 v76, 0
	s_add_u32 s12, s2, 0x90
	s_addc_u32 s13, s3, 0
	s_branch .LBB215_5
.LBB215_4:                              ;   in Loop: Header=BB215_5 Depth=1
	s_add_i32 s17, s17, 1
	s_delay_alu instid0(SALU_CYCLE_1)
	s_cmp_eq_u32 s17, s10
	s_cbranch_scc1 .LBB215_22
.LBB215_5:                              ; =>This Loop Header: Depth=1
                                        ;     Child Loop BB215_12 Depth 2
                                        ;     Child Loop BB215_20 Depth 2
	s_mul_i32 s14, s17, 0xd2
	s_mul_hi_u32 s15, s17, 0xd2
	s_add_u32 s14, s18, s14
	s_addc_u32 s15, s19, s15
	s_delay_alu instid0(SALU_CYCLE_1) | instskip(NEXT) | instid1(VALU_DEP_1)
	v_mad_u64_u32 v[2:3], null, 0xd2, v6, s[14:15]
	v_mad_u64_u32 v[79:80], null, 0xd2, v14, v[2:3]
	;; [unrolled: 1-line block ×5, first 2 shown]
	s_delay_alu instid0(VALU_DEP_4)
	v_add_co_u32 v83, vcc_lo, v79, v10
	v_add_co_ci_u32_e32 v84, vcc_lo, 0, v80, vcc_lo
	v_add_co_u32 v79, vcc_lo, v79, v17
	v_add_co_ci_u32_e32 v80, vcc_lo, 0, v80, vcc_lo
	;; [unrolled: 2-line block ×3, first 2 shown]
	global_load_b32 v83, v[83:84], off
	global_load_b32 v84, v[79:80], off offset:128
	v_add_co_u32 v79, vcc_lo, v81, v17
	v_add_co_ci_u32_e32 v80, vcc_lo, 0, v82, vcc_lo
	v_add_co_u32 v81, vcc_lo, v85, v10
	v_add_co_ci_u32_e32 v82, vcc_lo, 0, v86, vcc_lo
	;; [unrolled: 2-line block ×3, first 2 shown]
	global_load_b32 v90, v[87:88], off
	global_load_b32 v91, v[79:80], off offset:128
	global_load_b32 v88, v[81:82], off
	global_load_b32 v89, v[85:86], off offset:128
	v_mad_u64_u32 v[79:80], null, 0xd2, v15, v[2:3]
	v_add_co_u32 v81, vcc_lo, v92, v10
	v_add_co_ci_u32_e32 v82, vcc_lo, 0, v93, vcc_lo
	v_add_co_u32 v85, vcc_lo, v92, v17
	v_add_co_ci_u32_e32 v86, vcc_lo, 0, v93, vcc_lo
	v_add_co_u32 v92, vcc_lo, v79, v10
	v_mad_u64_u32 v[94:95], null, 0xd2, v16, v[2:3]
	v_add_co_ci_u32_e32 v93, vcc_lo, 0, v80, vcc_lo
	v_add_co_u32 v79, vcc_lo, v79, v17
	v_add_co_ci_u32_e32 v80, vcc_lo, 0, v80, vcc_lo
	global_load_b32 v114, v[81:82], off
	global_load_b32 v115, v[85:86], off offset:128
	global_load_b32 v116, v[92:93], off
	global_load_b32 v117, v[79:80], off offset:128
	v_mad_u64_u32 v[79:80], null, 0xd2, v18, v[2:3]
	v_add_co_u32 v81, vcc_lo, v94, v10
	v_add_co_ci_u32_e32 v82, vcc_lo, 0, v95, vcc_lo
	v_add_co_u32 v85, vcc_lo, v94, v17
	v_add_co_ci_u32_e32 v86, vcc_lo, 0, v95, vcc_lo
	;; [unrolled: 2-line block ×4, first 2 shown]
	global_load_b32 v118, v[81:82], off
	global_load_b32 v119, v[85:86], off offset:128
	global_load_b32 v82, v[92:93], off
	global_load_b32 v120, v[79:80], off offset:128
	v_mad_u64_u32 v[79:80], null, 0xd2, v20, v[2:3]
	v_mad_u64_u32 v[85:86], null, 0xd2, v22, v[2:3]
	;; [unrolled: 1-line block ×4, first 2 shown]
	s_delay_alu instid0(VALU_DEP_4)
	v_add_co_u32 v102, vcc_lo, v79, v10
	v_add_co_ci_u32_e32 v103, vcc_lo, 0, v80, vcc_lo
	v_add_co_u32 v79, vcc_lo, v79, v17
	v_add_co_ci_u32_e32 v80, vcc_lo, 0, v80, vcc_lo
	global_load_b32 v121, v[102:103], off
	global_load_b32 v122, v[79:80], off offset:128
	v_add_co_u32 v104, vcc_lo, v85, v10
	v_add_co_ci_u32_e32 v105, vcc_lo, 0, v86, vcc_lo
	v_add_co_u32 v85, vcc_lo, v85, v17
	v_add_co_ci_u32_e32 v86, vcc_lo, 0, v86, vcc_lo
	;; [unrolled: 2-line block ×3, first 2 shown]
	v_add_co_u32 v92, vcc_lo, v92, v17
	v_mad_u64_u32 v[96:97], null, 0xd2, v31, v[2:3]
	v_add_co_ci_u32_e32 v93, vcc_lo, 0, v93, vcc_lo
	v_add_co_u32 v108, vcc_lo, v94, v10
	v_add_co_ci_u32_e32 v109, vcc_lo, 0, v95, vcc_lo
	v_add_co_u32 v79, vcc_lo, v94, v17
	v_mad_u64_u32 v[98:99], null, 0xd2, v36, v[2:3]
	v_add_co_ci_u32_e32 v80, vcc_lo, 0, v95, vcc_lo
	v_add_co_u32 v102, vcc_lo, v96, v10
	v_add_co_ci_u32_e32 v103, vcc_lo, 0, v97, vcc_lo
	;; [unrolled: 5-line block ×3, first 2 shown]
	v_add_co_u32 v98, vcc_lo, v98, v17
	v_add_co_ci_u32_e32 v99, vcc_lo, 0, v99, vcc_lo
	v_add_co_u32 v112, vcc_lo, v100, v10
	v_add_co_ci_u32_e32 v113, vcc_lo, 0, v101, vcc_lo
	;; [unrolled: 2-line block ×3, first 2 shown]
	global_load_b32 v104, v[104:105], off
	global_load_b32 v105, v[85:86], off offset:128
	global_load_b32 v94, v[106:107], off
	global_load_b32 v95, v[92:93], off offset:128
	;; [unrolled: 2-line block ×6, first 2 shown]
	s_waitcnt vmcnt(27)
	v_and_b32_e32 v96, 0xf0f0f0f, v83
	s_waitcnt vmcnt(26)
	v_ashrrev_i32_e32 v84, v23, v84
	v_lshrrev_b32_e32 v83, 4, v83
	s_delay_alu instid0(VALU_DEP_2)
	v_lshlrev_b32_e32 v112, 4, v84
	v_and_b32_e32 v84, 0x30303030, v84
	s_waitcnt vmcnt(25)
	v_and_b32_e32 v97, 0xf0f0f0f, v90
	s_waitcnt vmcnt(24)
	v_ashrrev_i32_e32 v91, v23, v91
	v_lshrrev_b32_e32 v90, 4, v90
	s_waitcnt vmcnt(22)
	v_ashrrev_i32_e32 v89, v23, v89
	v_and_b32_e32 v98, 0xf0f0f0f, v88
	v_lshrrev_b32_e32 v88, 4, v88
	v_lshlrev_b32_e32 v113, 4, v91
	v_and_b32_e32 v91, 0x30303030, v91
	v_and_or_b32 v96, 0x30303030, v112, v96
	v_and_or_b32 v83, 0xf0f0f0f, v83, v84
	s_delay_alu instid0(VALU_DEP_4) | instskip(NEXT) | instid1(VALU_DEP_4)
	v_and_or_b32 v84, 0x30303030, v113, v97
	v_and_or_b32 v90, 0xf0f0f0f, v90, v91
	s_delay_alu instid0(VALU_DEP_1)
	v_lshrrev_b32_e32 v112, 16, v90
	v_and_b32_e32 v113, 0x3f00, v90
	v_lshlrev_b16 v90, 8, v90
	s_waitcnt vmcnt(21)
	v_and_b32_e32 v99, 0xf0f0f0f, v114
	s_waitcnt vmcnt(20)
	v_ashrrev_i32_e32 v101, v23, v115
	v_lshrrev_b32_e32 v100, 4, v114
	s_waitcnt vmcnt(18)
	v_ashrrev_i32_e32 v106, v23, v117
	v_lshlrev_b32_e32 v114, 4, v89
	v_and_b32_e32 v89, 0x30303030, v89
	v_lshlrev_b32_e32 v115, 4, v101
	v_and_b32_e32 v101, 0x30303030, v101
	v_and_b32_e32 v102, 0xf0f0f0f, v116
	v_lshrrev_b32_e32 v103, 4, v116
	v_lshlrev_b32_e32 v116, 4, v106
	v_and_b32_e32 v106, 0x30303030, v106
	v_and_or_b32 v91, 0x30303030, v114, v98
	v_and_or_b32 v88, 0xf0f0f0f, v88, v89
	;; [unrolled: 1-line block ×6, first 2 shown]
	v_lshrrev_b32_e32 v102, 16, v96
	s_waitcnt vmcnt(17)
	v_and_b32_e32 v107, 0xf0f0f0f, v118
	s_waitcnt vmcnt(16)
	v_ashrrev_i32_e32 v109, v23, v119
	v_lshrrev_b32_e32 v108, 4, v118
	v_and_b32_e32 v103, 0x3f00, v96
	v_lshlrev_b16 v96, 8, v96
	v_lshrrev_b32_e32 v106, 16, v83
	v_lshlrev_b32_e32 v117, 4, v109
	v_and_b32_e32 v109, 0x30303030, v109
	v_lshrrev_b32_e32 v114, 16, v91
	v_lshrrev_b32_e32 v116, 16, v88
	;; [unrolled: 1-line block ×3, first 2 shown]
	v_and_or_b32 v100, 0x30303030, v117, v107
	v_and_or_b32 v101, 0xf0f0f0f, v108, v109
	v_and_b32_e32 v107, 0x3f00, v83
	v_lshlrev_b16 v83, 8, v83
	v_lshrrev_b32_e32 v108, 16, v84
	v_and_b32_e32 v109, 0x3f00, v84
	v_lshlrev_b16 v84, 8, v84
	v_lshrrev_b32_e32 v123, 16, v97
	;; [unrolled: 3-line block ×3, first 2 shown]
	v_lshrrev_b32_e32 v127, 16, v99
	v_add_nc_u16 v96, v96, 0xe000
	v_and_b32_e32 v133, 0x3f00, v102
	v_lshlrev_b16 v102, 8, v102
	v_and_b32_e32 v134, 0x3f00, v106
	v_lshlrev_b16 v106, 8, v106
	v_add_nc_u16 v83, v83, 0xe000
	v_and_b32_e32 v135, 0x3f00, v108
	v_lshlrev_b16 v108, 8, v108
	v_and_b32_e32 v136, 0x3f00, v112
	v_lshlrev_b16 v112, 8, v112
	;; [unrolled: 2-line block ×3, first 2 shown]
	v_add_nc_u16 v84, v84, 0xe000
	v_and_b32_e32 v137, 0x3f00, v114
	v_lshlrev_b16 v114, 8, v114
	v_and_b32_e32 v138, 0x3f00, v116
	v_lshlrev_b16 v116, 8, v116
	s_waitcnt vmcnt(14)
	v_ashrrev_i32_e32 v111, v23, v120
	v_and_b32_e32 v120, 0x3f00, v89
	v_lshlrev_b16 v89, 8, v89
	v_and_b32_e32 v124, 0x3f00, v97
	v_lshlrev_b16 v97, 8, v97
	v_add_nc_u16 v90, v90, 0xe000
	v_and_b32_e32 v139, 0x3f00, v119
	v_lshlrev_b16 v119, 8, v119
	v_and_b32_e32 v140, 0x3f00, v123
	v_lshlrev_b16 v123, 8, v123
	;; [unrolled: 2-line block ×4, first 2 shown]
	v_add_nc_u16 v91, v91, 0xe000
	v_and_b32_e32 v141, 0x3f00, v125
	v_lshlrev_b16 v125, 8, v125
	v_and_b32_e32 v142, 0x3f00, v127
	v_lshlrev_b16 v127, 8, v127
	v_lshrrev_b16 v96, 8, v96
	v_add_nc_u16 v102, v102, 0xe000
	v_add_nc_u16 v106, v106, 0xe000
	v_lshrrev_b16 v83, 8, v83
	v_add_nc_u16 v108, v108, 0xe000
	v_add_nc_u16 v112, v112, 0xe000
	v_add_nc_u16 v88, v88, 0xe000
	v_lshrrev_b16 v84, 8, v84
	v_add_nc_u16 v114, v114, 0xe000
	v_add_nc_u16 v116, v116, 0xe000
	v_add_nc_u16 v89, v89, 0xe000
	v_add_nc_u16 v97, v97, 0xe000
	v_lshrrev_b16 v90, 8, v90
	v_add_nc_u16 v119, v119, 0xe000
	;; [unrolled: 5-line block ×3, first 2 shown]
	v_add_nc_u16 v127, v127, 0xe000
	v_or_b32_e32 v96, v103, v96
	v_lshrrev_b16 v102, 8, v102
	v_lshrrev_b16 v103, 8, v106
	v_or_b32_e32 v83, v107, v83
	v_lshrrev_b16 v106, 8, v108
	v_lshrrev_b16 v107, 8, v112
	v_lshrrev_b16 v88, 8, v88
	v_or_b32_e32 v84, v109, v84
	v_lshrrev_b16 v108, 8, v114
	v_lshrrev_b16 v109, 8, v116
	v_lshrrev_b16 v89, 8, v89
	v_lshrrev_b16 v97, 8, v97
	v_or_b32_e32 v90, v113, v90
	v_lshrrev_b16 v112, 8, v119
	;; [unrolled: 5-line block ×3, first 2 shown]
	v_lshrrev_b16 v115, 8, v127
	v_or_b32_e32 v102, v133, v102
	v_or_b32_e32 v103, v134, v103
	;; [unrolled: 1-line block ×15, first 2 shown]
	v_add_nc_u16 v96, v96, 0xe000
	v_add_nc_u16 v83, v83, 0xe000
	;; [unrolled: 1-line block ×20, first 2 shown]
	v_and_b32_e32 v96, 0xffff, v96
	v_and_b32_e32 v83, 0xffff, v83
	v_lshlrev_b32_e32 v102, 16, v102
	v_lshlrev_b32_e32 v103, 16, v103
	v_and_b32_e32 v84, 0xffff, v84
	v_and_b32_e32 v90, 0xffff, v90
	v_lshlrev_b32_e32 v106, 16, v106
	v_lshlrev_b32_e32 v107, 16, v107
	;; [unrolled: 4-line block ×5, first 2 shown]
	v_lshrrev_b32_e32 v129, 16, v100
	v_and_b32_e32 v130, 0x3f00, v100
	v_lshlrev_b16 v100, 8, v100
	v_lshrrev_b32_e32 v131, 16, v101
	v_or_b32_e32 v96, v96, v102
	v_or_b32_e32 v83, v83, v103
	;; [unrolled: 1-line block ×10, first 2 shown]
	v_and_b32_e32 v110, 0xf0f0f0f, v82
	v_lshlrev_b32_e32 v118, 4, v111
	v_and_b32_e32 v132, 0x3f00, v101
	v_lshlrev_b16 v101, 8, v101
	v_add_nc_u16 v100, v100, 0xe000
	ds_store_2addr_b32 v25, v96, v83 offset1:16
	ds_store_2addr_b32 v28, v84, v90 offset1:16
	;; [unrolled: 1-line block ×5, first 2 shown]
	v_lshlrev_b16 v83, 8, v131
	v_and_or_b32 v88, 0x30303030, v118, v110
	v_add_nc_u16 v101, v101, 0xe000
	v_lshrrev_b16 v100, 8, v100
	v_lshrrev_b32_e32 v99, 4, v82
	v_add_nc_u16 v83, v83, 0xe000
	v_lshlrev_b16 v89, 8, v88
	v_lshrrev_b16 v101, 8, v101
	v_or_b32_e32 v100, v130, v100
	v_and_b32_e32 v97, 0x3f00, v131
	v_lshrrev_b16 v98, 8, v83
	v_mad_u64_u32 v[82:83], null, 0xd2, v43, v[2:3]
	s_delay_alu instid0(VALU_DEP_4)
	v_add_nc_u16 v100, v100, 0xe000
	v_or_b32_e32 v84, v132, v101
	v_lshrrev_b32_e32 v96, 16, v88
	v_add_nc_u16 v89, v89, 0xe000
	v_and_b32_e32 v101, 0x30303030, v111
	v_and_b32_e32 v143, 0x3f00, v129
	v_lshlrev_b16 v129, 8, v129
	v_or_b32_e32 v97, v97, v98
	v_and_b32_e32 v98, 0x3f00, v88
	v_add_co_u32 v88, vcc_lo, v82, v17
	v_and_b32_e32 v90, 0xffff, v100
	v_lshlrev_b16 v100, 8, v96
	v_lshrrev_b16 v102, 8, v89
	v_and_or_b32 v99, 0xf0f0f0f, v99, v101
	v_add_co_ci_u32_e32 v89, vcc_lo, 0, v83, vcc_lo
	v_add_nc_u16 v129, v129, 0xe000
	v_add_co_u32 v82, vcc_lo, v82, v10
	v_add_nc_u16 v100, v100, 0xe000
	v_add_co_ci_u32_e32 v83, vcc_lo, 0, v83, vcc_lo
	global_load_b32 v101, v[88:89], off offset:128
	v_lshlrev_b16 v88, 8, v99
	v_lshrrev_b16 v116, 8, v129
	v_add_nc_u16 v84, v84, 0xe000
	v_and_b32_e32 v89, 0x3f00, v96
	v_lshrrev_b16 v96, 8, v100
	global_load_b32 v100, v[82:83], off
	v_add_nc_u16 v83, v88, 0xe000
	v_or_b32_e32 v116, v143, v116
	v_and_b32_e32 v82, 0xffff, v84
	v_add_nc_u16 v84, v97, 0xe000
	v_or_b32_e32 v89, v89, v96
	v_and_b32_e32 v96, 0x3f00, v99
	v_lshrrev_b16 v83, 8, v83
	v_add_nc_u16 v116, v116, 0xe000
	v_lshlrev_b32_e32 v84, 16, v84
	s_waitcnt vmcnt(14)
	v_ashrrev_i32_e32 v97, v23, v122
	v_or_b32_e32 v88, v98, v102
	v_or_b32_e32 v83, v96, v83
	v_lshlrev_b32_e32 v91, 16, v116
	v_or_b32_e32 v84, v82, v84
	v_add_nc_u16 v89, v89, 0xe000
	v_add_nc_u16 v88, v88, 0xe000
	;; [unrolled: 1-line block ×3, first 2 shown]
	v_mad_u64_u32 v[82:83], null, 0xd2, v47, v[2:3]
	v_or_b32_e32 v90, v90, v91
	v_lshrrev_b32_e32 v91, 16, v99
	v_and_b32_e32 v99, 0xf0f0f0f, v121
	v_lshlrev_b32_e32 v2, 4, v97
	v_and_b32_e32 v88, 0xffff, v88
	ds_store_2addr_b32 v33, v90, v84 offset1:16
	v_lshlrev_b32_e32 v89, 16, v89
	v_lshlrev_b16 v98, 8, v91
	v_and_or_b32 v90, 0x30303030, v2, v99
	v_add_co_u32 v2, vcc_lo, v82, v17
	v_add_co_ci_u32_e32 v3, vcc_lo, 0, v83, vcc_lo
	v_add_co_u32 v82, vcc_lo, v82, v10
	v_or_b32_e32 v84, v88, v89
	v_and_b32_e32 v88, 0xffff, v96
	v_add_co_ci_u32_e32 v83, vcc_lo, 0, v83, vcc_lo
	global_load_b32 v96, v[2:3], off offset:128
	v_add_nc_u16 v89, v98, 0xe000
	v_lshrrev_b32_e32 v2, 16, v90
	global_load_b32 v98, v[82:83], off
	v_and_b32_e32 v3, 0x3f00, v91
	v_lshlrev_b16 v91, 8, v90
	v_lshrrev_b16 v82, 8, v89
	v_lshlrev_b16 v83, 8, v2
	v_lshrrev_b32_e32 v89, 4, v121
	v_and_b32_e32 v97, 0x30303030, v97
	v_add_nc_u16 v91, v91, 0xe000
	v_or_b32_e32 v3, v3, v82
	v_add_nc_u16 v82, v83, 0xe000
	v_and_b32_e32 v83, 0x3f00, v90
	v_and_or_b32 v89, 0xf0f0f0f, v89, v97
	v_lshrrev_b16 v90, 8, v91
	v_and_b32_e32 v2, 0x3f00, v2
	v_lshrrev_b16 v82, 8, v82
	v_add_nc_u16 v3, v3, 0xe000
	v_lshlrev_b16 v91, 8, v89
	v_or_b32_e32 v83, v83, v90
	v_lshrrev_b32_e32 v90, 16, v89
	v_or_b32_e32 v2, v2, v82
	v_and_b32_e32 v89, 0x3f00, v89
	v_add_nc_u16 v82, v91, 0xe000
	v_add_nc_u16 v83, v83, 0xe000
	v_lshlrev_b16 v91, 8, v90
	v_add_nc_u16 v2, v2, 0xe000
	v_lshlrev_b32_e32 v3, 16, v3
	v_lshrrev_b16 v82, 8, v82
	v_and_b32_e32 v83, 0xffff, v83
	v_add_nc_u16 v91, v91, 0xe000
	v_lshlrev_b32_e32 v2, 16, v2
	s_waitcnt vmcnt(14)
	v_ashrrev_i32_e32 v97, v23, v105
	v_or_b32_e32 v82, v89, v82
	v_and_b32_e32 v89, 0x3f00, v90
	v_lshrrev_b16 v90, 8, v91
	v_or_b32_e32 v102, v88, v3
	v_or_b32_e32 v103, v83, v2
	v_add_nc_u16 v88, v82, 0xe000
	v_mad_u64_u32 v[2:3], null, 0xd2, v19, s[14:15]
	v_add_co_u32 v82, s14, s14, v13
	v_or_b32_e32 v89, v89, v90
	v_add_co_ci_u32_e64 v83, null, s15, 0, s14
	v_and_b32_e32 v91, 0xf0f0f0f, v104
	v_lshlrev_b32_e32 v99, 4, v97
	v_and_b32_e32 v105, 0xffff, v88
	v_add_nc_u16 v106, v89, 0xe000
	v_mad_u64_u32 v[88:89], null, 0xd2, v21, v[82:83]
	s_delay_alu instid0(VALU_DEP_4)
	v_and_or_b32 v99, 0x30303030, v99, v91
	v_mad_u64_u32 v[90:91], null, 0xd2, v49, v[82:83]
	s_clause 0x2
	global_load_u16 v2, v[2:3], off offset:208
	global_load_b32 v88, v[88:89], off offset:192
	global_load_b32 v89, v[90:91], off offset:192
	v_lshlrev_b16 v107, 8, v99
	v_lshlrev_b32_e32 v3, 16, v106
	v_lshrrev_b32_e32 v82, 4, v104
	v_and_b32_e32 v83, 0x30303030, v97
	v_lshrrev_b32_e32 v97, 16, v99
	v_add_nc_u16 v104, v107, 0xe000
	v_or_b32_e32 v3, v105, v3
	v_and_b32_e32 v91, 0x3f00, v99
	v_and_or_b32 v82, 0xf0f0f0f, v82, v83
	v_lshlrev_b16 v90, 8, v97
	v_lshrrev_b16 v83, 8, v104
	ds_store_2addr_b32 v34, v84, v102 offset1:16
	ds_store_2addr_b32 v35, v103, v3 offset1:16
	v_lshrrev_b32_e32 v3, 16, v82
	v_add_nc_u16 v84, v90, 0xe000
	v_or_b32_e32 v83, v91, v83
	v_and_b32_e32 v90, 0x3f00, v97
	v_lshlrev_b16 v91, 8, v82
	v_lshlrev_b16 v97, 8, v3
	v_lshrrev_b16 v84, 8, v84
	s_waitcnt vmcnt(15)
	v_ashrrev_i32_e32 v95, v23, v95
	v_and_b32_e32 v3, 0x3f00, v3
	v_and_b32_e32 v82, 0x3f00, v82
	v_add_nc_u16 v83, v83, 0xe000
	v_or_b32_e32 v84, v90, v84
	v_add_nc_u16 v90, v91, 0xe000
	v_add_nc_u16 v91, v97, 0xe000
	v_and_b32_e32 v97, 0xf0f0f0f, v94
	v_lshlrev_b32_e32 v99, 4, v95
	v_add_nc_u16 v84, v84, 0xe000
	v_lshrrev_b16 v90, 8, v90
	v_lshrrev_b16 v91, 8, v91
	v_lshrrev_b32_e32 v94, 4, v94
	v_and_or_b32 v97, 0x30303030, v99, v97
	v_and_b32_e32 v95, 0x30303030, v95
	v_or_b32_e32 v82, v82, v90
	v_or_b32_e32 v3, v3, v91
	v_and_b32_e32 v83, 0xffff, v83
	v_lshrrev_b32_e32 v91, 16, v97
	v_lshlrev_b16 v90, 8, v97
	v_lshlrev_b32_e32 v84, 16, v84
	v_add_nc_u16 v82, v82, 0xe000
	v_add_nc_u16 v3, v3, 0xe000
	v_lshlrev_b16 v99, 8, v91
	v_add_nc_u16 v90, v90, 0xe000
	v_and_or_b32 v94, 0xf0f0f0f, v94, v95
	v_and_b32_e32 v97, 0x3f00, v97
	v_and_b32_e32 v82, 0xffff, v82
	v_add_nc_u16 v99, v99, 0xe000
	v_lshrrev_b16 v90, 8, v90
	v_lshlrev_b32_e32 v3, 16, v3
	v_and_b32_e32 v91, 0x3f00, v91
	v_or_b32_e32 v83, v83, v84
	v_lshrrev_b16 v95, 8, v99
	v_lshrrev_b32_e32 v84, 16, v94
	v_or_b32_e32 v90, v97, v90
	v_or_b32_e32 v3, v82, v3
	s_waitcnt vmcnt(13)
	v_ashrrev_i32_e32 v93, v23, v93
	v_or_b32_e32 v82, v91, v95
	v_lshlrev_b16 v95, 8, v84
	v_add_nc_u16 v90, v90, 0xe000
	v_lshlrev_b16 v91, 8, v94
	v_and_b32_e32 v97, 0xf0f0f0f, v92
	v_add_nc_u16 v82, v82, 0xe000
	v_add_nc_u16 v95, v95, 0xe000
	v_lshlrev_b32_e32 v99, 4, v93
	v_and_b32_e32 v90, 0xffff, v90
	v_add_nc_u16 v91, v91, 0xe000
	v_and_b32_e32 v84, 0x3f00, v84
	v_lshrrev_b16 v95, 8, v95
	v_and_or_b32 v97, 0x30303030, v99, v97
	v_lshlrev_b32_e32 v82, 16, v82
	v_and_b32_e32 v94, 0x3f00, v94
	v_lshrrev_b16 v91, 8, v91
	ds_store_2addr_b32 v37, v83, v3 offset1:16
	v_or_b32_e32 v83, v84, v95
	v_lshlrev_b16 v84, 8, v97
	v_or_b32_e32 v82, v90, v82
	v_lshrrev_b32_e32 v90, 16, v97
	v_or_b32_e32 v3, v94, v91
	v_lshrrev_b32_e32 v91, 4, v92
	v_add_nc_u16 v84, v84, 0xe000
	v_and_b32_e32 v93, 0x30303030, v93
	v_lshlrev_b16 v92, 8, v90
	v_add_nc_u16 v3, v3, 0xe000
	v_add_nc_u16 v83, v83, 0xe000
	v_and_b32_e32 v94, 0x3f00, v97
	v_lshrrev_b16 v84, 8, v84
	v_add_nc_u16 v92, v92, 0xe000
	v_and_or_b32 v91, 0xf0f0f0f, v91, v93
	v_and_b32_e32 v3, 0xffff, v3
	v_lshlrev_b32_e32 v83, 16, v83
	v_or_b32_e32 v84, v94, v84
	v_and_b32_e32 v90, 0x3f00, v90
	v_lshrrev_b16 v92, 8, v92
	v_lshrrev_b32_e32 v93, 16, v91
	v_or_b32_e32 v3, v3, v83
	v_lshlrev_b16 v83, 8, v91
	v_add_nc_u16 v84, v84, 0xe000
	v_or_b32_e32 v90, v90, v92
	v_lshlrev_b16 v92, 8, v93
	ds_store_2addr_b32 v38, v82, v3 offset1:16
	v_add_nc_u16 v3, v83, 0xe000
	v_and_b32_e32 v82, 0xffff, v84
	s_waitcnt vmcnt(11)
	v_ashrrev_i32_e32 v87, v23, v87
	v_add_nc_u16 v84, v92, 0xe000
	v_add_nc_u16 v83, v90, 0xe000
	v_and_b32_e32 v90, 0x3f00, v91
	v_lshrrev_b16 v3, 8, v3
	v_and_b32_e32 v91, 0x3f00, v93
	v_lshrrev_b16 v84, 8, v84
	v_and_b32_e32 v92, 0xf0f0f0f, v86
	v_lshlrev_b32_e32 v93, 4, v87
	v_lshlrev_b32_e32 v83, 16, v83
	v_or_b32_e32 v3, v90, v3
	v_or_b32_e32 v84, v91, v84
	v_lshrrev_b32_e32 v86, 4, v86
	v_and_b32_e32 v87, 0x30303030, v87
	v_and_or_b32 v90, 0x30303030, v93, v92
	v_or_b32_e32 v82, v82, v83
	v_add_nc_u16 v83, v84, 0xe000
	s_waitcnt vmcnt(9)
	v_ashrrev_i32_e32 v85, v23, v85
	v_and_or_b32 v84, 0xf0f0f0f, v86, v87
	v_lshrrev_b32_e32 v86, 16, v90
	v_lshlrev_b16 v87, 8, v90
	v_and_b32_e32 v90, 0x3f00, v90
	v_add_nc_u16 v3, v3, 0xe000
	v_lshrrev_b32_e32 v91, 16, v84
	v_lshlrev_b16 v92, 8, v86
	v_add_nc_u16 v87, v87, 0xe000
	v_lshlrev_b16 v93, 8, v84
	v_and_b32_e32 v86, 0x3f00, v86
	v_lshlrev_b16 v94, 8, v91
	v_add_nc_u16 v92, v92, 0xe000
	v_lshrrev_b16 v87, 8, v87
	v_add_nc_u16 v93, v93, 0xe000
	v_and_b32_e32 v84, 0x3f00, v84
	v_add_nc_u16 v94, v94, 0xe000
	v_lshrrev_b16 v92, 8, v92
	v_and_b32_e32 v91, 0x3f00, v91
	v_lshrrev_b16 v93, 8, v93
	v_or_b32_e32 v87, v90, v87
	v_lshrrev_b16 v94, 8, v94
	v_or_b32_e32 v86, v86, v92
	v_lshlrev_b32_e32 v92, 4, v85
	v_or_b32_e32 v84, v84, v93
	v_add_nc_u16 v87, v87, 0xe000
	v_or_b32_e32 v90, v91, v94
	v_and_b32_e32 v91, 0xf0f0f0f, v81
	v_add_nc_u16 v86, v86, 0xe000
	v_and_b32_e32 v3, 0xffff, v3
	v_lshlrev_b32_e32 v83, 16, v83
	v_add_nc_u16 v84, v84, 0xe000
	v_add_nc_u16 v90, v90, 0xe000
	v_and_or_b32 v91, 0x30303030, v92, v91
	v_and_b32_e32 v87, 0xffff, v87
	v_lshlrev_b32_e32 v86, 16, v86
	v_and_b32_e32 v84, 0xffff, v84
	v_lshlrev_b32_e32 v90, 16, v90
	v_or_b32_e32 v3, v3, v83
	v_lshrrev_b32_e32 v81, 4, v81
	v_or_b32_e32 v83, v87, v86
	v_lshrrev_b32_e32 v86, 16, v91
	v_and_b32_e32 v85, 0x30303030, v85
	v_lshlrev_b16 v92, 8, v91
	v_or_b32_e32 v84, v84, v90
	ds_store_2addr_b32 v39, v82, v3 offset1:16
	v_lshlrev_b16 v90, 8, v86
	v_and_or_b32 v3, 0xf0f0f0f, v81, v85
	v_add_nc_u16 v87, v92, 0xe000
	ds_store_2addr_b32 v41, v83, v84 offset1:16
	v_and_b32_e32 v91, 0x3f00, v91
	v_add_nc_u16 v81, v90, 0xe000
	v_lshrrev_b32_e32 v84, 16, v3
	v_lshrrev_b16 v87, 8, v87
	v_and_b32_e32 v83, 0x3f00, v86
	v_lshlrev_b16 v85, 8, v3
	v_lshrrev_b16 v81, 8, v81
	s_waitcnt vmcnt(7)
	v_ashrrev_i32_e32 v80, v23, v80
	v_lshlrev_b16 v86, 8, v84
	v_or_b32_e32 v82, v91, v87
	v_and_b32_e32 v3, 0x3f00, v3
	v_or_b32_e32 v81, v83, v81
	v_add_nc_u16 v83, v85, 0xe000
	v_and_b32_e32 v85, 0xf0f0f0f, v79
	v_lshlrev_b32_e32 v87, 4, v80
	v_add_nc_u16 v86, v86, 0xe000
	v_and_b32_e32 v84, 0x3f00, v84
	v_lshrrev_b16 v83, 8, v83
	v_lshrrev_b32_e32 v79, 4, v79
	v_and_or_b32 v85, 0x30303030, v87, v85
	v_lshrrev_b16 v86, 8, v86
	v_and_b32_e32 v80, 0x30303030, v80
	v_or_b32_e32 v3, v3, v83
	v_add_nc_u16 v82, v82, 0xe000
	v_lshrrev_b32_e32 v83, 16, v85
	v_or_b32_e32 v84, v84, v86
	v_lshlrev_b16 v86, 8, v85
	v_add_nc_u16 v3, v3, 0xe000
	v_and_b32_e32 v85, 0x3f00, v85
	v_lshlrev_b16 v87, 8, v83
	v_add_nc_u16 v84, v84, 0xe000
	v_add_nc_u16 v86, v86, 0xe000
	v_and_or_b32 v79, 0xf0f0f0f, v79, v80
	v_add_nc_u16 v81, v81, 0xe000
	v_add_nc_u16 v87, v87, 0xe000
	v_and_b32_e32 v83, 0x3f00, v83
	v_lshrrev_b16 v86, 8, v86
	v_and_b32_e32 v3, 0xffff, v3
	v_lshlrev_b32_e32 v84, 16, v84
	v_lshrrev_b16 v80, 8, v87
	v_and_b32_e32 v82, 0xffff, v82
	v_or_b32_e32 v85, v85, v86
	v_lshlrev_b16 v86, 8, v79
	v_lshlrev_b32_e32 v81, 16, v81
	v_or_b32_e32 v80, v83, v80
	v_or_b32_e32 v3, v3, v84
	s_waitcnt vmcnt(6)
	v_ashrrev_i32_e32 v84, v23, v101
	v_add_nc_u16 v83, v86, 0xe000
	v_or_b32_e32 v81, v82, v81
	v_add_nc_u16 v82, v85, 0xe000
	v_add_nc_u16 v80, v80, 0xe000
	v_lshrrev_b32_e32 v85, 16, v79
	v_and_b32_e32 v79, 0x3f00, v79
	v_lshrrev_b16 v83, 8, v83
	s_waitcnt vmcnt(5)
	v_and_b32_e32 v86, 0xf0f0f0f, v100
	v_lshlrev_b32_e32 v87, 4, v84
	v_and_b32_e32 v82, 0xffff, v82
	v_lshlrev_b32_e32 v80, 16, v80
	v_or_b32_e32 v79, v79, v83
	v_lshlrev_b16 v83, 8, v85
	v_and_or_b32 v86, 0x30303030, v87, v86
	ds_store_2addr_b32 v42, v81, v3 offset1:16
	v_or_b32_e32 v3, v82, v80
	v_lshrrev_b32_e32 v82, 4, v100
	v_add_nc_u16 v80, v83, 0xe000
	v_lshlrev_b16 v81, 8, v86
	v_and_b32_e32 v83, 0x30303030, v84
	v_and_b32_e32 v84, 0x3f00, v85
	v_lshrrev_b32_e32 v85, 16, v86
	v_lshrrev_b16 v80, 8, v80
	v_add_nc_u16 v81, v81, 0xe000
	v_and_or_b32 v82, 0xf0f0f0f, v82, v83
	v_and_b32_e32 v83, 0x3f00, v86
	v_lshlrev_b16 v86, 8, v85
	v_or_b32_e32 v80, v84, v80
	v_lshrrev_b16 v81, 8, v81
	v_lshlrev_b16 v84, 8, v82
	v_add_nc_u16 v79, v79, 0xe000
	v_add_nc_u16 v86, v86, 0xe000
	;; [unrolled: 1-line block ×3, first 2 shown]
	v_or_b32_e32 v81, v83, v81
	v_add_nc_u16 v83, v84, 0xe000
	v_and_b32_e32 v84, 0x3f00, v85
	v_lshrrev_b16 v85, 8, v86
	v_and_b32_e32 v86, 0x3f00, v82
	v_lshrrev_b32_e32 v82, 16, v82
	v_lshrrev_b16 v83, 8, v83
	v_add_nc_u16 v81, v81, 0xe000
	v_or_b32_e32 v84, v84, v85
	s_waitcnt vmcnt(4)
	v_ashrrev_i32_e32 v85, v23, v96
	s_waitcnt vmcnt(3)
	v_lshrrev_b32_e32 v91, 4, v98
	v_or_b32_e32 v83, v86, v83
	v_and_b32_e32 v86, 0xf0f0f0f, v98
	v_lshlrev_b16 v90, 8, v82
	v_lshlrev_b32_e32 v87, 4, v85
	v_and_b32_e32 v85, 0x30303030, v85
	v_and_b32_e32 v82, 0x3f00, v82
	v_add_nc_u16 v84, v84, 0xe000
	v_add_nc_u16 v83, v83, 0xe000
	v_and_or_b32 v86, 0x30303030, v87, v86
	v_and_or_b32 v85, 0xf0f0f0f, v91, v85
	v_add_nc_u16 v87, v90, 0xe000
	v_and_b32_e32 v79, 0xffff, v79
	v_lshlrev_b32_e32 v80, 16, v80
	v_lshrrev_b32_e32 v90, 16, v86
	v_lshrrev_b32_e32 v92, 16, v85
	v_lshlrev_b16 v91, 8, v86
	v_lshlrev_b16 v94, 8, v85
	v_lshrrev_b16 v87, 8, v87
	v_lshlrev_b16 v93, 8, v90
	v_lshlrev_b16 v95, 8, v92
	v_add_nc_u16 v91, v91, 0xe000
	v_add_nc_u16 v94, v94, 0xe000
	v_and_b32_e32 v86, 0x3f00, v86
	v_add_nc_u16 v93, v93, 0xe000
	v_add_nc_u16 v95, v95, 0xe000
	v_lshrrev_b16 v91, 8, v91
	v_and_b32_e32 v90, 0x3f00, v90
	v_and_b32_e32 v85, 0x3f00, v85
	v_lshrrev_b16 v93, 8, v93
	v_lshrrev_b16 v94, 8, v94
	v_and_b32_e32 v92, 0x3f00, v92
	v_lshrrev_b16 v95, 8, v95
	v_or_b32_e32 v82, v82, v87
	v_or_b32_e32 v86, v86, v91
	;; [unrolled: 1-line block ×5, first 2 shown]
	v_add_nc_u16 v82, v82, 0xe000
	v_add_nc_u16 v86, v86, 0xe000
	;; [unrolled: 1-line block ×5, first 2 shown]
	v_and_b32_e32 v81, 0xffff, v81
	v_lshlrev_b32_e32 v84, 16, v84
	v_and_b32_e32 v83, 0xffff, v83
	v_lshlrev_b32_e32 v82, 16, v82
	;; [unrolled: 2-line block ×4, first 2 shown]
	v_or_b32_e32 v79, v79, v80
	v_or_b32_e32 v80, v81, v84
	;; [unrolled: 1-line block ×5, first 2 shown]
	s_waitcnt vmcnt(2)
	v_cvt_f32_f16_e32 v2, v2
	s_lshl_b32 s15, s17, 8
	ds_store_2addr_b32 v44, v3, v79 offset1:16
	s_cmp_lt_i32 s15, s11
	ds_store_2addr_b32 v45, v80, v81 offset1:16
	ds_store_2addr_b32 v46, v82, v83 offset1:16
	ds_store_b32 v26, v2
	s_waitcnt vmcnt(1)
	ds_store_b32 v48, v88
	s_waitcnt vmcnt(0)
	ds_store_b32 v50, v89
	s_cbranch_scc0 .LBB215_4
; %bb.6:                                ;   in Loop: Header=BB215_5 Depth=1
	s_lshl_b32 s14, s17, 3
	s_delay_alu instid0(SALU_CYCLE_1) | instskip(NEXT) | instid1(VALU_DEP_1)
	v_add_nc_u32_e32 v2, s14, v54
	v_cmp_gt_i32_e32 vcc_lo, s5, v2
	s_and_b32 s21, s1, vcc_lo
	s_delay_alu instid0(SALU_CYCLE_1)
	s_and_saveexec_b32 s20, s21
	s_cbranch_execz .LBB215_8
; %bb.7:                                ;   in Loop: Header=BB215_5 Depth=1
	v_add_nc_u32_e32 v79, v62, v2
	s_delay_alu instid0(VALU_DEP_1)
	v_mad_i64_i32 v[2:3], null, v79, 36, v[0:1]
	global_load_b32 v2, v[2:3], off offset:4
	s_waitcnt vmcnt(0)
	ds_store_b32 v51, v2
.LBB215_8:                              ;   in Loop: Header=BB215_5 Depth=1
	s_or_b32 exec_lo, exec_lo, s20
	s_and_saveexec_b32 s20, s0
	s_cbranch_execz .LBB215_11
; %bb.9:                                ;   in Loop: Header=BB215_5 Depth=1
	v_or_b32_e32 v2, s14, v5
	s_delay_alu instid0(VALU_DEP_1) | instskip(SKIP_1) | instid1(SALU_CYCLE_1)
	v_cmp_gt_i32_e32 vcc_lo, s5, v2
	s_and_b32 s21, s1, vcc_lo
	s_and_b32 exec_lo, exec_lo, s21
	s_cbranch_execz .LBB215_11
; %bb.10:                               ;   in Loop: Header=BB215_5 Depth=1
	v_add_nc_u32_e32 v79, v62, v2
	s_delay_alu instid0(VALU_DEP_1)
	v_mad_i64_i32 v[2:3], null, v79, 36, s[2:3]
	global_load_b32 v2, v[2:3], off
	s_waitcnt vmcnt(0)
	v_cvt_f32_f16_e32 v2, v2
	ds_store_b32 v53, v2
.LBB215_11:                             ;   in Loop: Header=BB215_5 Depth=1
	s_or_b32 exec_lo, exec_lo, s20
	s_waitcnt lgkmcnt(0)
	s_barrier
	buffer_gl0_inv
	ds_load_b32 v2, v55
	ds_load_b32 v3, v56 offset:128
	ds_load_b32 v79, v57 offset:256
	;; [unrolled: 1-line block ×3, first 2 shown]
	s_mov_b32 s21, 0
	s_mov_b32 s20, -1
.LBB215_12:                             ;   Parent Loop BB215_5 Depth=1
                                        ; =>  This Inner Loop Header: Depth=2
	v_lshl_or_b32 v81, s21, 1, v8
	s_lshr_b32 s22, s21, 1
	s_lshl_b32 s21, s21, 3
	v_add_nc_u32_e32 v93, s22, v59
	v_add_nc_u32_e32 v82, s21, v60
	;; [unrolled: 1-line block ×8, first 2 shown]
	v_lshlrev_b32_e32 v94, 2, v81
	v_lshrrev_b32_e32 v161, 1, v81
	ds_load_2addr_b32 v[97:98], v82 offset0:10 offset1:11
	ds_load_2addr_b32 v[99:100], v82 offset0:8 offset1:9
	;; [unrolled: 1-line block ×5, first 2 shown]
	ds_load_2addr_b32 v[107:108], v82 offset1:1
	ds_load_2addr_b32 v[109:110], v84 offset1:1
	ds_load_b32 v163, v83
	ds_load_2addr_b32 v[111:112], v82 offset0:14 offset1:15
	ds_load_2addr_b32 v[113:114], v82 offset0:12 offset1:13
	;; [unrolled: 1-line block ×6, first 2 shown]
	ds_load_b32 v164, v85
	ds_load_2addr_b32 v[123:124], v84 offset0:14 offset1:15
	ds_load_2addr_b32 v[125:126], v84 offset0:12 offset1:13
	;; [unrolled: 1-line block ×6, first 2 shown]
	ds_load_2addr_b32 v[135:136], v86 offset1:1
	ds_load_2addr_b32 v[137:138], v86 offset0:14 offset1:15
	ds_load_2addr_b32 v[139:140], v86 offset0:12 offset1:13
	;; [unrolled: 1-line block ×7, first 2 shown]
	ds_load_2addr_b32 v[151:152], v88 offset1:1
	ds_load_b32 v165, v87
	ds_load_2addr_b32 v[153:154], v88 offset0:14 offset1:15
	ds_load_2addr_b32 v[155:156], v88 offset0:12 offset1:13
	;; [unrolled: 1-line block ×4, first 2 shown]
	ds_load_b128 v[81:84], v94 offset:35440
	ds_load_b128 v[85:88], v94 offset:35424
	;; [unrolled: 1-line block ×3, first 2 shown]
	ds_load_b32 v166, v93
	ds_load_b128 v[93:96], v94 offset:35392
	ds_load_b64 v[161:162], v161 offset:36944
	s_waitcnt lgkmcnt(33)
	v_bfe_i32 v167, v163, 8, 8
	v_bfe_i32 v168, v163, 0, 8
	;; [unrolled: 1-line block ×3, first 2 shown]
	v_ashrrev_i32_e32 v163, 24, v163
	s_waitcnt lgkmcnt(26)
	v_bfe_i32 v170, v164, 8, 8
	v_bfe_i32 v171, v164, 0, 8
	;; [unrolled: 1-line block ×3, first 2 shown]
	v_ashrrev_i32_e32 v164, 24, v164
	s_mov_b32 s21, 8
	s_waitcnt lgkmcnt(10)
	v_bfe_i32 v173, v165, 8, 8
	v_bfe_i32 v174, v165, 0, 8
	v_bfe_i32 v175, v165, 16, 8
	v_ashrrev_i32_e32 v165, 24, v165
	s_and_b32 vcc_lo, exec_lo, s20
	s_waitcnt lgkmcnt(5)
	v_dot4_i32_iu8 v111, v111, v83, 0 neg_lo:[1,1,0]
	s_waitcnt lgkmcnt(4)
	v_dot4_i32_iu8 v97, v97, v87, 0 neg_lo:[1,1,0]
	;; [unrolled: 2-line block ×3, first 2 shown]
	v_dot4_i32_iu8 v123, v123, v83, 0 neg_lo:[1,1,0]
	s_waitcnt lgkmcnt(1)
	v_dot4_i32_iu8 v105, v105, v95, 0 neg_lo:[1,1,0]
	v_dot4_i32_iu8 v117, v117, v91, 0 neg_lo:[1,1,0]
	;; [unrolled: 1-line block ×40, first 2 shown]
	v_bfe_i32 v176, v166, 8, 8
	v_bfe_i32 v177, v166, 0, 8
	;; [unrolled: 1-line block ×3, first 2 shown]
	v_ashrrev_i32_e32 v166, 24, v166
	v_dot4_i32_iu8 v95, v108, v94, v101 neg_lo:[1,1,0]
	v_dot4_i32_iu8 v101, v110, v94, v109 neg_lo:[1,1,0]
	;; [unrolled: 1-line block ×18, first 2 shown]
	v_mul_lo_u32 v81, v87, v176
	v_mul_lo_u32 v82, v86, v166
	v_mul_lo_u32 v83, v90, v167
	v_mul_lo_u32 v84, v89, v163
	v_dot4_i32_iu8 v92, v150, v96, v85 neg_lo:[1,1,0]
	v_mul_lo_u32 v85, v99, v170
	v_mul_lo_u32 v86, v97, v164
	;; [unrolled: 1-line block ×4, first 2 shown]
	v_dot4_i32_iu8 v100, v134, v96, v107 neg_lo:[1,1,0]
	v_mad_u64_u32 v[89:90], null, v91, v177, v[81:82]
	v_mad_u64_u32 v[90:91], null, v94, v178, v[82:83]
	v_mad_u64_u32 v[81:82], null, v95, v168, v[83:84]
	v_mad_u64_u32 v[82:83], null, v93, v169, v[84:85]
	v_mad_u64_u32 v[83:84], null, v100, v171, v[85:86]
	v_mad_u64_u32 v[84:85], null, v98, v172, v[86:87]
	v_mad_u64_u32 v[85:86], null, v92, v174, v[87:88]
	v_mad_u64_u32 v[86:87], null, v102, v175, v[88:89]
	v_cvt_f32_i32_e32 v87, v89
	v_cvt_f32_i32_e32 v81, v81
	;; [unrolled: 1-line block ×8, first 2 shown]
	s_waitcnt lgkmcnt(0)
	v_fma_f32 v87, v161, v87, 0
	v_fma_f32 v81, v161, v81, 0
	;; [unrolled: 1-line block ×4, first 2 shown]
	s_mov_b32 s20, 0
	v_fmac_f32_e32 v87, v162, v88
	v_fmac_f32_e32 v81, v162, v82
	;; [unrolled: 1-line block ×4, first 2 shown]
	s_delay_alu instid0(VALU_DEP_4) | instskip(NEXT) | instid1(VALU_DEP_4)
	v_fmac_f32_e32 v7, v2, v87
	v_fmac_f32_e32 v75, v3, v81
	s_delay_alu instid0(VALU_DEP_3)
	v_dual_fmac_f32 v76, v79, v83 :: v_dual_fmac_f32 v77, v80, v85
	s_cbranch_vccnz .LBB215_12
; %bb.13:                               ;   in Loop: Header=BB215_5 Depth=1
	s_bitset1_b32 s15, 7
	s_delay_alu instid0(SALU_CYCLE_1)
	s_cmp_ge_i32 s15, s11
	s_barrier
	buffer_gl0_inv
	s_cbranch_scc1 .LBB215_4
; %bb.14:                               ;   in Loop: Header=BB215_5 Depth=1
	v_add_nc_u32_e32 v2, s14, v52
	s_delay_alu instid0(VALU_DEP_1) | instskip(SKIP_1) | instid1(SALU_CYCLE_1)
	v_cmp_gt_i32_e32 vcc_lo, s5, v2
	s_and_b32 s20, s1, vcc_lo
	s_and_saveexec_b32 s15, s20
	s_cbranch_execz .LBB215_16
; %bb.15:                               ;   in Loop: Header=BB215_5 Depth=1
	v_add_nc_u32_e32 v79, v62, v2
	s_delay_alu instid0(VALU_DEP_1)
	v_mad_i64_i32 v[2:3], null, v79, 36, v[0:1]
	global_load_b32 v2, v[2:3], off offset:4
	s_waitcnt vmcnt(0)
	ds_store_b32 v51, v2
.LBB215_16:                             ;   in Loop: Header=BB215_5 Depth=1
	s_or_b32 exec_lo, exec_lo, s15
	s_and_saveexec_b32 s15, s0
	s_cbranch_execz .LBB215_19
; %bb.17:                               ;   in Loop: Header=BB215_5 Depth=1
	v_or_b32_e32 v2, s14, v5
	s_delay_alu instid0(VALU_DEP_1) | instskip(NEXT) | instid1(VALU_DEP_1)
	v_or_b32_e32 v3, 4, v2
	v_cmp_gt_i32_e32 vcc_lo, s5, v3
	s_and_b32 s14, s1, vcc_lo
	s_delay_alu instid0(SALU_CYCLE_1)
	s_and_b32 exec_lo, exec_lo, s14
	s_cbranch_execz .LBB215_19
; %bb.18:                               ;   in Loop: Header=BB215_5 Depth=1
	v_ashrrev_i32_e32 v3, 31, v2
	v_add_co_u32 v79, vcc_lo, v62, v2
	s_delay_alu instid0(VALU_DEP_2) | instskip(NEXT) | instid1(VALU_DEP_2)
	v_add_co_ci_u32_e32 v80, vcc_lo, v68, v3, vcc_lo
	v_mad_u64_u32 v[2:3], null, v79, 36, s[12:13]
	s_delay_alu instid0(VALU_DEP_1)
	v_mad_i32_i24 v3, v80, 36, v3
	global_load_b32 v2, v[2:3], off
	s_waitcnt vmcnt(0)
	v_cvt_f32_f16_e32 v2, v2
	ds_store_b32 v53, v2
.LBB215_19:                             ;   in Loop: Header=BB215_5 Depth=1
	s_or_b32 exec_lo, exec_lo, s15
	s_waitcnt lgkmcnt(0)
	s_barrier
	buffer_gl0_inv
	ds_load_b32 v2, v55
	ds_load_b32 v3, v56 offset:128
	ds_load_b32 v79, v57 offset:256
	;; [unrolled: 1-line block ×3, first 2 shown]
	v_dual_mov_b32 v81, v78 :: v_dual_mov_b32 v84, v72
	v_dual_mov_b32 v82, v74 :: v_dual_mov_b32 v83, v73
	;; [unrolled: 1-line block ×3, first 2 shown]
	v_mov_b32_e32 v87, v69
	s_mov_b32 s14, 8
.LBB215_20:                             ;   Parent Loop BB215_5 Depth=1
                                        ; =>  This Inner Loop Header: Depth=2
	ds_load_b128 v[88:91], v85
	ds_load_b128 v[92:95], v85 offset:16
	ds_load_b128 v[96:99], v85 offset:32
	;; [unrolled: 1-line block ×3, first 2 shown]
	ds_load_b64 v[104:105], v86
	ds_load_2addr_b32 v[106:107], v87 offset0:6 offset1:7
	ds_load_2addr_b32 v[108:109], v87 offset0:4 offset1:5
	;; [unrolled: 1-line block ×3, first 2 shown]
	ds_load_2addr_b32 v[112:113], v87 offset1:1
	ds_load_2addr_b32 v[114:115], v87 offset0:14 offset1:15
	ds_load_2addr_b32 v[116:117], v87 offset0:12 offset1:13
	;; [unrolled: 1-line block ×4, first 2 shown]
	v_add_nc_u32_e32 v122, 0x2090, v87
	v_add_nc_u32_e32 v124, 0x2088, v87
	;; [unrolled: 1-line block ×24, first 2 shown]
	ds_load_b32 v170, v81
	ds_load_b32 v171, v82
	;; [unrolled: 1-line block ×4, first 2 shown]
	ds_load_2addr_b32 v[122:123], v122 offset1:1
	ds_load_2addr_b32 v[124:125], v124 offset1:1
	;; [unrolled: 1-line block ×24, first 2 shown]
	s_waitcnt lgkmcnt(31)
	v_dot4_i32_iu8 v114, v114, v102, 0 neg_lo:[1,1,0]
	s_waitcnt lgkmcnt(29)
	v_dot4_i32_iu8 v118, v118, v98, 0 neg_lo:[1,1,0]
	v_dot4_i32_iu8 v106, v106, v94, 0 neg_lo:[1,1,0]
	;; [unrolled: 1-line block ×3, first 2 shown]
	v_add_nc_u32_e32 v86, 8, v86
	v_dot4_i32_iu8 v114, v116, v100, v114 neg_lo:[1,1,0]
	s_waitcnt lgkmcnt(28)
	v_dot4_i32_iu8 v116, v120, v96, v118 neg_lo:[1,1,0]
	v_dot4_i32_iu8 v106, v108, v92, v106 neg_lo:[1,1,0]
	;; [unrolled: 1-line block ×3, first 2 shown]
	s_waitcnt lgkmcnt(19)
	v_dot4_i32_iu8 v110, v130, v102, 0 neg_lo:[1,1,0]
	s_waitcnt lgkmcnt(17)
	v_dot4_i32_iu8 v112, v134, v98, 0 neg_lo:[1,1,0]
	v_dot4_i32_iu8 v118, v126, v94, 0 neg_lo:[1,1,0]
	;; [unrolled: 1-line block ×3, first 2 shown]
	s_waitcnt lgkmcnt(13)
	v_dot4_i32_iu8 v130, v142, v94, 0 neg_lo:[1,1,0]
	s_waitcnt lgkmcnt(11)
	v_dot4_i32_iu8 v124, v146, v102, 0 neg_lo:[1,1,0]
	;; [unrolled: 2-line block ×4, first 2 shown]
	v_dot4_i32_iu8 v126, v150, v98, 0 neg_lo:[1,1,0]
	v_dot4_i32_iu8 v134, v140, v90, 0 neg_lo:[1,1,0]
	s_waitcnt lgkmcnt(1)
	v_dot4_i32_iu8 v98, v166, v98, 0 neg_lo:[1,1,0]
	v_dot4_i32_iu8 v90, v156, v90, 0 neg_lo:[1,1,0]
	v_dot4_i32_iu8 v114, v117, v101, v114 neg_lo:[1,1,0]
	v_dot4_i32_iu8 v106, v109, v93, v106 neg_lo:[1,1,0]
	v_dot4_i32_iu8 v108, v113, v89, v108 neg_lo:[1,1,0]
	v_dot4_i32_iu8 v109, v132, v100, v110 neg_lo:[1,1,0]
	v_dot4_i32_iu8 v110, v136, v96, v112 neg_lo:[1,1,0]
	v_dot4_i32_iu8 v112, v122, v92, v118 neg_lo:[1,1,0]
	v_dot4_i32_iu8 v113, v128, v88, v120 neg_lo:[1,1,0]
	v_dot4_i32_iu8 v120, v138, v92, v130 neg_lo:[1,1,0]
	v_dot4_i32_iu8 v117, v148, v100, v124 neg_lo:[1,1,0]
	v_dot4_i32_iu8 v92, v154, v92, v94 neg_lo:[1,1,0]
	v_dot4_i32_iu8 v100, v164, v100, v102 neg_lo:[1,1,0]
	v_bfe_i32 v174, v170, 8, 8
	v_bfe_i32 v175, v170, 0, 8
	;; [unrolled: 1-line block ×3, first 2 shown]
	v_ashrrev_i32_e32 v170, 24, v170
	v_dot4_i32_iu8 v116, v121, v97, v116 neg_lo:[1,1,0]
	v_dot4_i32_iu8 v118, v152, v96, v126 neg_lo:[1,1,0]
	;; [unrolled: 1-line block ×3, first 2 shown]
	s_waitcnt lgkmcnt(0)
	v_dot4_i32_iu8 v96, v168, v96, v98 neg_lo:[1,1,0]
	v_dot4_i32_iu8 v88, v160, v88, v90 neg_lo:[1,1,0]
	;; [unrolled: 1-line block ×12, first 2 shown]
	v_bfe_i32 v177, v171, 8, 8
	v_bfe_i32 v178, v171, 0, 8
	;; [unrolled: 1-line block ×3, first 2 shown]
	v_ashrrev_i32_e32 v171, 24, v171
	v_dot4_i32_iu8 v109, v129, v89, v113 neg_lo:[1,1,0]
	v_dot4_i32_iu8 v113, v145, v89, v121 neg_lo:[1,1,0]
	;; [unrolled: 1-line block ×3, first 2 shown]
	v_mul_lo_u32 v88, v94, v174
	v_mul_lo_u32 v89, v90, v170
	v_dot4_i32_iu8 v94, v131, v103, v106 neg_lo:[1,1,0]
	v_dot4_i32_iu8 v90, v127, v95, v108 neg_lo:[1,1,0]
	v_bfe_i32 v180, v172, 8, 8
	v_dot4_i32_iu8 v108, v143, v95, v112 neg_lo:[1,1,0]
	v_bfe_i32 v181, v172, 0, 8
	v_bfe_i32 v182, v172, 16, 8
	v_ashrrev_i32_e32 v172, 24, v172
	v_dot4_i32_iu8 v111, v153, v97, v118 neg_lo:[1,1,0]
	v_dot4_i32_iu8 v96, v169, v97, v96 neg_lo:[1,1,0]
	;; [unrolled: 1-line block ×3, first 2 shown]
	v_bfe_i32 v183, v173, 8, 8
	v_dot4_i32_iu8 v95, v159, v95, v92 neg_lo:[1,1,0]
	v_bfe_i32 v184, v173, 0, 8
	v_bfe_i32 v185, v173, 16, 8
	v_ashrrev_i32_e32 v173, 24, v173
	v_dot4_i32_iu8 v100, v163, v103, v100 neg_lo:[1,1,0]
	v_dot4_i32_iu8 v106, v125, v91, v109 neg_lo:[1,1,0]
	;; [unrolled: 1-line block ×4, first 2 shown]
	v_mul_lo_u32 v90, v90, v177
	v_mul_lo_u32 v91, v94, v171
	;; [unrolled: 1-line block ×4, first 2 shown]
	v_dot4_i32_iu8 v102, v119, v99, v116 neg_lo:[1,1,0]
	v_mul_lo_u32 v94, v95, v183
	v_dot4_i32_iu8 v101, v135, v99, v107 neg_lo:[1,1,0]
	v_mul_lo_u32 v95, v100, v173
	v_dot4_i32_iu8 v107, v151, v99, v111 neg_lo:[1,1,0]
	v_dot4_i32_iu8 v99, v167, v99, v96 neg_lo:[1,1,0]
	v_mad_u64_u32 v[96:97], null, v98, v175, v[88:89]
	v_mad_u64_u32 v[97:98], null, v102, v176, v[89:90]
	;; [unrolled: 1-line block ×8, first 2 shown]
	v_cvt_f32_i32_e32 v94, v96
	v_cvt_f32_i32_e32 v88, v88
	;; [unrolled: 1-line block ×5, first 2 shown]
	v_fma_f32 v94, v104, v94, 0
	v_cvt_f32_i32_e32 v89, v89
	v_cvt_f32_i32_e32 v91, v91
	;; [unrolled: 1-line block ×3, first 2 shown]
	v_fma_f32 v88, v104, v88, 0
	v_fma_f32 v90, v104, v90, 0
	;; [unrolled: 1-line block ×3, first 2 shown]
	v_add_nc_u32_e32 v87, 64, v87
	v_dual_fmac_f32 v94, v105, v95 :: v_dual_add_nc_u32 v85, 64, v85
	s_delay_alu instid0(VALU_DEP_3)
	v_dual_fmac_f32 v92, v105, v93 :: v_dual_add_nc_u32 v83, 4, v83
	v_fmac_f32_e32 v88, v105, v89
	v_dual_fmac_f32 v90, v105, v91 :: v_dual_add_nc_u32 v81, 4, v81
	v_add_nc_u32_e32 v84, 4, v84
	v_add_nc_u32_e32 v82, 4, v82
	v_fmac_f32_e32 v7, v2, v94
	v_fmac_f32_e32 v75, v3, v88
	v_dual_fmac_f32 v76, v79, v90 :: v_dual_fmac_f32 v77, v80, v92
	s_add_i32 s14, s14, 8
	s_delay_alu instid0(SALU_CYCLE_1)
	s_cmp_lt_u32 s14, 24
	s_cbranch_scc1 .LBB215_20
; %bb.21:                               ;   in Loop: Header=BB215_5 Depth=1
	s_barrier
	buffer_gl0_inv
	s_branch .LBB215_4
.LBB215_22:
	v_cvt_f16_f32_e32 v7, v7
	v_cvt_f16_f32_e32 v6, v75
	;; [unrolled: 1-line block ×4, first 2 shown]
.LBB215_23:
	s_mul_i32 s0, s7, s4
	s_waitcnt vmcnt(0)
	v_cmp_gt_i32_e32 vcc_lo, s0, v4
	s_and_saveexec_b32 s0, vcc_lo
	s_cbranch_execz .LBB215_32
; %bb.24:
	v_mul_lo_u32 v1, v4, s6
	v_add_nc_u32_e32 v3, s16, v5
	s_mov_b32 s0, exec_lo
	s_delay_alu instid0(VALU_DEP_1)
	v_cmpx_gt_u32_e64 s6, v3
	s_cbranch_execz .LBB215_26
; %bb.25:
	s_delay_alu instid0(VALU_DEP_3) | instskip(NEXT) | instid1(VALU_DEP_1)
	v_dual_mov_b32 v5, 0 :: v_dual_add_nc_u32 v4, v1, v3
	v_lshlrev_b64 v[4:5], 1, v[4:5]
	s_delay_alu instid0(VALU_DEP_1) | instskip(NEXT) | instid1(VALU_DEP_2)
	v_add_co_u32 v4, vcc_lo, s8, v4
	v_add_co_ci_u32_e32 v5, vcc_lo, s9, v5, vcc_lo
	global_store_b16 v[4:5], v7, off
.LBB215_26:
	s_or_b32 exec_lo, exec_lo, s0
	v_add_nc_u32_e32 v4, 32, v3
	s_mov_b32 s0, exec_lo
	s_delay_alu instid0(VALU_DEP_1)
	v_cmpx_gt_u32_e64 s6, v4
	s_cbranch_execz .LBB215_28
; %bb.27:
	v_dual_mov_b32 v5, 0 :: v_dual_add_nc_u32 v4, v1, v4
	s_delay_alu instid0(VALU_DEP_1) | instskip(NEXT) | instid1(VALU_DEP_1)
	v_lshlrev_b64 v[4:5], 1, v[4:5]
	v_add_co_u32 v4, vcc_lo, s8, v4
	s_delay_alu instid0(VALU_DEP_2)
	v_add_co_ci_u32_e32 v5, vcc_lo, s9, v5, vcc_lo
	global_store_b16 v[4:5], v6, off
.LBB215_28:
	s_or_b32 exec_lo, exec_lo, s0
	v_add_nc_u32_e32 v4, 64, v3
	s_mov_b32 s0, exec_lo
	s_delay_alu instid0(VALU_DEP_1)
	v_cmpx_gt_u32_e64 s6, v4
	s_cbranch_execz .LBB215_30
; %bb.29:
	v_dual_mov_b32 v5, 0 :: v_dual_add_nc_u32 v4, v1, v4
	s_delay_alu instid0(VALU_DEP_1) | instskip(NEXT) | instid1(VALU_DEP_1)
	v_lshlrev_b64 v[4:5], 1, v[4:5]
	v_add_co_u32 v4, vcc_lo, s8, v4
	s_delay_alu instid0(VALU_DEP_2)
	v_add_co_ci_u32_e32 v5, vcc_lo, s9, v5, vcc_lo
	global_store_b16 v[4:5], v0, off
.LBB215_30:
	s_or_b32 exec_lo, exec_lo, s0
	v_add_nc_u32_e32 v0, 0x60, v3
	s_delay_alu instid0(VALU_DEP_1)
	v_cmp_gt_u32_e32 vcc_lo, s6, v0
	s_and_b32 exec_lo, exec_lo, vcc_lo
	s_cbranch_execz .LBB215_32
; %bb.31:
	v_dual_mov_b32 v1, 0 :: v_dual_add_nc_u32 v0, v1, v0
	s_delay_alu instid0(VALU_DEP_1) | instskip(NEXT) | instid1(VALU_DEP_1)
	v_lshlrev_b64 v[0:1], 1, v[0:1]
	v_add_co_u32 v0, vcc_lo, s8, v0
	s_delay_alu instid0(VALU_DEP_2)
	v_add_co_ci_u32_e32 v1, vcc_lo, s9, v1, vcc_lo
	global_store_b16 v[0:1], v2, off
.LBB215_32:
	s_nop 0
	s_sendmsg sendmsg(MSG_DEALLOC_VGPRS)
	s_endpgm
	.section	.rodata,"a",@progbits
	.p2align	6, 0x0
	.amdhsa_kernel _ZL8moe_q6_KIN3c104HalfELb0EEvPKvS3_PT_PKiS7_S7_iiiiiii
		.amdhsa_group_segment_fixed_size 37072
		.amdhsa_private_segment_fixed_size 0
		.amdhsa_kernarg_size 76
		.amdhsa_user_sgpr_count 14
		.amdhsa_user_sgpr_dispatch_ptr 0
		.amdhsa_user_sgpr_queue_ptr 0
		.amdhsa_user_sgpr_kernarg_segment_ptr 1
		.amdhsa_user_sgpr_dispatch_id 0
		.amdhsa_user_sgpr_private_segment_size 0
		.amdhsa_wavefront_size32 1
		.amdhsa_uses_dynamic_stack 0
		.amdhsa_enable_private_segment 0
		.amdhsa_system_sgpr_workgroup_id_x 1
		.amdhsa_system_sgpr_workgroup_id_y 1
		.amdhsa_system_sgpr_workgroup_id_z 0
		.amdhsa_system_sgpr_workgroup_info 0
		.amdhsa_system_vgpr_workitem_id 1
		.amdhsa_next_free_vgpr 186
		.amdhsa_next_free_sgpr 23
		.amdhsa_reserve_vcc 1
		.amdhsa_float_round_mode_32 0
		.amdhsa_float_round_mode_16_64 0
		.amdhsa_float_denorm_mode_32 3
		.amdhsa_float_denorm_mode_16_64 3
		.amdhsa_dx10_clamp 1
		.amdhsa_ieee_mode 1
		.amdhsa_fp16_overflow 0
		.amdhsa_workgroup_processor_mode 1
		.amdhsa_memory_ordered 1
		.amdhsa_forward_progress 0
		.amdhsa_shared_vgpr_count 0
		.amdhsa_exception_fp_ieee_invalid_op 0
		.amdhsa_exception_fp_denorm_src 0
		.amdhsa_exception_fp_ieee_div_zero 0
		.amdhsa_exception_fp_ieee_overflow 0
		.amdhsa_exception_fp_ieee_underflow 0
		.amdhsa_exception_fp_ieee_inexact 0
		.amdhsa_exception_int_div_zero 0
	.end_amdhsa_kernel
	.section	.text._ZL8moe_q6_KIN3c104HalfELb0EEvPKvS3_PT_PKiS7_S7_iiiiiii,"axG",@progbits,_ZL8moe_q6_KIN3c104HalfELb0EEvPKvS3_PT_PKiS7_S7_iiiiiii,comdat
.Lfunc_end215:
	.size	_ZL8moe_q6_KIN3c104HalfELb0EEvPKvS3_PT_PKiS7_S7_iiiiiii, .Lfunc_end215-_ZL8moe_q6_KIN3c104HalfELb0EEvPKvS3_PT_PKiS7_S7_iiiiiii
                                        ; -- End function
	.section	.AMDGPU.csdata,"",@progbits
; Kernel info:
; codeLenInByte = 10976
; NumSgprs: 25
; NumVgprs: 186
; ScratchSize: 0
; MemoryBound: 0
; FloatMode: 240
; IeeeMode: 1
; LDSByteSize: 37072 bytes/workgroup (compile time only)
; SGPRBlocks: 3
; VGPRBlocks: 23
; NumSGPRsForWavesPerEU: 25
; NumVGPRsForWavesPerEU: 186
; Occupancy: 6
; WaveLimiterHint : 1
; COMPUTE_PGM_RSRC2:SCRATCH_EN: 0
; COMPUTE_PGM_RSRC2:USER_SGPR: 14
; COMPUTE_PGM_RSRC2:TRAP_HANDLER: 0
; COMPUTE_PGM_RSRC2:TGID_X_EN: 1
; COMPUTE_PGM_RSRC2:TGID_Y_EN: 1
; COMPUTE_PGM_RSRC2:TGID_Z_EN: 0
; COMPUTE_PGM_RSRC2:TIDIG_COMP_CNT: 1
	.section	.text._ZL8moe_q6_KIN3c104HalfELb1EEvPKvS3_PT_PKiS7_S7_iiiiiii,"axG",@progbits,_ZL8moe_q6_KIN3c104HalfELb1EEvPKvS3_PT_PKiS7_S7_iiiiiii,comdat
	.globl	_ZL8moe_q6_KIN3c104HalfELb1EEvPKvS3_PT_PKiS7_S7_iiiiiii ; -- Begin function _ZL8moe_q6_KIN3c104HalfELb1EEvPKvS3_PT_PKiS7_S7_iiiiiii
	.p2align	8
	.type	_ZL8moe_q6_KIN3c104HalfELb1EEvPKvS3_PT_PKiS7_S7_iiiiiii,@function
_ZL8moe_q6_KIN3c104HalfELb1EEvPKvS3_PT_PKiS7_S7_iiiiiii: ; @_ZL8moe_q6_KIN3c104HalfELb1EEvPKvS3_PT_PKiS7_S7_iiiiiii
; %bb.0:
	s_load_b128 s[4:7], s[0:1], 0x18
	s_mov_b32 s2, s15
	s_mov_b32 s3, 0
	s_delay_alu instid0(SALU_CYCLE_1)
	s_lshl_b64 s[8:9], s[2:3], 2
	s_waitcnt lgkmcnt(0)
	s_add_u32 s6, s6, s8
	s_addc_u32 s7, s7, s9
	s_load_b32 s15, s[6:7], 0x0
	s_waitcnt lgkmcnt(0)
	s_cmpk_gt_u32 s15, 0xff
	s_cbranch_scc1 .LBB216_32
; %bb.1:
	s_load_b64 s[6:7], s[0:1], 0x28
	s_lshl_b32 s2, s2, 3
	s_waitcnt lgkmcnt(0)
	s_load_b32 s3, s[6:7], 0x0
	s_waitcnt lgkmcnt(0)
	s_cmp_gt_u32 s2, s3
	s_cbranch_scc1 .LBB216_32
; %bb.2:
	v_bfe_u32 v18, v0, 10, 10
	v_mov_b32_e32 v2, 0
	s_mov_b32 s18, 0
	s_delay_alu instid0(VALU_DEP_2) | instskip(NEXT) | instid1(VALU_DEP_2)
	v_add_nc_u32_e32 v1, s2, v18
	v_dual_mov_b32 v0, v2 :: v_dual_and_b32 v21, 0x3ff, v0
	v_mov_b32_e32 v5, v2
	s_delay_alu instid0(VALU_DEP_3) | instskip(NEXT) | instid1(VALU_DEP_1)
	v_lshlrev_b64 v[3:4], 2, v[1:2]
	v_add_co_u32 v3, vcc_lo, s4, v3
	s_delay_alu instid0(VALU_DEP_2)
	v_add_co_ci_u32_e32 v4, vcc_lo, s5, v4, vcc_lo
	global_load_b32 v20, v[3:4], off
	s_clause 0x1
	s_load_b256 s[4:11], s[0:1], 0x30
	s_load_b64 s[12:13], s[0:1], 0x10
	v_mov_b32_e32 v3, v2
	s_waitcnt lgkmcnt(0)
	s_lshl_b32 s11, s14, 7
	s_cmpk_lt_i32 s5, 0x100
	s_cbranch_scc1 .LBB216_23
; %bb.3:
	s_load_b128 s[0:3], s[0:1], 0x0
	v_and_b32_e32 v19, 31, v21
	s_ashr_i32 s14, s5, 31
	s_mul_i32 s15, s15, s4
	s_lshr_b32 s4, s14, 24
	s_ashr_i32 s16, s8, 31
	v_add_nc_u16 v1, v19, -16
	v_cmp_gt_u32_e32 vcc_lo, 16, v19
	s_add_i32 s4, s5, s4
	s_lshr_b32 s14, s16, 27
	s_ashr_i32 s4, s4, 8
	v_dual_mov_b32 v23, 0 :: v_dual_and_b32 v0, 7, v21
	s_add_i32 s8, s8, s14
	v_dual_cndmask_b32 v1, v1, v19 :: v_dual_and_b32 v2, 15, v21
	v_cmp_lt_u32_e32 vcc_lo, 15, v19
	s_mul_i32 s14, s4, s11
	s_ashr_i32 s16, s15, 31
	s_ashr_i32 s8, s8, 5
	s_mul_hi_i32 s17, s14, 0xd2
	s_mulk_i32 s14, 0xd2
	s_waitcnt lgkmcnt(0)
	s_add_u32 s0, s0, s15
	s_addc_u32 s1, s1, s16
	s_add_u32 s19, s0, s14
	v_lshlrev_b32_e32 v0, 2, v0
	v_cndmask_b32_e64 v3, 0, 1, vcc_lo
	v_cmp_lt_u16_e32 vcc_lo, 7, v1
	v_lshlrev_b32_e32 v2, 2, v2
	s_addc_u32 s20, s1, s17
	s_not_b32 s0, s11
	v_lshlrev_b32_e32 v38, 5, v18
	s_add_i32 s0, s0, s6
	v_cndmask_b32_e64 v1, 0, 1, vcc_lo
	v_min_i32_e32 v5, s0, v18
	v_lshl_or_b32 v17, v3, 7, v2
	v_add_nc_u32_e32 v4, 8, v18
	v_add_nc_u32_e32 v2, 16, v18
	v_lshl_or_b32 v25, v3, 5, v0
	v_lshlrev_b32_e32 v26, 1, v1
	v_mul_lo_u32 v27, v5, s4
	v_mad_u64_u32 v[0:1], null, 0x104, v5, v[17:18]
	v_add_nc_u32_e32 v5, 24, v18
	v_add_nc_u32_e32 v6, 32, v18
	;; [unrolled: 1-line block ×4, first 2 shown]
	v_min_i32_e32 v3, s0, v4
	v_add_nc_u32_e32 v8, 48, v18
	v_min_i32_e32 v4, s0, v2
	v_add_nc_u32_e32 v9, 56, v18
	v_min_i32_e32 v5, s0, v5
	v_add_nc_u32_e32 v10, 64, v18
	v_min_i32_e32 v6, s0, v6
	v_add_nc_u32_e32 v11, 0x48, v18
	v_min_i32_e32 v7, s0, v7
	v_add_nc_u32_e32 v12, 0x50, v18
	v_and_b32_e32 v42, 0x7f, v49
	v_lshrrev_b32_e32 v43, 2, v21
	v_mad_u64_u32 v[1:2], null, 0x104, v3, v[17:18]
	v_min_i32_e32 v8, s0, v8
	v_add_nc_u32_e32 v13, 0x58, v18
	v_mul_lo_u32 v28, v3, s4
	v_mad_u64_u32 v[2:3], null, 0x104, v4, v[17:18]
	v_min_i32_e32 v9, s0, v9
	v_add_nc_u32_e32 v14, 0x60, v18
	v_mul_lo_u32 v29, v4, s4
	;; [unrolled: 4-line block ×4, first 2 shown]
	v_mad_u64_u32 v[5:6], null, 0x104, v7, v[17:18]
	v_min_i32_e32 v12, s0, v12
	v_min_i32_e32 v45, s0, v42
	v_lshl_add_u32 v43, v18, 3, v43
	v_mul_lo_u32 v32, v7, s4
	v_mad_u64_u32 v[6:7], null, 0x104, v8, v[17:18]
	v_min_i32_e32 v13, s0, v13
	v_mul_lo_u32 v33, v8, s4
	v_mad_u64_u32 v[7:8], null, 0x104, v9, v[17:18]
	v_min_i32_e32 v14, s0, v14
	;; [unrolled: 3-line block ×4, first 2 shown]
	v_mul_lo_u32 v36, v11, s4
	v_mad_u64_u32 v[10:11], null, 0x104, v12, v[17:18]
	v_ashrrev_i32_e32 v44, 31, v45
	v_and_b32_e32 v43, 0x7f, v43
	v_mul_lo_u32 v37, v12, s4
	v_mad_u64_u32 v[11:12], null, 0x104, v13, v[17:18]
	v_mul_lo_u32 v39, v13, s4
	v_mad_u64_u32 v[12:13], null, 0x104, v14, v[17:18]
	;; [unrolled: 2-line block ×3, first 2 shown]
	s_abs_i32 s1, s10
	v_mul_lo_u32 v41, v15, s4
	v_mad_u64_u32 v[14:15], null, 0x104, v16, v[17:18]
	v_mul_lo_u32 v42, v16, s4
	v_add_nc_u32_e32 v46, 0x78, v18
	v_lshrrev_b32_e32 v15, 27, v44
	v_min_i32_e32 v48, s0, v43
	v_cvt_f32_u32_e32 v16, s1
	v_lshlrev_b32_e32 v52, 2, v45
	v_min_i32_e32 v44, s0, v46
	v_xor_b32_e32 v46, 64, v43
	v_add_nc_u32_e32 v15, v45, v15
	v_ashrrev_i32_e32 v47, 31, v48
	v_rcp_iflag_f32_e32 v50, v16
	v_lshlrev_b32_e32 v24, 2, v19
	v_min_i32_e32 v51, s0, v46
	v_ashrrev_i32_e32 v46, 5, v15
	v_lshrrev_b32_e32 v47, 29, v47
	v_mad_u64_u32 v[15:16], null, 0x104, v44, v[17:18]
	s_sub_i32 s0, 0, s1
	s_delay_alu instid0(VALU_DEP_3)
	v_lshlrev_b32_e32 v17, 2, v46
	s_delay_alu instid0(TRANS32_DEP_1) | instid1(VALU_DEP_3)
	v_dual_mul_f32 v47, 0x4f7ffffe, v50 :: v_dual_add_nc_u32 v46, v48, v47
	v_and_b32_e32 v50, 3, v21
	v_mul_lo_u32 v43, v44, s4
	v_mul_lo_u32 v44, v45, s4
	s_delay_alu instid0(VALU_DEP_4)
	v_ashrrev_i32_e32 v46, 3, v46
	v_cvt_u32_f32_e32 v53, v47
	v_lshlrev_b32_e32 v45, 2, v50
	v_ashrrev_i32_e32 v16, 31, v51
	v_or_b32_e32 v19, v38, v19
	v_lshlrev_b32_e32 v50, 2, v46
	v_mul_lo_u32 v54, s0, v53
	v_add3_u32 v46, v17, v52, 0x8e40
	v_lshrrev_b32_e32 v16, 29, v16
	v_mul_lo_u32 v47, v48, s4
	v_add3_u32 v74, v50, v45, 0x8200
	s_waitcnt vmcnt(0)
	v_sub_nc_u32_e32 v50, 0, v20
	v_lshlrev_b32_e32 v75, 4, v48
	v_add_nc_u32_e32 v16, v51, v16
	v_mul_hi_u32 v17, v53, v54
	v_mul_lo_u32 v48, v51, s4
	v_max_i32_e32 v55, v20, v50
	v_lshlrev_b32_e32 v77, 4, v51
	v_mad_i32_i24 v51, 0xffffffe4, v18, v49
	v_add_nc_u32_e32 v58, 32, v21
	v_lshl_add_u32 v49, v19, 2, 0x8a40
	v_add_nc_u32_e32 v19, 64, v21
	v_add_nc_u32_e32 v50, v53, v17
	v_lshlrev_b32_e32 v56, 2, v21
	v_add_nc_u32_e32 v61, 0x60, v21
	v_lshrrev_b32_e32 v22, 5, v21
	v_lshrrev_b32_e32 v54, 3, v19
	v_mul_hi_u32 v57, v55, v50
	v_lshrrev_b32_e32 v50, 3, v58
	v_ashrrev_i32_e32 v16, 3, v16
	v_lshlrev_b32_e32 v53, 2, v22
	v_and_b32_e32 v62, 60, v54
	v_lshrrev_b32_e32 v52, 3, v21
	v_and_b32_e32 v60, 60, v50
	v_lshlrev_b32_e32 v16, 2, v16
	v_mul_lo_u32 v59, v57, s1
	v_add3_u32 v53, v53, v56, 0x8e40
	v_lshlrev_b32_e32 v72, 4, v21
	v_add3_u32 v54, v56, v60, 0x8e40
	v_lshrrev_b32_e32 v60, 3, v61
	v_add3_u32 v76, v16, v45, 0x8200
	v_and_b32_e32 v16, 28, v56
	v_lshrrev_b32_e32 v65, 1, v61
	v_sub_nc_u32_e32 v59, v55, v59
	v_add3_u32 v55, v56, v62, 0x8e40
	v_add_nc_u32_e32 v62, 1, v57
	v_and_b32_e32 v60, 60, v60
	v_lshlrev_b32_e32 v78, 2, v50
	v_subrev_nc_u32_e32 v63, s1, v59
	v_cmp_le_u32_e32 vcc_lo, s1, v59
	v_lshl_add_u32 v73, v52, 2, v72
	v_add3_u32 v56, v56, v60, 0x8e40
	v_xor_b32_e32 v60, s10, v20
	v_and_b32_e32 v70, 0xfc, v65
	v_dual_cndmask_b32 v62, v57, v62 :: v_dual_cndmask_b32 v59, v59, v63
	v_add_co_u32 v16, s0, s2, v16
	s_delay_alu instid0(VALU_DEP_4) | instskip(NEXT) | instid1(VALU_DEP_3)
	v_ashrrev_i32_e32 v64, 31, v60
	v_add_nc_u32_e32 v63, 1, v62
	s_delay_alu instid0(VALU_DEP_4)
	v_cmp_le_u32_e32 vcc_lo, s1, v59
	v_lshlrev_b32_e32 v60, 4, v58
	s_movk_i32 s1, 0x2080
	s_movk_i32 s6, 0x80
	v_add_co_ci_u32_e64 v17, null, s3, 0, s0
	v_cndmask_b32_e32 v59, v62, v63, vcc_lo
	v_lshrrev_b32_e32 v62, 1, v19
	v_lshlrev_b32_e32 v19, 4, v19
	v_cmp_gt_u32_e64 s0, 4, v21
	v_lshl_add_u32 v51, v51, 2, 0x9050
	v_xor_b32_e32 v63, v59, v64
	v_and_b32_e32 v71, 0xfc, v62
	v_add3_u32 v59, v78, v60, 0x8200
	v_mad_u32_u24 v60, 0x104, v21, s1
	s_movk_i32 s1, 0x4100
	v_sub_nc_u32_e32 v66, v63, v64
	v_lshlrev_b32_e32 v64, 4, v61
	v_mad_u32_u24 v63, 0x104, v21, s1
	s_movk_i32 s1, 0x6180
	v_add_nc_u32_e32 v57, 0x8200, v73
	v_mul_lo_u32 v61, v66, s8
	v_mul_u32_u24_e32 v58, 0x104, v21
	v_add3_u32 v62, v19, v71, 0x8200
	v_add3_u32 v64, v64, v70, 0x8200
	v_mad_u32_u24 v65, 0x104, v21, s1
	v_cmp_gt_i32_e64 s1, s7, v66
	v_mad_u32_u24 v67, 0x104, v21, s6
	v_lshl_add_u32 v68, v18, 4, 0x9050
	v_ashrrev_i32_e32 v66, 31, v61
	v_lshl_add_u32 v69, v18, 7, 0x8a40
	v_add3_u32 v70, v72, v70, 0x8808
	v_add3_u32 v71, v72, v71, 0x8608
	;; [unrolled: 1-line block ×3, first 2 shown]
	v_add_nc_u32_e32 v73, 0x8208, v73
	v_add_nc_u32_e32 v74, v74, v75
	v_dual_mov_b32 v75, 0 :: v_dual_add_nc_u32 v78, v76, v77
	v_dual_mov_b32 v76, 0 :: v_dual_mov_b32 v77, 0
	s_add_u32 s14, s2, 0x90
	s_addc_u32 s15, s3, 0
	s_branch .LBB216_5
.LBB216_4:                              ;   in Loop: Header=BB216_5 Depth=1
	s_add_i32 s18, s18, 1
	s_delay_alu instid0(SALU_CYCLE_1)
	s_cmp_eq_u32 s18, s4
	s_cbranch_scc1 .LBB216_22
.LBB216_5:                              ; =>This Loop Header: Depth=1
                                        ;     Child Loop BB216_12 Depth 2
                                        ;     Child Loop BB216_20 Depth 2
	s_mul_i32 s6, s18, 0xd2
	s_mul_hi_u32 s17, s18, 0xd2
	s_add_u32 s16, s19, s6
	s_addc_u32 s17, s20, s17
	s_delay_alu instid0(SALU_CYCLE_1) | instskip(NEXT) | instid1(VALU_DEP_1)
	v_mad_u64_u32 v[18:19], null, 0xd2, v22, s[16:17]
	v_mad_i64_i32 v[79:80], null, 0xd2, v27, v[18:19]
	v_mad_i64_i32 v[81:82], null, 0xd2, v28, v[18:19]
	;; [unrolled: 1-line block ×4, first 2 shown]
	s_delay_alu instid0(VALU_DEP_4)
	v_add_co_u32 v83, vcc_lo, v79, v24
	v_add_co_ci_u32_e32 v84, vcc_lo, 0, v80, vcc_lo
	v_add_co_u32 v79, vcc_lo, v79, v25
	v_add_co_ci_u32_e32 v80, vcc_lo, 0, v80, vcc_lo
	;; [unrolled: 2-line block ×3, first 2 shown]
	global_load_b32 v83, v[83:84], off
	global_load_b32 v84, v[79:80], off offset:128
	v_add_co_u32 v79, vcc_lo, v81, v25
	v_add_co_ci_u32_e32 v80, vcc_lo, 0, v82, vcc_lo
	v_add_co_u32 v81, vcc_lo, v85, v24
	v_add_co_ci_u32_e32 v82, vcc_lo, 0, v86, vcc_lo
	;; [unrolled: 2-line block ×3, first 2 shown]
	global_load_b32 v90, v[87:88], off
	global_load_b32 v91, v[79:80], off offset:128
	global_load_b32 v88, v[81:82], off
	global_load_b32 v89, v[85:86], off offset:128
	v_mad_i64_i32 v[79:80], null, 0xd2, v31, v[18:19]
	v_add_co_u32 v81, vcc_lo, v92, v24
	v_add_co_ci_u32_e32 v82, vcc_lo, 0, v93, vcc_lo
	v_add_co_u32 v85, vcc_lo, v92, v25
	v_add_co_ci_u32_e32 v86, vcc_lo, 0, v93, vcc_lo
	v_add_co_u32 v92, vcc_lo, v79, v24
	v_mad_i64_i32 v[94:95], null, 0xd2, v32, v[18:19]
	v_add_co_ci_u32_e32 v93, vcc_lo, 0, v80, vcc_lo
	v_add_co_u32 v79, vcc_lo, v79, v25
	v_add_co_ci_u32_e32 v80, vcc_lo, 0, v80, vcc_lo
	global_load_b32 v114, v[81:82], off
	global_load_b32 v115, v[85:86], off offset:128
	global_load_b32 v116, v[92:93], off
	global_load_b32 v117, v[79:80], off offset:128
	v_mad_i64_i32 v[79:80], null, 0xd2, v33, v[18:19]
	v_add_co_u32 v81, vcc_lo, v94, v24
	v_add_co_ci_u32_e32 v82, vcc_lo, 0, v95, vcc_lo
	v_add_co_u32 v85, vcc_lo, v94, v25
	v_add_co_ci_u32_e32 v86, vcc_lo, 0, v95, vcc_lo
	;; [unrolled: 2-line block ×4, first 2 shown]
	global_load_b32 v118, v[81:82], off
	global_load_b32 v119, v[85:86], off offset:128
	global_load_b32 v82, v[92:93], off
	global_load_b32 v120, v[79:80], off offset:128
	v_mad_i64_i32 v[79:80], null, 0xd2, v34, v[18:19]
	v_mad_i64_i32 v[85:86], null, 0xd2, v35, v[18:19]
	;; [unrolled: 1-line block ×4, first 2 shown]
	s_delay_alu instid0(VALU_DEP_4)
	v_add_co_u32 v102, vcc_lo, v79, v24
	v_add_co_ci_u32_e32 v103, vcc_lo, 0, v80, vcc_lo
	v_add_co_u32 v79, vcc_lo, v79, v25
	v_add_co_ci_u32_e32 v80, vcc_lo, 0, v80, vcc_lo
	global_load_b32 v121, v[102:103], off
	global_load_b32 v122, v[79:80], off offset:128
	v_add_co_u32 v104, vcc_lo, v85, v24
	v_add_co_ci_u32_e32 v105, vcc_lo, 0, v86, vcc_lo
	v_add_co_u32 v85, vcc_lo, v85, v25
	v_add_co_ci_u32_e32 v86, vcc_lo, 0, v86, vcc_lo
	;; [unrolled: 2-line block ×3, first 2 shown]
	v_add_co_u32 v92, vcc_lo, v92, v25
	v_mad_i64_i32 v[96:97], null, 0xd2, v39, v[18:19]
	v_add_co_ci_u32_e32 v93, vcc_lo, 0, v93, vcc_lo
	v_add_co_u32 v108, vcc_lo, v94, v24
	v_add_co_ci_u32_e32 v109, vcc_lo, 0, v95, vcc_lo
	v_add_co_u32 v79, vcc_lo, v94, v25
	v_mad_i64_i32 v[98:99], null, 0xd2, v40, v[18:19]
	v_add_co_ci_u32_e32 v80, vcc_lo, 0, v95, vcc_lo
	v_add_co_u32 v102, vcc_lo, v96, v24
	v_add_co_ci_u32_e32 v103, vcc_lo, 0, v97, vcc_lo
	;; [unrolled: 5-line block ×3, first 2 shown]
	v_add_co_u32 v98, vcc_lo, v98, v25
	v_add_co_ci_u32_e32 v99, vcc_lo, 0, v99, vcc_lo
	v_add_co_u32 v112, vcc_lo, v100, v24
	v_add_co_ci_u32_e32 v113, vcc_lo, 0, v101, vcc_lo
	v_add_co_u32 v100, vcc_lo, v100, v25
	v_add_co_ci_u32_e32 v101, vcc_lo, 0, v101, vcc_lo
	global_load_b32 v104, v[104:105], off
	global_load_b32 v105, v[85:86], off offset:128
	global_load_b32 v94, v[106:107], off
	global_load_b32 v95, v[92:93], off offset:128
	global_load_b32 v92, v[108:109], off
	global_load_b32 v93, v[79:80], off offset:128
	global_load_b32 v86, v[102:103], off
	global_load_b32 v87, v[96:97], off offset:128
	global_load_b32 v81, v[110:111], off
	global_load_b32 v85, v[98:99], off offset:128
	global_load_b32 v79, v[112:113], off
	global_load_b32 v80, v[100:101], off offset:128
	s_waitcnt vmcnt(27)
	v_and_b32_e32 v96, 0xf0f0f0f, v83
	s_waitcnt vmcnt(26)
	v_ashrrev_i32_e32 v84, v26, v84
	v_lshrrev_b32_e32 v83, 4, v83
	s_delay_alu instid0(VALU_DEP_2)
	v_lshlrev_b32_e32 v112, 4, v84
	v_and_b32_e32 v84, 0x30303030, v84
	s_waitcnt vmcnt(25)
	v_and_b32_e32 v97, 0xf0f0f0f, v90
	s_waitcnt vmcnt(24)
	v_ashrrev_i32_e32 v91, v26, v91
	v_lshrrev_b32_e32 v90, 4, v90
	s_waitcnt vmcnt(22)
	v_ashrrev_i32_e32 v89, v26, v89
	v_and_b32_e32 v98, 0xf0f0f0f, v88
	v_lshrrev_b32_e32 v88, 4, v88
	v_lshlrev_b32_e32 v113, 4, v91
	v_and_b32_e32 v91, 0x30303030, v91
	v_and_or_b32 v96, 0x30303030, v112, v96
	v_and_or_b32 v83, 0xf0f0f0f, v83, v84
	s_delay_alu instid0(VALU_DEP_4) | instskip(NEXT) | instid1(VALU_DEP_4)
	v_and_or_b32 v84, 0x30303030, v113, v97
	v_and_or_b32 v90, 0xf0f0f0f, v90, v91
	s_delay_alu instid0(VALU_DEP_1)
	v_lshrrev_b32_e32 v112, 16, v90
	v_and_b32_e32 v113, 0x3f00, v90
	v_lshlrev_b16 v90, 8, v90
	s_waitcnt vmcnt(21)
	v_and_b32_e32 v99, 0xf0f0f0f, v114
	s_waitcnt vmcnt(20)
	v_ashrrev_i32_e32 v101, v26, v115
	v_lshrrev_b32_e32 v100, 4, v114
	s_waitcnt vmcnt(18)
	v_ashrrev_i32_e32 v106, v26, v117
	v_lshlrev_b32_e32 v114, 4, v89
	v_and_b32_e32 v89, 0x30303030, v89
	v_lshlrev_b32_e32 v115, 4, v101
	v_and_b32_e32 v101, 0x30303030, v101
	v_and_b32_e32 v102, 0xf0f0f0f, v116
	v_lshrrev_b32_e32 v103, 4, v116
	v_lshlrev_b32_e32 v116, 4, v106
	v_and_b32_e32 v106, 0x30303030, v106
	v_and_or_b32 v91, 0x30303030, v114, v98
	v_and_or_b32 v88, 0xf0f0f0f, v88, v89
	;; [unrolled: 1-line block ×6, first 2 shown]
	v_lshrrev_b32_e32 v102, 16, v96
	s_waitcnt vmcnt(17)
	v_and_b32_e32 v107, 0xf0f0f0f, v118
	s_waitcnt vmcnt(16)
	v_ashrrev_i32_e32 v109, v26, v119
	v_lshrrev_b32_e32 v108, 4, v118
	v_and_b32_e32 v103, 0x3f00, v96
	v_lshlrev_b16 v96, 8, v96
	v_lshrrev_b32_e32 v106, 16, v83
	v_lshlrev_b32_e32 v117, 4, v109
	v_and_b32_e32 v109, 0x30303030, v109
	v_lshrrev_b32_e32 v114, 16, v91
	v_lshrrev_b32_e32 v116, 16, v88
	;; [unrolled: 1-line block ×3, first 2 shown]
	v_and_or_b32 v100, 0x30303030, v117, v107
	v_and_or_b32 v101, 0xf0f0f0f, v108, v109
	v_and_b32_e32 v107, 0x3f00, v83
	v_lshlrev_b16 v83, 8, v83
	v_lshrrev_b32_e32 v108, 16, v84
	v_and_b32_e32 v109, 0x3f00, v84
	v_lshlrev_b16 v84, 8, v84
	v_lshrrev_b32_e32 v123, 16, v97
	;; [unrolled: 3-line block ×3, first 2 shown]
	v_lshrrev_b32_e32 v127, 16, v99
	v_add_nc_u16 v96, v96, 0xe000
	v_and_b32_e32 v133, 0x3f00, v102
	v_lshlrev_b16 v102, 8, v102
	v_and_b32_e32 v134, 0x3f00, v106
	v_lshlrev_b16 v106, 8, v106
	v_add_nc_u16 v83, v83, 0xe000
	v_and_b32_e32 v135, 0x3f00, v108
	v_lshlrev_b16 v108, 8, v108
	v_and_b32_e32 v136, 0x3f00, v112
	v_lshlrev_b16 v112, 8, v112
	v_and_b32_e32 v117, 0x3f00, v88
	v_lshlrev_b16 v88, 8, v88
	v_add_nc_u16 v84, v84, 0xe000
	v_and_b32_e32 v137, 0x3f00, v114
	v_lshlrev_b16 v114, 8, v114
	v_and_b32_e32 v138, 0x3f00, v116
	v_lshlrev_b16 v116, 8, v116
	s_waitcnt vmcnt(14)
	v_ashrrev_i32_e32 v111, v26, v120
	v_and_b32_e32 v120, 0x3f00, v89
	v_lshlrev_b16 v89, 8, v89
	v_and_b32_e32 v124, 0x3f00, v97
	v_lshlrev_b16 v97, 8, v97
	v_add_nc_u16 v90, v90, 0xe000
	v_and_b32_e32 v139, 0x3f00, v119
	v_lshlrev_b16 v119, 8, v119
	v_and_b32_e32 v140, 0x3f00, v123
	v_lshlrev_b16 v123, 8, v123
	;; [unrolled: 2-line block ×4, first 2 shown]
	v_add_nc_u16 v91, v91, 0xe000
	v_and_b32_e32 v141, 0x3f00, v125
	v_lshlrev_b16 v125, 8, v125
	v_and_b32_e32 v142, 0x3f00, v127
	v_lshlrev_b16 v127, 8, v127
	v_lshrrev_b16 v96, 8, v96
	v_add_nc_u16 v102, v102, 0xe000
	v_add_nc_u16 v106, v106, 0xe000
	v_lshrrev_b16 v83, 8, v83
	v_add_nc_u16 v108, v108, 0xe000
	v_add_nc_u16 v112, v112, 0xe000
	v_add_nc_u16 v88, v88, 0xe000
	v_lshrrev_b16 v84, 8, v84
	v_add_nc_u16 v114, v114, 0xe000
	v_add_nc_u16 v116, v116, 0xe000
	v_add_nc_u16 v89, v89, 0xe000
	v_add_nc_u16 v97, v97, 0xe000
	v_lshrrev_b16 v90, 8, v90
	v_add_nc_u16 v119, v119, 0xe000
	;; [unrolled: 5-line block ×3, first 2 shown]
	v_add_nc_u16 v127, v127, 0xe000
	v_or_b32_e32 v96, v103, v96
	v_lshrrev_b16 v102, 8, v102
	v_lshrrev_b16 v103, 8, v106
	v_or_b32_e32 v83, v107, v83
	v_lshrrev_b16 v106, 8, v108
	v_lshrrev_b16 v107, 8, v112
	v_lshrrev_b16 v88, 8, v88
	v_or_b32_e32 v84, v109, v84
	v_lshrrev_b16 v108, 8, v114
	v_lshrrev_b16 v109, 8, v116
	v_lshrrev_b16 v89, 8, v89
	v_lshrrev_b16 v97, 8, v97
	v_or_b32_e32 v90, v113, v90
	v_lshrrev_b16 v112, 8, v119
	;; [unrolled: 5-line block ×3, first 2 shown]
	v_lshrrev_b16 v115, 8, v127
	v_or_b32_e32 v102, v133, v102
	v_or_b32_e32 v103, v134, v103
	;; [unrolled: 1-line block ×15, first 2 shown]
	v_add_nc_u16 v96, v96, 0xe000
	v_add_nc_u16 v83, v83, 0xe000
	;; [unrolled: 1-line block ×20, first 2 shown]
	v_and_b32_e32 v96, 0xffff, v96
	v_and_b32_e32 v83, 0xffff, v83
	v_lshlrev_b32_e32 v102, 16, v102
	v_lshlrev_b32_e32 v103, 16, v103
	v_and_b32_e32 v84, 0xffff, v84
	v_and_b32_e32 v90, 0xffff, v90
	v_lshlrev_b32_e32 v106, 16, v106
	v_lshlrev_b32_e32 v107, 16, v107
	;; [unrolled: 4-line block ×5, first 2 shown]
	v_lshrrev_b32_e32 v129, 16, v100
	v_and_b32_e32 v130, 0x3f00, v100
	v_lshlrev_b16 v100, 8, v100
	v_lshrrev_b32_e32 v131, 16, v101
	v_or_b32_e32 v96, v96, v102
	v_or_b32_e32 v83, v83, v103
	;; [unrolled: 1-line block ×10, first 2 shown]
	v_and_b32_e32 v110, 0xf0f0f0f, v82
	v_lshlrev_b32_e32 v118, 4, v111
	v_and_b32_e32 v132, 0x3f00, v101
	v_lshlrev_b16 v101, 8, v101
	v_add_nc_u16 v100, v100, 0xe000
	ds_store_2addr_b32 v0, v96, v83 offset1:16
	ds_store_2addr_b32 v1, v84, v90 offset1:16
	ds_store_2addr_b32 v2, v91, v88 offset1:16
	ds_store_2addr_b32 v3, v89, v97 offset1:16
	ds_store_2addr_b32 v4, v98, v99 offset1:16
	v_lshlrev_b16 v83, 8, v131
	v_and_or_b32 v88, 0x30303030, v118, v110
	v_add_nc_u16 v101, v101, 0xe000
	v_lshrrev_b16 v100, 8, v100
	v_lshrrev_b32_e32 v99, 4, v82
	v_add_nc_u16 v83, v83, 0xe000
	v_lshlrev_b16 v89, 8, v88
	v_lshrrev_b16 v101, 8, v101
	v_or_b32_e32 v100, v130, v100
	v_and_b32_e32 v97, 0x3f00, v131
	v_lshrrev_b16 v98, 8, v83
	v_mad_i64_i32 v[82:83], null, 0xd2, v42, v[18:19]
	s_delay_alu instid0(VALU_DEP_4)
	v_add_nc_u16 v100, v100, 0xe000
	v_or_b32_e32 v84, v132, v101
	v_lshrrev_b32_e32 v96, 16, v88
	v_add_nc_u16 v89, v89, 0xe000
	v_and_b32_e32 v101, 0x30303030, v111
	v_and_b32_e32 v143, 0x3f00, v129
	v_lshlrev_b16 v129, 8, v129
	v_or_b32_e32 v97, v97, v98
	v_and_b32_e32 v98, 0x3f00, v88
	v_add_co_u32 v88, vcc_lo, v82, v25
	v_and_b32_e32 v90, 0xffff, v100
	v_lshlrev_b16 v100, 8, v96
	v_lshrrev_b16 v102, 8, v89
	v_and_or_b32 v99, 0xf0f0f0f, v99, v101
	v_add_co_ci_u32_e32 v89, vcc_lo, 0, v83, vcc_lo
	v_add_nc_u16 v129, v129, 0xe000
	v_add_co_u32 v82, vcc_lo, v82, v24
	v_add_nc_u16 v100, v100, 0xe000
	v_add_co_ci_u32_e32 v83, vcc_lo, 0, v83, vcc_lo
	global_load_b32 v101, v[88:89], off offset:128
	v_lshlrev_b16 v88, 8, v99
	v_lshrrev_b16 v116, 8, v129
	v_add_nc_u16 v84, v84, 0xe000
	v_and_b32_e32 v89, 0x3f00, v96
	v_lshrrev_b16 v96, 8, v100
	global_load_b32 v100, v[82:83], off
	v_add_nc_u16 v83, v88, 0xe000
	v_or_b32_e32 v116, v143, v116
	v_and_b32_e32 v82, 0xffff, v84
	v_add_nc_u16 v84, v97, 0xe000
	v_or_b32_e32 v89, v89, v96
	v_and_b32_e32 v96, 0x3f00, v99
	v_lshrrev_b16 v83, 8, v83
	v_add_nc_u16 v116, v116, 0xe000
	v_lshlrev_b32_e32 v84, 16, v84
	s_waitcnt vmcnt(14)
	v_ashrrev_i32_e32 v97, v26, v122
	v_or_b32_e32 v88, v98, v102
	v_or_b32_e32 v83, v96, v83
	v_lshlrev_b32_e32 v91, 16, v116
	v_or_b32_e32 v84, v82, v84
	v_add_nc_u16 v89, v89, 0xe000
	v_add_nc_u16 v88, v88, 0xe000
	;; [unrolled: 1-line block ×3, first 2 shown]
	v_mad_i64_i32 v[82:83], null, 0xd2, v43, v[18:19]
	v_or_b32_e32 v90, v90, v91
	v_lshrrev_b32_e32 v91, 16, v99
	v_and_b32_e32 v99, 0xf0f0f0f, v121
	v_lshlrev_b32_e32 v18, 4, v97
	v_and_b32_e32 v88, 0xffff, v88
	ds_store_2addr_b32 v5, v90, v84 offset1:16
	v_lshlrev_b32_e32 v89, 16, v89
	v_lshlrev_b16 v98, 8, v91
	v_and_or_b32 v90, 0x30303030, v18, v99
	v_add_co_u32 v18, vcc_lo, v82, v25
	v_add_co_ci_u32_e32 v19, vcc_lo, 0, v83, vcc_lo
	v_add_co_u32 v82, vcc_lo, v82, v24
	v_or_b32_e32 v84, v88, v89
	v_and_b32_e32 v88, 0xffff, v96
	v_add_co_ci_u32_e32 v83, vcc_lo, 0, v83, vcc_lo
	global_load_b32 v96, v[18:19], off offset:128
	v_add_nc_u16 v89, v98, 0xe000
	v_lshrrev_b32_e32 v18, 16, v90
	global_load_b32 v98, v[82:83], off
	v_and_b32_e32 v19, 0x3f00, v91
	v_lshlrev_b16 v91, 8, v90
	v_lshrrev_b16 v82, 8, v89
	v_lshlrev_b16 v83, 8, v18
	v_lshrrev_b32_e32 v89, 4, v121
	v_and_b32_e32 v97, 0x30303030, v97
	v_add_nc_u16 v91, v91, 0xe000
	v_or_b32_e32 v19, v19, v82
	v_add_nc_u16 v82, v83, 0xe000
	v_and_b32_e32 v83, 0x3f00, v90
	v_and_or_b32 v89, 0xf0f0f0f, v89, v97
	v_lshrrev_b16 v90, 8, v91
	v_and_b32_e32 v18, 0x3f00, v18
	v_lshrrev_b16 v82, 8, v82
	v_add_nc_u16 v19, v19, 0xe000
	v_lshlrev_b16 v91, 8, v89
	v_or_b32_e32 v83, v83, v90
	v_lshrrev_b32_e32 v90, 16, v89
	v_or_b32_e32 v18, v18, v82
	v_and_b32_e32 v89, 0x3f00, v89
	v_add_nc_u16 v82, v91, 0xe000
	v_add_nc_u16 v83, v83, 0xe000
	v_lshlrev_b16 v91, 8, v90
	v_add_nc_u16 v18, v18, 0xe000
	v_lshlrev_b32_e32 v19, 16, v19
	v_lshrrev_b16 v82, 8, v82
	v_and_b32_e32 v83, 0xffff, v83
	v_add_nc_u16 v91, v91, 0xe000
	v_lshlrev_b32_e32 v18, 16, v18
	s_waitcnt vmcnt(14)
	v_ashrrev_i32_e32 v97, v26, v105
	v_or_b32_e32 v82, v89, v82
	v_and_b32_e32 v89, 0x3f00, v90
	v_lshrrev_b16 v90, 8, v91
	v_or_b32_e32 v102, v88, v19
	v_or_b32_e32 v103, v83, v18
	v_add_nc_u16 v88, v82, 0xe000
	v_add_co_u32 v82, s6, s16, v45
	v_or_b32_e32 v89, v89, v90
	v_mad_i64_i32 v[18:19], null, 0xd2, v44, s[16:17]
	v_add_co_ci_u32_e64 v83, null, s17, 0, s6
	v_and_b32_e32 v91, 0xf0f0f0f, v104
	v_lshlrev_b32_e32 v99, 4, v97
	v_and_b32_e32 v105, 0xffff, v88
	v_add_nc_u16 v106, v89, 0xe000
	v_mad_i64_i32 v[88:89], null, 0xd2, v47, v[82:83]
	s_delay_alu instid0(VALU_DEP_4)
	v_and_or_b32 v99, 0x30303030, v99, v91
	v_mad_i64_i32 v[90:91], null, 0xd2, v48, v[82:83]
	s_clause 0x2
	global_load_u16 v18, v[18:19], off offset:208
	global_load_b32 v88, v[88:89], off offset:192
	global_load_b32 v89, v[90:91], off offset:192
	v_lshlrev_b16 v107, 8, v99
	v_lshlrev_b32_e32 v19, 16, v106
	v_lshrrev_b32_e32 v82, 4, v104
	v_and_b32_e32 v83, 0x30303030, v97
	v_lshrrev_b32_e32 v97, 16, v99
	v_add_nc_u16 v104, v107, 0xe000
	v_or_b32_e32 v19, v105, v19
	v_and_b32_e32 v91, 0x3f00, v99
	v_and_or_b32 v82, 0xf0f0f0f, v82, v83
	v_lshlrev_b16 v90, 8, v97
	v_lshrrev_b16 v83, 8, v104
	ds_store_2addr_b32 v6, v84, v102 offset1:16
	ds_store_2addr_b32 v7, v103, v19 offset1:16
	v_lshrrev_b32_e32 v19, 16, v82
	v_add_nc_u16 v84, v90, 0xe000
	v_or_b32_e32 v83, v91, v83
	v_and_b32_e32 v90, 0x3f00, v97
	v_lshlrev_b16 v91, 8, v82
	v_lshlrev_b16 v97, 8, v19
	v_lshrrev_b16 v84, 8, v84
	s_waitcnt vmcnt(15)
	v_ashrrev_i32_e32 v95, v26, v95
	v_and_b32_e32 v19, 0x3f00, v19
	v_and_b32_e32 v82, 0x3f00, v82
	v_add_nc_u16 v83, v83, 0xe000
	v_or_b32_e32 v84, v90, v84
	v_add_nc_u16 v90, v91, 0xe000
	v_add_nc_u16 v91, v97, 0xe000
	v_and_b32_e32 v97, 0xf0f0f0f, v94
	v_lshlrev_b32_e32 v99, 4, v95
	v_add_nc_u16 v84, v84, 0xe000
	v_lshrrev_b16 v90, 8, v90
	v_lshrrev_b16 v91, 8, v91
	v_lshrrev_b32_e32 v94, 4, v94
	v_and_or_b32 v97, 0x30303030, v99, v97
	v_and_b32_e32 v95, 0x30303030, v95
	v_or_b32_e32 v82, v82, v90
	v_or_b32_e32 v19, v19, v91
	v_and_b32_e32 v83, 0xffff, v83
	v_lshrrev_b32_e32 v91, 16, v97
	v_lshlrev_b16 v90, 8, v97
	v_lshlrev_b32_e32 v84, 16, v84
	v_add_nc_u16 v82, v82, 0xe000
	v_add_nc_u16 v19, v19, 0xe000
	v_lshlrev_b16 v99, 8, v91
	v_add_nc_u16 v90, v90, 0xe000
	v_and_or_b32 v94, 0xf0f0f0f, v94, v95
	v_and_b32_e32 v97, 0x3f00, v97
	v_and_b32_e32 v82, 0xffff, v82
	v_add_nc_u16 v99, v99, 0xe000
	v_lshrrev_b16 v90, 8, v90
	v_lshlrev_b32_e32 v19, 16, v19
	v_and_b32_e32 v91, 0x3f00, v91
	v_or_b32_e32 v83, v83, v84
	v_lshrrev_b16 v95, 8, v99
	v_lshrrev_b32_e32 v84, 16, v94
	v_or_b32_e32 v90, v97, v90
	v_or_b32_e32 v19, v82, v19
	s_waitcnt vmcnt(13)
	v_ashrrev_i32_e32 v93, v26, v93
	v_or_b32_e32 v82, v91, v95
	v_lshlrev_b16 v95, 8, v84
	v_add_nc_u16 v90, v90, 0xe000
	v_lshlrev_b16 v91, 8, v94
	v_and_b32_e32 v97, 0xf0f0f0f, v92
	v_add_nc_u16 v82, v82, 0xe000
	v_add_nc_u16 v95, v95, 0xe000
	v_lshlrev_b32_e32 v99, 4, v93
	v_and_b32_e32 v90, 0xffff, v90
	v_add_nc_u16 v91, v91, 0xe000
	v_and_b32_e32 v84, 0x3f00, v84
	v_lshrrev_b16 v95, 8, v95
	v_and_or_b32 v97, 0x30303030, v99, v97
	v_lshlrev_b32_e32 v82, 16, v82
	v_and_b32_e32 v94, 0x3f00, v94
	v_lshrrev_b16 v91, 8, v91
	ds_store_2addr_b32 v8, v83, v19 offset1:16
	v_or_b32_e32 v83, v84, v95
	v_lshlrev_b16 v84, 8, v97
	v_or_b32_e32 v82, v90, v82
	v_lshrrev_b32_e32 v90, 16, v97
	v_or_b32_e32 v19, v94, v91
	v_lshrrev_b32_e32 v91, 4, v92
	v_add_nc_u16 v84, v84, 0xe000
	v_and_b32_e32 v93, 0x30303030, v93
	v_lshlrev_b16 v92, 8, v90
	v_add_nc_u16 v19, v19, 0xe000
	v_add_nc_u16 v83, v83, 0xe000
	v_and_b32_e32 v94, 0x3f00, v97
	v_lshrrev_b16 v84, 8, v84
	v_add_nc_u16 v92, v92, 0xe000
	v_and_or_b32 v91, 0xf0f0f0f, v91, v93
	v_and_b32_e32 v19, 0xffff, v19
	v_lshlrev_b32_e32 v83, 16, v83
	v_or_b32_e32 v84, v94, v84
	v_and_b32_e32 v90, 0x3f00, v90
	v_lshrrev_b16 v92, 8, v92
	v_lshrrev_b32_e32 v93, 16, v91
	v_or_b32_e32 v19, v19, v83
	v_lshlrev_b16 v83, 8, v91
	v_add_nc_u16 v84, v84, 0xe000
	v_or_b32_e32 v90, v90, v92
	v_lshlrev_b16 v92, 8, v93
	ds_store_2addr_b32 v9, v82, v19 offset1:16
	v_add_nc_u16 v19, v83, 0xe000
	v_and_b32_e32 v82, 0xffff, v84
	s_waitcnt vmcnt(11)
	v_ashrrev_i32_e32 v87, v26, v87
	v_add_nc_u16 v84, v92, 0xe000
	v_add_nc_u16 v83, v90, 0xe000
	v_and_b32_e32 v90, 0x3f00, v91
	v_lshrrev_b16 v19, 8, v19
	v_and_b32_e32 v91, 0x3f00, v93
	v_lshrrev_b16 v84, 8, v84
	v_and_b32_e32 v92, 0xf0f0f0f, v86
	v_lshlrev_b32_e32 v93, 4, v87
	v_lshlrev_b32_e32 v83, 16, v83
	v_or_b32_e32 v19, v90, v19
	v_or_b32_e32 v84, v91, v84
	v_lshrrev_b32_e32 v86, 4, v86
	v_and_b32_e32 v87, 0x30303030, v87
	v_and_or_b32 v90, 0x30303030, v93, v92
	v_or_b32_e32 v82, v82, v83
	v_add_nc_u16 v83, v84, 0xe000
	s_waitcnt vmcnt(9)
	v_ashrrev_i32_e32 v85, v26, v85
	v_and_or_b32 v84, 0xf0f0f0f, v86, v87
	v_lshrrev_b32_e32 v86, 16, v90
	v_lshlrev_b16 v87, 8, v90
	v_and_b32_e32 v90, 0x3f00, v90
	v_add_nc_u16 v19, v19, 0xe000
	v_lshrrev_b32_e32 v91, 16, v84
	v_lshlrev_b16 v92, 8, v86
	v_add_nc_u16 v87, v87, 0xe000
	v_lshlrev_b16 v93, 8, v84
	v_and_b32_e32 v86, 0x3f00, v86
	v_lshlrev_b16 v94, 8, v91
	v_add_nc_u16 v92, v92, 0xe000
	v_lshrrev_b16 v87, 8, v87
	v_add_nc_u16 v93, v93, 0xe000
	v_and_b32_e32 v84, 0x3f00, v84
	v_add_nc_u16 v94, v94, 0xe000
	v_lshrrev_b16 v92, 8, v92
	v_and_b32_e32 v91, 0x3f00, v91
	v_lshrrev_b16 v93, 8, v93
	v_or_b32_e32 v87, v90, v87
	v_lshrrev_b16 v94, 8, v94
	v_or_b32_e32 v86, v86, v92
	v_lshlrev_b32_e32 v92, 4, v85
	v_or_b32_e32 v84, v84, v93
	v_add_nc_u16 v87, v87, 0xe000
	v_or_b32_e32 v90, v91, v94
	v_and_b32_e32 v91, 0xf0f0f0f, v81
	v_add_nc_u16 v86, v86, 0xe000
	v_and_b32_e32 v19, 0xffff, v19
	v_lshlrev_b32_e32 v83, 16, v83
	v_add_nc_u16 v84, v84, 0xe000
	v_add_nc_u16 v90, v90, 0xe000
	v_and_or_b32 v91, 0x30303030, v92, v91
	v_and_b32_e32 v87, 0xffff, v87
	v_lshlrev_b32_e32 v86, 16, v86
	v_and_b32_e32 v84, 0xffff, v84
	v_lshlrev_b32_e32 v90, 16, v90
	v_or_b32_e32 v19, v19, v83
	v_lshrrev_b32_e32 v81, 4, v81
	v_or_b32_e32 v83, v87, v86
	v_lshrrev_b32_e32 v86, 16, v91
	v_and_b32_e32 v85, 0x30303030, v85
	v_lshlrev_b16 v92, 8, v91
	v_or_b32_e32 v84, v84, v90
	ds_store_2addr_b32 v10, v82, v19 offset1:16
	v_lshlrev_b16 v90, 8, v86
	v_and_or_b32 v19, 0xf0f0f0f, v81, v85
	v_add_nc_u16 v87, v92, 0xe000
	ds_store_2addr_b32 v11, v83, v84 offset1:16
	v_and_b32_e32 v91, 0x3f00, v91
	v_add_nc_u16 v81, v90, 0xe000
	v_lshrrev_b32_e32 v84, 16, v19
	v_lshrrev_b16 v87, 8, v87
	v_and_b32_e32 v83, 0x3f00, v86
	v_lshlrev_b16 v85, 8, v19
	v_lshrrev_b16 v81, 8, v81
	s_waitcnt vmcnt(7)
	v_ashrrev_i32_e32 v80, v26, v80
	v_lshlrev_b16 v86, 8, v84
	v_or_b32_e32 v82, v91, v87
	v_and_b32_e32 v19, 0x3f00, v19
	v_or_b32_e32 v81, v83, v81
	v_add_nc_u16 v83, v85, 0xe000
	v_and_b32_e32 v85, 0xf0f0f0f, v79
	v_lshlrev_b32_e32 v87, 4, v80
	v_add_nc_u16 v86, v86, 0xe000
	v_and_b32_e32 v84, 0x3f00, v84
	v_lshrrev_b16 v83, 8, v83
	v_lshrrev_b32_e32 v79, 4, v79
	v_and_or_b32 v85, 0x30303030, v87, v85
	v_lshrrev_b16 v86, 8, v86
	v_and_b32_e32 v80, 0x30303030, v80
	v_or_b32_e32 v19, v19, v83
	v_add_nc_u16 v82, v82, 0xe000
	v_lshrrev_b32_e32 v83, 16, v85
	v_or_b32_e32 v84, v84, v86
	v_lshlrev_b16 v86, 8, v85
	v_add_nc_u16 v19, v19, 0xe000
	v_and_b32_e32 v85, 0x3f00, v85
	v_lshlrev_b16 v87, 8, v83
	v_add_nc_u16 v84, v84, 0xe000
	v_add_nc_u16 v86, v86, 0xe000
	v_and_or_b32 v79, 0xf0f0f0f, v79, v80
	v_add_nc_u16 v81, v81, 0xe000
	v_add_nc_u16 v87, v87, 0xe000
	v_and_b32_e32 v83, 0x3f00, v83
	v_lshrrev_b16 v86, 8, v86
	v_and_b32_e32 v19, 0xffff, v19
	v_lshlrev_b32_e32 v84, 16, v84
	v_lshrrev_b16 v80, 8, v87
	v_and_b32_e32 v82, 0xffff, v82
	v_or_b32_e32 v85, v85, v86
	v_lshlrev_b16 v86, 8, v79
	v_lshlrev_b32_e32 v81, 16, v81
	v_or_b32_e32 v80, v83, v80
	v_or_b32_e32 v19, v19, v84
	s_waitcnt vmcnt(6)
	v_ashrrev_i32_e32 v84, v26, v101
	v_add_nc_u16 v83, v86, 0xe000
	v_or_b32_e32 v81, v82, v81
	v_add_nc_u16 v82, v85, 0xe000
	v_add_nc_u16 v80, v80, 0xe000
	v_lshrrev_b32_e32 v85, 16, v79
	v_and_b32_e32 v79, 0x3f00, v79
	v_lshrrev_b16 v83, 8, v83
	s_waitcnt vmcnt(5)
	v_and_b32_e32 v86, 0xf0f0f0f, v100
	v_lshlrev_b32_e32 v87, 4, v84
	v_and_b32_e32 v82, 0xffff, v82
	v_lshlrev_b32_e32 v80, 16, v80
	v_or_b32_e32 v79, v79, v83
	v_lshlrev_b16 v83, 8, v85
	v_and_or_b32 v86, 0x30303030, v87, v86
	ds_store_2addr_b32 v12, v81, v19 offset1:16
	v_or_b32_e32 v19, v82, v80
	v_lshrrev_b32_e32 v82, 4, v100
	v_add_nc_u16 v80, v83, 0xe000
	v_lshlrev_b16 v81, 8, v86
	v_and_b32_e32 v83, 0x30303030, v84
	v_and_b32_e32 v84, 0x3f00, v85
	v_lshrrev_b32_e32 v85, 16, v86
	v_lshrrev_b16 v80, 8, v80
	v_add_nc_u16 v81, v81, 0xe000
	v_and_or_b32 v82, 0xf0f0f0f, v82, v83
	v_and_b32_e32 v83, 0x3f00, v86
	v_lshlrev_b16 v86, 8, v85
	v_or_b32_e32 v80, v84, v80
	v_lshrrev_b16 v81, 8, v81
	v_lshlrev_b16 v84, 8, v82
	v_add_nc_u16 v79, v79, 0xe000
	v_add_nc_u16 v86, v86, 0xe000
	;; [unrolled: 1-line block ×3, first 2 shown]
	v_or_b32_e32 v81, v83, v81
	v_add_nc_u16 v83, v84, 0xe000
	v_and_b32_e32 v84, 0x3f00, v85
	v_lshrrev_b16 v85, 8, v86
	v_and_b32_e32 v86, 0x3f00, v82
	v_lshrrev_b32_e32 v82, 16, v82
	v_lshrrev_b16 v83, 8, v83
	v_add_nc_u16 v81, v81, 0xe000
	v_or_b32_e32 v84, v84, v85
	s_waitcnt vmcnt(4)
	v_ashrrev_i32_e32 v85, v26, v96
	s_waitcnt vmcnt(3)
	v_lshrrev_b32_e32 v91, 4, v98
	v_or_b32_e32 v83, v86, v83
	v_and_b32_e32 v86, 0xf0f0f0f, v98
	v_lshlrev_b16 v90, 8, v82
	v_lshlrev_b32_e32 v87, 4, v85
	v_and_b32_e32 v85, 0x30303030, v85
	v_and_b32_e32 v82, 0x3f00, v82
	v_add_nc_u16 v84, v84, 0xe000
	v_add_nc_u16 v83, v83, 0xe000
	v_and_or_b32 v86, 0x30303030, v87, v86
	v_and_or_b32 v85, 0xf0f0f0f, v91, v85
	v_add_nc_u16 v87, v90, 0xe000
	v_and_b32_e32 v79, 0xffff, v79
	v_lshlrev_b32_e32 v80, 16, v80
	v_lshrrev_b32_e32 v90, 16, v86
	v_lshrrev_b32_e32 v92, 16, v85
	v_lshlrev_b16 v91, 8, v86
	v_lshlrev_b16 v94, 8, v85
	v_lshrrev_b16 v87, 8, v87
	v_lshlrev_b16 v93, 8, v90
	v_lshlrev_b16 v95, 8, v92
	v_add_nc_u16 v91, v91, 0xe000
	v_add_nc_u16 v94, v94, 0xe000
	v_and_b32_e32 v86, 0x3f00, v86
	v_add_nc_u16 v93, v93, 0xe000
	v_add_nc_u16 v95, v95, 0xe000
	v_lshrrev_b16 v91, 8, v91
	v_and_b32_e32 v90, 0x3f00, v90
	v_and_b32_e32 v85, 0x3f00, v85
	v_lshrrev_b16 v93, 8, v93
	v_lshrrev_b16 v94, 8, v94
	v_and_b32_e32 v92, 0x3f00, v92
	v_lshrrev_b16 v95, 8, v95
	v_or_b32_e32 v82, v82, v87
	v_or_b32_e32 v86, v86, v91
	v_or_b32_e32 v87, v90, v93
	v_or_b32_e32 v85, v85, v94
	v_or_b32_e32 v90, v92, v95
	v_add_nc_u16 v82, v82, 0xe000
	v_add_nc_u16 v86, v86, 0xe000
	;; [unrolled: 1-line block ×5, first 2 shown]
	v_and_b32_e32 v81, 0xffff, v81
	v_lshlrev_b32_e32 v84, 16, v84
	v_and_b32_e32 v83, 0xffff, v83
	v_lshlrev_b32_e32 v82, 16, v82
	;; [unrolled: 2-line block ×4, first 2 shown]
	v_or_b32_e32 v79, v79, v80
	v_or_b32_e32 v80, v81, v84
	;; [unrolled: 1-line block ×5, first 2 shown]
	s_waitcnt vmcnt(2)
	v_cvt_f32_f16_e32 v18, v18
	s_lshl_b32 s16, s18, 8
	ds_store_2addr_b32 v13, v19, v79 offset1:16
	s_cmp_lt_i32 s16, s5
	ds_store_2addr_b32 v14, v80, v81 offset1:16
	ds_store_2addr_b32 v15, v82, v83 offset1:16
	ds_store_b32 v46, v18
	s_waitcnt vmcnt(1)
	ds_store_b32 v74, v88
	s_waitcnt vmcnt(0)
	ds_store_b32 v78, v89
	s_cbranch_scc0 .LBB216_4
; %bb.6:                                ;   in Loop: Header=BB216_5 Depth=1
	s_lshl_b32 s6, s18, 3
	s_delay_alu instid0(SALU_CYCLE_1) | instskip(NEXT) | instid1(VALU_DEP_1)
	v_add_nc_u32_e32 v18, s6, v52
	v_cmp_gt_i32_e32 vcc_lo, s8, v18
	s_and_b32 s21, s1, vcc_lo
	s_delay_alu instid0(SALU_CYCLE_1)
	s_and_saveexec_b32 s17, s21
	s_cbranch_execz .LBB216_8
; %bb.7:                                ;   in Loop: Header=BB216_5 Depth=1
	v_add_nc_u32_e32 v79, v61, v18
	s_delay_alu instid0(VALU_DEP_1)
	v_mad_i64_i32 v[18:19], null, v79, 36, v[16:17]
	global_load_b32 v18, v[18:19], off offset:4
	s_waitcnt vmcnt(0)
	ds_store_b32 v49, v18
.LBB216_8:                              ;   in Loop: Header=BB216_5 Depth=1
	s_or_b32 exec_lo, exec_lo, s17
	s_and_saveexec_b32 s17, s0
	s_cbranch_execz .LBB216_11
; %bb.9:                                ;   in Loop: Header=BB216_5 Depth=1
	v_or_b32_e32 v18, s6, v21
	s_delay_alu instid0(VALU_DEP_1) | instskip(SKIP_1) | instid1(SALU_CYCLE_1)
	v_cmp_gt_i32_e32 vcc_lo, s8, v18
	s_and_b32 s21, s1, vcc_lo
	s_and_b32 exec_lo, exec_lo, s21
	s_cbranch_execz .LBB216_11
; %bb.10:                               ;   in Loop: Header=BB216_5 Depth=1
	v_add_nc_u32_e32 v79, v61, v18
	s_delay_alu instid0(VALU_DEP_1)
	v_mad_i64_i32 v[18:19], null, v79, 36, s[2:3]
	global_load_b32 v18, v[18:19], off
	s_waitcnt vmcnt(0)
	v_cvt_f32_f16_e32 v18, v18
	ds_store_b32 v51, v18
.LBB216_11:                             ;   in Loop: Header=BB216_5 Depth=1
	s_or_b32 exec_lo, exec_lo, s17
	s_waitcnt lgkmcnt(0)
	s_barrier
	buffer_gl0_inv
	ds_load_b32 v18, v53
	ds_load_b32 v19, v54 offset:128
	ds_load_b32 v79, v55 offset:256
	;; [unrolled: 1-line block ×3, first 2 shown]
	s_mov_b32 s21, 0
	s_mov_b32 s17, -1
.LBB216_12:                             ;   Parent Loop BB216_5 Depth=1
                                        ; =>  This Inner Loop Header: Depth=2
	v_lshl_or_b32 v81, s21, 1, v38
	s_lshr_b32 s22, s21, 1
	s_lshl_b32 s21, s21, 3
	v_add_nc_u32_e32 v93, s22, v57
	v_add_nc_u32_e32 v82, s21, v58
	;; [unrolled: 1-line block ×8, first 2 shown]
	v_lshlrev_b32_e32 v94, 2, v81
	v_lshrrev_b32_e32 v161, 1, v81
	ds_load_2addr_b32 v[97:98], v82 offset0:10 offset1:11
	ds_load_2addr_b32 v[99:100], v82 offset0:8 offset1:9
	;; [unrolled: 1-line block ×5, first 2 shown]
	ds_load_2addr_b32 v[107:108], v82 offset1:1
	ds_load_2addr_b32 v[109:110], v84 offset1:1
	ds_load_b32 v163, v83
	ds_load_2addr_b32 v[111:112], v82 offset0:14 offset1:15
	ds_load_2addr_b32 v[113:114], v82 offset0:12 offset1:13
	;; [unrolled: 1-line block ×6, first 2 shown]
	ds_load_b32 v164, v85
	ds_load_2addr_b32 v[123:124], v84 offset0:14 offset1:15
	ds_load_2addr_b32 v[125:126], v84 offset0:12 offset1:13
	;; [unrolled: 1-line block ×6, first 2 shown]
	ds_load_2addr_b32 v[135:136], v86 offset1:1
	ds_load_2addr_b32 v[137:138], v86 offset0:14 offset1:15
	ds_load_2addr_b32 v[139:140], v86 offset0:12 offset1:13
	;; [unrolled: 1-line block ×7, first 2 shown]
	ds_load_2addr_b32 v[151:152], v88 offset1:1
	ds_load_b32 v165, v87
	ds_load_2addr_b32 v[153:154], v88 offset0:14 offset1:15
	ds_load_2addr_b32 v[155:156], v88 offset0:12 offset1:13
	;; [unrolled: 1-line block ×4, first 2 shown]
	ds_load_b128 v[81:84], v94 offset:35440
	ds_load_b128 v[85:88], v94 offset:35424
	;; [unrolled: 1-line block ×3, first 2 shown]
	ds_load_b32 v166, v93
	ds_load_b128 v[93:96], v94 offset:35392
	ds_load_b64 v[161:162], v161 offset:36944
	s_waitcnt lgkmcnt(33)
	v_bfe_i32 v167, v163, 8, 8
	v_bfe_i32 v168, v163, 0, 8
	;; [unrolled: 1-line block ×3, first 2 shown]
	v_ashrrev_i32_e32 v163, 24, v163
	s_waitcnt lgkmcnt(26)
	v_bfe_i32 v170, v164, 8, 8
	v_bfe_i32 v171, v164, 0, 8
	;; [unrolled: 1-line block ×3, first 2 shown]
	v_ashrrev_i32_e32 v164, 24, v164
	s_mov_b32 s21, 8
	s_waitcnt lgkmcnt(10)
	v_bfe_i32 v173, v165, 8, 8
	v_bfe_i32 v174, v165, 0, 8
	;; [unrolled: 1-line block ×3, first 2 shown]
	v_ashrrev_i32_e32 v165, 24, v165
	s_and_b32 vcc_lo, exec_lo, s17
	s_waitcnt lgkmcnt(5)
	v_dot4_i32_iu8 v111, v111, v83, 0 neg_lo:[1,1,0]
	s_waitcnt lgkmcnt(4)
	v_dot4_i32_iu8 v97, v97, v87, 0 neg_lo:[1,1,0]
	;; [unrolled: 2-line block ×3, first 2 shown]
	v_dot4_i32_iu8 v123, v123, v83, 0 neg_lo:[1,1,0]
	s_waitcnt lgkmcnt(1)
	v_dot4_i32_iu8 v105, v105, v95, 0 neg_lo:[1,1,0]
	v_dot4_i32_iu8 v117, v117, v91, 0 neg_lo:[1,1,0]
	;; [unrolled: 1-line block ×40, first 2 shown]
	v_bfe_i32 v176, v166, 8, 8
	v_bfe_i32 v177, v166, 0, 8
	;; [unrolled: 1-line block ×3, first 2 shown]
	v_ashrrev_i32_e32 v166, 24, v166
	v_dot4_i32_iu8 v95, v108, v94, v101 neg_lo:[1,1,0]
	v_dot4_i32_iu8 v101, v110, v94, v109 neg_lo:[1,1,0]
	;; [unrolled: 1-line block ×18, first 2 shown]
	v_mul_lo_u32 v81, v87, v176
	v_mul_lo_u32 v82, v86, v166
	;; [unrolled: 1-line block ×4, first 2 shown]
	v_dot4_i32_iu8 v92, v150, v96, v85 neg_lo:[1,1,0]
	v_mul_lo_u32 v85, v99, v170
	v_mul_lo_u32 v86, v97, v164
	;; [unrolled: 1-line block ×4, first 2 shown]
	v_dot4_i32_iu8 v100, v134, v96, v107 neg_lo:[1,1,0]
	v_mad_u64_u32 v[89:90], null, v91, v177, v[81:82]
	v_mad_u64_u32 v[90:91], null, v94, v178, v[82:83]
	;; [unrolled: 1-line block ×8, first 2 shown]
	v_cvt_f32_i32_e32 v87, v89
	v_cvt_f32_i32_e32 v81, v81
	;; [unrolled: 1-line block ×8, first 2 shown]
	s_waitcnt lgkmcnt(0)
	v_fma_f32 v87, v161, v87, 0
	v_fma_f32 v81, v161, v81, 0
	;; [unrolled: 1-line block ×4, first 2 shown]
	s_mov_b32 s17, 0
	v_fmac_f32_e32 v87, v162, v88
	v_fmac_f32_e32 v81, v162, v82
	;; [unrolled: 1-line block ×4, first 2 shown]
	s_delay_alu instid0(VALU_DEP_4) | instskip(NEXT) | instid1(VALU_DEP_4)
	v_fmac_f32_e32 v23, v18, v87
	v_fmac_f32_e32 v75, v19, v81
	s_delay_alu instid0(VALU_DEP_3)
	v_dual_fmac_f32 v76, v79, v83 :: v_dual_fmac_f32 v77, v80, v85
	s_cbranch_vccnz .LBB216_12
; %bb.13:                               ;   in Loop: Header=BB216_5 Depth=1
	s_bitset1_b32 s16, 7
	s_delay_alu instid0(SALU_CYCLE_1)
	s_cmp_ge_i32 s16, s5
	s_barrier
	buffer_gl0_inv
	s_cbranch_scc1 .LBB216_4
; %bb.14:                               ;   in Loop: Header=BB216_5 Depth=1
	v_add_nc_u32_e32 v18, s6, v50
	s_delay_alu instid0(VALU_DEP_1) | instskip(SKIP_1) | instid1(SALU_CYCLE_1)
	v_cmp_gt_i32_e32 vcc_lo, s8, v18
	s_and_b32 s17, s1, vcc_lo
	s_and_saveexec_b32 s16, s17
	s_cbranch_execz .LBB216_16
; %bb.15:                               ;   in Loop: Header=BB216_5 Depth=1
	v_add_nc_u32_e32 v79, v61, v18
	s_delay_alu instid0(VALU_DEP_1)
	v_mad_i64_i32 v[18:19], null, v79, 36, v[16:17]
	global_load_b32 v18, v[18:19], off offset:4
	s_waitcnt vmcnt(0)
	ds_store_b32 v49, v18
.LBB216_16:                             ;   in Loop: Header=BB216_5 Depth=1
	s_or_b32 exec_lo, exec_lo, s16
	s_and_saveexec_b32 s16, s0
	s_cbranch_execz .LBB216_19
; %bb.17:                               ;   in Loop: Header=BB216_5 Depth=1
	v_or_b32_e32 v18, s6, v21
	s_delay_alu instid0(VALU_DEP_1) | instskip(NEXT) | instid1(VALU_DEP_1)
	v_or_b32_e32 v19, 4, v18
	v_cmp_gt_i32_e32 vcc_lo, s8, v19
	s_and_b32 s6, s1, vcc_lo
	s_delay_alu instid0(SALU_CYCLE_1)
	s_and_b32 exec_lo, exec_lo, s6
	s_cbranch_execz .LBB216_19
; %bb.18:                               ;   in Loop: Header=BB216_5 Depth=1
	v_ashrrev_i32_e32 v19, 31, v18
	v_add_co_u32 v79, vcc_lo, v61, v18
	s_delay_alu instid0(VALU_DEP_2) | instskip(NEXT) | instid1(VALU_DEP_2)
	v_add_co_ci_u32_e32 v80, vcc_lo, v66, v19, vcc_lo
	v_mad_u64_u32 v[18:19], null, v79, 36, s[14:15]
	s_delay_alu instid0(VALU_DEP_1)
	v_mad_i32_i24 v19, v80, 36, v19
	global_load_b32 v18, v[18:19], off
	s_waitcnt vmcnt(0)
	v_cvt_f32_f16_e32 v18, v18
	ds_store_b32 v51, v18
.LBB216_19:                             ;   in Loop: Header=BB216_5 Depth=1
	s_or_b32 exec_lo, exec_lo, s16
	s_waitcnt lgkmcnt(0)
	s_barrier
	buffer_gl0_inv
	ds_load_b32 v18, v53
	ds_load_b32 v19, v54 offset:128
	ds_load_b32 v79, v55 offset:256
	ds_load_b32 v80, v56 offset:384
	v_dual_mov_b32 v81, v73 :: v_dual_mov_b32 v82, v72
	v_dual_mov_b32 v83, v71 :: v_dual_mov_b32 v84, v70
	;; [unrolled: 1-line block ×3, first 2 shown]
	v_mov_b32_e32 v87, v67
	s_mov_b32 s6, 8
.LBB216_20:                             ;   Parent Loop BB216_5 Depth=1
                                        ; =>  This Inner Loop Header: Depth=2
	ds_load_b128 v[88:91], v85
	ds_load_b128 v[92:95], v85 offset:16
	ds_load_b128 v[96:99], v85 offset:32
	;; [unrolled: 1-line block ×3, first 2 shown]
	ds_load_b64 v[104:105], v86
	ds_load_2addr_b32 v[106:107], v87 offset0:6 offset1:7
	ds_load_2addr_b32 v[108:109], v87 offset0:4 offset1:5
	ds_load_2addr_b32 v[110:111], v87 offset0:2 offset1:3
	ds_load_2addr_b32 v[112:113], v87 offset1:1
	ds_load_2addr_b32 v[114:115], v87 offset0:14 offset1:15
	ds_load_2addr_b32 v[116:117], v87 offset0:12 offset1:13
	;; [unrolled: 1-line block ×4, first 2 shown]
	v_add_nc_u32_e32 v122, 0x2090, v87
	v_add_nc_u32_e32 v124, 0x2088, v87
	;; [unrolled: 1-line block ×24, first 2 shown]
	ds_load_b32 v170, v81
	ds_load_b32 v171, v82
	;; [unrolled: 1-line block ×4, first 2 shown]
	ds_load_2addr_b32 v[122:123], v122 offset1:1
	ds_load_2addr_b32 v[124:125], v124 offset1:1
	;; [unrolled: 1-line block ×24, first 2 shown]
	s_waitcnt lgkmcnt(31)
	v_dot4_i32_iu8 v114, v114, v102, 0 neg_lo:[1,1,0]
	s_waitcnt lgkmcnt(29)
	v_dot4_i32_iu8 v118, v118, v98, 0 neg_lo:[1,1,0]
	v_dot4_i32_iu8 v106, v106, v94, 0 neg_lo:[1,1,0]
	;; [unrolled: 1-line block ×3, first 2 shown]
	v_add_nc_u32_e32 v86, 8, v86
	v_dot4_i32_iu8 v114, v116, v100, v114 neg_lo:[1,1,0]
	s_waitcnt lgkmcnt(28)
	v_dot4_i32_iu8 v116, v120, v96, v118 neg_lo:[1,1,0]
	v_dot4_i32_iu8 v106, v108, v92, v106 neg_lo:[1,1,0]
	;; [unrolled: 1-line block ×3, first 2 shown]
	s_waitcnt lgkmcnt(19)
	v_dot4_i32_iu8 v110, v130, v102, 0 neg_lo:[1,1,0]
	s_waitcnt lgkmcnt(17)
	v_dot4_i32_iu8 v112, v134, v98, 0 neg_lo:[1,1,0]
	v_dot4_i32_iu8 v118, v126, v94, 0 neg_lo:[1,1,0]
	;; [unrolled: 1-line block ×3, first 2 shown]
	s_waitcnt lgkmcnt(13)
	v_dot4_i32_iu8 v130, v142, v94, 0 neg_lo:[1,1,0]
	s_waitcnt lgkmcnt(11)
	v_dot4_i32_iu8 v124, v146, v102, 0 neg_lo:[1,1,0]
	s_waitcnt lgkmcnt(5)
	v_dot4_i32_iu8 v94, v158, v94, 0 neg_lo:[1,1,0]
	s_waitcnt lgkmcnt(3)
	v_dot4_i32_iu8 v102, v162, v102, 0 neg_lo:[1,1,0]
	v_dot4_i32_iu8 v126, v150, v98, 0 neg_lo:[1,1,0]
	v_dot4_i32_iu8 v134, v140, v90, 0 neg_lo:[1,1,0]
	s_waitcnt lgkmcnt(1)
	v_dot4_i32_iu8 v98, v166, v98, 0 neg_lo:[1,1,0]
	v_dot4_i32_iu8 v90, v156, v90, 0 neg_lo:[1,1,0]
	;; [unrolled: 1-line block ×13, first 2 shown]
	v_bfe_i32 v174, v170, 8, 8
	v_bfe_i32 v175, v170, 0, 8
	;; [unrolled: 1-line block ×3, first 2 shown]
	v_ashrrev_i32_e32 v170, 24, v170
	v_dot4_i32_iu8 v116, v121, v97, v116 neg_lo:[1,1,0]
	v_dot4_i32_iu8 v118, v152, v96, v126 neg_lo:[1,1,0]
	;; [unrolled: 1-line block ×3, first 2 shown]
	s_waitcnt lgkmcnt(0)
	v_dot4_i32_iu8 v96, v168, v96, v98 neg_lo:[1,1,0]
	v_dot4_i32_iu8 v88, v160, v88, v90 neg_lo:[1,1,0]
	;; [unrolled: 1-line block ×12, first 2 shown]
	v_bfe_i32 v177, v171, 8, 8
	v_bfe_i32 v178, v171, 0, 8
	;; [unrolled: 1-line block ×3, first 2 shown]
	v_ashrrev_i32_e32 v171, 24, v171
	v_dot4_i32_iu8 v109, v129, v89, v113 neg_lo:[1,1,0]
	v_dot4_i32_iu8 v113, v145, v89, v121 neg_lo:[1,1,0]
	;; [unrolled: 1-line block ×3, first 2 shown]
	v_mul_lo_u32 v88, v94, v174
	v_mul_lo_u32 v89, v90, v170
	v_dot4_i32_iu8 v94, v131, v103, v106 neg_lo:[1,1,0]
	v_dot4_i32_iu8 v90, v127, v95, v108 neg_lo:[1,1,0]
	v_bfe_i32 v180, v172, 8, 8
	v_dot4_i32_iu8 v108, v143, v95, v112 neg_lo:[1,1,0]
	v_bfe_i32 v181, v172, 0, 8
	v_bfe_i32 v182, v172, 16, 8
	v_ashrrev_i32_e32 v172, 24, v172
	v_dot4_i32_iu8 v111, v153, v97, v118 neg_lo:[1,1,0]
	v_dot4_i32_iu8 v96, v169, v97, v96 neg_lo:[1,1,0]
	v_dot4_i32_iu8 v97, v147, v103, v110 neg_lo:[1,1,0]
	v_bfe_i32 v183, v173, 8, 8
	v_dot4_i32_iu8 v95, v159, v95, v92 neg_lo:[1,1,0]
	v_bfe_i32 v184, v173, 0, 8
	v_bfe_i32 v185, v173, 16, 8
	v_ashrrev_i32_e32 v173, 24, v173
	v_dot4_i32_iu8 v100, v163, v103, v100 neg_lo:[1,1,0]
	v_dot4_i32_iu8 v106, v125, v91, v109 neg_lo:[1,1,0]
	;; [unrolled: 1-line block ×4, first 2 shown]
	v_mul_lo_u32 v90, v90, v177
	v_mul_lo_u32 v91, v94, v171
	;; [unrolled: 1-line block ×4, first 2 shown]
	v_dot4_i32_iu8 v102, v119, v99, v116 neg_lo:[1,1,0]
	v_mul_lo_u32 v94, v95, v183
	v_dot4_i32_iu8 v101, v135, v99, v107 neg_lo:[1,1,0]
	v_mul_lo_u32 v95, v100, v173
	v_dot4_i32_iu8 v107, v151, v99, v111 neg_lo:[1,1,0]
	v_dot4_i32_iu8 v99, v167, v99, v96 neg_lo:[1,1,0]
	v_mad_u64_u32 v[96:97], null, v98, v175, v[88:89]
	v_mad_u64_u32 v[97:98], null, v102, v176, v[89:90]
	;; [unrolled: 1-line block ×8, first 2 shown]
	v_cvt_f32_i32_e32 v94, v96
	v_cvt_f32_i32_e32 v88, v88
	;; [unrolled: 1-line block ×5, first 2 shown]
	v_fma_f32 v94, v104, v94, 0
	v_cvt_f32_i32_e32 v89, v89
	v_cvt_f32_i32_e32 v91, v91
	;; [unrolled: 1-line block ×3, first 2 shown]
	v_fma_f32 v88, v104, v88, 0
	v_fma_f32 v90, v104, v90, 0
	;; [unrolled: 1-line block ×3, first 2 shown]
	v_add_nc_u32_e32 v87, 64, v87
	v_dual_fmac_f32 v94, v105, v95 :: v_dual_add_nc_u32 v85, 64, v85
	s_delay_alu instid0(VALU_DEP_3)
	v_dual_fmac_f32 v92, v105, v93 :: v_dual_add_nc_u32 v83, 4, v83
	v_fmac_f32_e32 v88, v105, v89
	v_dual_fmac_f32 v90, v105, v91 :: v_dual_add_nc_u32 v81, 4, v81
	v_add_nc_u32_e32 v84, 4, v84
	v_add_nc_u32_e32 v82, 4, v82
	v_fmac_f32_e32 v23, v18, v94
	v_fmac_f32_e32 v75, v19, v88
	v_dual_fmac_f32 v76, v79, v90 :: v_dual_fmac_f32 v77, v80, v92
	s_add_i32 s6, s6, 8
	s_delay_alu instid0(SALU_CYCLE_1)
	s_cmp_lt_u32 s6, 24
	s_cbranch_scc1 .LBB216_20
; %bb.21:                               ;   in Loop: Header=BB216_5 Depth=1
	s_barrier
	buffer_gl0_inv
	s_branch .LBB216_4
.LBB216_22:
	v_cvt_f16_f32_e32 v5, v23
	v_cvt_f16_f32_e32 v3, v75
	v_cvt_f16_f32_e32 v0, v76
	v_cvt_f16_f32_e32 v2, v77
.LBB216_23:
	s_mul_i32 s0, s10, s7
	s_waitcnt vmcnt(0)
	v_cmp_gt_i32_e32 vcc_lo, s0, v20
	s_and_saveexec_b32 s0, vcc_lo
	s_cbranch_execz .LBB216_32
; %bb.24:
	v_mul_lo_u32 v1, v20, s9
	v_add_nc_u32_e32 v4, s11, v21
	s_mov_b32 s0, exec_lo
	s_delay_alu instid0(VALU_DEP_1)
	v_cmpx_gt_u32_e64 s9, v4
	s_cbranch_execz .LBB216_26
; %bb.25:
	s_delay_alu instid0(VALU_DEP_3) | instskip(NEXT) | instid1(VALU_DEP_1)
	v_dual_mov_b32 v7, 0 :: v_dual_add_nc_u32 v6, v1, v4
	v_lshlrev_b64 v[6:7], 1, v[6:7]
	s_delay_alu instid0(VALU_DEP_1) | instskip(NEXT) | instid1(VALU_DEP_2)
	v_add_co_u32 v6, vcc_lo, s12, v6
	v_add_co_ci_u32_e32 v7, vcc_lo, s13, v7, vcc_lo
	global_store_b16 v[6:7], v5, off
.LBB216_26:
	s_or_b32 exec_lo, exec_lo, s0
	v_add_nc_u32_e32 v5, 32, v4
	s_mov_b32 s0, exec_lo
	s_delay_alu instid0(VALU_DEP_1)
	v_cmpx_gt_u32_e64 s9, v5
	s_cbranch_execz .LBB216_28
; %bb.27:
	v_dual_mov_b32 v6, 0 :: v_dual_add_nc_u32 v5, v1, v5
	s_delay_alu instid0(VALU_DEP_1) | instskip(NEXT) | instid1(VALU_DEP_1)
	v_lshlrev_b64 v[5:6], 1, v[5:6]
	v_add_co_u32 v5, vcc_lo, s12, v5
	s_delay_alu instid0(VALU_DEP_2)
	v_add_co_ci_u32_e32 v6, vcc_lo, s13, v6, vcc_lo
	global_store_b16 v[5:6], v3, off
.LBB216_28:
	s_or_b32 exec_lo, exec_lo, s0
	v_add_nc_u32_e32 v3, 64, v4
	s_mov_b32 s0, exec_lo
	s_delay_alu instid0(VALU_DEP_1)
	v_cmpx_gt_u32_e64 s9, v3
	s_cbranch_execz .LBB216_30
; %bb.29:
	v_dual_mov_b32 v6, 0 :: v_dual_add_nc_u32 v5, v1, v3
	s_delay_alu instid0(VALU_DEP_1) | instskip(NEXT) | instid1(VALU_DEP_1)
	v_lshlrev_b64 v[5:6], 1, v[5:6]
	v_add_co_u32 v5, vcc_lo, s12, v5
	s_delay_alu instid0(VALU_DEP_2)
	v_add_co_ci_u32_e32 v6, vcc_lo, s13, v6, vcc_lo
	global_store_b16 v[5:6], v0, off
.LBB216_30:
	s_or_b32 exec_lo, exec_lo, s0
	v_add_nc_u32_e32 v0, 0x60, v4
	s_delay_alu instid0(VALU_DEP_1)
	v_cmp_gt_u32_e32 vcc_lo, s9, v0
	s_and_b32 exec_lo, exec_lo, vcc_lo
	s_cbranch_execz .LBB216_32
; %bb.31:
	v_dual_mov_b32 v1, 0 :: v_dual_add_nc_u32 v0, v1, v0
	s_delay_alu instid0(VALU_DEP_1) | instskip(NEXT) | instid1(VALU_DEP_1)
	v_lshlrev_b64 v[0:1], 1, v[0:1]
	v_add_co_u32 v0, vcc_lo, s12, v0
	s_delay_alu instid0(VALU_DEP_2)
	v_add_co_ci_u32_e32 v1, vcc_lo, s13, v1, vcc_lo
	global_store_b16 v[0:1], v2, off
.LBB216_32:
	s_nop 0
	s_sendmsg sendmsg(MSG_DEALLOC_VGPRS)
	s_endpgm
	.section	.rodata,"a",@progbits
	.p2align	6, 0x0
	.amdhsa_kernel _ZL8moe_q6_KIN3c104HalfELb1EEvPKvS3_PT_PKiS7_S7_iiiiiii
		.amdhsa_group_segment_fixed_size 37072
		.amdhsa_private_segment_fixed_size 0
		.amdhsa_kernarg_size 76
		.amdhsa_user_sgpr_count 14
		.amdhsa_user_sgpr_dispatch_ptr 0
		.amdhsa_user_sgpr_queue_ptr 0
		.amdhsa_user_sgpr_kernarg_segment_ptr 1
		.amdhsa_user_sgpr_dispatch_id 0
		.amdhsa_user_sgpr_private_segment_size 0
		.amdhsa_wavefront_size32 1
		.amdhsa_uses_dynamic_stack 0
		.amdhsa_enable_private_segment 0
		.amdhsa_system_sgpr_workgroup_id_x 1
		.amdhsa_system_sgpr_workgroup_id_y 1
		.amdhsa_system_sgpr_workgroup_id_z 0
		.amdhsa_system_sgpr_workgroup_info 0
		.amdhsa_system_vgpr_workitem_id 1
		.amdhsa_next_free_vgpr 186
		.amdhsa_next_free_sgpr 23
		.amdhsa_reserve_vcc 1
		.amdhsa_float_round_mode_32 0
		.amdhsa_float_round_mode_16_64 0
		.amdhsa_float_denorm_mode_32 3
		.amdhsa_float_denorm_mode_16_64 3
		.amdhsa_dx10_clamp 1
		.amdhsa_ieee_mode 1
		.amdhsa_fp16_overflow 0
		.amdhsa_workgroup_processor_mode 1
		.amdhsa_memory_ordered 1
		.amdhsa_forward_progress 0
		.amdhsa_shared_vgpr_count 0
		.amdhsa_exception_fp_ieee_invalid_op 0
		.amdhsa_exception_fp_denorm_src 0
		.amdhsa_exception_fp_ieee_div_zero 0
		.amdhsa_exception_fp_ieee_overflow 0
		.amdhsa_exception_fp_ieee_underflow 0
		.amdhsa_exception_fp_ieee_inexact 0
		.amdhsa_exception_int_div_zero 0
	.end_amdhsa_kernel
	.section	.text._ZL8moe_q6_KIN3c104HalfELb1EEvPKvS3_PT_PKiS7_S7_iiiiiii,"axG",@progbits,_ZL8moe_q6_KIN3c104HalfELb1EEvPKvS3_PT_PKiS7_S7_iiiiiii,comdat
.Lfunc_end216:
	.size	_ZL8moe_q6_KIN3c104HalfELb1EEvPKvS3_PT_PKiS7_S7_iiiiiii, .Lfunc_end216-_ZL8moe_q6_KIN3c104HalfELb1EEvPKvS3_PT_PKiS7_S7_iiiiiii
                                        ; -- End function
	.section	.AMDGPU.csdata,"",@progbits
; Kernel info:
; codeLenInByte = 11316
; NumSgprs: 25
; NumVgprs: 186
; ScratchSize: 0
; MemoryBound: 0
; FloatMode: 240
; IeeeMode: 1
; LDSByteSize: 37072 bytes/workgroup (compile time only)
; SGPRBlocks: 3
; VGPRBlocks: 23
; NumSGPRsForWavesPerEU: 25
; NumVGPRsForWavesPerEU: 186
; Occupancy: 6
; WaveLimiterHint : 1
; COMPUTE_PGM_RSRC2:SCRATCH_EN: 0
; COMPUTE_PGM_RSRC2:USER_SGPR: 14
; COMPUTE_PGM_RSRC2:TRAP_HANDLER: 0
; COMPUTE_PGM_RSRC2:TGID_X_EN: 1
; COMPUTE_PGM_RSRC2:TGID_Y_EN: 1
; COMPUTE_PGM_RSRC2:TGID_Z_EN: 0
; COMPUTE_PGM_RSRC2:TIDIG_COMP_CNT: 1
	.section	.text._ZL8moe_q4_0IN3c108BFloat16ELb0EEvPKvS3_PT_PKiS7_S7_iiiiiii,"axG",@progbits,_ZL8moe_q4_0IN3c108BFloat16ELb0EEvPKvS3_PT_PKiS7_S7_iiiiiii,comdat
	.globl	_ZL8moe_q4_0IN3c108BFloat16ELb0EEvPKvS3_PT_PKiS7_S7_iiiiiii ; -- Begin function _ZL8moe_q4_0IN3c108BFloat16ELb0EEvPKvS3_PT_PKiS7_S7_iiiiiii
	.p2align	8
	.type	_ZL8moe_q4_0IN3c108BFloat16ELb0EEvPKvS3_PT_PKiS7_S7_iiiiiii,@function
_ZL8moe_q4_0IN3c108BFloat16ELb0EEvPKvS3_PT_PKiS7_S7_iiiiiii: ; @_ZL8moe_q4_0IN3c108BFloat16ELb0EEvPKvS3_PT_PKiS7_S7_iiiiiii
; %bb.0:
	s_load_b128 s[4:7], s[0:1], 0x18
	s_mov_b32 s2, s15
	s_mov_b32 s3, 0
	s_delay_alu instid0(SALU_CYCLE_1)
	s_lshl_b64 s[8:9], s[2:3], 2
	s_waitcnt lgkmcnt(0)
	s_add_u32 s6, s6, s8
	s_addc_u32 s7, s7, s9
	s_load_b32 s12, s[6:7], 0x0
	s_waitcnt lgkmcnt(0)
	s_cmpk_gt_u32 s12, 0xff
	s_cbranch_scc1 .LBB217_31
; %bb.1:
	s_load_b64 s[6:7], s[0:1], 0x28
	s_lshl_b32 s2, s2, 3
	s_waitcnt lgkmcnt(0)
	s_load_b32 s3, s[6:7], 0x0
	s_waitcnt lgkmcnt(0)
	s_cmp_gt_u32 s2, s3
	s_cbranch_scc1 .LBB217_31
; %bb.2:
	v_bfe_u32 v1, v0, 10, 10
	v_mov_b32_e32 v8, 0
	s_lshl_b32 s14, s14, 7
	s_delay_alu instid0(VALU_DEP_2) | instskip(NEXT) | instid1(VALU_DEP_2)
	v_add_nc_u32_e32 v7, s2, v1
	v_dual_mov_b32 v55, v8 :: v_dual_and_b32 v16, 0x3ff, v0
	v_mov_b32_e32 v44, v8
	v_mov_b32_e32 v17, v8
	s_delay_alu instid0(VALU_DEP_4) | instskip(NEXT) | instid1(VALU_DEP_1)
	v_lshlrev_b64 v[2:3], 2, v[7:8]
	v_add_co_u32 v2, vcc_lo, s4, v2
	s_delay_alu instid0(VALU_DEP_2)
	v_add_co_ci_u32_e32 v3, vcc_lo, s5, v3, vcc_lo
	global_load_b32 v15, v[2:3], off
	s_clause 0x2
	s_load_b64 s[10:11], s[0:1], 0x30
	s_load_b64 s[8:9], s[0:1], 0x10
	s_load_b128 s[4:7], s[0:1], 0x3c
	s_waitcnt lgkmcnt(0)
	s_cmp_lt_i32 s11, 32
	s_cbranch_scc1 .LBB217_22
; %bb.3:
	s_load_b128 s[0:3], s[0:1], 0x0
	s_ashr_i32 s13, s11, 31
	s_ashr_i32 s15, s5, 31
	s_mul_i32 s12, s12, s10
	s_lshr_b32 s10, s13, 27
	s_lshr_b32 s13, s15, 27
	s_add_i32 s17, s11, s10
	s_add_i32 s10, s5, s13
	s_ashr_i32 s5, s17, 5
	s_ashr_i32 s15, s12, 31
	s_mul_i32 s13, s5, s14
	s_ashr_i32 s10, s10, 5
	s_mul_hi_i32 s16, s13, 18
	s_mul_i32 s13, s13, 18
	v_lshrrev_b32_e32 v22, 3, v16
	s_waitcnt vmcnt(0)
	v_sub_nc_u32_e32 v5, 0, v15
	v_and_b32_e32 v19, 7, v16
	v_mul_lo_u32 v20, s5, v1
	v_dual_mov_b32 v17, 0 :: v_dual_lshlrev_b32 v0, 2, v16
	s_waitcnt lgkmcnt(0)
	s_add_u32 s0, s0, s12
	s_addc_u32 s1, s1, s15
	s_add_u32 s15, s0, s13
	s_addc_u32 s16, s1, s16
	s_abs_i32 s1, s7
	v_max_i32_e32 v5, v15, v5
	v_cvt_f32_u32_e32 v3, s1
	s_sub_i32 s12, 0, s1
	v_lshlrev_b32_e32 v7, 2, v19
	s_lshl_b32 s0, s5, 3
	v_mad_u32_u24 v25, 0x84, v1, v0
	v_rcp_iflag_f32_e32 v3, v3
	v_lshlrev_b32_e32 v2, 2, v1
	v_add_nc_u32_e32 v21, s0, v20
	s_and_not1_b32 s17, s17, 31
	v_lshrrev_b32_e32 v18, 2, v16
	v_add_nc_u32_e32 v27, 0x420, v25
	v_add_nc_u32_e32 v29, 0x840, v25
	;; [unrolled: 1-line block ×5, first 2 shown]
	v_dual_mul_f32 v3, 0x4f7ffffe, v3 :: v_dual_add_nc_u32 v6, v22, v2
	v_or_b32_e32 v2, v2, v16
	v_add_nc_u32_e32 v34, 0x18c0, v25
	v_add_nc_u32_e32 v35, 0x1ce0, v25
	s_delay_alu instid0(VALU_DEP_4)
	v_cvt_u32_f32_e32 v3, v3
	v_and_b32_e32 v9, 0x1ffc, v6
	v_add_nc_u32_e32 v10, 32, v6
	v_lshl_add_u32 v61, v2, 2, 0x5680
	v_add_nc_u32_e32 v2, 32, v16
	v_mul_lo_u32 v8, s12, v3
	v_add3_u32 v12, v9, v7, 0x4200
	v_and_b32_e32 v9, 0x3ffc, v10
	v_lshlrev_b32_e32 v13, 5, v10
	v_lshrrev_b32_e32 v63, 3, v2
	v_and_b32_e32 v2, 0x1fc, v2
	v_add_nc_u32_e32 v37, 0x2100, v25
	v_add3_u32 v55, v9, v7, 0x4200
	v_mul_hi_u32 v8, v3, v8
	v_add_nc_u32_e32 v38, 0x2520, v25
	v_add_nc_u32_e32 v40, 0x2940, v25
	;; [unrolled: 1-line block ×3, first 2 shown]
	v_dual_mov_b32 v55, 0 :: v_dual_add_nc_u32 v78, v55, v13
	v_mul_lo_u32 v48, s5, v6
	v_lshlrev_b32_e32 v11, 5, v6
	v_add_nc_u32_e32 v3, v3, v8
	v_add_nc_u32_e32 v8, 64, v6
	;; [unrolled: 1-line block ×5, first 2 shown]
	v_mul_hi_u32 v3, v5, v3
	v_and_b32_e32 v10, 0x3ffc, v8
	v_lshlrev_b32_e32 v8, 5, v8
	v_and_b32_e32 v14, 0x3ffc, v6
	v_add_nc_u32_e32 v53, s17, v48
	v_lshlrev_b32_e32 v6, 5, v6
	v_add3_u32 v79, v10, v7, 0x4200
	v_add_nc_u32_e32 v46, 0x39c0, v25
	v_mul_lo_u32 v44, v3, s1
	v_add_nc_u32_e32 v9, 1, v3
	v_add3_u32 v7, v14, v7, 0x4200
	v_dual_mov_b32 v8, 0 :: v_dual_add_nc_u32 v79, v79, v8
	v_add_nc_u32_e32 v23, s0, v21
	v_lshlrev_b32_e32 v14, 7, v1
	v_add_nc_u32_e32 v56, s17, v53
	v_sub_nc_u32_e32 v5, v5, v44
	v_add_nc_u32_e32 v47, 0x3de0, v25
	v_mul_u32_u24_e32 v62, 0x84, v16
	v_add_nc_u32_e32 v70, 0x5280, v14
	v_add_nc_u32_e32 v58, s17, v56
	v_subrev_nc_u32_e32 v10, s1, v5
	v_cmp_le_u32_e32 vcc_lo, s1, v5
	v_and_b32_e32 v4, 31, v16
	v_and_b32_e32 v24, 12, v0
	;; [unrolled: 1-line block ×3, first 2 shown]
	v_lshl_add_u32 v71, v1, 4, 0x5680
	v_cndmask_b32_e32 v5, v5, v10, vcc_lo
	v_cndmask_b32_e32 v3, v3, v9, vcc_lo
	v_xor_b32_e32 v9, s7, v15
	v_lshl_or_b32 v4, v4, 2, v14
	v_mad_u32_u24 v76, 0x84, v16, 64
	v_cmp_le_u32_e32 vcc_lo, s1, v5
	v_add_nc_u32_e32 v10, 1, v3
	v_add_nc_u32_e32 v26, s0, v23
	v_ashrrev_i32_e32 v44, 31, v9
	v_add_nc_u32_e32 v60, 0x5280, v4
	s_delay_alu instid0(VALU_DEP_4) | instskip(NEXT) | instid1(VALU_DEP_4)
	v_dual_cndmask_b32 v3, v3, v10 :: v_dual_add_nc_u32 v4, 0x60, v16
	v_add_nc_u32_e32 v28, s0, v26
	v_lshlrev_b32_e32 v5, 5, v16
	v_cmp_gt_u32_e32 vcc_lo, 4, v16
	s_delay_alu instid0(VALU_DEP_4)
	v_and_b32_e32 v4, 0x1fc, v4
	v_add_nc_u32_e32 v77, v12, v11
	v_add_nc_u32_e32 v32, s0, v28
	;; [unrolled: 1-line block ×4, first 2 shown]
	s_add_u32 s12, s2, 0x90
	s_mov_b32 s17, 0
	v_add_nc_u32_e32 v36, s0, v32
	v_add_nc_u32_e32 v68, 0x4600, v2
	;; [unrolled: 1-line block ×3, first 2 shown]
	s_addc_u32 s13, s3, 0
	s_delay_alu instid0(VALU_DEP_3) | instskip(NEXT) | instid1(VALU_DEP_1)
	v_add_nc_u32_e32 v39, s0, v36
	v_add_nc_u32_e32 v45, s0, v39
	s_delay_alu instid0(VALU_DEP_1) | instskip(NEXT) | instid1(VALU_DEP_1)
	v_add_nc_u32_e32 v49, s0, v45
	v_add_nc_u32_e32 v50, s0, v49
	s_delay_alu instid0(VALU_DEP_1) | instskip(NEXT) | instid1(VALU_DEP_1)
	;; [unrolled: 3-line block ×3, first 2 shown]
	v_add_nc_u32_e32 v54, s0, v52
	v_add_nc_u32_e32 v57, s0, v54
	s_delay_alu instid0(VALU_DEP_1) | instskip(SKIP_4) | instid1(VALU_DEP_3)
	v_add_nc_u32_e32 v59, s0, v57
	v_add_co_u32 v9, s0, s2, v0
	v_xor_b32_e32 v0, v3, v44
	v_add_nc_u32_e32 v3, 64, v16
	v_add_co_ci_u32_e64 v10, null, s3, 0, s0
	v_sub_nc_u32_e32 v0, v0, v44
	s_delay_alu instid0(VALU_DEP_3) | instskip(SKIP_1) | instid1(VALU_DEP_3)
	v_and_b32_e32 v3, 0x1fc, v3
	v_and_b32_e32 v44, 0xfc, v16
	v_mul_lo_u32 v64, v0, s10
	v_cmp_gt_i32_e64 s0, s4, v0
	v_add_nc_u32_e32 v0, v5, v4
	v_add_nc_u32_e32 v3, v5, v3
	;; [unrolled: 1-line block ×3, first 2 shown]
	v_mov_b32_e32 v44, 0
	s_delay_alu instid0(VALU_DEP_4)
	v_add_nc_u32_e32 v66, 0x4e00, v0
	v_ashrrev_i32_e32 v65, 31, v64
	v_add_nc_u32_e32 v67, 0x4a00, v3
	v_add_nc_u32_e32 v69, 0x4200, v4
	;; [unrolled: 1-line block ×5, first 2 shown]
	s_branch .LBB217_5
.LBB217_4:                              ;   in Loop: Header=BB217_5 Depth=1
	s_add_i32 s17, s17, 8
	s_delay_alu instid0(SALU_CYCLE_1)
	s_cmp_ge_i32 s17, s5
	s_cbranch_scc1 .LBB217_22
.LBB217_5:                              ; =>This Loop Header: Depth=1
                                        ;     Child Loop BB217_12 Depth 2
                                        ;     Child Loop BB217_20 Depth 2
	s_mul_i32 s1, s17, 18
	s_mul_hi_u32 s19, s17, 18
	s_add_u32 s18, s15, s1
	s_addc_u32 s19, s16, s19
	s_delay_alu instid0(SALU_CYCLE_1) | instskip(SKIP_2) | instid1(SALU_CYCLE_1)
	v_mad_u64_u32 v[0:1], null, v18, 18, s[18:19]
	v_mad_u64_u32 v[87:88], null, v19, 18, s[18:19]
	s_lshl_b32 s18, s17, 5
	s_cmp_lt_i32 s18, s11
	s_delay_alu instid0(VALU_DEP_2) | instskip(NEXT) | instid1(VALU_DEP_1)
	v_add_co_u32 v0, s1, v0, v24
	v_add_co_ci_u32_e64 v1, s1, 0, v1, s1
	s_delay_alu instid0(VALU_DEP_2) | instskip(NEXT) | instid1(VALU_DEP_1)
	v_add_co_u32 v0, s1, v0, 2
	v_add_co_ci_u32_e64 v1, s1, 0, v1, s1
	s_delay_alu instid0(VALU_DEP_1)
	v_mad_u64_u32 v[2:3], null, v20, 18, v[0:1]
	v_mad_u64_u32 v[4:5], null, v21, 18, v[0:1]
	;; [unrolled: 1-line block ×8, first 2 shown]
	s_clause 0x7
	global_load_b32 v89, v[2:3], off
	global_load_b32 v90, v[4:5], off
	;; [unrolled: 1-line block ×8, first 2 shown]
	v_mad_u64_u32 v[6:7], null, v48, 18, v[87:88]
	v_mad_u64_u32 v[11:12], null, v53, 18, v[87:88]
	;; [unrolled: 1-line block ×8, first 2 shown]
	s_clause 0x3
	global_load_u16 v87, v[6:7], off
	global_load_u16 v88, v[11:12], off
	;; [unrolled: 1-line block ×4, first 2 shown]
	v_mad_u64_u32 v[6:7], null, v52, 18, v[0:1]
	v_mad_u64_u32 v[11:12], null, v54, 18, v[0:1]
	;; [unrolled: 1-line block ×4, first 2 shown]
	s_clause 0x7
	global_load_b32 v0, v[2:3], off
	global_load_b32 v1, v[4:5], off
	;; [unrolled: 1-line block ×8, first 2 shown]
	s_waitcnt vmcnt(11)
	v_cvt_f32_f16_e32 v11, v87
	s_waitcnt vmcnt(10)
	v_cvt_f32_f16_e32 v12, v88
	;; [unrolled: 2-line block ×4, first 2 shown]
	ds_store_b32 v25, v89
	ds_store_b32 v27, v90
	;; [unrolled: 1-line block ×8, first 2 shown]
	s_waitcnt vmcnt(7)
	ds_store_b32 v37, v0
	s_waitcnt vmcnt(6)
	ds_store_b32 v38, v1
	s_waitcnt vmcnt(5)
	ds_store_b32 v40, v2
	s_waitcnt vmcnt(4)
	ds_store_b32 v41, v3
	s_waitcnt vmcnt(3)
	ds_store_b32 v42, v4
	s_waitcnt vmcnt(2)
	ds_store_b32 v43, v5
	s_waitcnt vmcnt(1)
	ds_store_b32 v46, v6
	s_waitcnt vmcnt(0)
	ds_store_b32 v47, v7
	ds_store_b32 v77, v11
	ds_store_b32 v78, v12
	ds_store_b32 v79, v13
	ds_store_b32 v80, v14
	s_cbranch_scc0 .LBB217_4
; %bb.6:                                ;   in Loop: Header=BB217_5 Depth=1
	v_add_nc_u32_e32 v0, s17, v22
	s_delay_alu instid0(VALU_DEP_1) | instskip(NEXT) | instid1(VALU_DEP_1)
	v_cmp_gt_i32_e64 s1, s10, v0
	s_and_b32 s19, s0, s1
	s_delay_alu instid0(SALU_CYCLE_1)
	s_and_saveexec_b32 s1, s19
	s_cbranch_execz .LBB217_8
; %bb.7:                                ;   in Loop: Header=BB217_5 Depth=1
	v_add_nc_u32_e32 v2, v64, v0
	s_delay_alu instid0(VALU_DEP_1)
	v_mad_i64_i32 v[0:1], null, v2, 36, v[9:10]
	global_load_b32 v0, v[0:1], off offset:4
	s_waitcnt vmcnt(0)
	ds_store_b32 v60, v0
.LBB217_8:                              ;   in Loop: Header=BB217_5 Depth=1
	s_or_b32 exec_lo, exec_lo, s1
	s_and_saveexec_b32 s19, vcc_lo
	s_cbranch_execz .LBB217_11
; %bb.9:                                ;   in Loop: Header=BB217_5 Depth=1
	v_or_b32_e32 v0, s17, v16
	s_delay_alu instid0(VALU_DEP_1) | instskip(NEXT) | instid1(VALU_DEP_1)
	v_cmp_gt_i32_e64 s1, s10, v0
	s_and_b32 s1, s0, s1
	s_delay_alu instid0(SALU_CYCLE_1)
	s_and_b32 exec_lo, exec_lo, s1
	s_cbranch_execz .LBB217_11
; %bb.10:                               ;   in Loop: Header=BB217_5 Depth=1
	v_add_nc_u32_e32 v2, v64, v0
	s_delay_alu instid0(VALU_DEP_1)
	v_mad_i64_i32 v[0:1], null, v2, 36, s[2:3]
	global_load_b32 v0, v[0:1], off
	s_waitcnt vmcnt(0)
	ds_store_b32 v61, v0
.LBB217_11:                             ;   in Loop: Header=BB217_5 Depth=1
	s_or_b32 exec_lo, exec_lo, s19
	v_dual_mov_b32 v81, v71 :: v_dual_mov_b32 v82, v70
	v_dual_mov_b32 v83, v62 :: v_dual_mov_b32 v84, v69
	;; [unrolled: 1-line block ×3, first 2 shown]
	v_mov_b32_e32 v87, v66
	s_mov_b32 s1, -4
	s_waitcnt lgkmcnt(0)
	s_barrier
	buffer_gl0_inv
.LBB217_12:                             ;   Parent Loop BB217_5 Depth=1
                                        ; =>  This Inner Loop Header: Depth=2
	ds_load_b128 v[4:7], v82
	ds_load_b128 v[0:3], v82 offset:16
	ds_load_2addr_b32 v[11:12], v83 offset1:1
	ds_load_2addr_b32 v[13:14], v83 offset0:2 offset1:3
	ds_load_b32 v88, v85
	ds_load_b32 v101, v84
	;; [unrolled: 1-line block ×4, first 2 shown]
	v_add_nc_u32_e32 v89, 0x1080, v83
	v_add_nc_u32_e32 v91, 0x1088, v83
	;; [unrolled: 1-line block ×6, first 2 shown]
	ds_load_2addr_b32 v[89:90], v89 offset1:1
	ds_load_2addr_b32 v[91:92], v91 offset1:1
	;; [unrolled: 1-line block ×6, first 2 shown]
	ds_load_b32 v104, v81
	v_add_nc_u32_e32 v87, 4, v87
	v_add_nc_u32_e32 v85, 4, v85
	;; [unrolled: 1-line block ×5, first 2 shown]
	s_add_i32 s1, s1, 4
	s_delay_alu instid0(SALU_CYCLE_1)
	s_cmp_lt_u32 s1, 12
	s_waitcnt lgkmcnt(14)
	v_bfe_i32 v105, v4, 0, 8
	s_waitcnt lgkmcnt(13)
	v_bfe_i32 v108, v0, 0, 8
	s_waitcnt lgkmcnt(12)
	v_and_b32_e32 v130, 15, v11
	v_bfe_u32 v134, v11, 4, 4
	v_bfe_i32 v111, v5, 0, 8
	s_waitcnt lgkmcnt(6)
	v_and_b32_e32 v158, 15, v89
	v_bfe_i32 v114, v1, 0, 8
	v_mul_i32_i24_e32 v130, v130, v105
	s_waitcnt lgkmcnt(4)
	v_and_b32_e32 v186, 15, v93
	s_waitcnt lgkmcnt(2)
	v_and_b32_e32 v208, 15, v97
	v_and_b32_e32 v137, 15, v12
	v_bfe_u32 v141, v12, 4, 4
	v_bfe_u32 v162, v89, 4, 4
	v_and_b32_e32 v165, 15, v90
	v_bfe_u32 v169, v90, 4, 4
	v_bfe_u32 v190, v93, 4, 4
	;; [unrolled: 3-line block ×3, first 2 shown]
	v_and_b32_e32 v218, 15, v98
	v_bfe_u32 v219, v98, 4, 4
	v_mad_i32_i24 v130, v134, v108, v130
	v_mul_i32_i24_e32 v134, v158, v105
	v_mul_i32_i24_e32 v158, v186, v105
	v_mul_i32_i24_e32 v105, v208, v105
	v_bfe_i32 v106, v4, 8, 8
	v_bfe_i32 v115, v1, 8, 8
	;; [unrolled: 1-line block ×3, first 2 shown]
	v_ashrrev_i32_e32 v1, 24, v1
	v_bfe_i32 v117, v6, 0, 8
	v_bfe_u32 v131, v11, 8, 4
	v_bfe_u32 v136, v12, 20, 4
	;; [unrolled: 1-line block ×6, first 2 shown]
	v_lshrrev_b32_e32 v12, 28, v12
	v_and_b32_e32 v144, 15, v13
	v_mul_i32_i24_e32 v137, v137, v111
	v_mul_i32_i24_e32 v141, v141, v114
	v_bfe_u32 v159, v89, 8, 4
	v_bfe_u32 v164, v90, 20, 4
	;; [unrolled: 1-line block ×6, first 2 shown]
	v_lshrrev_b32_e32 v90, 28, v90
	v_and_b32_e32 v172, 15, v91
	v_bfe_u32 v187, v93, 8, 4
	v_bfe_u32 v192, v94, 20, 4
	v_bfe_u32 v194, v94, 8, 4
	v_bfe_u32 v195, v94, 16, 4
	v_bfe_u32 v196, v94, 24, 4
	v_bfe_u32 v198, v94, 12, 4
	v_lshrrev_b32_e32 v94, 28, v94
	v_and_b32_e32 v200, 15, v95
	v_bfe_u32 v216, v97, 8, 4
	v_bfe_u32 v222, v98, 20, 4
	;; [unrolled: 1-line block ×6, first 2 shown]
	v_lshrrev_b32_e32 v98, 28, v98
	s_waitcnt lgkmcnt(1)
	v_and_b32_e32 v228, 15, v99
	v_mul_i32_i24_e32 v165, v165, v111
	v_mul_i32_i24_e32 v169, v169, v114
	;; [unrolled: 1-line block ×6, first 2 shown]
	v_mad_i32_i24 v134, v162, v108, v134
	v_mad_i32_i24 v158, v190, v108, v158
	;; [unrolled: 1-line block ×3, first 2 shown]
	v_bfe_i32 v107, v4, 16, 8
	v_ashrrev_i32_e32 v4, 24, v4
	v_bfe_u32 v132, v11, 16, 4
	v_bfe_u32 v133, v11, 24, 4
	v_mul_i32_i24_e32 v131, v131, v106
	v_mul_i32_i24_e32 v144, v144, v117
	v_bfe_u32 v160, v89, 16, 4
	v_bfe_u32 v161, v89, 24, 4
	v_bfe_u32 v188, v93, 16, 4
	v_bfe_u32 v189, v93, 24, 4
	v_bfe_u32 v217, v97, 16, 4
	v_bfe_u32 v220, v97, 24, 4
	v_mul_i32_i24_e32 v12, v12, v1
	v_mul_i32_i24_e32 v159, v159, v106
	;; [unrolled: 1-line block ×10, first 2 shown]
	v_add3_u32 v130, v130, v137, v141
	v_add3_u32 v134, v134, v165, v169
	;; [unrolled: 1-line block ×4, first 2 shown]
	v_bfe_i32 v118, v6, 8, 8
	v_bfe_i32 v119, v6, 16, 8
	v_ashrrev_i32_e32 v6, 24, v6
	v_bfe_i32 v120, v2, 0, 8
	v_bfe_i32 v123, v7, 0, 8
	v_bfe_u32 v148, v13, 4, 4
	v_and_b32_e32 v151, 15, v14
	v_bfe_u32 v173, v91, 8, 4
	v_bfe_u32 v176, v91, 4, 4
	v_and_b32_e32 v179, 15, v92
	v_bfe_u32 v201, v95, 8, 4
	v_bfe_u32 v203, v95, 24, 4
	;; [unrolled: 1-line block ×3, first 2 shown]
	v_and_b32_e32 v207, 15, v96
	v_bfe_u32 v232, v99, 4, 4
	v_and_b32_e32 v235, 15, v100
	v_mul_i32_i24_e32 v132, v132, v107
	v_mul_i32_i24_e32 v133, v133, v4
	;; [unrolled: 1-line block ×8, first 2 shown]
	v_add3_u32 v111, v130, v144, v131
	v_add3_u32 v114, v134, v172, v159
	;; [unrolled: 1-line block ×4, first 2 shown]
	v_bfe_i32 v109, v0, 8, 8
	v_bfe_i32 v110, v0, 16, 8
	v_bfe_u32 v129, v11, 20, 4
	v_bfe_u32 v135, v11, 12, 4
	;; [unrolled: 1-line block ×8, first 2 shown]
	v_mul_i32_i24_e32 v148, v148, v120
	v_mul_i32_i24_e32 v151, v151, v123
	;; [unrolled: 1-line block ×11, first 2 shown]
	v_add3_u32 v106, v111, v132, v133
	v_add3_u32 v111, v114, v160, v161
	;; [unrolled: 1-line block ×4, first 2 shown]
	v_ashrrev_i32_e32 v0, 24, v0
	v_bfe_i32 v112, v5, 8, 8
	v_lshrrev_b32_e32 v11, 28, v11
	v_lshrrev_b32_e32 v89, 28, v89
	;; [unrolled: 1-line block ×4, first 2 shown]
	v_mul_i32_i24_e32 v135, v135, v109
	v_mul_i32_i24_e32 v129, v129, v110
	;; [unrolled: 1-line block ×8, first 2 shown]
	v_add3_u32 v98, v106, v148, v151
	v_add3_u32 v106, v111, v176, v179
	;; [unrolled: 1-line block ×4, first 2 shown]
	v_bfe_i32 v113, v5, 16, 8
	v_ashrrev_i32_e32 v5, 24, v5
	v_mul_i32_i24_e32 v11, v11, v0
	v_mul_i32_i24_e32 v138, v138, v112
	;; [unrolled: 1-line block ×8, first 2 shown]
	v_add3_u32 v98, v98, v135, v129
	v_add3_u32 v106, v106, v163, v157
	;; [unrolled: 1-line block ×4, first 2 shown]
	v_bfe_i32 v126, v3, 0, 8
	v_bfe_u32 v155, v14, 4, 4
	v_bfe_u32 v183, v92, 4, 4
	;; [unrolled: 1-line block ×4, first 2 shown]
	v_mul_i32_i24_e32 v139, v139, v113
	v_mul_i32_i24_e32 v140, v140, v5
	;; [unrolled: 1-line block ×8, first 2 shown]
	v_add3_u32 v11, v98, v11, v138
	v_add3_u32 v89, v106, v89, v97
	;; [unrolled: 1-line block ×4, first 2 shown]
	v_mul_i32_i24_e32 v142, v142, v115
	v_mul_i32_i24_e32 v155, v155, v126
	;; [unrolled: 1-line block ×8, first 2 shown]
	v_add3_u32 v11, v11, v139, v140
	v_add3_u32 v89, v89, v167, v168
	;; [unrolled: 1-line block ×4, first 2 shown]
	v_bfe_u32 v145, v13, 8, 4
	v_bfe_u32 v146, v13, 16, 4
	;; [unrolled: 1-line block ×6, first 2 shown]
	v_mul_i32_i24_e32 v136, v136, v116
	v_mul_i32_i24_e32 v164, v164, v116
	;; [unrolled: 1-line block ×4, first 2 shown]
	v_add3_u32 v5, v11, v155, v142
	v_add3_u32 v11, v89, v183, v170
	;; [unrolled: 1-line block ×4, first 2 shown]
	v_bfe_i32 v121, v2, 8, 8
	v_bfe_u32 v147, v13, 24, 4
	v_bfe_u32 v149, v13, 12, 4
	;; [unrolled: 1-line block ×7, first 2 shown]
	v_mul_i32_i24_e32 v145, v145, v118
	v_mul_i32_i24_e32 v146, v146, v119
	;; [unrolled: 1-line block ×6, first 2 shown]
	v_add3_u32 v5, v5, v136, v12
	v_add3_u32 v11, v11, v164, v90
	;; [unrolled: 1-line block ×4, first 2 shown]
	v_bfe_i32 v122, v2, 16, 8
	v_ashrrev_i32_e32 v2, 24, v2
	v_bfe_u32 v143, v13, 20, 4
	v_lshrrev_b32_e32 v13, 28, v13
	v_bfe_u32 v171, v91, 20, 4
	v_lshrrev_b32_e32 v91, 28, v91
	;; [unrolled: 2-line block ×4, first 2 shown]
	v_mul_i32_i24_e32 v147, v147, v6
	v_mul_i32_i24_e32 v149, v149, v121
	;; [unrolled: 1-line block ×7, first 2 shown]
	v_add3_u32 v5, v5, v145, v146
	v_add3_u32 v11, v11, v117, v174
	;; [unrolled: 1-line block ×4, first 2 shown]
	v_bfe_i32 v124, v7, 8, 8
	v_bfe_i32 v125, v7, 16, 8
	v_bfe_u32 v152, v14, 8, 4
	v_bfe_u32 v153, v14, 16, 4
	;; [unrolled: 1-line block ×8, first 2 shown]
	v_mul_i32_i24_e32 v143, v143, v122
	v_mul_i32_i24_e32 v13, v13, v2
	v_mul_i32_i24_e32 v171, v171, v122
	v_mul_i32_i24_e32 v91, v91, v2
	v_mul_i32_i24_e32 v199, v199, v122
	v_mul_i32_i24_e32 v95, v95, v2
	v_mul_i32_i24_e32 v109, v227, v122
	v_mul_i32_i24_e32 v2, v99, v2
	v_add3_u32 v5, v5, v147, v149
	v_add3_u32 v11, v11, v175, v177
	;; [unrolled: 1-line block ×4, first 2 shown]
	v_ashrrev_i32_e32 v7, 24, v7
	v_bfe_i32 v127, v3, 8, 8
	v_bfe_u32 v154, v14, 24, 4
	v_bfe_u32 v156, v14, 12, 4
	;; [unrolled: 1-line block ×8, first 2 shown]
	v_mul_i32_i24_e32 v152, v152, v124
	v_mul_i32_i24_e32 v153, v153, v125
	v_mul_i32_i24_e32 v180, v180, v124
	v_mul_i32_i24_e32 v181, v181, v125
	v_mul_i32_i24_e32 v204, v209, v124
	v_mul_i32_i24_e32 v205, v211, v125
	v_mul_i32_i24_e32 v4, v236, v124
	v_mul_i32_i24_e32 v1, v237, v125
	v_add3_u32 v5, v5, v143, v13
	v_add3_u32 v11, v11, v171, v91
	;; [unrolled: 1-line block ×4, first 2 shown]
	v_bfe_i32 v128, v3, 16, 8
	v_ashrrev_i32_e32 v3, 24, v3
	v_bfe_u32 v150, v14, 20, 4
	v_lshrrev_b32_e32 v14, 28, v14
	v_bfe_u32 v178, v92, 20, 4
	v_lshrrev_b32_e32 v92, 28, v92
	;; [unrolled: 2-line block ×4, first 2 shown]
	v_mul_i32_i24_e32 v154, v154, v7
	v_mul_i32_i24_e32 v156, v156, v127
	;; [unrolled: 1-line block ×8, first 2 shown]
	v_add3_u32 v5, v5, v152, v153
	v_add3_u32 v11, v11, v180, v181
	;; [unrolled: 1-line block ×4, first 2 shown]
	s_waitcnt lgkmcnt(0)
	v_lshrrev_b32_e32 v241, 16, v104
	v_mul_i32_i24_e32 v150, v150, v128
	v_mul_i32_i24_e32 v14, v14, v3
	;; [unrolled: 1-line block ×8, first 2 shown]
	v_add3_u32 v3, v5, v154, v156
	v_add3_u32 v4, v11, v182, v184
	;; [unrolled: 1-line block ×4, first 2 shown]
	v_cvt_f32_f16_e64 v6, v241
	v_add3_u32 v3, v3, v150, v14
	v_add3_u32 v4, v4, v178, v92
	;; [unrolled: 1-line block ×4, first 2 shown]
	v_dual_mul_f32 v1, 0xc1000000, v6 :: v_dual_add_nc_u32 v84, 4, v84
	v_cvt_f32_i32_e32 v2, v3
	v_cvt_f32_i32_e32 v3, v4
	;; [unrolled: 1-line block ×4, first 2 shown]
	s_delay_alu instid0(VALU_DEP_4) | instskip(NEXT) | instid1(VALU_DEP_4)
	v_fma_mix_f32 v2, v104, v2, v1 op_sel_hi:[1,0,0]
	v_fma_mix_f32 v3, v104, v3, v1 op_sel_hi:[1,0,0]
	s_delay_alu instid0(VALU_DEP_4) | instskip(NEXT) | instid1(VALU_DEP_4)
	v_fma_mix_f32 v4, v104, v4, v1 op_sel_hi:[1,0,0]
	v_fma_mix_f32 v0, v104, v0, v1 op_sel_hi:[1,0,0]
	v_add_nc_u32_e32 v86, 4, v86
	v_fmac_f32_e32 v17, v101, v2
	s_delay_alu instid0(VALU_DEP_4) | instskip(NEXT) | instid1(VALU_DEP_4)
	v_dual_fmac_f32 v55, v88, v3 :: v_dual_fmac_f32 v44, v102, v4
	v_fmac_f32_e32 v8, v103, v0
	s_cbranch_scc1 .LBB217_12
; %bb.13:                               ;   in Loop: Header=BB217_5 Depth=1
	s_bitset1_b32 s18, 7
	s_delay_alu instid0(SALU_CYCLE_1)
	s_cmp_ge_i32 s18, s11
	s_barrier
	buffer_gl0_inv
	s_cbranch_scc1 .LBB217_4
; %bb.14:                               ;   in Loop: Header=BB217_5 Depth=1
	v_add_nc_u32_e32 v0, s17, v63
	s_delay_alu instid0(VALU_DEP_1) | instskip(NEXT) | instid1(VALU_DEP_1)
	v_cmp_gt_i32_e64 s1, s10, v0
	s_and_b32 s18, s0, s1
	s_delay_alu instid0(SALU_CYCLE_1)
	s_and_saveexec_b32 s1, s18
	s_cbranch_execz .LBB217_16
; %bb.15:                               ;   in Loop: Header=BB217_5 Depth=1
	v_add_nc_u32_e32 v2, v64, v0
	s_delay_alu instid0(VALU_DEP_1)
	v_mad_i64_i32 v[0:1], null, v2, 36, v[9:10]
	global_load_b32 v0, v[0:1], off offset:4
	s_waitcnt vmcnt(0)
	ds_store_b32 v60, v0
.LBB217_16:                             ;   in Loop: Header=BB217_5 Depth=1
	s_or_b32 exec_lo, exec_lo, s1
	s_and_saveexec_b32 s18, vcc_lo
	s_cbranch_execz .LBB217_19
; %bb.17:                               ;   in Loop: Header=BB217_5 Depth=1
	v_or_b32_e32 v0, s17, v16
	s_delay_alu instid0(VALU_DEP_1) | instskip(NEXT) | instid1(VALU_DEP_1)
	v_or_b32_e32 v1, 4, v0
	v_cmp_gt_i32_e64 s1, s10, v1
	s_delay_alu instid0(VALU_DEP_1) | instskip(NEXT) | instid1(SALU_CYCLE_1)
	s_and_b32 s1, s0, s1
	s_and_b32 exec_lo, exec_lo, s1
	s_cbranch_execz .LBB217_19
; %bb.18:                               ;   in Loop: Header=BB217_5 Depth=1
	v_ashrrev_i32_e32 v1, 31, v0
	v_add_co_u32 v2, s1, v64, v0
	s_delay_alu instid0(VALU_DEP_1) | instskip(NEXT) | instid1(VALU_DEP_2)
	v_add_co_ci_u32_e64 v3, s1, v65, v1, s1
	v_mad_u64_u32 v[0:1], null, v2, 36, s[12:13]
	s_delay_alu instid0(VALU_DEP_1)
	v_mad_i32_i24 v1, v3, 36, v1
	global_load_b32 v0, v[0:1], off
	s_waitcnt vmcnt(0)
	ds_store_b32 v61, v0
.LBB217_19:                             ;   in Loop: Header=BB217_5 Depth=1
	s_or_b32 exec_lo, exec_lo, s18
	v_dual_mov_b32 v0, v71 :: v_dual_mov_b32 v1, v70
	v_dual_mov_b32 v2, v76 :: v_dual_mov_b32 v3, v75
	;; [unrolled: 1-line block ×3, first 2 shown]
	v_mov_b32_e32 v6, v72
	s_mov_b32 s1, 12
	s_waitcnt lgkmcnt(0)
	s_barrier
	buffer_gl0_inv
.LBB217_20:                             ;   Parent Loop BB217_5 Depth=1
                                        ; =>  This Inner Loop Header: Depth=2
	ds_load_b128 v[81:84], v1
	ds_load_b128 v[85:88], v1 offset:16
	ds_load_b32 v7, v0
	ds_load_2addr_b32 v[13:14], v2 offset1:1
	ds_load_b32 v11, v4
	ds_load_b32 v12, v3
	ds_load_2addr_b32 v[89:90], v2 offset0:2 offset1:3
	ds_load_b32 v103, v5
	ds_load_b32 v104, v6
	v_add_nc_u32_e32 v91, 0x1080, v2
	v_add_nc_u32_e32 v93, 0x1088, v2
	;; [unrolled: 1-line block ×6, first 2 shown]
	ds_load_2addr_b32 v[91:92], v91 offset1:1
	ds_load_2addr_b32 v[93:94], v93 offset1:1
	;; [unrolled: 1-line block ×6, first 2 shown]
	v_add_nc_u32_e32 v3, 4, v3
	v_add_nc_u32_e32 v2, 16, v2
	;; [unrolled: 1-line block ×4, first 2 shown]
	s_add_i32 s1, s1, 4
	s_waitcnt lgkmcnt(14)
	v_bfe_i32 v105, v81, 0, 8
	v_bfe_i32 v106, v81, 8, 8
	v_bfe_i32 v107, v81, 16, 8
	s_waitcnt lgkmcnt(11)
	v_and_b32_e32 v131, 15, v13
	v_ashrrev_i32_e32 v81, 24, v81
	v_bfe_i32 v108, v85, 0, 8
	v_bfe_i32 v109, v85, 8, 8
	v_bfe_i32 v111, v82, 0, 8
	v_bfe_i32 v112, v82, 8, 8
	v_bfe_i32 v113, v82, 16, 8
	v_ashrrev_i32_e32 v82, 24, v82
	v_bfe_i32 v114, v86, 0, 8
	v_bfe_i32 v115, v86, 8, 8
	v_bfe_i32 v117, v83, 0, 8
	v_bfe_i32 v118, v83, 8, 8
	v_bfe_i32 v119, v83, 16, 8
	;; [unrolled: 6-line block ×3, first 2 shown]
	v_ashrrev_i32_e32 v84, 24, v84
	v_bfe_i32 v126, v88, 0, 8
	v_bfe_i32 v127, v88, 8, 8
	v_bfe_u32 v135, v13, 4, 4
	v_mul_i32_i24_e32 v131, v131, v105
	s_waitcnt lgkmcnt(5)
	v_and_b32_e32 v159, 15, v91
	v_bfe_u32 v160, v91, 8, 4
	v_bfe_u32 v161, v91, 16, 4
	;; [unrolled: 1-line block ×4, first 2 shown]
	v_and_b32_e32 v166, 15, v92
	v_bfe_u32 v167, v92, 8, 4
	v_bfe_u32 v168, v92, 16, 4
	;; [unrolled: 1-line block ×5, first 2 shown]
	s_waitcnt lgkmcnt(4)
	v_and_b32_e32 v173, 15, v93
	v_bfe_u32 v174, v93, 8, 4
	v_bfe_u32 v175, v93, 16, 4
	;; [unrolled: 1-line block ×5, first 2 shown]
	v_and_b32_e32 v180, 15, v94
	v_bfe_u32 v181, v94, 8, 4
	v_bfe_u32 v182, v94, 16, 4
	;; [unrolled: 1-line block ×5, first 2 shown]
	s_waitcnt lgkmcnt(3)
	v_and_b32_e32 v187, 15, v95
	s_waitcnt lgkmcnt(1)
	v_and_b32_e32 v215, 15, v99
	v_bfe_i32 v110, v85, 16, 8
	v_ashrrev_i32_e32 v85, 24, v85
	v_bfe_i32 v116, v86, 16, 8
	v_ashrrev_i32_e32 v86, 24, v86
	v_bfe_u32 v130, v13, 20, 4
	v_bfe_u32 v132, v13, 8, 4
	;; [unrolled: 1-line block ×5, first 2 shown]
	v_lshrrev_b32_e32 v13, 28, v13
	v_bfe_u32 v137, v14, 20, 4
	v_and_b32_e32 v138, 15, v14
	v_bfe_u32 v139, v14, 8, 4
	v_bfe_u32 v140, v14, 16, 4
	v_bfe_u32 v141, v14, 24, 4
	v_bfe_u32 v142, v14, 4, 4
	v_bfe_u32 v143, v14, 12, 4
	v_lshrrev_b32_e32 v14, 28, v14
	v_and_b32_e32 v145, 15, v89
	v_bfe_u32 v146, v89, 8, 4
	v_bfe_u32 v158, v91, 20, 4
	;; [unrolled: 1-line block ×3, first 2 shown]
	v_lshrrev_b32_e32 v91, 28, v91
	v_bfe_u32 v165, v92, 20, 4
	v_lshrrev_b32_e32 v92, 28, v92
	v_bfe_u32 v186, v95, 20, 4
	v_bfe_u32 v188, v95, 8, 4
	;; [unrolled: 1-line block ×6, first 2 shown]
	v_lshrrev_b32_e32 v95, 28, v95
	v_bfe_u32 v193, v96, 20, 4
	v_and_b32_e32 v194, 15, v96
	v_bfe_u32 v195, v96, 8, 4
	v_bfe_u32 v196, v96, 16, 4
	;; [unrolled: 1-line block ×5, first 2 shown]
	v_lshrrev_b32_e32 v96, 28, v96
	v_and_b32_e32 v201, 15, v97
	v_bfe_u32 v202, v97, 8, 4
	v_bfe_u32 v214, v99, 20, 4
	;; [unrolled: 1-line block ×7, first 2 shown]
	v_lshrrev_b32_e32 v99, 28, v99
	v_bfe_u32 v221, v100, 20, 4
	v_and_b32_e32 v222, 15, v100
	v_bfe_u32 v223, v100, 8, 4
	v_bfe_u32 v224, v100, 16, 4
	;; [unrolled: 1-line block ×5, first 2 shown]
	v_lshrrev_b32_e32 v100, 28, v100
	s_waitcnt lgkmcnt(0)
	v_and_b32_e32 v229, 15, v101
	v_bfe_u32 v230, v101, 8, 4
	v_mad_i32_i24 v131, v135, v108, v131
	v_mul_i32_i24_e32 v135, v159, v105
	v_mul_i32_i24_e32 v159, v160, v106
	;; [unrolled: 1-line block ×25, first 2 shown]
	v_bfe_u32 v147, v89, 16, 4
	v_mul_i32_i24_e32 v13, v13, v85
	v_mul_i32_i24_e32 v138, v138, v111
	v_mul_i32_i24_e32 v139, v139, v112
	v_mul_i32_i24_e32 v140, v140, v113
	v_mul_i32_i24_e32 v142, v142, v114
	v_mul_i32_i24_e32 v143, v143, v115
	v_mul_i32_i24_e32 v137, v137, v116
	v_mul_i32_i24_e32 v14, v14, v86
	v_mul_i32_i24_e32 v145, v145, v117
	v_mul_i32_i24_e32 v146, v146, v118
	v_bfe_u32 v203, v97, 16, 4
	v_bfe_u32 v231, v101, 16, 4
	v_mul_i32_i24_e32 v91, v91, v85
	v_mul_i32_i24_e32 v165, v165, v116
	;; [unrolled: 1-line block ×28, first 2 shown]
	v_mad_i32_i24 v117, v163, v108, v135
	v_mad_i32_i24 v118, v191, v108, v185
	;; [unrolled: 1-line block ×3, first 2 shown]
	v_mul_i32_i24_e32 v132, v132, v106
	v_mul_i32_i24_e32 v147, v147, v119
	v_mul_i32_i24_e32 v202, v203, v119
	v_mul_i32_i24_e32 v106, v216, v106
	v_mul_i32_i24_e32 v108, v231, v119
	v_add3_u32 v119, v131, v138, v142
	v_add3_u32 v117, v117, v164, v169
	;; [unrolled: 1-line block ×4, first 2 shown]
	v_bfe_u32 v149, v89, 4, 4
	v_and_b32_e32 v152, 15, v90
	v_mul_i32_i24_e32 v133, v133, v107
	v_mul_i32_i24_e32 v134, v134, v81
	v_bfe_u32 v204, v97, 24, 4
	v_bfe_u32 v205, v97, 4, 4
	;; [unrolled: 1-line block ×3, first 2 shown]
	v_and_b32_e32 v208, 15, v98
	v_bfe_u32 v233, v101, 4, 4
	v_and_b32_e32 v236, 15, v102
	v_mul_i32_i24_e32 v107, v217, v107
	v_mul_i32_i24_e32 v81, v218, v81
	v_add3_u32 v113, v119, v145, v132
	v_add3_u32 v117, v117, v171, v159
	v_add3_u32 v118, v118, v199, v187
	v_add3_u32 v99, v99, v100, v106
	v_mul_i32_i24_e32 v149, v149, v120
	v_mul_i32_i24_e32 v152, v152, v123
	;; [unrolled: 1-line block ×8, first 2 shown]
	v_add3_u32 v106, v113, v133, v134
	v_add3_u32 v113, v117, v160, v161
	;; [unrolled: 1-line block ×4, first 2 shown]
	v_mul_i32_i24_e32 v136, v136, v109
	v_mul_i32_i24_e32 v130, v130, v110
	;; [unrolled: 1-line block ×6, first 2 shown]
	v_add3_u32 v99, v106, v149, v152
	v_add3_u32 v106, v113, v176, v178
	v_add3_u32 v107, v117, v204, v206
	v_add3_u32 v81, v81, v105, v100
	v_bfe_u32 v156, v90, 4, 4
	v_add3_u32 v99, v99, v136, v130
	v_add3_u32 v105, v106, v162, v158
	;; [unrolled: 1-line block ×4, first 2 shown]
	v_mul_i32_i24_e32 v141, v141, v82
	v_bfe_u32 v209, v98, 8, 4
	v_bfe_u32 v210, v98, 16, 4
	;; [unrolled: 1-line block ×5, first 2 shown]
	v_mul_i32_i24_e32 v82, v225, v82
	v_add3_u32 v13, v99, v13, v139
	v_add3_u32 v91, v105, v91, v166
	;; [unrolled: 1-line block ×4, first 2 shown]
	v_bfe_i32 v122, v87, 16, 8
	v_ashrrev_i32_e32 v87, 24, v87
	v_bfe_u32 v144, v89, 20, 4
	v_bfe_u32 v148, v89, 24, 4
	;; [unrolled: 1-line block ×3, first 2 shown]
	v_lshrrev_b32_e32 v89, 28, v89
	v_mul_i32_i24_e32 v156, v156, v126
	v_bfe_u32 v172, v93, 20, 4
	v_lshrrev_b32_e32 v93, 28, v93
	v_bfe_u32 v200, v97, 20, 4
	v_lshrrev_b32_e32 v97, 28, v97
	v_bfe_u32 v228, v101, 20, 4
	v_bfe_u32 v232, v101, 24, 4
	;; [unrolled: 1-line block ×3, first 2 shown]
	v_lshrrev_b32_e32 v101, 28, v101
	v_mul_i32_i24_e32 v208, v209, v124
	v_mul_i32_i24_e32 v209, v210, v125
	;; [unrolled: 1-line block ×5, first 2 shown]
	v_add3_u32 v13, v13, v140, v141
	v_add3_u32 v91, v91, v167, v168
	;; [unrolled: 1-line block ×4, first 2 shown]
	v_mul_i32_i24_e32 v89, v89, v87
	v_mul_i32_i24_e32 v93, v93, v87
	;; [unrolled: 1-line block ×4, first 2 shown]
	v_add3_u32 v13, v13, v156, v143
	v_add3_u32 v87, v91, v183, v170
	v_add3_u32 v91, v95, v211, v198
	v_add3_u32 v81, v81, v85, v114
	v_mul_i32_i24_e32 v148, v148, v83
	v_add3_u32 v13, v13, v137, v14
	v_add3_u32 v14, v87, v165, v92
	;; [unrolled: 1-line block ×4, first 2 shown]
	v_mul_i32_i24_e32 v150, v150, v121
	v_mul_i32_i24_e32 v83, v232, v83
	;; [unrolled: 1-line block ×3, first 2 shown]
	v_add3_u32 v13, v13, v146, v147
	v_add3_u32 v14, v14, v173, v174
	;; [unrolled: 1-line block ×4, first 2 shown]
	v_bfe_u32 v153, v90, 8, 4
	v_bfe_u32 v154, v90, 16, 4
	v_mul_i32_i24_e32 v144, v144, v122
	v_bfe_u32 v237, v102, 8, 4
	v_bfe_u32 v238, v102, 16, 4
	v_mul_i32_i24_e32 v172, v172, v122
	v_mul_i32_i24_e32 v200, v200, v122
	;; [unrolled: 1-line block ×3, first 2 shown]
	v_add3_u32 v13, v13, v148, v150
	v_add3_u32 v14, v14, v175, v177
	;; [unrolled: 1-line block ×4, first 2 shown]
	v_bfe_u32 v155, v90, 24, 4
	v_bfe_u32 v157, v90, 12, 4
	v_mul_i32_i24_e32 v153, v153, v124
	v_mul_i32_i24_e32 v154, v154, v125
	v_bfe_u32 v213, v98, 12, 4
	v_bfe_u32 v239, v102, 24, 4
	;; [unrolled: 1-line block ×3, first 2 shown]
	v_mul_i32_i24_e32 v85, v237, v124
	v_mul_i32_i24_e32 v86, v238, v125
	v_add3_u32 v13, v13, v144, v89
	v_add3_u32 v14, v14, v172, v93
	;; [unrolled: 1-line block ×4, first 2 shown]
	v_bfe_i32 v128, v88, 16, 8
	v_ashrrev_i32_e32 v88, 24, v88
	v_bfe_u32 v151, v90, 20, 4
	v_lshrrev_b32_e32 v90, 28, v90
	v_mul_i32_i24_e32 v155, v155, v84
	v_mul_i32_i24_e32 v157, v157, v127
	v_bfe_u32 v179, v94, 20, 4
	v_lshrrev_b32_e32 v94, 28, v94
	v_bfe_u32 v207, v98, 20, 4
	v_lshrrev_b32_e32 v98, 28, v98
	;; [unrolled: 2-line block ×3, first 2 shown]
	v_mul_i32_i24_e32 v212, v213, v127
	v_mul_i32_i24_e32 v84, v239, v84
	;; [unrolled: 1-line block ×3, first 2 shown]
	v_add3_u32 v13, v13, v153, v154
	v_add3_u32 v14, v14, v180, v181
	;; [unrolled: 1-line block ×4, first 2 shown]
	v_lshrrev_b32_e32 v129, 16, v7
	v_mul_i32_i24_e32 v151, v151, v128
	v_mul_i32_i24_e32 v90, v90, v88
	;; [unrolled: 1-line block ×8, first 2 shown]
	v_add3_u32 v13, v13, v155, v157
	v_add3_u32 v14, v14, v182, v184
	;; [unrolled: 1-line block ×4, first 2 shown]
	v_cvt_f32_f16_e64 v83, v129
	v_add3_u32 v13, v13, v151, v90
	v_add3_u32 v14, v14, v179, v94
	;; [unrolled: 1-line block ×4, first 2 shown]
	v_dual_mul_f32 v82, 0xc1000000, v83 :: v_dual_add_nc_u32 v5, 4, v5
	v_cvt_f32_i32_e32 v13, v13
	v_cvt_f32_i32_e32 v14, v14
	;; [unrolled: 1-line block ×4, first 2 shown]
	s_cmp_lt_u32 s1, 28
	v_fma_mix_f32 v13, v7, v13, v82 op_sel_hi:[1,0,0]
	v_fma_mix_f32 v14, v7, v14, v82 op_sel_hi:[1,0,0]
	;; [unrolled: 1-line block ×4, first 2 shown]
	s_delay_alu instid0(VALU_DEP_4) | instskip(NEXT) | instid1(VALU_DEP_4)
	v_dual_fmac_f32 v17, v12, v13 :: v_dual_add_nc_u32 v6, 4, v6
	v_dual_fmac_f32 v55, v11, v14 :: v_dual_add_nc_u32 v4, 4, v4
	s_delay_alu instid0(VALU_DEP_4) | instskip(NEXT) | instid1(VALU_DEP_4)
	v_fmac_f32_e32 v44, v103, v83
	v_fmac_f32_e32 v8, v104, v7
	s_cbranch_scc1 .LBB217_20
; %bb.21:                               ;   in Loop: Header=BB217_5 Depth=1
	s_barrier
	buffer_gl0_inv
	s_branch .LBB217_4
.LBB217_22:
	s_mul_i32 s0, s7, s4
	s_waitcnt vmcnt(0)
	v_cmp_gt_i32_e32 vcc_lo, s0, v15
	s_and_saveexec_b32 s0, vcc_lo
	s_cbranch_execz .LBB217_31
; %bb.23:
	v_mul_lo_u32 v0, v15, s6
	v_add_nc_u32_e32 v1, s14, v16
	s_mov_b32 s0, exec_lo
	s_delay_alu instid0(VALU_DEP_1)
	v_cmpx_gt_u32_e64 s6, v1
	s_cbranch_execz .LBB217_25
; %bb.24:
	v_bfe_u32 v3, v17, 16, 1
	s_delay_alu instid0(VALU_DEP_4) | instskip(SKIP_1) | instid1(VALU_DEP_3)
	v_add_nc_u32_e32 v2, v0, v1
	v_cmp_o_f32_e32 vcc_lo, v17, v17
	v_add3_u32 v4, v17, v3, 0x7fff
	v_mov_b32_e32 v3, 0
	s_delay_alu instid0(VALU_DEP_2) | instskip(NEXT) | instid1(VALU_DEP_2)
	v_lshrrev_b32_e32 v4, 16, v4
	v_lshlrev_b64 v[2:3], 1, v[2:3]
	s_delay_alu instid0(VALU_DEP_2) | instskip(NEXT) | instid1(VALU_DEP_2)
	v_cndmask_b32_e32 v4, 0x7fc0, v4, vcc_lo
	v_add_co_u32 v2, vcc_lo, s8, v2
	s_delay_alu instid0(VALU_DEP_3)
	v_add_co_ci_u32_e32 v3, vcc_lo, s9, v3, vcc_lo
	global_store_b16 v[2:3], v4, off
.LBB217_25:
	s_or_b32 exec_lo, exec_lo, s0
	v_add_nc_u32_e32 v2, 32, v1
	s_mov_b32 s0, exec_lo
	s_delay_alu instid0(VALU_DEP_1)
	v_cmpx_gt_u32_e64 s6, v2
	s_cbranch_execz .LBB217_27
; %bb.26:
	v_bfe_u32 v3, v55, 16, 1
	v_add_nc_u32_e32 v2, v0, v2
	v_cmp_o_f32_e32 vcc_lo, v55, v55
	s_delay_alu instid0(VALU_DEP_3) | instskip(SKIP_1) | instid1(VALU_DEP_2)
	v_add3_u32 v4, v55, v3, 0x7fff
	v_mov_b32_e32 v3, 0
	v_lshrrev_b32_e32 v4, 16, v4
	s_delay_alu instid0(VALU_DEP_2) | instskip(NEXT) | instid1(VALU_DEP_2)
	v_lshlrev_b64 v[2:3], 1, v[2:3]
	v_cndmask_b32_e32 v4, 0x7fc0, v4, vcc_lo
	s_delay_alu instid0(VALU_DEP_2) | instskip(NEXT) | instid1(VALU_DEP_3)
	v_add_co_u32 v2, vcc_lo, s8, v2
	v_add_co_ci_u32_e32 v3, vcc_lo, s9, v3, vcc_lo
	global_store_b16 v[2:3], v4, off
.LBB217_27:
	s_or_b32 exec_lo, exec_lo, s0
	v_add_nc_u32_e32 v2, 64, v1
	s_mov_b32 s0, exec_lo
	s_delay_alu instid0(VALU_DEP_1)
	v_cmpx_gt_u32_e64 s6, v2
	s_cbranch_execz .LBB217_29
; %bb.28:
	v_bfe_u32 v3, v44, 16, 1
	v_add_nc_u32_e32 v2, v0, v2
	v_cmp_o_f32_e32 vcc_lo, v44, v44
	s_delay_alu instid0(VALU_DEP_3) | instskip(SKIP_1) | instid1(VALU_DEP_2)
	v_add3_u32 v4, v44, v3, 0x7fff
	v_mov_b32_e32 v3, 0
	v_lshrrev_b32_e32 v4, 16, v4
	s_delay_alu instid0(VALU_DEP_2) | instskip(NEXT) | instid1(VALU_DEP_2)
	v_lshlrev_b64 v[2:3], 1, v[2:3]
	v_cndmask_b32_e32 v4, 0x7fc0, v4, vcc_lo
	s_delay_alu instid0(VALU_DEP_2) | instskip(NEXT) | instid1(VALU_DEP_3)
	v_add_co_u32 v2, vcc_lo, s8, v2
	v_add_co_ci_u32_e32 v3, vcc_lo, s9, v3, vcc_lo
	global_store_b16 v[2:3], v4, off
.LBB217_29:
	s_or_b32 exec_lo, exec_lo, s0
	v_add_nc_u32_e32 v1, 0x60, v1
	s_delay_alu instid0(VALU_DEP_1)
	v_cmp_gt_u32_e32 vcc_lo, s6, v1
	s_and_b32 exec_lo, exec_lo, vcc_lo
	s_cbranch_execz .LBB217_31
; %bb.30:
	v_bfe_u32 v2, v8, 16, 1
	v_dual_mov_b32 v1, 0 :: v_dual_add_nc_u32 v0, v0, v1
	v_cmp_o_f32_e32 vcc_lo, v8, v8
	s_delay_alu instid0(VALU_DEP_3) | instskip(NEXT) | instid1(VALU_DEP_3)
	v_add3_u32 v2, v8, v2, 0x7fff
	v_lshlrev_b64 v[0:1], 1, v[0:1]
	s_delay_alu instid0(VALU_DEP_2) | instskip(NEXT) | instid1(VALU_DEP_1)
	v_lshrrev_b32_e32 v2, 16, v2
	v_cndmask_b32_e32 v2, 0x7fc0, v2, vcc_lo
	s_delay_alu instid0(VALU_DEP_3) | instskip(NEXT) | instid1(VALU_DEP_4)
	v_add_co_u32 v0, vcc_lo, s8, v0
	v_add_co_ci_u32_e32 v1, vcc_lo, s9, v1, vcc_lo
	global_store_b16 v[0:1], v2, off
.LBB217_31:
	s_nop 0
	s_sendmsg sendmsg(MSG_DEALLOC_VGPRS)
	s_endpgm
	.section	.rodata,"a",@progbits
	.p2align	6, 0x0
	.amdhsa_kernel _ZL8moe_q4_0IN3c108BFloat16ELb0EEvPKvS3_PT_PKiS7_S7_iiiiiii
		.amdhsa_group_segment_fixed_size 22272
		.amdhsa_private_segment_fixed_size 0
		.amdhsa_kernarg_size 76
		.amdhsa_user_sgpr_count 14
		.amdhsa_user_sgpr_dispatch_ptr 0
		.amdhsa_user_sgpr_queue_ptr 0
		.amdhsa_user_sgpr_kernarg_segment_ptr 1
		.amdhsa_user_sgpr_dispatch_id 0
		.amdhsa_user_sgpr_private_segment_size 0
		.amdhsa_wavefront_size32 1
		.amdhsa_uses_dynamic_stack 0
		.amdhsa_enable_private_segment 0
		.amdhsa_system_sgpr_workgroup_id_x 1
		.amdhsa_system_sgpr_workgroup_id_y 1
		.amdhsa_system_sgpr_workgroup_id_z 0
		.amdhsa_system_sgpr_workgroup_info 0
		.amdhsa_system_vgpr_workitem_id 1
		.amdhsa_next_free_vgpr 242
		.amdhsa_next_free_sgpr 20
		.amdhsa_reserve_vcc 1
		.amdhsa_float_round_mode_32 0
		.amdhsa_float_round_mode_16_64 0
		.amdhsa_float_denorm_mode_32 3
		.amdhsa_float_denorm_mode_16_64 3
		.amdhsa_dx10_clamp 1
		.amdhsa_ieee_mode 1
		.amdhsa_fp16_overflow 0
		.amdhsa_workgroup_processor_mode 1
		.amdhsa_memory_ordered 1
		.amdhsa_forward_progress 0
		.amdhsa_shared_vgpr_count 0
		.amdhsa_exception_fp_ieee_invalid_op 0
		.amdhsa_exception_fp_denorm_src 0
		.amdhsa_exception_fp_ieee_div_zero 0
		.amdhsa_exception_fp_ieee_overflow 0
		.amdhsa_exception_fp_ieee_underflow 0
		.amdhsa_exception_fp_ieee_inexact 0
		.amdhsa_exception_int_div_zero 0
	.end_amdhsa_kernel
	.section	.text._ZL8moe_q4_0IN3c108BFloat16ELb0EEvPKvS3_PT_PKiS7_S7_iiiiiii,"axG",@progbits,_ZL8moe_q4_0IN3c108BFloat16ELb0EEvPKvS3_PT_PKiS7_S7_iiiiiii,comdat
.Lfunc_end217:
	.size	_ZL8moe_q4_0IN3c108BFloat16ELb0EEvPKvS3_PT_PKiS7_S7_iiiiiii, .Lfunc_end217-_ZL8moe_q4_0IN3c108BFloat16ELb0EEvPKvS3_PT_PKiS7_S7_iiiiiii
                                        ; -- End function
	.section	.AMDGPU.csdata,"",@progbits
; Kernel info:
; codeLenInByte = 7696
; NumSgprs: 22
; NumVgprs: 242
; ScratchSize: 0
; MemoryBound: 0
; FloatMode: 240
; IeeeMode: 1
; LDSByteSize: 22272 bytes/workgroup (compile time only)
; SGPRBlocks: 2
; VGPRBlocks: 30
; NumSGPRsForWavesPerEU: 22
; NumVGPRsForWavesPerEU: 242
; Occupancy: 5
; WaveLimiterHint : 1
; COMPUTE_PGM_RSRC2:SCRATCH_EN: 0
; COMPUTE_PGM_RSRC2:USER_SGPR: 14
; COMPUTE_PGM_RSRC2:TRAP_HANDLER: 0
; COMPUTE_PGM_RSRC2:TGID_X_EN: 1
; COMPUTE_PGM_RSRC2:TGID_Y_EN: 1
; COMPUTE_PGM_RSRC2:TGID_Z_EN: 0
; COMPUTE_PGM_RSRC2:TIDIG_COMP_CNT: 1
	.section	.text._ZL8moe_q4_0IN3c108BFloat16ELb1EEvPKvS3_PT_PKiS7_S7_iiiiiii,"axG",@progbits,_ZL8moe_q4_0IN3c108BFloat16ELb1EEvPKvS3_PT_PKiS7_S7_iiiiiii,comdat
	.globl	_ZL8moe_q4_0IN3c108BFloat16ELb1EEvPKvS3_PT_PKiS7_S7_iiiiiii ; -- Begin function _ZL8moe_q4_0IN3c108BFloat16ELb1EEvPKvS3_PT_PKiS7_S7_iiiiiii
	.p2align	8
	.type	_ZL8moe_q4_0IN3c108BFloat16ELb1EEvPKvS3_PT_PKiS7_S7_iiiiiii,@function
_ZL8moe_q4_0IN3c108BFloat16ELb1EEvPKvS3_PT_PKiS7_S7_iiiiiii: ; @_ZL8moe_q4_0IN3c108BFloat16ELb1EEvPKvS3_PT_PKiS7_S7_iiiiiii
; %bb.0:
	s_load_b128 s[4:7], s[0:1], 0x18
	s_mov_b32 s2, s15
	s_mov_b32 s3, 0
	s_delay_alu instid0(SALU_CYCLE_1)
	s_lshl_b64 s[8:9], s[2:3], 2
	s_waitcnt lgkmcnt(0)
	s_add_u32 s6, s6, s8
	s_addc_u32 s7, s7, s9
	s_load_b32 s15, s[6:7], 0x0
	s_waitcnt lgkmcnt(0)
	s_cmpk_gt_u32 s15, 0xff
	s_cbranch_scc1 .LBB218_31
; %bb.1:
	s_load_b64 s[6:7], s[0:1], 0x28
	s_lshl_b32 s2, s2, 3
	s_waitcnt lgkmcnt(0)
	s_load_b32 s3, s[6:7], 0x0
	s_waitcnt lgkmcnt(0)
	s_cmp_gt_u32 s2, s3
	s_cbranch_scc1 .LBB218_31
; %bb.2:
	v_bfe_u32 v1, v0, 10, 10
	s_delay_alu instid0(VALU_DEP_1) | instskip(NEXT) | instid1(VALU_DEP_1)
	v_dual_mov_b32 v20, 0 :: v_dual_add_nc_u32 v19, s2, v1
	v_dual_mov_b32 v55, v20 :: v_dual_and_b32 v32, 0x3ff, v0
	v_mov_b32_e32 v58, v20
	v_mov_b32_e32 v33, v20
	s_delay_alu instid0(VALU_DEP_4) | instskip(NEXT) | instid1(VALU_DEP_1)
	v_lshlrev_b64 v[2:3], 2, v[19:20]
	v_add_co_u32 v2, vcc_lo, s4, v2
	s_delay_alu instid0(VALU_DEP_2)
	v_add_co_ci_u32_e32 v3, vcc_lo, s5, v3, vcc_lo
	global_load_b32 v31, v[2:3], off
	s_clause 0x1
	s_load_b256 s[4:11], s[0:1], 0x30
	s_load_b64 s[12:13], s[0:1], 0x10
	s_waitcnt lgkmcnt(0)
	s_lshl_b32 s11, s14, 7
	s_cmp_lt_i32 s5, 32
	s_cbranch_scc1 .LBB218_22
; %bb.3:
	s_load_b128 s[0:3], s[0:1], 0x0
	s_ashr_i32 s14, s5, 31
	s_mul_i32 s15, s15, s4
	s_lshr_b32 s4, s14, 27
	s_ashr_i32 s16, s8, 31
	s_add_i32 s4, s5, s4
	s_lshr_b32 s14, s16, 27
	s_ashr_i32 s4, s4, 5
	s_add_i32 s8, s8, s14
	s_mul_i32 s14, s4, s11
	s_ashr_i32 s16, s15, 31
	s_ashr_i32 s8, s8, 5
	s_mul_hi_i32 s17, s14, 18
	s_mul_i32 s14, s14, 18
	v_dual_mov_b32 v33, 0 :: v_dual_add_nc_u32 v2, 8, v1
	v_lshlrev_b32_e32 v0, 2, v32
	v_add_nc_u32_e32 v3, 16, v1
	v_add_nc_u32_e32 v5, 24, v1
	;; [unrolled: 1-line block ×3, first 2 shown]
	s_waitcnt lgkmcnt(0)
	s_add_u32 s0, s0, s15
	s_addc_u32 s1, s1, s16
	s_add_u32 s16, s0, s14
	s_addc_u32 s17, s1, s17
	s_not_b32 s0, s11
	s_abs_i32 s1, s10
	s_add_i32 s0, s0, s6
	v_lshrrev_b32_e32 v49, 3, v32
	v_min_i32_e32 v4, s0, v1
	v_min_i32_e32 v2, s0, v2
	;; [unrolled: 1-line block ×3, first 2 shown]
	s_sub_i32 s6, 0, s1
	s_waitcnt vmcnt(0)
	v_sub_nc_u32_e32 v27, 0, v31
	v_mad_u64_u32 v[8:9], null, 0x84, v4, v[0:1]
	v_mul_lo_u32 v37, v2, s4
	v_mad_u64_u32 v[9:10], null, 0x84, v2, v[0:1]
	v_min_i32_e32 v2, s0, v5
	v_mul_lo_u32 v36, v4, s4
	v_add_nc_u32_e32 v4, 32, v1
	v_mul_lo_u32 v38, v3, s4
	v_mad_u64_u32 v[10:11], null, 0x84, v3, v[0:1]
	v_add_nc_u32_e32 v3, 40, v1
	v_mul_lo_u32 v39, v2, s4
	v_mad_u64_u32 v[11:12], null, 0x84, v2, v[0:1]
	v_add_nc_u32_e32 v2, 48, v1
	v_min_i32_e32 v4, s0, v4
	v_min_i32_e32 v3, s0, v3
	v_cvt_f32_u32_e32 v5, s1
	v_max_i32_e32 v27, v31, v27
	v_min_i32_e32 v2, s0, v2
	v_mul_lo_u32 v40, v4, s4
	v_mad_u64_u32 v[12:13], null, 0x84, v4, v[0:1]
	v_add_nc_u32_e32 v4, 56, v1
	v_mul_lo_u32 v41, v3, s4
	v_mad_u64_u32 v[13:14], null, 0x84, v3, v[0:1]
	v_add_nc_u32_e32 v3, 64, v1
	;; [unrolled: 3-line block ×3, first 2 shown]
	v_min_i32_e32 v4, s0, v4
	v_min_i32_e32 v3, s0, v3
	v_and_b32_e32 v53, 7, v32
	v_lshlrev_b32_e32 v58, 7, v1
	v_min_i32_e32 v2, s0, v2
	v_mad_u64_u32 v[15:16], null, 0x84, v4, v[0:1]
	v_mad_u64_u32 v[16:17], null, 0x84, v3, v[0:1]
	s_delay_alu instid0(VALU_DEP_3)
	v_mul_lo_u32 v45, v2, s4
	v_mad_u64_u32 v[17:18], null, 0x84, v2, v[0:1]
	v_add_nc_u32_e32 v2, 0x60, v1
	v_mul_lo_u32 v43, v4, s4
	v_add_nc_u32_e32 v4, 0x50, v1
	v_mul_lo_u32 v44, v3, s4
	v_add_nc_u32_e32 v3, 0x58, v1
	v_min_i32_e32 v2, s0, v2
	v_lshlrev_b32_e32 v28, 2, v53
	v_min_i32_e32 v4, s0, v4
	v_and_b32_e32 v65, 0xfc, v32
	v_min_i32_e32 v3, s0, v3
	v_mul_lo_u32 v48, v2, s4
	v_mad_u64_u32 v[21:22], null, 0x84, v2, v[0:1]
	v_rcp_iflag_f32_e32 v2, v5
	v_mad_u64_u32 v[18:19], null, 0x84, v4, v[0:1]
	v_mul_lo_u32 v47, v3, s4
	v_mad_u64_u32 v[19:20], null, 0x84, v3, v[0:1]
	v_add_nc_u32_e32 v3, 0x68, v1
	v_add_nc_u32_e32 v20, 0x78, v1
	v_min_i32_e32 v5, s0, v6
	v_mul_lo_u32 v46, v4, s4
	s_delay_alu instid0(TRANS32_DEP_1)
	v_mul_f32_e32 v2, 0x4f7ffffe, v2
	v_min_i32_e32 v3, s0, v3
	v_min_i32_e32 v20, s0, v20
	v_lshlrev_b32_e32 v4, 2, v1
	v_mul_lo_u32 v51, v5, s4
	v_cvt_u32_f32_e32 v2, v2
	v_mad_u64_u32 v[22:23], null, 0x84, v3, v[0:1]
	v_mad_u64_u32 v[23:24], null, 0x84, v5, v[0:1]
	v_mul_lo_u32 v52, v20, s4
	v_mad_u64_u32 v[24:25], null, 0x84, v20, v[0:1]
	v_mul_lo_u32 v20, s6, v2
	v_add_nc_u32_e32 v7, v49, v4
	v_mul_lo_u32 v50, v3, s4
	v_or_b32_e32 v4, v4, v32
	v_lshrrev_b32_e32 v34, 2, v32
	v_add_nc_u32_e32 v70, 0x5280, v58
	v_add_nc_u32_e32 v5, 32, v7
	;; [unrolled: 1-line block ×3, first 2 shown]
	v_mul_hi_u32 v20, v2, v20
	v_min_i32_e32 v6, s0, v7
	v_add_nc_u32_e32 v7, 0x60, v7
	v_min_i32_e32 v5, s0, v5
	v_min_i32_e32 v25, s0, v25
	v_lshl_add_u32 v61, v4, 2, 0x5680
	v_ashrrev_i32_e32 v3, 31, v6
	v_min_i32_e32 v7, s0, v7
	v_add_nc_u32_e32 v2, v2, v20
	v_ashrrev_i32_e32 v26, 31, v5
	v_ashrrev_i32_e32 v29, 31, v25
	v_mul_lo_u32 v57, v25, s4
	v_lshrrev_b32_e32 v3, 30, v3
	v_mul_hi_u32 v2, v27, v2
	v_lshrrev_b32_e32 v26, 30, v26
	v_lshrrev_b32_e32 v20, 30, v29
	v_ashrrev_i32_e32 v29, 31, v7
	v_add_nc_u32_e32 v3, v6, v3
	v_add_nc_u32_e32 v4, 64, v32
	;; [unrolled: 1-line block ×4, first 2 shown]
	v_lshrrev_b32_e32 v29, 30, v29
	v_mul_lo_u32 v30, v2, s1
	v_and_b32_e32 v3, -4, v3
	v_and_b32_e32 v26, -4, v26
	;; [unrolled: 1-line block ×3, first 2 shown]
	v_add_nc_u32_e32 v29, v7, v29
	v_and_b32_e32 v4, 0x1fc, v4
	v_add3_u32 v3, v3, v28, 0x4200
	v_add3_u32 v55, v26, v28, 0x4200
	;; [unrolled: 1-line block ×3, first 2 shown]
	v_and_b32_e32 v26, -4, v29
	v_lshlrev_b32_e32 v29, 5, v25
	v_sub_nc_u32_e32 v25, v27, v30
	v_mul_lo_u32 v54, v6, s4
	v_lshlrev_b32_e32 v6, 5, v6
	v_add3_u32 v27, v26, v28, 0x4200
	v_add_nc_u32_e32 v26, 1, v2
	v_subrev_nc_u32_e32 v30, s1, v25
	v_cmp_le_u32_e32 vcc_lo, s1, v25
	v_and_b32_e32 v28, 31, v32
	v_mul_lo_u32 v56, v5, s4
	v_lshlrev_b32_e32 v5, 5, v5
	v_mul_lo_u32 v59, v7, s4
	v_cndmask_b32_e32 v2, v2, v26, vcc_lo
	v_cndmask_b32_e32 v25, v25, v30, vcc_lo
	v_xor_b32_e32 v26, s10, v31
	v_lshl_or_b32 v28, v28, 2, v58
	v_lshlrev_b32_e32 v7, 5, v7
	v_add_nc_u32_e32 v30, 1, v2
	v_cmp_le_u32_e32 vcc_lo, s1, v25
	v_and_b32_e32 v35, 12, v0
	v_and_b32_e32 v0, 28, v0
	v_ashrrev_i32_e32 v62, 31, v26
	v_add_nc_u32_e32 v60, 0x5280, v28
	v_cndmask_b32_e32 v2, v2, v30, vcc_lo
	v_add_nc_u32_e32 v28, 0x60, v32
	v_add_co_u32 v25, s0, s2, v0
	v_lshlrev_b32_e32 v30, 5, v32
	s_delay_alu instid0(VALU_DEP_4) | instskip(SKIP_3) | instid1(VALU_DEP_4)
	v_xor_b32_e32 v0, v2, v62
	v_add_nc_u32_e32 v2, 32, v32
	v_and_b32_e32 v28, 0x1fc, v28
	v_add_co_ci_u32_e64 v26, null, s3, 0, s0
	v_sub_nc_u32_e32 v0, v0, v62
	s_delay_alu instid0(VALU_DEP_4)
	v_lshrrev_b32_e32 v63, 3, v2
	v_and_b32_e32 v2, 0x1fc, v2
	v_add_nc_u32_e32 v4, v30, v4
	v_cmp_gt_u32_e32 vcc_lo, 4, v32
	v_mul_lo_u32 v64, v0, s8
	v_cmp_gt_i32_e64 s0, s7, v0
	v_add_nc_u32_e32 v0, v30, v28
	v_add_nc_u32_e32 v2, v30, v2
	;; [unrolled: 1-line block ×3, first 2 shown]
	v_mul_u32_u24_e32 v62, 0x84, v32
	v_add_nc_u32_e32 v67, 0x4a00, v4
	v_add_nc_u32_e32 v66, 0x4e00, v0
	v_ashrrev_i32_e32 v65, 31, v64
	v_add_nc_u32_e32 v68, 0x4600, v2
	v_add_nc_u32_e32 v69, 0x4200, v28
	v_lshl_add_u32 v71, v1, 4, 0x5680
	v_add_nc_u32_e32 v72, 0x4e10, v0
	v_add_nc_u32_e32 v73, 0x4a10, v4
	;; [unrolled: 1-line block ×4, first 2 shown]
	v_mad_u32_u24 v76, 0x84, v32, 64
	v_add_nc_u32_e32 v77, v3, v6
	v_add_nc_u32_e32 v78, v55, v5
	;; [unrolled: 1-line block ×4, first 2 shown]
	v_dual_mov_b32 v58, 0 :: v_dual_mov_b32 v55, 0
	v_mov_b32_e32 v20, 0
	s_add_u32 s14, s2, 0x90
	s_mov_b32 s6, 0
	s_addc_u32 s15, s3, 0
	s_branch .LBB218_5
.LBB218_4:                              ;   in Loop: Header=BB218_5 Depth=1
	s_add_i32 s6, s6, 8
	s_delay_alu instid0(SALU_CYCLE_1)
	s_cmp_ge_i32 s6, s4
	s_cbranch_scc1 .LBB218_22
.LBB218_5:                              ; =>This Loop Header: Depth=1
                                        ;     Child Loop BB218_12 Depth 2
                                        ;     Child Loop BB218_20 Depth 2
	s_mul_i32 s1, s6, 18
	s_mul_hi_u32 s19, s6, 18
	s_add_u32 s18, s16, s1
	s_addc_u32 s19, s17, s19
	s_delay_alu instid0(SALU_CYCLE_1) | instskip(SKIP_2) | instid1(SALU_CYCLE_1)
	v_mad_u64_u32 v[0:1], null, v34, 18, s[18:19]
	v_mad_u64_u32 v[87:88], null, v53, 18, s[18:19]
	s_lshl_b32 s18, s6, 5
	s_cmp_lt_i32 s18, s5
	s_delay_alu instid0(VALU_DEP_2) | instskip(NEXT) | instid1(VALU_DEP_1)
	v_add_co_u32 v0, s1, v0, v35
	v_add_co_ci_u32_e64 v1, s1, 0, v1, s1
	s_delay_alu instid0(VALU_DEP_2) | instskip(NEXT) | instid1(VALU_DEP_1)
	v_add_co_u32 v0, s1, v0, 2
	v_add_co_ci_u32_e64 v1, s1, 0, v1, s1
	s_delay_alu instid0(VALU_DEP_1)
	v_mad_i64_i32 v[2:3], null, v36, 18, v[0:1]
	v_mad_i64_i32 v[4:5], null, v37, 18, v[0:1]
	;; [unrolled: 1-line block ×8, first 2 shown]
	s_clause 0x7
	global_load_b32 v89, v[2:3], off
	global_load_b32 v90, v[4:5], off
	;; [unrolled: 1-line block ×8, first 2 shown]
	v_mad_i64_i32 v[2:3], null, v54, 18, v[87:88]
	v_mad_i64_i32 v[4:5], null, v56, 18, v[87:88]
	;; [unrolled: 1-line block ×6, first 2 shown]
	s_clause 0x3
	global_load_u16 v87, v[2:3], off
	global_load_u16 v88, v[4:5], off
	;; [unrolled: 1-line block ×4, first 2 shown]
	v_mad_i64_i32 v[2:3], null, v46, 18, v[0:1]
	v_mad_i64_i32 v[4:5], null, v47, 18, v[0:1]
	;; [unrolled: 1-line block ×6, first 2 shown]
	s_clause 0x7
	global_load_b32 v0, v[29:30], off
	global_load_b32 v1, v[81:82], off
	;; [unrolled: 1-line block ×8, first 2 shown]
	s_waitcnt vmcnt(11)
	v_cvt_f32_f16_e32 v27, v87
	s_waitcnt vmcnt(10)
	v_cvt_f32_f16_e32 v28, v88
	s_waitcnt vmcnt(9)
	v_cvt_f32_f16_e32 v29, v97
	s_waitcnt vmcnt(8)
	v_cvt_f32_f16_e32 v30, v98
	ds_store_b32 v8, v89
	ds_store_b32 v77, v27
	ds_store_b32 v9, v90
	ds_store_b32 v78, v28
	ds_store_b32 v10, v91
	ds_store_b32 v79, v29
	ds_store_b32 v11, v92
	ds_store_b32 v12, v93
	ds_store_b32 v13, v94
	ds_store_b32 v14, v95
	ds_store_b32 v15, v96
	s_waitcnt vmcnt(7)
	ds_store_b32 v16, v0
	s_waitcnt vmcnt(6)
	ds_store_b32 v17, v1
	;; [unrolled: 2-line block ×8, first 2 shown]
	ds_store_b32 v80, v30
	s_cbranch_scc0 .LBB218_4
; %bb.6:                                ;   in Loop: Header=BB218_5 Depth=1
	v_add_nc_u32_e32 v0, s6, v49
	s_delay_alu instid0(VALU_DEP_1) | instskip(NEXT) | instid1(VALU_DEP_1)
	v_cmp_gt_i32_e64 s1, s8, v0
	s_and_b32 s19, s0, s1
	s_delay_alu instid0(SALU_CYCLE_1)
	s_and_saveexec_b32 s1, s19
	s_cbranch_execz .LBB218_8
; %bb.7:                                ;   in Loop: Header=BB218_5 Depth=1
	v_add_nc_u32_e32 v2, v64, v0
	s_delay_alu instid0(VALU_DEP_1)
	v_mad_i64_i32 v[0:1], null, v2, 36, v[25:26]
	global_load_b32 v0, v[0:1], off offset:4
	s_waitcnt vmcnt(0)
	ds_store_b32 v60, v0
.LBB218_8:                              ;   in Loop: Header=BB218_5 Depth=1
	s_or_b32 exec_lo, exec_lo, s1
	s_and_saveexec_b32 s19, vcc_lo
	s_cbranch_execz .LBB218_11
; %bb.9:                                ;   in Loop: Header=BB218_5 Depth=1
	v_or_b32_e32 v0, s6, v32
	s_delay_alu instid0(VALU_DEP_1) | instskip(NEXT) | instid1(VALU_DEP_1)
	v_cmp_gt_i32_e64 s1, s8, v0
	s_and_b32 s1, s0, s1
	s_delay_alu instid0(SALU_CYCLE_1)
	s_and_b32 exec_lo, exec_lo, s1
	s_cbranch_execz .LBB218_11
; %bb.10:                               ;   in Loop: Header=BB218_5 Depth=1
	v_add_nc_u32_e32 v2, v64, v0
	s_delay_alu instid0(VALU_DEP_1)
	v_mad_i64_i32 v[0:1], null, v2, 36, s[2:3]
	global_load_b32 v0, v[0:1], off
	s_waitcnt vmcnt(0)
	ds_store_b32 v61, v0
.LBB218_11:                             ;   in Loop: Header=BB218_5 Depth=1
	s_or_b32 exec_lo, exec_lo, s19
	v_dual_mov_b32 v81, v71 :: v_dual_mov_b32 v82, v70
	v_dual_mov_b32 v83, v62 :: v_dual_mov_b32 v84, v69
	;; [unrolled: 1-line block ×3, first 2 shown]
	v_mov_b32_e32 v87, v66
	s_mov_b32 s1, -4
	s_waitcnt lgkmcnt(0)
	s_barrier
	buffer_gl0_inv
.LBB218_12:                             ;   Parent Loop BB218_5 Depth=1
                                        ; =>  This Inner Loop Header: Depth=2
	ds_load_b128 v[4:7], v82
	ds_load_b128 v[0:3], v82 offset:16
	ds_load_2addr_b32 v[27:28], v83 offset1:1
	ds_load_2addr_b32 v[29:30], v83 offset0:2 offset1:3
	ds_load_b32 v88, v85
	ds_load_b32 v101, v84
	;; [unrolled: 1-line block ×4, first 2 shown]
	v_add_nc_u32_e32 v89, 0x1080, v83
	v_add_nc_u32_e32 v91, 0x1088, v83
	;; [unrolled: 1-line block ×6, first 2 shown]
	ds_load_2addr_b32 v[89:90], v89 offset1:1
	ds_load_2addr_b32 v[91:92], v91 offset1:1
	;; [unrolled: 1-line block ×6, first 2 shown]
	ds_load_b32 v104, v81
	v_add_nc_u32_e32 v87, 4, v87
	v_add_nc_u32_e32 v83, 16, v83
	;; [unrolled: 1-line block ×4, first 2 shown]
	s_add_i32 s1, s1, 4
	s_delay_alu instid0(SALU_CYCLE_1)
	s_cmp_lt_u32 s1, 12
	s_waitcnt lgkmcnt(14)
	v_bfe_i32 v105, v4, 0, 8
	s_waitcnt lgkmcnt(13)
	v_bfe_i32 v108, v0, 0, 8
	s_waitcnt lgkmcnt(12)
	v_and_b32_e32 v130, 15, v27
	v_bfe_u32 v134, v27, 4, 4
	v_bfe_i32 v111, v5, 0, 8
	s_waitcnt lgkmcnt(6)
	v_and_b32_e32 v158, 15, v89
	v_bfe_i32 v114, v1, 0, 8
	v_mul_i32_i24_e32 v130, v130, v105
	s_waitcnt lgkmcnt(4)
	v_and_b32_e32 v186, 15, v93
	s_waitcnt lgkmcnt(2)
	v_and_b32_e32 v208, 15, v97
	v_and_b32_e32 v137, 15, v28
	v_bfe_u32 v141, v28, 4, 4
	v_bfe_u32 v162, v89, 4, 4
	v_and_b32_e32 v165, 15, v90
	v_bfe_u32 v169, v90, 4, 4
	v_bfe_u32 v190, v93, 4, 4
	;; [unrolled: 3-line block ×3, first 2 shown]
	v_and_b32_e32 v218, 15, v98
	v_bfe_u32 v219, v98, 4, 4
	v_mad_i32_i24 v130, v134, v108, v130
	v_mul_i32_i24_e32 v134, v158, v105
	v_mul_i32_i24_e32 v158, v186, v105
	;; [unrolled: 1-line block ×3, first 2 shown]
	v_bfe_i32 v106, v4, 8, 8
	v_bfe_i32 v115, v1, 8, 8
	;; [unrolled: 1-line block ×3, first 2 shown]
	v_ashrrev_i32_e32 v1, 24, v1
	v_bfe_i32 v117, v6, 0, 8
	v_bfe_u32 v131, v27, 8, 4
	v_bfe_u32 v136, v28, 20, 4
	;; [unrolled: 1-line block ×6, first 2 shown]
	v_lshrrev_b32_e32 v28, 28, v28
	v_and_b32_e32 v144, 15, v29
	v_mul_i32_i24_e32 v137, v137, v111
	v_mul_i32_i24_e32 v141, v141, v114
	v_bfe_u32 v159, v89, 8, 4
	v_bfe_u32 v164, v90, 20, 4
	;; [unrolled: 1-line block ×6, first 2 shown]
	v_lshrrev_b32_e32 v90, 28, v90
	v_and_b32_e32 v172, 15, v91
	v_bfe_u32 v187, v93, 8, 4
	v_bfe_u32 v192, v94, 20, 4
	;; [unrolled: 1-line block ×6, first 2 shown]
	v_lshrrev_b32_e32 v94, 28, v94
	v_and_b32_e32 v200, 15, v95
	v_bfe_u32 v216, v97, 8, 4
	v_bfe_u32 v222, v98, 20, 4
	;; [unrolled: 1-line block ×6, first 2 shown]
	v_lshrrev_b32_e32 v98, 28, v98
	s_waitcnt lgkmcnt(1)
	v_and_b32_e32 v228, 15, v99
	v_mul_i32_i24_e32 v165, v165, v111
	v_mul_i32_i24_e32 v169, v169, v114
	;; [unrolled: 1-line block ×6, first 2 shown]
	v_mad_i32_i24 v134, v162, v108, v134
	v_mad_i32_i24 v158, v190, v108, v158
	;; [unrolled: 1-line block ×3, first 2 shown]
	v_bfe_i32 v107, v4, 16, 8
	v_ashrrev_i32_e32 v4, 24, v4
	v_bfe_u32 v132, v27, 16, 4
	v_bfe_u32 v133, v27, 24, 4
	v_mul_i32_i24_e32 v131, v131, v106
	v_mul_i32_i24_e32 v144, v144, v117
	v_bfe_u32 v160, v89, 16, 4
	v_bfe_u32 v161, v89, 24, 4
	;; [unrolled: 1-line block ×6, first 2 shown]
	v_mul_i32_i24_e32 v28, v28, v1
	v_mul_i32_i24_e32 v159, v159, v106
	v_mul_i32_i24_e32 v172, v172, v117
	v_mul_i32_i24_e32 v187, v187, v106
	v_mul_i32_i24_e32 v197, v200, v117
	v_mul_i32_i24_e32 v106, v216, v106
	v_mul_i32_i24_e32 v90, v90, v1
	v_mul_i32_i24_e32 v94, v94, v1
	v_mul_i32_i24_e32 v1, v98, v1
	v_mul_i32_i24_e32 v98, v228, v117
	v_add3_u32 v130, v130, v137, v141
	v_add3_u32 v134, v134, v165, v169
	;; [unrolled: 1-line block ×4, first 2 shown]
	v_bfe_i32 v118, v6, 8, 8
	v_bfe_i32 v119, v6, 16, 8
	v_ashrrev_i32_e32 v6, 24, v6
	v_bfe_i32 v120, v2, 0, 8
	v_bfe_i32 v123, v7, 0, 8
	v_bfe_u32 v148, v29, 4, 4
	v_and_b32_e32 v151, 15, v30
	v_bfe_u32 v173, v91, 8, 4
	v_bfe_u32 v176, v91, 4, 4
	v_and_b32_e32 v179, 15, v92
	v_bfe_u32 v201, v95, 8, 4
	v_bfe_u32 v203, v95, 24, 4
	;; [unrolled: 1-line block ×3, first 2 shown]
	v_and_b32_e32 v207, 15, v96
	v_bfe_u32 v232, v99, 4, 4
	v_and_b32_e32 v235, 15, v100
	v_mul_i32_i24_e32 v132, v132, v107
	v_mul_i32_i24_e32 v133, v133, v4
	;; [unrolled: 1-line block ×8, first 2 shown]
	v_add3_u32 v111, v130, v144, v131
	v_add3_u32 v114, v134, v172, v159
	;; [unrolled: 1-line block ×4, first 2 shown]
	v_bfe_i32 v109, v0, 8, 8
	v_bfe_i32 v110, v0, 16, 8
	v_bfe_u32 v129, v27, 20, 4
	v_bfe_u32 v135, v27, 12, 4
	;; [unrolled: 1-line block ×8, first 2 shown]
	v_mul_i32_i24_e32 v148, v148, v120
	v_mul_i32_i24_e32 v151, v151, v123
	;; [unrolled: 1-line block ×11, first 2 shown]
	v_add3_u32 v106, v111, v132, v133
	v_add3_u32 v111, v114, v160, v161
	;; [unrolled: 1-line block ×4, first 2 shown]
	v_ashrrev_i32_e32 v0, 24, v0
	v_bfe_i32 v112, v5, 8, 8
	v_lshrrev_b32_e32 v27, 28, v27
	v_lshrrev_b32_e32 v89, 28, v89
	;; [unrolled: 1-line block ×4, first 2 shown]
	v_mul_i32_i24_e32 v135, v135, v109
	v_mul_i32_i24_e32 v129, v129, v110
	;; [unrolled: 1-line block ×8, first 2 shown]
	v_add3_u32 v98, v106, v148, v151
	v_add3_u32 v106, v111, v176, v179
	;; [unrolled: 1-line block ×4, first 2 shown]
	v_bfe_i32 v113, v5, 16, 8
	v_ashrrev_i32_e32 v5, 24, v5
	v_mul_i32_i24_e32 v27, v27, v0
	v_mul_i32_i24_e32 v138, v138, v112
	;; [unrolled: 1-line block ×8, first 2 shown]
	v_add3_u32 v98, v98, v135, v129
	v_add3_u32 v106, v106, v163, v157
	;; [unrolled: 1-line block ×4, first 2 shown]
	v_bfe_i32 v126, v3, 0, 8
	v_bfe_u32 v155, v30, 4, 4
	v_bfe_u32 v183, v92, 4, 4
	;; [unrolled: 1-line block ×4, first 2 shown]
	v_mul_i32_i24_e32 v139, v139, v113
	v_mul_i32_i24_e32 v140, v140, v5
	;; [unrolled: 1-line block ×8, first 2 shown]
	v_add3_u32 v27, v98, v27, v138
	v_add3_u32 v89, v106, v89, v97
	;; [unrolled: 1-line block ×4, first 2 shown]
	v_mul_i32_i24_e32 v142, v142, v115
	v_mul_i32_i24_e32 v155, v155, v126
	;; [unrolled: 1-line block ×8, first 2 shown]
	v_add3_u32 v27, v27, v139, v140
	v_add3_u32 v89, v89, v167, v168
	;; [unrolled: 1-line block ×4, first 2 shown]
	v_bfe_u32 v145, v29, 8, 4
	v_bfe_u32 v146, v29, 16, 4
	;; [unrolled: 1-line block ×6, first 2 shown]
	v_mul_i32_i24_e32 v136, v136, v116
	v_mul_i32_i24_e32 v164, v164, v116
	;; [unrolled: 1-line block ×4, first 2 shown]
	v_add3_u32 v5, v27, v155, v142
	v_add3_u32 v27, v89, v183, v170
	v_add3_u32 v89, v93, v208, v196
	v_add3_u32 v0, v0, v4, v115
	v_bfe_i32 v121, v2, 8, 8
	v_bfe_u32 v147, v29, 24, 4
	v_bfe_u32 v149, v29, 12, 4
	v_bfe_u32 v175, v91, 24, 4
	v_bfe_u32 v177, v91, 12, 4
	v_bfe_u32 v205, v95, 12, 4
	v_bfe_u32 v231, v99, 24, 4
	v_bfe_u32 v233, v99, 12, 4
	v_mul_i32_i24_e32 v145, v145, v118
	v_mul_i32_i24_e32 v146, v146, v119
	;; [unrolled: 1-line block ×6, first 2 shown]
	v_add3_u32 v5, v5, v136, v28
	v_add3_u32 v27, v27, v164, v90
	;; [unrolled: 1-line block ×4, first 2 shown]
	v_bfe_i32 v122, v2, 16, 8
	v_ashrrev_i32_e32 v2, 24, v2
	v_bfe_u32 v143, v29, 20, 4
	v_lshrrev_b32_e32 v29, 28, v29
	v_bfe_u32 v171, v91, 20, 4
	v_lshrrev_b32_e32 v91, 28, v91
	;; [unrolled: 2-line block ×4, first 2 shown]
	v_mul_i32_i24_e32 v147, v147, v6
	v_mul_i32_i24_e32 v149, v149, v121
	;; [unrolled: 1-line block ×7, first 2 shown]
	v_add3_u32 v5, v5, v145, v146
	v_add3_u32 v27, v27, v117, v174
	;; [unrolled: 1-line block ×4, first 2 shown]
	v_bfe_i32 v124, v7, 8, 8
	v_bfe_i32 v125, v7, 16, 8
	v_bfe_u32 v152, v30, 8, 4
	v_bfe_u32 v153, v30, 16, 4
	;; [unrolled: 1-line block ×8, first 2 shown]
	v_mul_i32_i24_e32 v143, v143, v122
	v_mul_i32_i24_e32 v29, v29, v2
	;; [unrolled: 1-line block ×8, first 2 shown]
	v_add3_u32 v5, v5, v147, v149
	v_add3_u32 v27, v27, v175, v177
	;; [unrolled: 1-line block ×4, first 2 shown]
	v_ashrrev_i32_e32 v7, 24, v7
	v_bfe_i32 v127, v3, 8, 8
	v_bfe_u32 v154, v30, 24, 4
	v_bfe_u32 v156, v30, 12, 4
	v_bfe_u32 v182, v92, 24, 4
	v_bfe_u32 v184, v92, 12, 4
	v_bfe_u32 v212, v96, 24, 4
	v_bfe_u32 v214, v96, 12, 4
	v_bfe_u32 v238, v100, 24, 4
	v_bfe_u32 v240, v100, 12, 4
	v_mul_i32_i24_e32 v152, v152, v124
	v_mul_i32_i24_e32 v153, v153, v125
	;; [unrolled: 1-line block ×8, first 2 shown]
	v_add3_u32 v5, v5, v143, v29
	v_add3_u32 v27, v27, v171, v91
	;; [unrolled: 1-line block ×4, first 2 shown]
	v_bfe_i32 v128, v3, 16, 8
	v_ashrrev_i32_e32 v3, 24, v3
	v_bfe_u32 v150, v30, 20, 4
	v_lshrrev_b32_e32 v30, 28, v30
	v_bfe_u32 v178, v92, 20, 4
	v_lshrrev_b32_e32 v92, 28, v92
	;; [unrolled: 2-line block ×4, first 2 shown]
	v_mul_i32_i24_e32 v154, v154, v7
	v_mul_i32_i24_e32 v156, v156, v127
	;; [unrolled: 1-line block ×8, first 2 shown]
	v_add3_u32 v5, v5, v152, v153
	v_add3_u32 v27, v27, v180, v181
	;; [unrolled: 1-line block ×4, first 2 shown]
	s_waitcnt lgkmcnt(0)
	v_lshrrev_b32_e32 v241, 16, v104
	v_mul_i32_i24_e32 v150, v150, v128
	v_mul_i32_i24_e32 v30, v30, v3
	;; [unrolled: 1-line block ×8, first 2 shown]
	v_add3_u32 v3, v5, v154, v156
	v_add3_u32 v4, v27, v182, v184
	;; [unrolled: 1-line block ×4, first 2 shown]
	v_cvt_f32_f16_e64 v6, v241
	v_add3_u32 v3, v3, v150, v30
	v_add3_u32 v4, v4, v178, v92
	;; [unrolled: 1-line block ×4, first 2 shown]
	v_dual_mul_f32 v1, 0xc1000000, v6 :: v_dual_add_nc_u32 v84, 4, v84
	v_cvt_f32_i32_e32 v2, v3
	v_cvt_f32_i32_e32 v3, v4
	;; [unrolled: 1-line block ×4, first 2 shown]
	s_delay_alu instid0(VALU_DEP_4) | instskip(NEXT) | instid1(VALU_DEP_4)
	v_fma_mix_f32 v2, v104, v2, v1 op_sel_hi:[1,0,0]
	v_fma_mix_f32 v3, v104, v3, v1 op_sel_hi:[1,0,0]
	s_delay_alu instid0(VALU_DEP_4) | instskip(NEXT) | instid1(VALU_DEP_4)
	v_fma_mix_f32 v4, v104, v4, v1 op_sel_hi:[1,0,0]
	v_fma_mix_f32 v0, v104, v0, v1 op_sel_hi:[1,0,0]
	v_add_nc_u32_e32 v86, 4, v86
	s_delay_alu instid0(VALU_DEP_4)
	v_dual_fmac_f32 v58, v88, v3 :: v_dual_add_nc_u32 v85, 4, v85
	v_fmac_f32_e32 v33, v101, v2
	v_fmac_f32_e32 v55, v102, v4
	;; [unrolled: 1-line block ×3, first 2 shown]
	s_cbranch_scc1 .LBB218_12
; %bb.13:                               ;   in Loop: Header=BB218_5 Depth=1
	s_bitset1_b32 s18, 7
	s_delay_alu instid0(SALU_CYCLE_1)
	s_cmp_ge_i32 s18, s5
	s_barrier
	buffer_gl0_inv
	s_cbranch_scc1 .LBB218_4
; %bb.14:                               ;   in Loop: Header=BB218_5 Depth=1
	v_add_nc_u32_e32 v0, s6, v63
	s_delay_alu instid0(VALU_DEP_1) | instskip(NEXT) | instid1(VALU_DEP_1)
	v_cmp_gt_i32_e64 s1, s8, v0
	s_and_b32 s18, s0, s1
	s_delay_alu instid0(SALU_CYCLE_1)
	s_and_saveexec_b32 s1, s18
	s_cbranch_execz .LBB218_16
; %bb.15:                               ;   in Loop: Header=BB218_5 Depth=1
	v_add_nc_u32_e32 v2, v64, v0
	s_delay_alu instid0(VALU_DEP_1)
	v_mad_i64_i32 v[0:1], null, v2, 36, v[25:26]
	global_load_b32 v0, v[0:1], off offset:4
	s_waitcnt vmcnt(0)
	ds_store_b32 v60, v0
.LBB218_16:                             ;   in Loop: Header=BB218_5 Depth=1
	s_or_b32 exec_lo, exec_lo, s1
	s_and_saveexec_b32 s18, vcc_lo
	s_cbranch_execz .LBB218_19
; %bb.17:                               ;   in Loop: Header=BB218_5 Depth=1
	v_or_b32_e32 v0, s6, v32
	s_delay_alu instid0(VALU_DEP_1) | instskip(NEXT) | instid1(VALU_DEP_1)
	v_or_b32_e32 v1, 4, v0
	v_cmp_gt_i32_e64 s1, s8, v1
	s_delay_alu instid0(VALU_DEP_1) | instskip(NEXT) | instid1(SALU_CYCLE_1)
	s_and_b32 s1, s0, s1
	s_and_b32 exec_lo, exec_lo, s1
	s_cbranch_execz .LBB218_19
; %bb.18:                               ;   in Loop: Header=BB218_5 Depth=1
	v_ashrrev_i32_e32 v1, 31, v0
	v_add_co_u32 v2, s1, v64, v0
	s_delay_alu instid0(VALU_DEP_1) | instskip(NEXT) | instid1(VALU_DEP_2)
	v_add_co_ci_u32_e64 v3, s1, v65, v1, s1
	v_mad_u64_u32 v[0:1], null, v2, 36, s[14:15]
	s_delay_alu instid0(VALU_DEP_1)
	v_mad_i32_i24 v1, v3, 36, v1
	global_load_b32 v0, v[0:1], off
	s_waitcnt vmcnt(0)
	ds_store_b32 v61, v0
.LBB218_19:                             ;   in Loop: Header=BB218_5 Depth=1
	s_or_b32 exec_lo, exec_lo, s18
	v_dual_mov_b32 v0, v71 :: v_dual_mov_b32 v1, v70
	v_dual_mov_b32 v2, v76 :: v_dual_mov_b32 v3, v75
	;; [unrolled: 1-line block ×3, first 2 shown]
	v_mov_b32_e32 v6, v72
	s_mov_b32 s1, 12
	s_waitcnt lgkmcnt(0)
	s_barrier
	buffer_gl0_inv
.LBB218_20:                             ;   Parent Loop BB218_5 Depth=1
                                        ; =>  This Inner Loop Header: Depth=2
	ds_load_b128 v[81:84], v1
	ds_load_b128 v[85:88], v1 offset:16
	ds_load_b32 v7, v0
	ds_load_2addr_b32 v[29:30], v2 offset1:1
	ds_load_b32 v27, v4
	ds_load_b32 v28, v3
	ds_load_2addr_b32 v[89:90], v2 offset0:2 offset1:3
	ds_load_b32 v103, v5
	ds_load_b32 v104, v6
	v_add_nc_u32_e32 v91, 0x1080, v2
	v_add_nc_u32_e32 v93, 0x1088, v2
	;; [unrolled: 1-line block ×6, first 2 shown]
	ds_load_2addr_b32 v[91:92], v91 offset1:1
	ds_load_2addr_b32 v[93:94], v93 offset1:1
	;; [unrolled: 1-line block ×6, first 2 shown]
	v_add_nc_u32_e32 v2, 16, v2
	v_add_nc_u32_e32 v1, 32, v1
	;; [unrolled: 1-line block ×3, first 2 shown]
	s_add_i32 s1, s1, 4
	s_delay_alu instid0(SALU_CYCLE_1)
	s_cmp_lt_u32 s1, 28
	s_waitcnt lgkmcnt(14)
	v_bfe_i32 v105, v81, 0, 8
	v_bfe_i32 v106, v81, 8, 8
	s_waitcnt lgkmcnt(11)
	v_and_b32_e32 v131, 15, v29
	v_bfe_i32 v107, v81, 16, 8
	v_ashrrev_i32_e32 v81, 24, v81
	v_bfe_i32 v108, v85, 0, 8
	v_bfe_i32 v109, v85, 8, 8
	v_bfe_i32 v111, v82, 0, 8
	v_bfe_i32 v112, v82, 8, 8
	v_bfe_i32 v113, v82, 16, 8
	v_ashrrev_i32_e32 v82, 24, v82
	v_bfe_i32 v114, v86, 0, 8
	v_bfe_i32 v115, v86, 8, 8
	v_bfe_i32 v117, v83, 0, 8
	v_bfe_i32 v118, v83, 8, 8
	;; [unrolled: 6-line block ×3, first 2 shown]
	v_bfe_i32 v125, v84, 16, 8
	v_ashrrev_i32_e32 v84, 24, v84
	v_bfe_i32 v126, v88, 0, 8
	v_bfe_i32 v127, v88, 8, 8
	v_bfe_u32 v135, v29, 4, 4
	v_mul_i32_i24_e32 v131, v131, v105
	s_waitcnt lgkmcnt(5)
	v_and_b32_e32 v159, 15, v91
	v_bfe_u32 v160, v91, 8, 4
	v_bfe_u32 v161, v91, 16, 4
	;; [unrolled: 1-line block ×4, first 2 shown]
	v_and_b32_e32 v166, 15, v92
	v_bfe_u32 v167, v92, 8, 4
	v_bfe_u32 v168, v92, 16, 4
	v_bfe_u32 v169, v92, 24, 4
	v_bfe_u32 v170, v92, 4, 4
	v_bfe_u32 v171, v92, 12, 4
	s_waitcnt lgkmcnt(4)
	v_and_b32_e32 v173, 15, v93
	v_bfe_u32 v174, v93, 8, 4
	v_bfe_u32 v175, v93, 16, 4
	v_bfe_u32 v176, v93, 24, 4
	v_bfe_u32 v177, v93, 4, 4
	v_bfe_u32 v178, v93, 12, 4
	v_and_b32_e32 v180, 15, v94
	v_bfe_u32 v181, v94, 8, 4
	v_bfe_u32 v182, v94, 16, 4
	;; [unrolled: 1-line block ×5, first 2 shown]
	s_waitcnt lgkmcnt(3)
	v_and_b32_e32 v187, 15, v95
	s_waitcnt lgkmcnt(1)
	v_and_b32_e32 v215, 15, v99
	v_bfe_i32 v110, v85, 16, 8
	v_ashrrev_i32_e32 v85, 24, v85
	v_bfe_i32 v116, v86, 16, 8
	v_ashrrev_i32_e32 v86, 24, v86
	v_bfe_u32 v130, v29, 20, 4
	v_bfe_u32 v132, v29, 8, 4
	;; [unrolled: 1-line block ×5, first 2 shown]
	v_lshrrev_b32_e32 v29, 28, v29
	v_bfe_u32 v137, v30, 20, 4
	v_and_b32_e32 v138, 15, v30
	v_bfe_u32 v139, v30, 8, 4
	v_bfe_u32 v140, v30, 16, 4
	;; [unrolled: 1-line block ×5, first 2 shown]
	v_lshrrev_b32_e32 v30, 28, v30
	v_and_b32_e32 v145, 15, v89
	v_bfe_u32 v146, v89, 8, 4
	v_bfe_u32 v158, v91, 20, 4
	;; [unrolled: 1-line block ×3, first 2 shown]
	v_lshrrev_b32_e32 v91, 28, v91
	v_bfe_u32 v165, v92, 20, 4
	v_lshrrev_b32_e32 v92, 28, v92
	v_bfe_u32 v186, v95, 20, 4
	v_bfe_u32 v188, v95, 8, 4
	;; [unrolled: 1-line block ×6, first 2 shown]
	v_lshrrev_b32_e32 v95, 28, v95
	v_bfe_u32 v193, v96, 20, 4
	v_and_b32_e32 v194, 15, v96
	v_bfe_u32 v195, v96, 8, 4
	v_bfe_u32 v196, v96, 16, 4
	;; [unrolled: 1-line block ×5, first 2 shown]
	v_lshrrev_b32_e32 v96, 28, v96
	v_and_b32_e32 v201, 15, v97
	v_bfe_u32 v202, v97, 8, 4
	v_bfe_u32 v214, v99, 20, 4
	;; [unrolled: 1-line block ×7, first 2 shown]
	v_lshrrev_b32_e32 v99, 28, v99
	v_bfe_u32 v221, v100, 20, 4
	v_and_b32_e32 v222, 15, v100
	v_bfe_u32 v223, v100, 8, 4
	v_bfe_u32 v224, v100, 16, 4
	;; [unrolled: 1-line block ×5, first 2 shown]
	v_lshrrev_b32_e32 v100, 28, v100
	s_waitcnt lgkmcnt(0)
	v_and_b32_e32 v229, 15, v101
	v_bfe_u32 v230, v101, 8, 4
	v_mad_i32_i24 v131, v135, v108, v131
	v_mul_i32_i24_e32 v135, v159, v105
	v_mul_i32_i24_e32 v159, v160, v106
	v_mul_i32_i24_e32 v160, v161, v107
	v_mul_i32_i24_e32 v161, v162, v81
	v_mul_i32_i24_e32 v162, v164, v109
	v_mul_i32_i24_e32 v164, v166, v111
	v_mul_i32_i24_e32 v166, v167, v112
	v_mul_i32_i24_e32 v167, v168, v113
	v_mul_i32_i24_e32 v168, v169, v82
	v_mul_i32_i24_e32 v169, v170, v114
	v_mul_i32_i24_e32 v170, v171, v115
	v_mul_i32_i24_e32 v171, v173, v117
	v_mul_i32_i24_e32 v173, v174, v118
	v_mul_i32_i24_e32 v174, v175, v119
	v_mul_i32_i24_e32 v175, v176, v83
	v_mul_i32_i24_e32 v176, v177, v120
	v_mul_i32_i24_e32 v177, v178, v121
	v_mul_i32_i24_e32 v178, v180, v123
	v_mul_i32_i24_e32 v180, v181, v124
	v_mul_i32_i24_e32 v181, v182, v125
	v_mul_i32_i24_e32 v182, v183, v84
	v_mul_i32_i24_e32 v183, v184, v126
	v_mul_i32_i24_e32 v184, v185, v127
	v_mul_i32_i24_e32 v185, v187, v105
	v_mul_i32_i24_e32 v105, v215, v105
	v_bfe_u32 v147, v89, 16, 4
	v_mul_i32_i24_e32 v29, v29, v85
	v_mul_i32_i24_e32 v138, v138, v111
	;; [unrolled: 1-line block ×10, first 2 shown]
	v_bfe_u32 v203, v97, 16, 4
	v_bfe_u32 v231, v101, 16, 4
	v_mul_i32_i24_e32 v91, v91, v85
	v_mul_i32_i24_e32 v165, v165, v116
	;; [unrolled: 1-line block ×28, first 2 shown]
	v_mad_i32_i24 v117, v163, v108, v135
	v_mad_i32_i24 v118, v191, v108, v185
	v_mad_i32_i24 v105, v219, v108, v105
	v_mul_i32_i24_e32 v132, v132, v106
	v_mul_i32_i24_e32 v147, v147, v119
	;; [unrolled: 1-line block ×5, first 2 shown]
	v_add3_u32 v119, v131, v138, v142
	v_add3_u32 v117, v117, v164, v169
	;; [unrolled: 1-line block ×4, first 2 shown]
	v_bfe_u32 v149, v89, 4, 4
	v_and_b32_e32 v152, 15, v90
	v_mul_i32_i24_e32 v133, v133, v107
	v_mul_i32_i24_e32 v134, v134, v81
	v_bfe_u32 v204, v97, 24, 4
	v_bfe_u32 v205, v97, 4, 4
	v_bfe_u32 v206, v97, 12, 4
	v_and_b32_e32 v208, 15, v98
	v_bfe_u32 v233, v101, 4, 4
	v_and_b32_e32 v236, 15, v102
	v_mul_i32_i24_e32 v107, v217, v107
	v_mul_i32_i24_e32 v81, v218, v81
	v_add3_u32 v113, v119, v145, v132
	v_add3_u32 v117, v117, v171, v159
	;; [unrolled: 1-line block ×4, first 2 shown]
	v_mul_i32_i24_e32 v149, v149, v120
	v_mul_i32_i24_e32 v152, v152, v123
	;; [unrolled: 1-line block ×8, first 2 shown]
	v_add3_u32 v106, v113, v133, v134
	v_add3_u32 v113, v117, v160, v161
	;; [unrolled: 1-line block ×4, first 2 shown]
	v_mul_i32_i24_e32 v136, v136, v109
	v_mul_i32_i24_e32 v130, v130, v110
	;; [unrolled: 1-line block ×6, first 2 shown]
	v_add3_u32 v99, v106, v149, v152
	v_add3_u32 v106, v113, v176, v178
	v_add3_u32 v107, v117, v204, v206
	v_add3_u32 v81, v81, v105, v100
	v_bfe_u32 v156, v90, 4, 4
	v_add3_u32 v99, v99, v136, v130
	v_add3_u32 v105, v106, v162, v158
	;; [unrolled: 1-line block ×4, first 2 shown]
	v_mul_i32_i24_e32 v141, v141, v82
	v_bfe_u32 v209, v98, 8, 4
	v_bfe_u32 v210, v98, 16, 4
	;; [unrolled: 1-line block ×5, first 2 shown]
	v_mul_i32_i24_e32 v82, v225, v82
	v_add3_u32 v29, v99, v29, v139
	v_add3_u32 v91, v105, v91, v166
	;; [unrolled: 1-line block ×4, first 2 shown]
	v_bfe_i32 v122, v87, 16, 8
	v_ashrrev_i32_e32 v87, 24, v87
	v_bfe_u32 v144, v89, 20, 4
	v_bfe_u32 v148, v89, 24, 4
	;; [unrolled: 1-line block ×3, first 2 shown]
	v_lshrrev_b32_e32 v89, 28, v89
	v_mul_i32_i24_e32 v156, v156, v126
	v_bfe_u32 v172, v93, 20, 4
	v_lshrrev_b32_e32 v93, 28, v93
	v_bfe_u32 v200, v97, 20, 4
	v_lshrrev_b32_e32 v97, 28, v97
	v_bfe_u32 v228, v101, 20, 4
	v_bfe_u32 v232, v101, 24, 4
	;; [unrolled: 1-line block ×3, first 2 shown]
	v_lshrrev_b32_e32 v101, 28, v101
	v_mul_i32_i24_e32 v208, v209, v124
	v_mul_i32_i24_e32 v209, v210, v125
	v_mul_i32_i24_e32 v210, v211, v84
	v_mul_i32_i24_e32 v211, v212, v126
	v_mul_i32_i24_e32 v85, v240, v126
	v_add3_u32 v29, v29, v140, v141
	v_add3_u32 v91, v91, v167, v168
	;; [unrolled: 1-line block ×4, first 2 shown]
	v_mul_i32_i24_e32 v89, v89, v87
	v_mul_i32_i24_e32 v93, v93, v87
	;; [unrolled: 1-line block ×4, first 2 shown]
	v_add3_u32 v29, v29, v156, v143
	v_add3_u32 v87, v91, v183, v170
	;; [unrolled: 1-line block ×4, first 2 shown]
	v_mul_i32_i24_e32 v148, v148, v83
	v_add3_u32 v29, v29, v137, v30
	v_add3_u32 v30, v87, v165, v92
	;; [unrolled: 1-line block ×4, first 2 shown]
	v_mul_i32_i24_e32 v150, v150, v121
	v_mul_i32_i24_e32 v83, v232, v83
	;; [unrolled: 1-line block ×3, first 2 shown]
	v_add3_u32 v29, v29, v146, v147
	v_add3_u32 v30, v30, v173, v174
	;; [unrolled: 1-line block ×4, first 2 shown]
	v_bfe_u32 v153, v90, 8, 4
	v_bfe_u32 v154, v90, 16, 4
	v_mul_i32_i24_e32 v144, v144, v122
	v_bfe_u32 v237, v102, 8, 4
	v_bfe_u32 v238, v102, 16, 4
	v_mul_i32_i24_e32 v172, v172, v122
	v_mul_i32_i24_e32 v200, v200, v122
	;; [unrolled: 1-line block ×3, first 2 shown]
	v_add3_u32 v29, v29, v148, v150
	v_add3_u32 v30, v30, v175, v177
	v_add3_u32 v87, v87, v203, v205
	v_add3_u32 v81, v81, v83, v100
	v_bfe_u32 v155, v90, 24, 4
	v_bfe_u32 v157, v90, 12, 4
	v_mul_i32_i24_e32 v153, v153, v124
	v_mul_i32_i24_e32 v154, v154, v125
	v_bfe_u32 v213, v98, 12, 4
	v_bfe_u32 v239, v102, 24, 4
	;; [unrolled: 1-line block ×3, first 2 shown]
	v_mul_i32_i24_e32 v85, v237, v124
	v_mul_i32_i24_e32 v86, v238, v125
	v_add3_u32 v29, v29, v144, v89
	v_add3_u32 v30, v30, v172, v93
	;; [unrolled: 1-line block ×4, first 2 shown]
	v_bfe_i32 v128, v88, 16, 8
	v_ashrrev_i32_e32 v88, 24, v88
	v_bfe_u32 v151, v90, 20, 4
	v_lshrrev_b32_e32 v90, 28, v90
	v_mul_i32_i24_e32 v155, v155, v84
	v_mul_i32_i24_e32 v157, v157, v127
	v_bfe_u32 v179, v94, 20, 4
	v_lshrrev_b32_e32 v94, 28, v94
	v_bfe_u32 v207, v98, 20, 4
	v_lshrrev_b32_e32 v98, 28, v98
	;; [unrolled: 2-line block ×3, first 2 shown]
	v_mul_i32_i24_e32 v212, v213, v127
	v_mul_i32_i24_e32 v84, v239, v84
	v_mul_i32_i24_e32 v83, v241, v127
	v_add3_u32 v29, v29, v153, v154
	v_add3_u32 v30, v30, v180, v181
	;; [unrolled: 1-line block ×4, first 2 shown]
	v_lshrrev_b32_e32 v129, 16, v7
	v_mul_i32_i24_e32 v151, v151, v128
	v_mul_i32_i24_e32 v90, v90, v88
	;; [unrolled: 1-line block ×8, first 2 shown]
	v_add3_u32 v29, v29, v155, v157
	v_add3_u32 v30, v30, v182, v184
	;; [unrolled: 1-line block ×4, first 2 shown]
	v_cvt_f32_f16_e64 v83, v129
	v_add3_u32 v29, v29, v151, v90
	v_add3_u32 v30, v30, v179, v94
	;; [unrolled: 1-line block ×4, first 2 shown]
	v_dual_mul_f32 v82, 0xc1000000, v83 :: v_dual_add_nc_u32 v5, 4, v5
	v_cvt_f32_i32_e32 v29, v29
	v_cvt_f32_i32_e32 v30, v30
	;; [unrolled: 1-line block ×4, first 2 shown]
	s_delay_alu instid0(VALU_DEP_4) | instskip(NEXT) | instid1(VALU_DEP_4)
	v_fma_mix_f32 v29, v7, v29, v82 op_sel_hi:[1,0,0]
	v_fma_mix_f32 v30, v7, v30, v82 op_sel_hi:[1,0,0]
	s_delay_alu instid0(VALU_DEP_4) | instskip(NEXT) | instid1(VALU_DEP_4)
	v_fma_mix_f32 v83, v7, v83, v82 op_sel_hi:[1,0,0]
	v_fma_mix_f32 v7, v7, v81, v82 op_sel_hi:[1,0,0]
	s_delay_alu instid0(VALU_DEP_4) | instskip(NEXT) | instid1(VALU_DEP_3)
	v_dual_fmac_f32 v33, v28, v29 :: v_dual_add_nc_u32 v6, 4, v6
	v_dual_fmac_f32 v55, v103, v83 :: v_dual_add_nc_u32 v4, 4, v4
	;; [unrolled: 1-line block ×3, first 2 shown]
	s_delay_alu instid0(VALU_DEP_4)
	v_fmac_f32_e32 v20, v104, v7
	s_cbranch_scc1 .LBB218_20
; %bb.21:                               ;   in Loop: Header=BB218_5 Depth=1
	s_barrier
	buffer_gl0_inv
	s_branch .LBB218_4
.LBB218_22:
	s_mul_i32 s0, s10, s7
	s_waitcnt vmcnt(0)
	v_cmp_gt_i32_e32 vcc_lo, s0, v31
	s_and_saveexec_b32 s0, vcc_lo
	s_cbranch_execz .LBB218_31
; %bb.23:
	v_mul_lo_u32 v0, v31, s9
	v_add_nc_u32_e32 v1, s11, v32
	s_mov_b32 s0, exec_lo
	s_delay_alu instid0(VALU_DEP_1)
	v_cmpx_gt_u32_e64 s9, v1
	s_cbranch_execz .LBB218_25
; %bb.24:
	v_bfe_u32 v3, v33, 16, 1
	s_delay_alu instid0(VALU_DEP_4) | instskip(SKIP_1) | instid1(VALU_DEP_3)
	v_add_nc_u32_e32 v2, v0, v1
	v_cmp_o_f32_e32 vcc_lo, v33, v33
	v_add3_u32 v4, v33, v3, 0x7fff
	v_mov_b32_e32 v3, 0
	s_delay_alu instid0(VALU_DEP_2) | instskip(NEXT) | instid1(VALU_DEP_2)
	v_lshrrev_b32_e32 v4, 16, v4
	v_lshlrev_b64 v[2:3], 1, v[2:3]
	s_delay_alu instid0(VALU_DEP_2) | instskip(NEXT) | instid1(VALU_DEP_2)
	v_cndmask_b32_e32 v4, 0x7fc0, v4, vcc_lo
	v_add_co_u32 v2, vcc_lo, s12, v2
	s_delay_alu instid0(VALU_DEP_3)
	v_add_co_ci_u32_e32 v3, vcc_lo, s13, v3, vcc_lo
	global_store_b16 v[2:3], v4, off
.LBB218_25:
	s_or_b32 exec_lo, exec_lo, s0
	v_add_nc_u32_e32 v2, 32, v1
	s_mov_b32 s0, exec_lo
	s_delay_alu instid0(VALU_DEP_1)
	v_cmpx_gt_u32_e64 s9, v2
	s_cbranch_execz .LBB218_27
; %bb.26:
	v_bfe_u32 v3, v58, 16, 1
	v_add_nc_u32_e32 v2, v0, v2
	v_cmp_o_f32_e32 vcc_lo, v58, v58
	s_delay_alu instid0(VALU_DEP_3) | instskip(SKIP_1) | instid1(VALU_DEP_2)
	v_add3_u32 v4, v58, v3, 0x7fff
	v_mov_b32_e32 v3, 0
	v_lshrrev_b32_e32 v4, 16, v4
	s_delay_alu instid0(VALU_DEP_2) | instskip(NEXT) | instid1(VALU_DEP_2)
	v_lshlrev_b64 v[2:3], 1, v[2:3]
	v_cndmask_b32_e32 v4, 0x7fc0, v4, vcc_lo
	s_delay_alu instid0(VALU_DEP_2) | instskip(NEXT) | instid1(VALU_DEP_3)
	v_add_co_u32 v2, vcc_lo, s12, v2
	v_add_co_ci_u32_e32 v3, vcc_lo, s13, v3, vcc_lo
	global_store_b16 v[2:3], v4, off
.LBB218_27:
	s_or_b32 exec_lo, exec_lo, s0
	v_add_nc_u32_e32 v2, 64, v1
	s_mov_b32 s0, exec_lo
	s_delay_alu instid0(VALU_DEP_1)
	v_cmpx_gt_u32_e64 s9, v2
	s_cbranch_execz .LBB218_29
; %bb.28:
	v_bfe_u32 v3, v55, 16, 1
	v_add_nc_u32_e32 v2, v0, v2
	v_cmp_o_f32_e32 vcc_lo, v55, v55
	s_delay_alu instid0(VALU_DEP_3) | instskip(SKIP_1) | instid1(VALU_DEP_2)
	v_add3_u32 v4, v55, v3, 0x7fff
	v_mov_b32_e32 v3, 0
	v_lshrrev_b32_e32 v4, 16, v4
	s_delay_alu instid0(VALU_DEP_2) | instskip(NEXT) | instid1(VALU_DEP_2)
	v_lshlrev_b64 v[2:3], 1, v[2:3]
	v_cndmask_b32_e32 v4, 0x7fc0, v4, vcc_lo
	s_delay_alu instid0(VALU_DEP_2) | instskip(NEXT) | instid1(VALU_DEP_3)
	v_add_co_u32 v2, vcc_lo, s12, v2
	v_add_co_ci_u32_e32 v3, vcc_lo, s13, v3, vcc_lo
	global_store_b16 v[2:3], v4, off
.LBB218_29:
	s_or_b32 exec_lo, exec_lo, s0
	v_add_nc_u32_e32 v1, 0x60, v1
	s_delay_alu instid0(VALU_DEP_1)
	v_cmp_gt_u32_e32 vcc_lo, s9, v1
	s_and_b32 exec_lo, exec_lo, vcc_lo
	s_cbranch_execz .LBB218_31
; %bb.30:
	v_bfe_u32 v2, v20, 16, 1
	v_dual_mov_b32 v1, 0 :: v_dual_add_nc_u32 v0, v0, v1
	v_cmp_o_f32_e32 vcc_lo, v20, v20
	s_delay_alu instid0(VALU_DEP_3) | instskip(NEXT) | instid1(VALU_DEP_3)
	v_add3_u32 v2, v20, v2, 0x7fff
	v_lshlrev_b64 v[0:1], 1, v[0:1]
	s_delay_alu instid0(VALU_DEP_2) | instskip(NEXT) | instid1(VALU_DEP_1)
	v_lshrrev_b32_e32 v2, 16, v2
	v_cndmask_b32_e32 v2, 0x7fc0, v2, vcc_lo
	s_delay_alu instid0(VALU_DEP_3) | instskip(NEXT) | instid1(VALU_DEP_4)
	v_add_co_u32 v0, vcc_lo, s12, v0
	v_add_co_ci_u32_e32 v1, vcc_lo, s13, v1, vcc_lo
	global_store_b16 v[0:1], v2, off
.LBB218_31:
	s_nop 0
	s_sendmsg sendmsg(MSG_DEALLOC_VGPRS)
	s_endpgm
	.section	.rodata,"a",@progbits
	.p2align	6, 0x0
	.amdhsa_kernel _ZL8moe_q4_0IN3c108BFloat16ELb1EEvPKvS3_PT_PKiS7_S7_iiiiiii
		.amdhsa_group_segment_fixed_size 22272
		.amdhsa_private_segment_fixed_size 0
		.amdhsa_kernarg_size 76
		.amdhsa_user_sgpr_count 14
		.amdhsa_user_sgpr_dispatch_ptr 0
		.amdhsa_user_sgpr_queue_ptr 0
		.amdhsa_user_sgpr_kernarg_segment_ptr 1
		.amdhsa_user_sgpr_dispatch_id 0
		.amdhsa_user_sgpr_private_segment_size 0
		.amdhsa_wavefront_size32 1
		.amdhsa_uses_dynamic_stack 0
		.amdhsa_enable_private_segment 0
		.amdhsa_system_sgpr_workgroup_id_x 1
		.amdhsa_system_sgpr_workgroup_id_y 1
		.amdhsa_system_sgpr_workgroup_id_z 0
		.amdhsa_system_sgpr_workgroup_info 0
		.amdhsa_system_vgpr_workitem_id 1
		.amdhsa_next_free_vgpr 242
		.amdhsa_next_free_sgpr 20
		.amdhsa_reserve_vcc 1
		.amdhsa_float_round_mode_32 0
		.amdhsa_float_round_mode_16_64 0
		.amdhsa_float_denorm_mode_32 3
		.amdhsa_float_denorm_mode_16_64 3
		.amdhsa_dx10_clamp 1
		.amdhsa_ieee_mode 1
		.amdhsa_fp16_overflow 0
		.amdhsa_workgroup_processor_mode 1
		.amdhsa_memory_ordered 1
		.amdhsa_forward_progress 0
		.amdhsa_shared_vgpr_count 0
		.amdhsa_exception_fp_ieee_invalid_op 0
		.amdhsa_exception_fp_denorm_src 0
		.amdhsa_exception_fp_ieee_div_zero 0
		.amdhsa_exception_fp_ieee_overflow 0
		.amdhsa_exception_fp_ieee_underflow 0
		.amdhsa_exception_fp_ieee_inexact 0
		.amdhsa_exception_int_div_zero 0
	.end_amdhsa_kernel
	.section	.text._ZL8moe_q4_0IN3c108BFloat16ELb1EEvPKvS3_PT_PKiS7_S7_iiiiiii,"axG",@progbits,_ZL8moe_q4_0IN3c108BFloat16ELb1EEvPKvS3_PT_PKiS7_S7_iiiiiii,comdat
.Lfunc_end218:
	.size	_ZL8moe_q4_0IN3c108BFloat16ELb1EEvPKvS3_PT_PKiS7_S7_iiiiiii, .Lfunc_end218-_ZL8moe_q4_0IN3c108BFloat16ELb1EEvPKvS3_PT_PKiS7_S7_iiiiiii
                                        ; -- End function
	.section	.AMDGPU.csdata,"",@progbits
; Kernel info:
; codeLenInByte = 8008
; NumSgprs: 22
; NumVgprs: 242
; ScratchSize: 0
; MemoryBound: 0
; FloatMode: 240
; IeeeMode: 1
; LDSByteSize: 22272 bytes/workgroup (compile time only)
; SGPRBlocks: 2
; VGPRBlocks: 30
; NumSGPRsForWavesPerEU: 22
; NumVGPRsForWavesPerEU: 242
; Occupancy: 5
; WaveLimiterHint : 1
; COMPUTE_PGM_RSRC2:SCRATCH_EN: 0
; COMPUTE_PGM_RSRC2:USER_SGPR: 14
; COMPUTE_PGM_RSRC2:TRAP_HANDLER: 0
; COMPUTE_PGM_RSRC2:TGID_X_EN: 1
; COMPUTE_PGM_RSRC2:TGID_Y_EN: 1
; COMPUTE_PGM_RSRC2:TGID_Z_EN: 0
; COMPUTE_PGM_RSRC2:TIDIG_COMP_CNT: 1
	.section	.text._ZL8moe_q4_1IN3c108BFloat16ELb0EEvPKvS3_PT_PKiS7_S7_iiiiiii,"axG",@progbits,_ZL8moe_q4_1IN3c108BFloat16ELb0EEvPKvS3_PT_PKiS7_S7_iiiiiii,comdat
	.globl	_ZL8moe_q4_1IN3c108BFloat16ELb0EEvPKvS3_PT_PKiS7_S7_iiiiiii ; -- Begin function _ZL8moe_q4_1IN3c108BFloat16ELb0EEvPKvS3_PT_PKiS7_S7_iiiiiii
	.p2align	8
	.type	_ZL8moe_q4_1IN3c108BFloat16ELb0EEvPKvS3_PT_PKiS7_S7_iiiiiii,@function
_ZL8moe_q4_1IN3c108BFloat16ELb0EEvPKvS3_PT_PKiS7_S7_iiiiiii: ; @_ZL8moe_q4_1IN3c108BFloat16ELb0EEvPKvS3_PT_PKiS7_S7_iiiiiii
; %bb.0:
	s_load_b128 s[4:7], s[0:1], 0x18
	s_mov_b32 s2, s15
	s_mov_b32 s3, 0
	s_delay_alu instid0(SALU_CYCLE_1)
	s_lshl_b64 s[8:9], s[2:3], 2
	s_waitcnt lgkmcnt(0)
	s_add_u32 s6, s6, s8
	s_addc_u32 s7, s7, s9
	s_load_b32 s12, s[6:7], 0x0
	s_waitcnt lgkmcnt(0)
	s_cmpk_gt_u32 s12, 0xff
	s_cbranch_scc1 .LBB219_31
; %bb.1:
	s_load_b64 s[6:7], s[0:1], 0x28
	s_lshl_b32 s2, s2, 3
	s_waitcnt lgkmcnt(0)
	s_load_b32 s3, s[6:7], 0x0
	s_waitcnt lgkmcnt(0)
	s_cmp_gt_u32 s2, s3
	s_cbranch_scc1 .LBB219_31
; %bb.2:
	v_bfe_u32 v1, v0, 10, 10
	v_mov_b32_e32 v8, 0
	s_lshl_b32 s14, s14, 7
	s_delay_alu instid0(VALU_DEP_2) | instskip(NEXT) | instid1(VALU_DEP_2)
	v_add_nc_u32_e32 v7, s2, v1
	v_dual_mov_b32 v55, v8 :: v_dual_and_b32 v16, 0x3ff, v0
	v_mov_b32_e32 v44, v8
	v_mov_b32_e32 v17, v8
	s_delay_alu instid0(VALU_DEP_4) | instskip(NEXT) | instid1(VALU_DEP_1)
	v_lshlrev_b64 v[2:3], 2, v[7:8]
	v_add_co_u32 v2, vcc_lo, s4, v2
	s_delay_alu instid0(VALU_DEP_2)
	v_add_co_ci_u32_e32 v3, vcc_lo, s5, v3, vcc_lo
	global_load_b32 v15, v[2:3], off
	s_clause 0x2
	s_load_b64 s[10:11], s[0:1], 0x30
	s_load_b64 s[8:9], s[0:1], 0x10
	s_load_b128 s[4:7], s[0:1], 0x3c
	s_waitcnt lgkmcnt(0)
	s_cmp_lt_i32 s11, 32
	s_cbranch_scc1 .LBB219_22
; %bb.3:
	s_load_b128 s[0:3], s[0:1], 0x0
	s_ashr_i32 s13, s11, 31
	s_ashr_i32 s15, s5, 31
	s_mul_i32 s12, s12, s10
	s_lshr_b32 s10, s13, 27
	s_lshr_b32 s13, s15, 27
	s_add_i32 s17, s11, s10
	s_add_i32 s10, s5, s13
	s_ashr_i32 s5, s17, 5
	s_ashr_i32 s15, s12, 31
	s_mul_i32 s13, s5, s14
	s_ashr_i32 s10, s10, 5
	s_mul_hi_i32 s16, s13, 20
	s_mul_i32 s13, s13, 20
	v_lshrrev_b32_e32 v22, 3, v16
	s_waitcnt vmcnt(0)
	v_sub_nc_u32_e32 v5, 0, v15
	v_and_b32_e32 v19, 7, v16
	v_mul_lo_u32 v20, s5, v1
	v_dual_mov_b32 v17, 0 :: v_dual_lshlrev_b32 v0, 2, v16
	s_waitcnt lgkmcnt(0)
	s_add_u32 s0, s0, s12
	s_addc_u32 s1, s1, s15
	s_add_u32 s15, s0, s13
	s_addc_u32 s16, s1, s16
	s_abs_i32 s1, s7
	v_max_i32_e32 v5, v15, v5
	v_cvt_f32_u32_e32 v3, s1
	s_sub_i32 s12, 0, s1
	v_lshlrev_b32_e32 v7, 2, v19
	s_lshl_b32 s0, s5, 3
	v_mad_u32_u24 v25, 0x84, v1, v0
	v_rcp_iflag_f32_e32 v3, v3
	v_lshlrev_b32_e32 v2, 2, v1
	v_add_nc_u32_e32 v21, s0, v20
	s_and_not1_b32 s17, s17, 31
	v_lshrrev_b32_e32 v18, 2, v16
	v_add_nc_u32_e32 v27, 0x420, v25
	v_add_nc_u32_e32 v29, 0x840, v25
	;; [unrolled: 1-line block ×5, first 2 shown]
	v_dual_mul_f32 v3, 0x4f7ffffe, v3 :: v_dual_add_nc_u32 v6, v22, v2
	v_or_b32_e32 v2, v2, v16
	v_add_nc_u32_e32 v34, 0x18c0, v25
	v_add_nc_u32_e32 v35, 0x1ce0, v25
	s_delay_alu instid0(VALU_DEP_4)
	v_cvt_u32_f32_e32 v3, v3
	v_and_b32_e32 v9, 0x1ffc, v6
	v_add_nc_u32_e32 v10, 32, v6
	v_lshl_add_u32 v61, v2, 2, 0x5680
	v_add_nc_u32_e32 v2, 32, v16
	v_mul_lo_u32 v8, s12, v3
	v_add3_u32 v12, v9, v7, 0x4200
	v_and_b32_e32 v9, 0x3ffc, v10
	v_lshlrev_b32_e32 v13, 5, v10
	v_lshrrev_b32_e32 v63, 3, v2
	v_and_b32_e32 v2, 0x1fc, v2
	v_add_nc_u32_e32 v37, 0x2100, v25
	v_add3_u32 v55, v9, v7, 0x4200
	v_mul_hi_u32 v8, v3, v8
	v_add_nc_u32_e32 v38, 0x2520, v25
	v_add_nc_u32_e32 v40, 0x2940, v25
	;; [unrolled: 1-line block ×3, first 2 shown]
	v_dual_mov_b32 v55, 0 :: v_dual_add_nc_u32 v78, v55, v13
	v_mul_lo_u32 v48, s5, v6
	v_lshlrev_b32_e32 v11, 5, v6
	v_add_nc_u32_e32 v3, v3, v8
	v_add_nc_u32_e32 v8, 64, v6
	v_add_nc_u32_e32 v6, 0x60, v6
	v_add_nc_u32_e32 v42, 0x3180, v25
	v_add_nc_u32_e32 v43, 0x35a0, v25
	v_mul_hi_u32 v3, v5, v3
	v_and_b32_e32 v10, 0x3ffc, v8
	v_lshlrev_b32_e32 v8, 5, v8
	v_and_b32_e32 v14, 0x3ffc, v6
	v_add_nc_u32_e32 v53, s17, v48
	v_lshlrev_b32_e32 v6, 5, v6
	v_add3_u32 v79, v10, v7, 0x4200
	v_add_nc_u32_e32 v46, 0x39c0, v25
	v_mul_lo_u32 v44, v3, s1
	v_add_nc_u32_e32 v9, 1, v3
	v_add3_u32 v7, v14, v7, 0x4200
	v_dual_mov_b32 v8, 0 :: v_dual_add_nc_u32 v79, v79, v8
	v_add_nc_u32_e32 v23, s0, v21
	v_lshlrev_b32_e32 v14, 7, v1
	v_add_nc_u32_e32 v56, s17, v53
	v_sub_nc_u32_e32 v5, v5, v44
	v_add_nc_u32_e32 v47, 0x3de0, v25
	v_mul_u32_u24_e32 v62, 0x84, v16
	v_add_nc_u32_e32 v70, 0x5280, v14
	v_add_nc_u32_e32 v58, s17, v56
	v_subrev_nc_u32_e32 v10, s1, v5
	v_cmp_le_u32_e32 vcc_lo, s1, v5
	v_and_b32_e32 v4, 31, v16
	v_and_b32_e32 v24, 12, v0
	;; [unrolled: 1-line block ×3, first 2 shown]
	v_lshl_add_u32 v71, v1, 4, 0x5680
	v_cndmask_b32_e32 v5, v5, v10, vcc_lo
	v_cndmask_b32_e32 v3, v3, v9, vcc_lo
	v_xor_b32_e32 v9, s7, v15
	v_lshl_or_b32 v4, v4, 2, v14
	v_mad_u32_u24 v76, 0x84, v16, 64
	v_cmp_le_u32_e32 vcc_lo, s1, v5
	v_add_nc_u32_e32 v10, 1, v3
	v_add_nc_u32_e32 v26, s0, v23
	v_ashrrev_i32_e32 v44, 31, v9
	v_add_nc_u32_e32 v60, 0x5280, v4
	s_delay_alu instid0(VALU_DEP_4) | instskip(NEXT) | instid1(VALU_DEP_4)
	v_dual_cndmask_b32 v3, v3, v10 :: v_dual_add_nc_u32 v4, 0x60, v16
	v_add_nc_u32_e32 v28, s0, v26
	v_lshlrev_b32_e32 v5, 5, v16
	v_cmp_gt_u32_e32 vcc_lo, 4, v16
	s_delay_alu instid0(VALU_DEP_4)
	v_and_b32_e32 v4, 0x1fc, v4
	v_add_nc_u32_e32 v77, v12, v11
	v_add_nc_u32_e32 v32, s0, v28
	;; [unrolled: 1-line block ×4, first 2 shown]
	s_add_u32 s12, s2, 0x90
	s_mov_b32 s17, 0
	v_add_nc_u32_e32 v36, s0, v32
	v_add_nc_u32_e32 v68, 0x4600, v2
	;; [unrolled: 1-line block ×3, first 2 shown]
	s_addc_u32 s13, s3, 0
	s_delay_alu instid0(VALU_DEP_3) | instskip(NEXT) | instid1(VALU_DEP_1)
	v_add_nc_u32_e32 v39, s0, v36
	v_add_nc_u32_e32 v45, s0, v39
	s_delay_alu instid0(VALU_DEP_1) | instskip(NEXT) | instid1(VALU_DEP_1)
	v_add_nc_u32_e32 v49, s0, v45
	v_add_nc_u32_e32 v50, s0, v49
	s_delay_alu instid0(VALU_DEP_1) | instskip(NEXT) | instid1(VALU_DEP_1)
	;; [unrolled: 3-line block ×3, first 2 shown]
	v_add_nc_u32_e32 v54, s0, v52
	v_add_nc_u32_e32 v57, s0, v54
	s_delay_alu instid0(VALU_DEP_1) | instskip(SKIP_4) | instid1(VALU_DEP_3)
	v_add_nc_u32_e32 v59, s0, v57
	v_add_co_u32 v9, s0, s2, v0
	v_xor_b32_e32 v0, v3, v44
	v_add_nc_u32_e32 v3, 64, v16
	v_add_co_ci_u32_e64 v10, null, s3, 0, s0
	v_sub_nc_u32_e32 v0, v0, v44
	s_delay_alu instid0(VALU_DEP_3) | instskip(SKIP_1) | instid1(VALU_DEP_3)
	v_and_b32_e32 v3, 0x1fc, v3
	v_and_b32_e32 v44, 0xfc, v16
	v_mul_lo_u32 v64, v0, s10
	v_cmp_gt_i32_e64 s0, s4, v0
	v_add_nc_u32_e32 v0, v5, v4
	v_add_nc_u32_e32 v3, v5, v3
	;; [unrolled: 1-line block ×3, first 2 shown]
	v_mov_b32_e32 v44, 0
	s_delay_alu instid0(VALU_DEP_4)
	v_add_nc_u32_e32 v66, 0x4e00, v0
	v_ashrrev_i32_e32 v65, 31, v64
	v_add_nc_u32_e32 v67, 0x4a00, v3
	v_add_nc_u32_e32 v69, 0x4200, v4
	v_add_nc_u32_e32 v72, 0x4e10, v0
	v_add_nc_u32_e32 v73, 0x4a10, v3
	v_add_nc_u32_e32 v75, 0x4210, v4
	s_branch .LBB219_5
.LBB219_4:                              ;   in Loop: Header=BB219_5 Depth=1
	s_add_i32 s17, s17, 8
	s_delay_alu instid0(SALU_CYCLE_1)
	s_cmp_ge_i32 s17, s5
	s_cbranch_scc1 .LBB219_22
.LBB219_5:                              ; =>This Loop Header: Depth=1
                                        ;     Child Loop BB219_12 Depth 2
                                        ;     Child Loop BB219_20 Depth 2
	s_mul_i32 s1, s17, 20
	s_mul_hi_u32 s19, s17, 20
	s_add_u32 s18, s15, s1
	s_addc_u32 s19, s16, s19
	s_delay_alu instid0(SALU_CYCLE_1) | instskip(NEXT) | instid1(VALU_DEP_1)
	v_mad_u64_u32 v[0:1], null, v18, 20, s[18:19]
	v_add_co_u32 v0, s1, v0, v24
	s_delay_alu instid0(VALU_DEP_1) | instskip(NEXT) | instid1(VALU_DEP_2)
	v_add_co_ci_u32_e64 v1, s1, 0, v1, s1
	v_add_co_u32 v0, s1, v0, 4
	s_delay_alu instid0(VALU_DEP_1) | instskip(NEXT) | instid1(VALU_DEP_1)
	v_add_co_ci_u32_e64 v1, s1, 0, v1, s1
	v_mad_u64_u32 v[2:3], null, v20, 20, v[0:1]
	v_mad_u64_u32 v[4:5], null, v21, 20, v[0:1]
	;; [unrolled: 1-line block ×8, first 2 shown]
	s_clause 0x7
	global_load_b32 v95, v[2:3], off
	global_load_b32 v96, v[4:5], off
	;; [unrolled: 1-line block ×8, first 2 shown]
	v_mad_u64_u32 v[81:82], null, v19, 20, s[18:19]
	v_mad_u64_u32 v[2:3], null, v45, 20, v[0:1]
	;; [unrolled: 1-line block ×13, first 2 shown]
	s_clause 0xb
	global_load_b32 v2, v[2:3], off
	global_load_b32 v3, v[4:5], off
	;; [unrolled: 1-line block ×12, first 2 shown]
	s_lshl_b32 s18, s17, 5
	s_waitcnt vmcnt(19)
	ds_store_b32 v25, v95
	s_waitcnt vmcnt(18)
	ds_store_b32 v27, v96
	;; [unrolled: 2-line block ×20, first 2 shown]
	s_cmp_lt_i32 s18, s11
	s_cbranch_scc0 .LBB219_4
; %bb.6:                                ;   in Loop: Header=BB219_5 Depth=1
	v_add_nc_u32_e32 v0, s17, v22
	s_delay_alu instid0(VALU_DEP_1) | instskip(NEXT) | instid1(VALU_DEP_1)
	v_cmp_gt_i32_e64 s1, s10, v0
	s_and_b32 s19, s0, s1
	s_delay_alu instid0(SALU_CYCLE_1)
	s_and_saveexec_b32 s1, s19
	s_cbranch_execz .LBB219_8
; %bb.7:                                ;   in Loop: Header=BB219_5 Depth=1
	v_add_nc_u32_e32 v2, v64, v0
	s_delay_alu instid0(VALU_DEP_1)
	v_mad_i64_i32 v[0:1], null, v2, 36, v[9:10]
	global_load_b32 v0, v[0:1], off offset:4
	s_waitcnt vmcnt(0)
	ds_store_b32 v60, v0
.LBB219_8:                              ;   in Loop: Header=BB219_5 Depth=1
	s_or_b32 exec_lo, exec_lo, s1
	s_and_saveexec_b32 s19, vcc_lo
	s_cbranch_execz .LBB219_11
; %bb.9:                                ;   in Loop: Header=BB219_5 Depth=1
	v_or_b32_e32 v0, s17, v16
	s_delay_alu instid0(VALU_DEP_1) | instskip(NEXT) | instid1(VALU_DEP_1)
	v_cmp_gt_i32_e64 s1, s10, v0
	s_and_b32 s1, s0, s1
	s_delay_alu instid0(SALU_CYCLE_1)
	s_and_b32 exec_lo, exec_lo, s1
	s_cbranch_execz .LBB219_11
; %bb.10:                               ;   in Loop: Header=BB219_5 Depth=1
	v_add_nc_u32_e32 v2, v64, v0
	s_delay_alu instid0(VALU_DEP_1)
	v_mad_i64_i32 v[0:1], null, v2, 36, s[2:3]
	global_load_b32 v0, v[0:1], off
	s_waitcnt vmcnt(0)
	ds_store_b32 v61, v0
.LBB219_11:                             ;   in Loop: Header=BB219_5 Depth=1
	s_or_b32 exec_lo, exec_lo, s19
	v_dual_mov_b32 v81, v71 :: v_dual_mov_b32 v82, v70
	v_dual_mov_b32 v83, v62 :: v_dual_mov_b32 v84, v69
	;; [unrolled: 1-line block ×3, first 2 shown]
	v_mov_b32_e32 v87, v66
	s_mov_b32 s1, -4
	s_waitcnt lgkmcnt(0)
	s_barrier
	buffer_gl0_inv
.LBB219_12:                             ;   Parent Loop BB219_5 Depth=1
                                        ; =>  This Inner Loop Header: Depth=2
	ds_load_b128 v[4:7], v82
	ds_load_b128 v[0:3], v82 offset:16
	ds_load_2addr_b32 v[11:12], v83 offset1:1
	ds_load_2addr_b32 v[13:14], v83 offset0:2 offset1:3
	v_add_nc_u32_e32 v88, 0x1080, v83
	v_add_nc_u32_e32 v90, 0x1088, v83
	;; [unrolled: 1-line block ×6, first 2 shown]
	ds_load_b32 v100, v85
	ds_load_b32 v101, v84
	;; [unrolled: 1-line block ×4, first 2 shown]
	ds_load_2addr_b32 v[88:89], v88 offset1:1
	ds_load_2addr_b32 v[90:91], v90 offset1:1
	;; [unrolled: 1-line block ×6, first 2 shown]
	ds_load_b32 v104, v81
	v_add_nc_u32_e32 v84, 4, v84
	v_add_nc_u32_e32 v83, 16, v83
	;; [unrolled: 1-line block ×4, first 2 shown]
	s_add_i32 s1, s1, 4
	s_delay_alu instid0(SALU_CYCLE_1)
	s_cmp_lt_u32 s1, 12
	s_waitcnt lgkmcnt(14)
	v_bfe_i32 v105, v4, 0, 8
	s_waitcnt lgkmcnt(13)
	v_bfe_i32 v108, v0, 0, 8
	s_waitcnt lgkmcnt(12)
	v_and_b32_e32 v130, 15, v11
	v_bfe_u32 v134, v11, 4, 4
	v_bfe_i32 v111, v5, 0, 8
	s_waitcnt lgkmcnt(6)
	v_and_b32_e32 v158, 15, v88
	v_bfe_i32 v114, v1, 0, 8
	v_mul_i32_i24_e32 v130, v130, v105
	s_waitcnt lgkmcnt(4)
	v_and_b32_e32 v186, 15, v92
	s_waitcnt lgkmcnt(2)
	v_and_b32_e32 v208, 15, v96
	v_and_b32_e32 v137, 15, v12
	v_bfe_u32 v141, v12, 4, 4
	v_bfe_u32 v162, v88, 4, 4
	v_and_b32_e32 v165, 15, v89
	v_bfe_u32 v169, v89, 4, 4
	v_bfe_u32 v190, v92, 4, 4
	;; [unrolled: 3-line block ×3, first 2 shown]
	v_and_b32_e32 v218, 15, v97
	v_bfe_u32 v219, v97, 4, 4
	v_mad_i32_i24 v130, v134, v108, v130
	v_mul_i32_i24_e32 v134, v158, v105
	v_mul_i32_i24_e32 v158, v186, v105
	;; [unrolled: 1-line block ×3, first 2 shown]
	v_bfe_i32 v106, v4, 8, 8
	v_bfe_i32 v115, v1, 8, 8
	;; [unrolled: 1-line block ×3, first 2 shown]
	v_ashrrev_i32_e32 v1, 24, v1
	v_bfe_i32 v117, v6, 0, 8
	v_bfe_u32 v131, v11, 8, 4
	v_bfe_u32 v136, v12, 20, 4
	;; [unrolled: 1-line block ×6, first 2 shown]
	v_lshrrev_b32_e32 v12, 28, v12
	v_and_b32_e32 v144, 15, v13
	v_mul_i32_i24_e32 v137, v137, v111
	v_mul_i32_i24_e32 v141, v141, v114
	v_bfe_u32 v159, v88, 8, 4
	v_bfe_u32 v164, v89, 20, 4
	;; [unrolled: 1-line block ×6, first 2 shown]
	v_lshrrev_b32_e32 v89, 28, v89
	v_and_b32_e32 v172, 15, v90
	v_bfe_u32 v187, v92, 8, 4
	v_bfe_u32 v192, v93, 20, 4
	;; [unrolled: 1-line block ×6, first 2 shown]
	v_lshrrev_b32_e32 v93, 28, v93
	v_and_b32_e32 v200, 15, v94
	v_bfe_u32 v216, v96, 8, 4
	v_bfe_u32 v222, v97, 20, 4
	;; [unrolled: 1-line block ×6, first 2 shown]
	v_lshrrev_b32_e32 v97, 28, v97
	s_waitcnt lgkmcnt(1)
	v_and_b32_e32 v228, 15, v98
	v_mul_i32_i24_e32 v165, v165, v111
	v_mul_i32_i24_e32 v169, v169, v114
	v_mul_i32_i24_e32 v186, v193, v111
	v_mul_i32_i24_e32 v193, v197, v114
	v_mul_i32_i24_e32 v111, v218, v111
	v_mul_i32_i24_e32 v114, v219, v114
	v_mad_i32_i24 v134, v162, v108, v134
	v_mad_i32_i24 v158, v190, v108, v158
	v_mad_i32_i24 v105, v210, v108, v105
	v_bfe_i32 v107, v4, 16, 8
	v_ashrrev_i32_e32 v4, 24, v4
	v_bfe_i32 v118, v6, 8, 8
	v_bfe_i32 v120, v2, 0, 8
	v_bfe_u32 v132, v11, 16, 4
	v_bfe_u32 v133, v11, 24, 4
	;; [unrolled: 1-line block ×3, first 2 shown]
	v_mul_i32_i24_e32 v131, v131, v106
	v_mul_i32_i24_e32 v144, v144, v117
	v_bfe_u32 v160, v88, 16, 4
	v_bfe_u32 v161, v88, 24, 4
	;; [unrolled: 1-line block ×11, first 2 shown]
	v_mul_i32_i24_e32 v12, v12, v1
	v_mul_i32_i24_e32 v159, v159, v106
	;; [unrolled: 1-line block ×10, first 2 shown]
	v_add3_u32 v108, v130, v137, v141
	v_add3_u32 v130, v134, v165, v169
	;; [unrolled: 1-line block ×4, first 2 shown]
	v_bfe_i32 v119, v6, 16, 8
	v_ashrrev_i32_e32 v6, 24, v6
	v_bfe_i32 v123, v7, 0, 8
	v_and_b32_e32 v151, 15, v14
	v_and_b32_e32 v179, 15, v91
	v_bfe_u32 v203, v94, 24, 4
	v_and_b32_e32 v207, 15, v95
	v_and_b32_e32 v235, 15, v99
	v_mul_i32_i24_e32 v132, v132, v107
	v_mul_i32_i24_e32 v133, v133, v4
	;; [unrolled: 1-line block ×14, first 2 shown]
	v_add3_u32 v108, v108, v144, v131
	v_add3_u32 v114, v130, v172, v159
	;; [unrolled: 1-line block ×4, first 2 shown]
	v_bfe_i32 v109, v0, 8, 8
	v_bfe_i32 v110, v0, 16, 8
	v_bfe_u32 v129, v11, 20, 4
	v_bfe_u32 v135, v11, 12, 4
	;; [unrolled: 1-line block ×8, first 2 shown]
	v_mul_i32_i24_e32 v151, v151, v123
	v_mul_i32_i24_e32 v179, v179, v123
	;; [unrolled: 1-line block ×5, first 2 shown]
	v_add3_u32 v106, v108, v132, v133
	v_add3_u32 v108, v114, v160, v161
	v_add3_u32 v114, v120, v188, v189
	v_add3_u32 v4, v97, v107, v4
	v_ashrrev_i32_e32 v0, 24, v0
	v_bfe_i32 v112, v5, 8, 8
	v_lshrrev_b32_e32 v11, 28, v11
	v_lshrrev_b32_e32 v88, 28, v88
	;; [unrolled: 1-line block ×4, first 2 shown]
	v_mul_i32_i24_e32 v135, v135, v109
	v_mul_i32_i24_e32 v129, v129, v110
	;; [unrolled: 1-line block ×8, first 2 shown]
	v_add3_u32 v97, v106, v148, v151
	v_add3_u32 v106, v108, v176, v179
	;; [unrolled: 1-line block ×4, first 2 shown]
	v_bfe_i32 v113, v5, 16, 8
	v_ashrrev_i32_e32 v5, 24, v5
	v_mul_i32_i24_e32 v11, v11, v0
	v_mul_i32_i24_e32 v138, v138, v112
	;; [unrolled: 1-line block ×8, first 2 shown]
	v_add3_u32 v97, v97, v135, v129
	v_add3_u32 v106, v106, v163, v157
	;; [unrolled: 1-line block ×4, first 2 shown]
	v_bfe_i32 v126, v3, 0, 8
	v_bfe_u32 v155, v14, 4, 4
	v_bfe_u32 v183, v91, 4, 4
	v_bfe_u32 v213, v95, 4, 4
	v_bfe_u32 v239, v99, 4, 4
	v_mul_i32_i24_e32 v139, v139, v113
	v_mul_i32_i24_e32 v140, v140, v5
	;; [unrolled: 1-line block ×8, first 2 shown]
	v_add3_u32 v11, v97, v11, v138
	v_add3_u32 v88, v106, v88, v96
	v_add3_u32 v92, v107, v92, v166
	v_add3_u32 v0, v4, v0, v112
	v_mul_i32_i24_e32 v142, v142, v115
	v_mul_i32_i24_e32 v155, v155, v126
	;; [unrolled: 1-line block ×8, first 2 shown]
	v_add3_u32 v11, v11, v139, v140
	v_add3_u32 v88, v88, v167, v168
	;; [unrolled: 1-line block ×4, first 2 shown]
	v_bfe_u32 v145, v13, 8, 4
	v_bfe_u32 v146, v13, 16, 4
	;; [unrolled: 1-line block ×6, first 2 shown]
	v_mul_i32_i24_e32 v136, v136, v116
	v_mul_i32_i24_e32 v164, v164, v116
	;; [unrolled: 1-line block ×4, first 2 shown]
	v_add3_u32 v5, v11, v155, v142
	v_add3_u32 v11, v88, v183, v170
	;; [unrolled: 1-line block ×4, first 2 shown]
	v_bfe_i32 v121, v2, 8, 8
	v_bfe_u32 v147, v13, 24, 4
	v_bfe_u32 v149, v13, 12, 4
	;; [unrolled: 1-line block ×7, first 2 shown]
	v_mul_i32_i24_e32 v145, v145, v118
	v_mul_i32_i24_e32 v146, v146, v119
	;; [unrolled: 1-line block ×6, first 2 shown]
	v_add3_u32 v5, v5, v136, v12
	v_add3_u32 v11, v11, v164, v89
	;; [unrolled: 1-line block ×4, first 2 shown]
	v_bfe_i32 v122, v2, 16, 8
	v_ashrrev_i32_e32 v2, 24, v2
	v_bfe_u32 v143, v13, 20, 4
	v_lshrrev_b32_e32 v13, 28, v13
	v_bfe_u32 v171, v90, 20, 4
	v_lshrrev_b32_e32 v90, 28, v90
	;; [unrolled: 2-line block ×4, first 2 shown]
	v_mul_i32_i24_e32 v147, v147, v6
	v_mul_i32_i24_e32 v149, v149, v121
	;; [unrolled: 1-line block ×7, first 2 shown]
	v_add3_u32 v5, v5, v145, v146
	v_add3_u32 v11, v11, v117, v174
	v_add3_u32 v12, v12, v173, v198
	v_add3_u32 v0, v0, v118, v119
	v_bfe_i32 v124, v7, 8, 8
	v_bfe_i32 v125, v7, 16, 8
	v_bfe_u32 v152, v14, 8, 4
	v_bfe_u32 v153, v14, 16, 4
	;; [unrolled: 1-line block ×8, first 2 shown]
	v_mul_i32_i24_e32 v143, v143, v122
	v_mul_i32_i24_e32 v13, v13, v2
	;; [unrolled: 1-line block ×8, first 2 shown]
	v_add3_u32 v5, v5, v147, v149
	v_add3_u32 v11, v11, v175, v177
	;; [unrolled: 1-line block ×4, first 2 shown]
	v_ashrrev_i32_e32 v7, 24, v7
	v_bfe_i32 v127, v3, 8, 8
	v_bfe_u32 v154, v14, 24, 4
	v_bfe_u32 v156, v14, 12, 4
	;; [unrolled: 1-line block ×8, first 2 shown]
	v_mul_i32_i24_e32 v152, v152, v124
	v_mul_i32_i24_e32 v153, v153, v125
	;; [unrolled: 1-line block ×8, first 2 shown]
	v_add3_u32 v5, v5, v143, v13
	v_add3_u32 v11, v11, v171, v90
	;; [unrolled: 1-line block ×4, first 2 shown]
	v_bfe_i32 v128, v3, 16, 8
	v_ashrrev_i32_e32 v3, 24, v3
	v_bfe_u32 v150, v14, 20, 4
	v_lshrrev_b32_e32 v14, 28, v14
	v_bfe_u32 v178, v91, 20, 4
	v_lshrrev_b32_e32 v91, 28, v91
	;; [unrolled: 2-line block ×4, first 2 shown]
	v_mul_i32_i24_e32 v154, v154, v7
	v_mul_i32_i24_e32 v156, v156, v127
	;; [unrolled: 1-line block ×8, first 2 shown]
	v_add3_u32 v5, v5, v152, v153
	v_add3_u32 v11, v11, v180, v181
	;; [unrolled: 1-line block ×4, first 2 shown]
	v_mul_i32_i24_e32 v150, v150, v128
	v_mul_i32_i24_e32 v14, v14, v3
	;; [unrolled: 1-line block ×8, first 2 shown]
	v_add3_u32 v3, v5, v154, v156
	v_add3_u32 v4, v11, v182, v184
	;; [unrolled: 1-line block ×4, first 2 shown]
	s_waitcnt lgkmcnt(0)
	v_pk_mul_f16 v101, v104, v101
	v_add3_u32 v3, v3, v150, v14
	v_add3_u32 v4, v4, v178, v91
	;; [unrolled: 1-line block ×4, first 2 shown]
	v_pk_mul_f16 v100, v104, v100
	v_pk_mul_f16 v6, v104, v102
	;; [unrolled: 1-line block ×3, first 2 shown]
	v_cvt_f32_i32_e32 v2, v3
	v_cvt_f32_i32_e32 v3, v4
	;; [unrolled: 1-line block ×4, first 2 shown]
	s_delay_alu instid0(VALU_DEP_4) | instskip(NEXT) | instid1(VALU_DEP_4)
	v_fma_mix_f32 v2, v101, v2, v101 op_sel:[0,0,1] op_sel_hi:[1,0,1]
	v_fma_mix_f32 v3, v100, v3, v100 op_sel:[0,0,1] op_sel_hi:[1,0,1]
	s_delay_alu instid0(VALU_DEP_4) | instskip(NEXT) | instid1(VALU_DEP_4)
	v_fma_mix_f32 v4, v6, v4, v6 op_sel:[0,0,1] op_sel_hi:[1,0,1]
	v_fma_mix_f32 v0, v1, v0, v1 op_sel:[0,0,1] op_sel_hi:[1,0,1]
	v_add_nc_u32_e32 v87, 4, v87
	s_delay_alu instid0(VALU_DEP_4) | instskip(NEXT) | instid1(VALU_DEP_3)
	v_dual_add_f32 v55, v55, v3 :: v_dual_add_nc_u32 v86, 4, v86
	v_dual_add_f32 v8, v8, v0 :: v_dual_add_nc_u32 v85, 4, v85
	v_dual_add_f32 v17, v17, v2 :: v_dual_add_f32 v44, v44, v4
	s_cbranch_scc1 .LBB219_12
; %bb.13:                               ;   in Loop: Header=BB219_5 Depth=1
	s_bitset1_b32 s18, 7
	s_delay_alu instid0(SALU_CYCLE_1)
	s_cmp_ge_i32 s18, s11
	s_barrier
	buffer_gl0_inv
	s_cbranch_scc1 .LBB219_4
; %bb.14:                               ;   in Loop: Header=BB219_5 Depth=1
	v_add_nc_u32_e32 v0, s17, v63
	s_delay_alu instid0(VALU_DEP_1) | instskip(NEXT) | instid1(VALU_DEP_1)
	v_cmp_gt_i32_e64 s1, s10, v0
	s_and_b32 s18, s0, s1
	s_delay_alu instid0(SALU_CYCLE_1)
	s_and_saveexec_b32 s1, s18
	s_cbranch_execz .LBB219_16
; %bb.15:                               ;   in Loop: Header=BB219_5 Depth=1
	v_add_nc_u32_e32 v2, v64, v0
	s_delay_alu instid0(VALU_DEP_1)
	v_mad_i64_i32 v[0:1], null, v2, 36, v[9:10]
	global_load_b32 v0, v[0:1], off offset:4
	s_waitcnt vmcnt(0)
	ds_store_b32 v60, v0
.LBB219_16:                             ;   in Loop: Header=BB219_5 Depth=1
	s_or_b32 exec_lo, exec_lo, s1
	s_and_saveexec_b32 s18, vcc_lo
	s_cbranch_execz .LBB219_19
; %bb.17:                               ;   in Loop: Header=BB219_5 Depth=1
	v_or_b32_e32 v0, s17, v16
	s_delay_alu instid0(VALU_DEP_1) | instskip(NEXT) | instid1(VALU_DEP_1)
	v_or_b32_e32 v1, 4, v0
	v_cmp_gt_i32_e64 s1, s10, v1
	s_delay_alu instid0(VALU_DEP_1) | instskip(NEXT) | instid1(SALU_CYCLE_1)
	s_and_b32 s1, s0, s1
	s_and_b32 exec_lo, exec_lo, s1
	s_cbranch_execz .LBB219_19
; %bb.18:                               ;   in Loop: Header=BB219_5 Depth=1
	v_ashrrev_i32_e32 v1, 31, v0
	v_add_co_u32 v2, s1, v64, v0
	s_delay_alu instid0(VALU_DEP_1) | instskip(NEXT) | instid1(VALU_DEP_2)
	v_add_co_ci_u32_e64 v3, s1, v65, v1, s1
	v_mad_u64_u32 v[0:1], null, v2, 36, s[12:13]
	s_delay_alu instid0(VALU_DEP_1)
	v_mad_i32_i24 v1, v3, 36, v1
	global_load_b32 v0, v[0:1], off
	s_waitcnt vmcnt(0)
	ds_store_b32 v61, v0
.LBB219_19:                             ;   in Loop: Header=BB219_5 Depth=1
	s_or_b32 exec_lo, exec_lo, s18
	v_dual_mov_b32 v0, v71 :: v_dual_mov_b32 v1, v70
	v_dual_mov_b32 v2, v76 :: v_dual_mov_b32 v3, v75
	;; [unrolled: 1-line block ×3, first 2 shown]
	v_mov_b32_e32 v6, v72
	s_mov_b32 s1, 12
	s_waitcnt lgkmcnt(0)
	s_barrier
	buffer_gl0_inv
.LBB219_20:                             ;   Parent Loop BB219_5 Depth=1
                                        ; =>  This Inner Loop Header: Depth=2
	v_add_nc_u32_e32 v89, 0x1080, v2
	v_add_nc_u32_e32 v91, 0x1088, v2
	ds_load_b128 v[11:14], v1
	ds_load_b128 v[81:84], v1 offset:16
	ds_load_b32 v7, v0
	ds_load_2addr_b32 v[85:86], v2 offset1:1
	ds_load_b32 v101, v4
	ds_load_b32 v102, v3
	ds_load_2addr_b32 v[87:88], v2 offset0:2 offset1:3
	v_add_nc_u32_e32 v93, 0x2100, v2
	v_add_nc_u32_e32 v95, 0x2108, v2
	;; [unrolled: 1-line block ×4, first 2 shown]
	ds_load_b32 v103, v5
	ds_load_b32 v104, v6
	ds_load_2addr_b32 v[89:90], v89 offset1:1
	ds_load_2addr_b32 v[91:92], v91 offset1:1
	;; [unrolled: 1-line block ×6, first 2 shown]
	v_add_nc_u32_e32 v5, 4, v5
	v_add_nc_u32_e32 v3, 4, v3
	;; [unrolled: 1-line block ×5, first 2 shown]
	s_add_i32 s1, s1, 4
	s_waitcnt lgkmcnt(14)
	v_bfe_i32 v105, v11, 0, 8
	v_bfe_i32 v106, v11, 8, 8
	;; [unrolled: 1-line block ×3, first 2 shown]
	s_waitcnt lgkmcnt(11)
	v_and_b32_e32 v130, 15, v85
	v_ashrrev_i32_e32 v11, 24, v11
	v_bfe_i32 v108, v81, 0, 8
	v_bfe_i32 v109, v81, 8, 8
	v_bfe_i32 v111, v12, 0, 8
	v_bfe_i32 v112, v12, 8, 8
	v_bfe_i32 v113, v12, 16, 8
	v_ashrrev_i32_e32 v12, 24, v12
	v_bfe_i32 v114, v82, 0, 8
	v_bfe_i32 v115, v82, 8, 8
	v_bfe_i32 v117, v13, 0, 8
	v_bfe_i32 v118, v13, 8, 8
	v_bfe_i32 v119, v13, 16, 8
	;; [unrolled: 6-line block ×3, first 2 shown]
	v_ashrrev_i32_e32 v14, 24, v14
	v_bfe_i32 v126, v84, 0, 8
	v_bfe_i32 v127, v84, 8, 8
	v_bfe_u32 v134, v85, 4, 4
	v_mul_i32_i24_e32 v130, v130, v105
	s_waitcnt lgkmcnt(5)
	v_and_b32_e32 v158, 15, v89
	v_bfe_u32 v159, v89, 8, 4
	v_bfe_u32 v160, v89, 16, 4
	;; [unrolled: 1-line block ×4, first 2 shown]
	v_and_b32_e32 v165, 15, v90
	v_bfe_u32 v166, v90, 8, 4
	v_bfe_u32 v167, v90, 16, 4
	;; [unrolled: 1-line block ×5, first 2 shown]
	s_waitcnt lgkmcnt(4)
	v_and_b32_e32 v172, 15, v91
	v_bfe_u32 v173, v91, 8, 4
	v_bfe_u32 v174, v91, 16, 4
	;; [unrolled: 1-line block ×5, first 2 shown]
	v_and_b32_e32 v179, 15, v92
	v_bfe_u32 v180, v92, 8, 4
	v_bfe_u32 v181, v92, 16, 4
	v_bfe_u32 v182, v92, 24, 4
	v_bfe_u32 v183, v92, 4, 4
	v_bfe_u32 v184, v92, 12, 4
	s_waitcnt lgkmcnt(3)
	v_and_b32_e32 v186, 15, v93
	s_waitcnt lgkmcnt(1)
	v_and_b32_e32 v214, 15, v97
	v_bfe_i32 v110, v81, 16, 8
	v_ashrrev_i32_e32 v81, 24, v81
	v_bfe_i32 v116, v82, 16, 8
	v_ashrrev_i32_e32 v82, 24, v82
	v_bfe_u32 v129, v85, 20, 4
	v_bfe_u32 v131, v85, 8, 4
	;; [unrolled: 1-line block ×5, first 2 shown]
	v_lshrrev_b32_e32 v85, 28, v85
	v_bfe_u32 v136, v86, 20, 4
	v_and_b32_e32 v137, 15, v86
	v_bfe_u32 v138, v86, 8, 4
	v_bfe_u32 v139, v86, 16, 4
	;; [unrolled: 1-line block ×5, first 2 shown]
	v_lshrrev_b32_e32 v86, 28, v86
	v_and_b32_e32 v144, 15, v87
	v_bfe_u32 v145, v87, 8, 4
	v_bfe_u32 v157, v89, 20, 4
	;; [unrolled: 1-line block ×3, first 2 shown]
	v_lshrrev_b32_e32 v89, 28, v89
	v_bfe_u32 v164, v90, 20, 4
	v_lshrrev_b32_e32 v90, 28, v90
	v_bfe_u32 v185, v93, 20, 4
	v_bfe_u32 v187, v93, 8, 4
	;; [unrolled: 1-line block ×6, first 2 shown]
	v_lshrrev_b32_e32 v93, 28, v93
	v_bfe_u32 v192, v94, 20, 4
	v_and_b32_e32 v193, 15, v94
	v_bfe_u32 v194, v94, 8, 4
	v_bfe_u32 v195, v94, 16, 4
	;; [unrolled: 1-line block ×5, first 2 shown]
	v_lshrrev_b32_e32 v94, 28, v94
	v_and_b32_e32 v200, 15, v95
	v_bfe_u32 v201, v95, 8, 4
	v_bfe_u32 v213, v97, 20, 4
	;; [unrolled: 1-line block ×7, first 2 shown]
	v_lshrrev_b32_e32 v97, 28, v97
	v_bfe_u32 v220, v98, 20, 4
	v_and_b32_e32 v221, 15, v98
	v_bfe_u32 v222, v98, 8, 4
	v_bfe_u32 v223, v98, 16, 4
	;; [unrolled: 1-line block ×5, first 2 shown]
	v_lshrrev_b32_e32 v98, 28, v98
	s_waitcnt lgkmcnt(0)
	v_and_b32_e32 v228, 15, v99
	v_bfe_u32 v229, v99, 8, 4
	v_mad_i32_i24 v130, v134, v108, v130
	v_mul_i32_i24_e32 v134, v158, v105
	v_mul_i32_i24_e32 v158, v159, v106
	v_mul_i32_i24_e32 v159, v160, v107
	v_mul_i32_i24_e32 v160, v161, v11
	v_mul_i32_i24_e32 v161, v163, v109
	v_mul_i32_i24_e32 v163, v165, v111
	v_mul_i32_i24_e32 v165, v166, v112
	v_mul_i32_i24_e32 v166, v167, v113
	v_mul_i32_i24_e32 v167, v168, v12
	v_mul_i32_i24_e32 v168, v169, v114
	v_mul_i32_i24_e32 v169, v170, v115
	v_mul_i32_i24_e32 v170, v172, v117
	v_mul_i32_i24_e32 v172, v173, v118
	v_mul_i32_i24_e32 v173, v174, v119
	v_mul_i32_i24_e32 v174, v175, v13
	v_mul_i32_i24_e32 v175, v176, v120
	v_mul_i32_i24_e32 v176, v177, v121
	v_mul_i32_i24_e32 v177, v179, v123
	v_mul_i32_i24_e32 v179, v180, v124
	v_mul_i32_i24_e32 v180, v181, v125
	v_mul_i32_i24_e32 v181, v182, v14
	v_mul_i32_i24_e32 v182, v183, v126
	v_mul_i32_i24_e32 v183, v184, v127
	v_mul_i32_i24_e32 v184, v186, v105
	v_mul_i32_i24_e32 v105, v214, v105
	v_bfe_u32 v146, v87, 16, 4
	v_mul_i32_i24_e32 v85, v85, v81
	v_mul_i32_i24_e32 v137, v137, v111
	;; [unrolled: 1-line block ×10, first 2 shown]
	v_bfe_u32 v202, v95, 16, 4
	v_bfe_u32 v230, v99, 16, 4
	v_mul_i32_i24_e32 v89, v89, v81
	v_mul_i32_i24_e32 v164, v164, v116
	;; [unrolled: 1-line block ×28, first 2 shown]
	v_mad_i32_i24 v117, v162, v108, v134
	v_mad_i32_i24 v118, v190, v108, v184
	;; [unrolled: 1-line block ×3, first 2 shown]
	v_mul_i32_i24_e32 v131, v131, v106
	v_mul_i32_i24_e32 v146, v146, v119
	;; [unrolled: 1-line block ×5, first 2 shown]
	v_add3_u32 v119, v130, v137, v141
	v_add3_u32 v117, v117, v163, v168
	;; [unrolled: 1-line block ×4, first 2 shown]
	v_bfe_u32 v148, v87, 4, 4
	v_and_b32_e32 v151, 15, v88
	v_mul_i32_i24_e32 v132, v132, v107
	v_mul_i32_i24_e32 v133, v133, v11
	v_bfe_u32 v203, v95, 24, 4
	v_bfe_u32 v204, v95, 4, 4
	;; [unrolled: 1-line block ×3, first 2 shown]
	v_and_b32_e32 v207, 15, v96
	v_bfe_u32 v232, v99, 4, 4
	v_and_b32_e32 v235, 15, v100
	v_mul_i32_i24_e32 v107, v216, v107
	v_mul_i32_i24_e32 v11, v217, v11
	v_add3_u32 v113, v119, v144, v131
	v_add3_u32 v117, v117, v170, v158
	;; [unrolled: 1-line block ×4, first 2 shown]
	v_mul_i32_i24_e32 v148, v148, v120
	v_mul_i32_i24_e32 v151, v151, v123
	;; [unrolled: 1-line block ×8, first 2 shown]
	v_add3_u32 v106, v113, v132, v133
	v_add3_u32 v113, v117, v159, v160
	;; [unrolled: 1-line block ×4, first 2 shown]
	v_mul_i32_i24_e32 v135, v135, v109
	v_mul_i32_i24_e32 v129, v129, v110
	;; [unrolled: 1-line block ×6, first 2 shown]
	v_add3_u32 v97, v106, v148, v151
	v_add3_u32 v106, v113, v175, v177
	;; [unrolled: 1-line block ×4, first 2 shown]
	v_bfe_u32 v155, v88, 4, 4
	v_add3_u32 v97, v97, v135, v129
	v_add3_u32 v105, v106, v161, v157
	;; [unrolled: 1-line block ×4, first 2 shown]
	v_mul_i32_i24_e32 v140, v140, v12
	v_bfe_u32 v208, v96, 8, 4
	v_bfe_u32 v209, v96, 16, 4
	;; [unrolled: 1-line block ×5, first 2 shown]
	v_mul_i32_i24_e32 v12, v224, v12
	v_add3_u32 v85, v97, v85, v138
	v_add3_u32 v89, v105, v89, v165
	;; [unrolled: 1-line block ×4, first 2 shown]
	v_bfe_i32 v122, v83, 16, 8
	v_ashrrev_i32_e32 v83, 24, v83
	v_bfe_u32 v143, v87, 20, 4
	v_bfe_u32 v147, v87, 24, 4
	;; [unrolled: 1-line block ×3, first 2 shown]
	v_lshrrev_b32_e32 v87, 28, v87
	v_mul_i32_i24_e32 v155, v155, v126
	v_bfe_u32 v171, v91, 20, 4
	v_lshrrev_b32_e32 v91, 28, v91
	v_bfe_u32 v199, v95, 20, 4
	v_lshrrev_b32_e32 v95, 28, v95
	v_bfe_u32 v227, v99, 20, 4
	v_bfe_u32 v231, v99, 24, 4
	;; [unrolled: 1-line block ×3, first 2 shown]
	v_lshrrev_b32_e32 v99, 28, v99
	v_mul_i32_i24_e32 v207, v208, v124
	v_mul_i32_i24_e32 v208, v209, v125
	;; [unrolled: 1-line block ×5, first 2 shown]
	v_add3_u32 v85, v85, v139, v140
	v_add3_u32 v89, v89, v166, v167
	;; [unrolled: 1-line block ×4, first 2 shown]
	v_mul_i32_i24_e32 v87, v87, v83
	v_mul_i32_i24_e32 v91, v91, v83
	;; [unrolled: 1-line block ×4, first 2 shown]
	v_add3_u32 v83, v85, v155, v142
	v_add3_u32 v85, v89, v182, v169
	;; [unrolled: 1-line block ×4, first 2 shown]
	v_mul_i32_i24_e32 v147, v147, v13
	v_add3_u32 v83, v83, v136, v86
	v_add3_u32 v85, v85, v164, v90
	v_add3_u32 v86, v89, v192, v94
	v_add3_u32 v11, v11, v115, v82
	v_mul_i32_i24_e32 v149, v149, v121
	v_mul_i32_i24_e32 v13, v231, v13
	;; [unrolled: 1-line block ×3, first 2 shown]
	v_add3_u32 v83, v83, v145, v146
	v_add3_u32 v85, v85, v172, v173
	;; [unrolled: 1-line block ×4, first 2 shown]
	v_bfe_u32 v152, v88, 8, 4
	v_bfe_u32 v153, v88, 16, 4
	v_mul_i32_i24_e32 v143, v143, v122
	v_bfe_u32 v236, v100, 8, 4
	v_bfe_u32 v237, v100, 16, 4
	v_mul_i32_i24_e32 v171, v171, v122
	v_mul_i32_i24_e32 v199, v199, v122
	;; [unrolled: 1-line block ×3, first 2 shown]
	v_add3_u32 v83, v83, v147, v149
	v_add3_u32 v85, v85, v174, v176
	v_add3_u32 v86, v86, v202, v204
	v_add3_u32 v11, v11, v13, v98
	v_bfe_u32 v154, v88, 24, 4
	v_bfe_u32 v156, v88, 12, 4
	v_mul_i32_i24_e32 v152, v152, v124
	v_mul_i32_i24_e32 v153, v153, v125
	v_bfe_u32 v212, v96, 12, 4
	v_bfe_u32 v238, v100, 24, 4
	;; [unrolled: 1-line block ×3, first 2 shown]
	v_mul_i32_i24_e32 v81, v236, v124
	v_mul_i32_i24_e32 v82, v237, v125
	v_add3_u32 v83, v83, v143, v87
	v_add3_u32 v85, v85, v171, v91
	;; [unrolled: 1-line block ×4, first 2 shown]
	v_bfe_i32 v128, v84, 16, 8
	v_ashrrev_i32_e32 v84, 24, v84
	v_bfe_u32 v150, v88, 20, 4
	v_lshrrev_b32_e32 v88, 28, v88
	v_mul_i32_i24_e32 v154, v154, v14
	v_mul_i32_i24_e32 v156, v156, v127
	v_bfe_u32 v178, v92, 20, 4
	v_lshrrev_b32_e32 v92, 28, v92
	v_bfe_u32 v206, v96, 20, 4
	v_lshrrev_b32_e32 v96, 28, v96
	;; [unrolled: 2-line block ×3, first 2 shown]
	v_mul_i32_i24_e32 v211, v212, v127
	v_mul_i32_i24_e32 v14, v238, v14
	;; [unrolled: 1-line block ×3, first 2 shown]
	v_add3_u32 v83, v83, v152, v153
	v_add3_u32 v85, v85, v179, v180
	;; [unrolled: 1-line block ×4, first 2 shown]
	v_mul_i32_i24_e32 v150, v150, v128
	v_mul_i32_i24_e32 v88, v88, v84
	v_mul_i32_i24_e32 v178, v178, v128
	v_mul_i32_i24_e32 v92, v92, v84
	v_mul_i32_i24_e32 v206, v206, v128
	v_mul_i32_i24_e32 v96, v96, v84
	v_mul_i32_i24_e32 v12, v234, v128
	v_mul_i32_i24_e32 v81, v100, v84
	v_add3_u32 v82, v83, v154, v156
	v_add3_u32 v83, v85, v181, v183
	;; [unrolled: 1-line block ×4, first 2 shown]
	v_pk_mul_f16 v102, v7, v102
	v_add3_u32 v14, v82, v150, v88
	v_add3_u32 v82, v83, v178, v92
	v_add3_u32 v83, v84, v206, v96
	v_add3_u32 v11, v11, v12, v81
	v_pk_mul_f16 v101, v7, v101
	v_pk_mul_f16 v13, v7, v103
	;; [unrolled: 1-line block ×3, first 2 shown]
	v_cvt_f32_i32_e32 v12, v14
	v_cvt_f32_i32_e32 v14, v82
	v_cvt_f32_i32_e32 v81, v83
	v_cvt_f32_i32_e32 v11, v11
	s_cmp_lt_u32 s1, 28
	v_fma_mix_f32 v12, v102, v12, v102 op_sel:[0,0,1] op_sel_hi:[1,0,1]
	v_fma_mix_f32 v14, v101, v14, v101 op_sel:[0,0,1] op_sel_hi:[1,0,1]
	;; [unrolled: 1-line block ×4, first 2 shown]
	s_delay_alu instid0(VALU_DEP_4) | instskip(NEXT) | instid1(VALU_DEP_4)
	v_dual_add_f32 v17, v17, v12 :: v_dual_add_nc_u32 v6, 4, v6
	v_dual_add_f32 v55, v55, v14 :: v_dual_add_nc_u32 v4, 4, v4
	s_delay_alu instid0(VALU_DEP_4) | instskip(NEXT) | instid1(VALU_DEP_4)
	v_add_f32_e32 v44, v44, v13
	v_add_f32_e32 v8, v8, v7
	s_cbranch_scc1 .LBB219_20
; %bb.21:                               ;   in Loop: Header=BB219_5 Depth=1
	s_barrier
	buffer_gl0_inv
	s_branch .LBB219_4
.LBB219_22:
	s_mul_i32 s0, s7, s4
	s_waitcnt vmcnt(0)
	v_cmp_gt_i32_e32 vcc_lo, s0, v15
	s_and_saveexec_b32 s0, vcc_lo
	s_cbranch_execz .LBB219_31
; %bb.23:
	v_mul_lo_u32 v0, v15, s6
	v_add_nc_u32_e32 v1, s14, v16
	s_mov_b32 s0, exec_lo
	s_delay_alu instid0(VALU_DEP_1)
	v_cmpx_gt_u32_e64 s6, v1
	s_cbranch_execz .LBB219_25
; %bb.24:
	v_bfe_u32 v3, v17, 16, 1
	s_delay_alu instid0(VALU_DEP_4) | instskip(SKIP_1) | instid1(VALU_DEP_3)
	v_add_nc_u32_e32 v2, v0, v1
	v_cmp_o_f32_e32 vcc_lo, v17, v17
	v_add3_u32 v4, v17, v3, 0x7fff
	v_mov_b32_e32 v3, 0
	s_delay_alu instid0(VALU_DEP_2) | instskip(NEXT) | instid1(VALU_DEP_2)
	v_lshrrev_b32_e32 v4, 16, v4
	v_lshlrev_b64 v[2:3], 1, v[2:3]
	s_delay_alu instid0(VALU_DEP_2) | instskip(NEXT) | instid1(VALU_DEP_2)
	v_cndmask_b32_e32 v4, 0x7fc0, v4, vcc_lo
	v_add_co_u32 v2, vcc_lo, s8, v2
	s_delay_alu instid0(VALU_DEP_3)
	v_add_co_ci_u32_e32 v3, vcc_lo, s9, v3, vcc_lo
	global_store_b16 v[2:3], v4, off
.LBB219_25:
	s_or_b32 exec_lo, exec_lo, s0
	v_add_nc_u32_e32 v2, 32, v1
	s_mov_b32 s0, exec_lo
	s_delay_alu instid0(VALU_DEP_1)
	v_cmpx_gt_u32_e64 s6, v2
	s_cbranch_execz .LBB219_27
; %bb.26:
	v_bfe_u32 v3, v55, 16, 1
	v_add_nc_u32_e32 v2, v0, v2
	v_cmp_o_f32_e32 vcc_lo, v55, v55
	s_delay_alu instid0(VALU_DEP_3) | instskip(SKIP_1) | instid1(VALU_DEP_2)
	v_add3_u32 v4, v55, v3, 0x7fff
	v_mov_b32_e32 v3, 0
	v_lshrrev_b32_e32 v4, 16, v4
	s_delay_alu instid0(VALU_DEP_2) | instskip(NEXT) | instid1(VALU_DEP_2)
	v_lshlrev_b64 v[2:3], 1, v[2:3]
	v_cndmask_b32_e32 v4, 0x7fc0, v4, vcc_lo
	s_delay_alu instid0(VALU_DEP_2) | instskip(NEXT) | instid1(VALU_DEP_3)
	v_add_co_u32 v2, vcc_lo, s8, v2
	v_add_co_ci_u32_e32 v3, vcc_lo, s9, v3, vcc_lo
	global_store_b16 v[2:3], v4, off
.LBB219_27:
	s_or_b32 exec_lo, exec_lo, s0
	v_add_nc_u32_e32 v2, 64, v1
	s_mov_b32 s0, exec_lo
	s_delay_alu instid0(VALU_DEP_1)
	v_cmpx_gt_u32_e64 s6, v2
	s_cbranch_execz .LBB219_29
; %bb.28:
	v_bfe_u32 v3, v44, 16, 1
	v_add_nc_u32_e32 v2, v0, v2
	v_cmp_o_f32_e32 vcc_lo, v44, v44
	s_delay_alu instid0(VALU_DEP_3) | instskip(SKIP_1) | instid1(VALU_DEP_2)
	v_add3_u32 v4, v44, v3, 0x7fff
	v_mov_b32_e32 v3, 0
	v_lshrrev_b32_e32 v4, 16, v4
	s_delay_alu instid0(VALU_DEP_2) | instskip(NEXT) | instid1(VALU_DEP_2)
	v_lshlrev_b64 v[2:3], 1, v[2:3]
	v_cndmask_b32_e32 v4, 0x7fc0, v4, vcc_lo
	s_delay_alu instid0(VALU_DEP_2) | instskip(NEXT) | instid1(VALU_DEP_3)
	v_add_co_u32 v2, vcc_lo, s8, v2
	v_add_co_ci_u32_e32 v3, vcc_lo, s9, v3, vcc_lo
	global_store_b16 v[2:3], v4, off
.LBB219_29:
	s_or_b32 exec_lo, exec_lo, s0
	v_add_nc_u32_e32 v1, 0x60, v1
	s_delay_alu instid0(VALU_DEP_1)
	v_cmp_gt_u32_e32 vcc_lo, s6, v1
	s_and_b32 exec_lo, exec_lo, vcc_lo
	s_cbranch_execz .LBB219_31
; %bb.30:
	v_bfe_u32 v2, v8, 16, 1
	v_dual_mov_b32 v1, 0 :: v_dual_add_nc_u32 v0, v0, v1
	v_cmp_o_f32_e32 vcc_lo, v8, v8
	s_delay_alu instid0(VALU_DEP_3) | instskip(NEXT) | instid1(VALU_DEP_3)
	v_add3_u32 v2, v8, v2, 0x7fff
	v_lshlrev_b64 v[0:1], 1, v[0:1]
	s_delay_alu instid0(VALU_DEP_2) | instskip(NEXT) | instid1(VALU_DEP_1)
	v_lshrrev_b32_e32 v2, 16, v2
	v_cndmask_b32_e32 v2, 0x7fc0, v2, vcc_lo
	s_delay_alu instid0(VALU_DEP_3) | instskip(NEXT) | instid1(VALU_DEP_4)
	v_add_co_u32 v0, vcc_lo, s8, v0
	v_add_co_ci_u32_e32 v1, vcc_lo, s9, v1, vcc_lo
	global_store_b16 v[0:1], v2, off
.LBB219_31:
	s_nop 0
	s_sendmsg sendmsg(MSG_DEALLOC_VGPRS)
	s_endpgm
	.section	.rodata,"a",@progbits
	.p2align	6, 0x0
	.amdhsa_kernel _ZL8moe_q4_1IN3c108BFloat16ELb0EEvPKvS3_PT_PKiS7_S7_iiiiiii
		.amdhsa_group_segment_fixed_size 22272
		.amdhsa_private_segment_fixed_size 0
		.amdhsa_kernarg_size 76
		.amdhsa_user_sgpr_count 14
		.amdhsa_user_sgpr_dispatch_ptr 0
		.amdhsa_user_sgpr_queue_ptr 0
		.amdhsa_user_sgpr_kernarg_segment_ptr 1
		.amdhsa_user_sgpr_dispatch_id 0
		.amdhsa_user_sgpr_private_segment_size 0
		.amdhsa_wavefront_size32 1
		.amdhsa_uses_dynamic_stack 0
		.amdhsa_enable_private_segment 0
		.amdhsa_system_sgpr_workgroup_id_x 1
		.amdhsa_system_sgpr_workgroup_id_y 1
		.amdhsa_system_sgpr_workgroup_id_z 0
		.amdhsa_system_sgpr_workgroup_info 0
		.amdhsa_system_vgpr_workitem_id 1
		.amdhsa_next_free_vgpr 241
		.amdhsa_next_free_sgpr 20
		.amdhsa_reserve_vcc 1
		.amdhsa_float_round_mode_32 0
		.amdhsa_float_round_mode_16_64 0
		.amdhsa_float_denorm_mode_32 3
		.amdhsa_float_denorm_mode_16_64 3
		.amdhsa_dx10_clamp 1
		.amdhsa_ieee_mode 1
		.amdhsa_fp16_overflow 0
		.amdhsa_workgroup_processor_mode 1
		.amdhsa_memory_ordered 1
		.amdhsa_forward_progress 0
		.amdhsa_shared_vgpr_count 0
		.amdhsa_exception_fp_ieee_invalid_op 0
		.amdhsa_exception_fp_denorm_src 0
		.amdhsa_exception_fp_ieee_div_zero 0
		.amdhsa_exception_fp_ieee_overflow 0
		.amdhsa_exception_fp_ieee_underflow 0
		.amdhsa_exception_fp_ieee_inexact 0
		.amdhsa_exception_int_div_zero 0
	.end_amdhsa_kernel
	.section	.text._ZL8moe_q4_1IN3c108BFloat16ELb0EEvPKvS3_PT_PKiS7_S7_iiiiiii,"axG",@progbits,_ZL8moe_q4_1IN3c108BFloat16ELb0EEvPKvS3_PT_PKiS7_S7_iiiiiii,comdat
.Lfunc_end219:
	.size	_ZL8moe_q4_1IN3c108BFloat16ELb0EEvPKvS3_PT_PKiS7_S7_iiiiiii, .Lfunc_end219-_ZL8moe_q4_1IN3c108BFloat16ELb0EEvPKvS3_PT_PKiS7_S7_iiiiiii
                                        ; -- End function
	.section	.AMDGPU.csdata,"",@progbits
; Kernel info:
; codeLenInByte = 7728
; NumSgprs: 22
; NumVgprs: 241
; ScratchSize: 0
; MemoryBound: 0
; FloatMode: 240
; IeeeMode: 1
; LDSByteSize: 22272 bytes/workgroup (compile time only)
; SGPRBlocks: 2
; VGPRBlocks: 30
; NumSGPRsForWavesPerEU: 22
; NumVGPRsForWavesPerEU: 241
; Occupancy: 5
; WaveLimiterHint : 1
; COMPUTE_PGM_RSRC2:SCRATCH_EN: 0
; COMPUTE_PGM_RSRC2:USER_SGPR: 14
; COMPUTE_PGM_RSRC2:TRAP_HANDLER: 0
; COMPUTE_PGM_RSRC2:TGID_X_EN: 1
; COMPUTE_PGM_RSRC2:TGID_Y_EN: 1
; COMPUTE_PGM_RSRC2:TGID_Z_EN: 0
; COMPUTE_PGM_RSRC2:TIDIG_COMP_CNT: 1
	.section	.text._ZL8moe_q4_1IN3c108BFloat16ELb1EEvPKvS3_PT_PKiS7_S7_iiiiiii,"axG",@progbits,_ZL8moe_q4_1IN3c108BFloat16ELb1EEvPKvS3_PT_PKiS7_S7_iiiiiii,comdat
	.globl	_ZL8moe_q4_1IN3c108BFloat16ELb1EEvPKvS3_PT_PKiS7_S7_iiiiiii ; -- Begin function _ZL8moe_q4_1IN3c108BFloat16ELb1EEvPKvS3_PT_PKiS7_S7_iiiiiii
	.p2align	8
	.type	_ZL8moe_q4_1IN3c108BFloat16ELb1EEvPKvS3_PT_PKiS7_S7_iiiiiii,@function
_ZL8moe_q4_1IN3c108BFloat16ELb1EEvPKvS3_PT_PKiS7_S7_iiiiiii: ; @_ZL8moe_q4_1IN3c108BFloat16ELb1EEvPKvS3_PT_PKiS7_S7_iiiiiii
; %bb.0:
	s_load_b128 s[4:7], s[0:1], 0x18
	s_mov_b32 s2, s15
	s_mov_b32 s3, 0
	s_delay_alu instid0(SALU_CYCLE_1)
	s_lshl_b64 s[8:9], s[2:3], 2
	s_waitcnt lgkmcnt(0)
	s_add_u32 s6, s6, s8
	s_addc_u32 s7, s7, s9
	s_load_b32 s15, s[6:7], 0x0
	s_waitcnt lgkmcnt(0)
	s_cmpk_gt_u32 s15, 0xff
	s_cbranch_scc1 .LBB220_31
; %bb.1:
	s_load_b64 s[6:7], s[0:1], 0x28
	s_lshl_b32 s2, s2, 3
	s_waitcnt lgkmcnt(0)
	s_load_b32 s3, s[6:7], 0x0
	s_waitcnt lgkmcnt(0)
	s_cmp_gt_u32 s2, s3
	s_cbranch_scc1 .LBB220_31
; %bb.2:
	v_bfe_u32 v1, v0, 10, 10
	s_delay_alu instid0(VALU_DEP_1) | instskip(NEXT) | instid1(VALU_DEP_1)
	v_dual_mov_b32 v20, 0 :: v_dual_add_nc_u32 v19, s2, v1
	v_dual_mov_b32 v55, v20 :: v_dual_and_b32 v32, 0x3ff, v0
	v_mov_b32_e32 v58, v20
	v_mov_b32_e32 v33, v20
	s_delay_alu instid0(VALU_DEP_4) | instskip(NEXT) | instid1(VALU_DEP_1)
	v_lshlrev_b64 v[2:3], 2, v[19:20]
	v_add_co_u32 v2, vcc_lo, s4, v2
	s_delay_alu instid0(VALU_DEP_2)
	v_add_co_ci_u32_e32 v3, vcc_lo, s5, v3, vcc_lo
	global_load_b32 v31, v[2:3], off
	s_clause 0x1
	s_load_b256 s[4:11], s[0:1], 0x30
	s_load_b64 s[12:13], s[0:1], 0x10
	s_waitcnt lgkmcnt(0)
	s_lshl_b32 s11, s14, 7
	s_cmp_lt_i32 s5, 32
	s_cbranch_scc1 .LBB220_22
; %bb.3:
	s_load_b128 s[0:3], s[0:1], 0x0
	s_ashr_i32 s14, s5, 31
	s_mul_i32 s15, s15, s4
	s_lshr_b32 s4, s14, 27
	s_ashr_i32 s16, s8, 31
	s_add_i32 s4, s5, s4
	s_lshr_b32 s14, s16, 27
	s_ashr_i32 s4, s4, 5
	s_add_i32 s8, s8, s14
	s_mul_i32 s14, s4, s11
	s_ashr_i32 s16, s15, 31
	s_ashr_i32 s8, s8, 5
	s_mul_hi_i32 s17, s14, 20
	s_mul_i32 s14, s14, 20
	v_dual_mov_b32 v33, 0 :: v_dual_add_nc_u32 v2, 8, v1
	v_lshlrev_b32_e32 v0, 2, v32
	v_add_nc_u32_e32 v3, 16, v1
	v_add_nc_u32_e32 v5, 24, v1
	;; [unrolled: 1-line block ×3, first 2 shown]
	s_waitcnt lgkmcnt(0)
	s_add_u32 s0, s0, s15
	s_addc_u32 s1, s1, s16
	s_add_u32 s16, s0, s14
	s_addc_u32 s17, s1, s17
	s_not_b32 s0, s11
	s_abs_i32 s1, s10
	s_add_i32 s0, s0, s6
	v_lshrrev_b32_e32 v49, 3, v32
	v_min_i32_e32 v4, s0, v1
	v_min_i32_e32 v2, s0, v2
	v_min_i32_e32 v3, s0, v3
	s_sub_i32 s6, 0, s1
	s_waitcnt vmcnt(0)
	v_sub_nc_u32_e32 v27, 0, v31
	v_mad_u64_u32 v[8:9], null, 0x84, v4, v[0:1]
	v_mul_lo_u32 v37, v2, s4
	v_mad_u64_u32 v[9:10], null, 0x84, v2, v[0:1]
	v_min_i32_e32 v2, s0, v5
	v_mul_lo_u32 v36, v4, s4
	v_add_nc_u32_e32 v4, 32, v1
	v_mul_lo_u32 v38, v3, s4
	v_mad_u64_u32 v[10:11], null, 0x84, v3, v[0:1]
	v_add_nc_u32_e32 v3, 40, v1
	v_mul_lo_u32 v39, v2, s4
	v_mad_u64_u32 v[11:12], null, 0x84, v2, v[0:1]
	v_add_nc_u32_e32 v2, 48, v1
	v_min_i32_e32 v4, s0, v4
	v_min_i32_e32 v3, s0, v3
	v_cvt_f32_u32_e32 v5, s1
	v_max_i32_e32 v27, v31, v27
	v_min_i32_e32 v2, s0, v2
	v_mul_lo_u32 v40, v4, s4
	v_mad_u64_u32 v[12:13], null, 0x84, v4, v[0:1]
	v_add_nc_u32_e32 v4, 56, v1
	v_mul_lo_u32 v41, v3, s4
	v_mad_u64_u32 v[13:14], null, 0x84, v3, v[0:1]
	v_add_nc_u32_e32 v3, 64, v1
	;; [unrolled: 3-line block ×3, first 2 shown]
	v_min_i32_e32 v4, s0, v4
	v_min_i32_e32 v3, s0, v3
	v_and_b32_e32 v53, 7, v32
	v_lshlrev_b32_e32 v58, 7, v1
	v_min_i32_e32 v2, s0, v2
	v_mad_u64_u32 v[15:16], null, 0x84, v4, v[0:1]
	v_mad_u64_u32 v[16:17], null, 0x84, v3, v[0:1]
	s_delay_alu instid0(VALU_DEP_3)
	v_mul_lo_u32 v45, v2, s4
	v_mad_u64_u32 v[17:18], null, 0x84, v2, v[0:1]
	v_add_nc_u32_e32 v2, 0x60, v1
	v_mul_lo_u32 v43, v4, s4
	v_add_nc_u32_e32 v4, 0x50, v1
	v_mul_lo_u32 v44, v3, s4
	v_add_nc_u32_e32 v3, 0x58, v1
	v_min_i32_e32 v2, s0, v2
	v_lshlrev_b32_e32 v28, 2, v53
	v_min_i32_e32 v4, s0, v4
	v_and_b32_e32 v65, 0xfc, v32
	v_min_i32_e32 v3, s0, v3
	v_mul_lo_u32 v48, v2, s4
	v_mad_u64_u32 v[21:22], null, 0x84, v2, v[0:1]
	v_rcp_iflag_f32_e32 v2, v5
	v_mad_u64_u32 v[18:19], null, 0x84, v4, v[0:1]
	v_mul_lo_u32 v47, v3, s4
	v_mad_u64_u32 v[19:20], null, 0x84, v3, v[0:1]
	v_add_nc_u32_e32 v3, 0x68, v1
	v_add_nc_u32_e32 v20, 0x78, v1
	v_min_i32_e32 v5, s0, v6
	v_mul_lo_u32 v46, v4, s4
	s_delay_alu instid0(TRANS32_DEP_1)
	v_mul_f32_e32 v2, 0x4f7ffffe, v2
	v_min_i32_e32 v3, s0, v3
	v_min_i32_e32 v20, s0, v20
	v_lshlrev_b32_e32 v4, 2, v1
	v_mul_lo_u32 v51, v5, s4
	v_cvt_u32_f32_e32 v2, v2
	v_mad_u64_u32 v[22:23], null, 0x84, v3, v[0:1]
	v_mad_u64_u32 v[23:24], null, 0x84, v5, v[0:1]
	v_mul_lo_u32 v52, v20, s4
	v_mad_u64_u32 v[24:25], null, 0x84, v20, v[0:1]
	v_mul_lo_u32 v20, s6, v2
	v_add_nc_u32_e32 v7, v49, v4
	v_mul_lo_u32 v50, v3, s4
	v_or_b32_e32 v4, v4, v32
	v_lshrrev_b32_e32 v34, 2, v32
	v_add_nc_u32_e32 v70, 0x5280, v58
	v_add_nc_u32_e32 v5, 32, v7
	;; [unrolled: 1-line block ×3, first 2 shown]
	v_mul_hi_u32 v20, v2, v20
	v_min_i32_e32 v6, s0, v7
	v_add_nc_u32_e32 v7, 0x60, v7
	v_min_i32_e32 v5, s0, v5
	v_min_i32_e32 v25, s0, v25
	v_lshl_add_u32 v61, v4, 2, 0x5680
	v_ashrrev_i32_e32 v3, 31, v6
	v_min_i32_e32 v7, s0, v7
	v_add_nc_u32_e32 v2, v2, v20
	v_ashrrev_i32_e32 v26, 31, v5
	v_ashrrev_i32_e32 v29, 31, v25
	v_mul_lo_u32 v57, v25, s4
	v_lshrrev_b32_e32 v3, 30, v3
	v_mul_hi_u32 v2, v27, v2
	v_lshrrev_b32_e32 v26, 30, v26
	v_lshrrev_b32_e32 v20, 30, v29
	v_ashrrev_i32_e32 v29, 31, v7
	v_add_nc_u32_e32 v3, v6, v3
	v_add_nc_u32_e32 v4, 64, v32
	v_add_nc_u32_e32 v26, v5, v26
	v_add_nc_u32_e32 v20, v25, v20
	v_lshrrev_b32_e32 v29, 30, v29
	v_mul_lo_u32 v30, v2, s1
	v_and_b32_e32 v3, -4, v3
	v_and_b32_e32 v26, -4, v26
	v_and_b32_e32 v20, -4, v20
	v_add_nc_u32_e32 v29, v7, v29
	v_and_b32_e32 v4, 0x1fc, v4
	v_add3_u32 v3, v3, v28, 0x4200
	v_add3_u32 v55, v26, v28, 0x4200
	;; [unrolled: 1-line block ×3, first 2 shown]
	v_and_b32_e32 v26, -4, v29
	v_lshlrev_b32_e32 v29, 5, v25
	v_sub_nc_u32_e32 v25, v27, v30
	v_mul_lo_u32 v54, v6, s4
	v_lshlrev_b32_e32 v6, 5, v6
	v_add3_u32 v27, v26, v28, 0x4200
	v_add_nc_u32_e32 v26, 1, v2
	v_subrev_nc_u32_e32 v30, s1, v25
	v_cmp_le_u32_e32 vcc_lo, s1, v25
	v_and_b32_e32 v28, 31, v32
	v_mul_lo_u32 v56, v5, s4
	v_lshlrev_b32_e32 v5, 5, v5
	v_mul_lo_u32 v59, v7, s4
	v_cndmask_b32_e32 v2, v2, v26, vcc_lo
	v_cndmask_b32_e32 v25, v25, v30, vcc_lo
	v_xor_b32_e32 v26, s10, v31
	v_lshl_or_b32 v28, v28, 2, v58
	v_lshlrev_b32_e32 v7, 5, v7
	v_add_nc_u32_e32 v30, 1, v2
	v_cmp_le_u32_e32 vcc_lo, s1, v25
	v_and_b32_e32 v35, 12, v0
	v_and_b32_e32 v0, 28, v0
	v_ashrrev_i32_e32 v62, 31, v26
	v_add_nc_u32_e32 v60, 0x5280, v28
	v_cndmask_b32_e32 v2, v2, v30, vcc_lo
	v_add_nc_u32_e32 v28, 0x60, v32
	v_add_co_u32 v25, s0, s2, v0
	v_lshlrev_b32_e32 v30, 5, v32
	s_delay_alu instid0(VALU_DEP_4) | instskip(SKIP_3) | instid1(VALU_DEP_4)
	v_xor_b32_e32 v0, v2, v62
	v_add_nc_u32_e32 v2, 32, v32
	v_and_b32_e32 v28, 0x1fc, v28
	v_add_co_ci_u32_e64 v26, null, s3, 0, s0
	v_sub_nc_u32_e32 v0, v0, v62
	s_delay_alu instid0(VALU_DEP_4)
	v_lshrrev_b32_e32 v63, 3, v2
	v_and_b32_e32 v2, 0x1fc, v2
	v_add_nc_u32_e32 v4, v30, v4
	v_cmp_gt_u32_e32 vcc_lo, 4, v32
	v_mul_lo_u32 v64, v0, s8
	v_cmp_gt_i32_e64 s0, s7, v0
	v_add_nc_u32_e32 v0, v30, v28
	v_add_nc_u32_e32 v2, v30, v2
	v_add_nc_u32_e32 v28, v30, v65
	v_mul_u32_u24_e32 v62, 0x84, v32
	v_add_nc_u32_e32 v67, 0x4a00, v4
	v_add_nc_u32_e32 v66, 0x4e00, v0
	v_ashrrev_i32_e32 v65, 31, v64
	v_add_nc_u32_e32 v68, 0x4600, v2
	v_add_nc_u32_e32 v69, 0x4200, v28
	v_lshl_add_u32 v71, v1, 4, 0x5680
	v_add_nc_u32_e32 v72, 0x4e10, v0
	v_add_nc_u32_e32 v73, 0x4a10, v4
	;; [unrolled: 1-line block ×4, first 2 shown]
	v_mad_u32_u24 v76, 0x84, v32, 64
	v_add_nc_u32_e32 v77, v3, v6
	v_add_nc_u32_e32 v78, v55, v5
	v_add_nc_u32_e32 v79, v20, v29
	v_add_nc_u32_e32 v80, v27, v7
	v_dual_mov_b32 v58, 0 :: v_dual_mov_b32 v55, 0
	v_mov_b32_e32 v20, 0
	s_add_u32 s14, s2, 0x90
	s_mov_b32 s6, 0
	s_addc_u32 s15, s3, 0
	s_branch .LBB220_5
.LBB220_4:                              ;   in Loop: Header=BB220_5 Depth=1
	s_add_i32 s6, s6, 8
	s_delay_alu instid0(SALU_CYCLE_1)
	s_cmp_ge_i32 s6, s4
	s_cbranch_scc1 .LBB220_22
.LBB220_5:                              ; =>This Loop Header: Depth=1
                                        ;     Child Loop BB220_12 Depth 2
                                        ;     Child Loop BB220_20 Depth 2
	s_mul_i32 s1, s6, 20
	s_mul_hi_u32 s19, s6, 20
	s_add_u32 s18, s16, s1
	s_addc_u32 s19, s17, s19
	s_delay_alu instid0(SALU_CYCLE_1) | instskip(NEXT) | instid1(VALU_DEP_1)
	v_mad_u64_u32 v[0:1], null, v34, 20, s[18:19]
	v_add_co_u32 v0, s1, v0, v35
	s_delay_alu instid0(VALU_DEP_1) | instskip(NEXT) | instid1(VALU_DEP_2)
	v_add_co_ci_u32_e64 v1, s1, 0, v1, s1
	v_add_co_u32 v0, s1, v0, 4
	s_delay_alu instid0(VALU_DEP_1) | instskip(NEXT) | instid1(VALU_DEP_1)
	v_add_co_ci_u32_e64 v1, s1, 0, v1, s1
	v_mad_i64_i32 v[2:3], null, v36, 20, v[0:1]
	v_mad_i64_i32 v[4:5], null, v37, 20, v[0:1]
	v_mad_i64_i32 v[6:7], null, v38, 20, v[0:1]
	v_mad_i64_i32 v[27:28], null, v39, 20, v[0:1]
	v_mad_i64_i32 v[29:30], null, v40, 20, v[0:1]
	v_mad_i64_i32 v[81:82], null, v41, 20, v[0:1]
	v_mad_i64_i32 v[83:84], null, v42, 20, v[0:1]
	v_mad_i64_i32 v[85:86], null, v43, 20, v[0:1]
	s_clause 0x7
	global_load_b32 v95, v[2:3], off
	global_load_b32 v96, v[4:5], off
	;; [unrolled: 1-line block ×8, first 2 shown]
	v_mad_u64_u32 v[81:82], null, v53, 20, s[18:19]
	v_mad_i64_i32 v[2:3], null, v44, 20, v[0:1]
	v_mad_i64_i32 v[4:5], null, v45, 20, v[0:1]
	;; [unrolled: 1-line block ×12, first 2 shown]
	s_clause 0xb
	global_load_b32 v2, v[2:3], off
	global_load_b32 v3, v[4:5], off
	;; [unrolled: 1-line block ×12, first 2 shown]
	s_lshl_b32 s18, s6, 5
	s_waitcnt vmcnt(19)
	ds_store_b32 v8, v95
	s_waitcnt vmcnt(18)
	ds_store_b32 v9, v96
	;; [unrolled: 2-line block ×20, first 2 shown]
	s_cmp_lt_i32 s18, s5
	s_cbranch_scc0 .LBB220_4
; %bb.6:                                ;   in Loop: Header=BB220_5 Depth=1
	v_add_nc_u32_e32 v0, s6, v49
	s_delay_alu instid0(VALU_DEP_1) | instskip(NEXT) | instid1(VALU_DEP_1)
	v_cmp_gt_i32_e64 s1, s8, v0
	s_and_b32 s19, s0, s1
	s_delay_alu instid0(SALU_CYCLE_1)
	s_and_saveexec_b32 s1, s19
	s_cbranch_execz .LBB220_8
; %bb.7:                                ;   in Loop: Header=BB220_5 Depth=1
	v_add_nc_u32_e32 v2, v64, v0
	s_delay_alu instid0(VALU_DEP_1)
	v_mad_i64_i32 v[0:1], null, v2, 36, v[25:26]
	global_load_b32 v0, v[0:1], off offset:4
	s_waitcnt vmcnt(0)
	ds_store_b32 v60, v0
.LBB220_8:                              ;   in Loop: Header=BB220_5 Depth=1
	s_or_b32 exec_lo, exec_lo, s1
	s_and_saveexec_b32 s19, vcc_lo
	s_cbranch_execz .LBB220_11
; %bb.9:                                ;   in Loop: Header=BB220_5 Depth=1
	v_or_b32_e32 v0, s6, v32
	s_delay_alu instid0(VALU_DEP_1) | instskip(NEXT) | instid1(VALU_DEP_1)
	v_cmp_gt_i32_e64 s1, s8, v0
	s_and_b32 s1, s0, s1
	s_delay_alu instid0(SALU_CYCLE_1)
	s_and_b32 exec_lo, exec_lo, s1
	s_cbranch_execz .LBB220_11
; %bb.10:                               ;   in Loop: Header=BB220_5 Depth=1
	v_add_nc_u32_e32 v2, v64, v0
	s_delay_alu instid0(VALU_DEP_1)
	v_mad_i64_i32 v[0:1], null, v2, 36, s[2:3]
	global_load_b32 v0, v[0:1], off
	s_waitcnt vmcnt(0)
	ds_store_b32 v61, v0
.LBB220_11:                             ;   in Loop: Header=BB220_5 Depth=1
	s_or_b32 exec_lo, exec_lo, s19
	v_dual_mov_b32 v81, v71 :: v_dual_mov_b32 v82, v70
	v_dual_mov_b32 v83, v62 :: v_dual_mov_b32 v84, v69
	v_dual_mov_b32 v85, v68 :: v_dual_mov_b32 v86, v67
	v_mov_b32_e32 v87, v66
	s_mov_b32 s1, -4
	s_waitcnt lgkmcnt(0)
	s_barrier
	buffer_gl0_inv
.LBB220_12:                             ;   Parent Loop BB220_5 Depth=1
                                        ; =>  This Inner Loop Header: Depth=2
	ds_load_b128 v[4:7], v82
	ds_load_b128 v[0:3], v82 offset:16
	ds_load_2addr_b32 v[27:28], v83 offset1:1
	ds_load_2addr_b32 v[29:30], v83 offset0:2 offset1:3
	v_add_nc_u32_e32 v88, 0x1080, v83
	v_add_nc_u32_e32 v90, 0x1088, v83
	;; [unrolled: 1-line block ×6, first 2 shown]
	ds_load_b32 v100, v85
	ds_load_b32 v101, v84
	;; [unrolled: 1-line block ×4, first 2 shown]
	ds_load_2addr_b32 v[88:89], v88 offset1:1
	ds_load_2addr_b32 v[90:91], v90 offset1:1
	;; [unrolled: 1-line block ×6, first 2 shown]
	ds_load_b32 v104, v81
	v_add_nc_u32_e32 v86, 4, v86
	v_add_nc_u32_e32 v84, 4, v84
	;; [unrolled: 1-line block ×5, first 2 shown]
	s_add_i32 s1, s1, 4
	s_delay_alu instid0(SALU_CYCLE_1)
	s_cmp_lt_u32 s1, 12
	s_waitcnt lgkmcnt(14)
	v_bfe_i32 v105, v4, 0, 8
	s_waitcnt lgkmcnt(13)
	v_bfe_i32 v108, v0, 0, 8
	s_waitcnt lgkmcnt(12)
	v_and_b32_e32 v130, 15, v27
	v_bfe_u32 v134, v27, 4, 4
	v_bfe_i32 v111, v5, 0, 8
	s_waitcnt lgkmcnt(6)
	v_and_b32_e32 v158, 15, v88
	v_bfe_i32 v114, v1, 0, 8
	v_mul_i32_i24_e32 v130, v130, v105
	s_waitcnt lgkmcnt(4)
	v_and_b32_e32 v186, 15, v92
	s_waitcnt lgkmcnt(2)
	v_and_b32_e32 v208, 15, v96
	v_and_b32_e32 v137, 15, v28
	v_bfe_u32 v141, v28, 4, 4
	v_bfe_u32 v162, v88, 4, 4
	v_and_b32_e32 v165, 15, v89
	v_bfe_u32 v169, v89, 4, 4
	v_bfe_u32 v190, v92, 4, 4
	;; [unrolled: 3-line block ×3, first 2 shown]
	v_and_b32_e32 v218, 15, v97
	v_bfe_u32 v219, v97, 4, 4
	v_mad_i32_i24 v130, v134, v108, v130
	v_mul_i32_i24_e32 v134, v158, v105
	v_mul_i32_i24_e32 v158, v186, v105
	;; [unrolled: 1-line block ×3, first 2 shown]
	v_bfe_i32 v106, v4, 8, 8
	v_bfe_i32 v115, v1, 8, 8
	;; [unrolled: 1-line block ×3, first 2 shown]
	v_ashrrev_i32_e32 v1, 24, v1
	v_bfe_i32 v117, v6, 0, 8
	v_bfe_u32 v131, v27, 8, 4
	v_bfe_u32 v136, v28, 20, 4
	;; [unrolled: 1-line block ×6, first 2 shown]
	v_lshrrev_b32_e32 v28, 28, v28
	v_and_b32_e32 v144, 15, v29
	v_mul_i32_i24_e32 v137, v137, v111
	v_mul_i32_i24_e32 v141, v141, v114
	v_bfe_u32 v159, v88, 8, 4
	v_bfe_u32 v164, v89, 20, 4
	;; [unrolled: 1-line block ×6, first 2 shown]
	v_lshrrev_b32_e32 v89, 28, v89
	v_and_b32_e32 v172, 15, v90
	v_bfe_u32 v187, v92, 8, 4
	v_bfe_u32 v192, v93, 20, 4
	;; [unrolled: 1-line block ×6, first 2 shown]
	v_lshrrev_b32_e32 v93, 28, v93
	v_and_b32_e32 v200, 15, v94
	v_bfe_u32 v216, v96, 8, 4
	v_bfe_u32 v222, v97, 20, 4
	;; [unrolled: 1-line block ×6, first 2 shown]
	v_lshrrev_b32_e32 v97, 28, v97
	s_waitcnt lgkmcnt(1)
	v_and_b32_e32 v228, 15, v98
	v_mul_i32_i24_e32 v165, v165, v111
	v_mul_i32_i24_e32 v169, v169, v114
	;; [unrolled: 1-line block ×6, first 2 shown]
	v_mad_i32_i24 v134, v162, v108, v134
	v_mad_i32_i24 v158, v190, v108, v158
	v_mad_i32_i24 v105, v210, v108, v105
	v_bfe_i32 v107, v4, 16, 8
	v_ashrrev_i32_e32 v4, 24, v4
	v_bfe_i32 v118, v6, 8, 8
	v_bfe_i32 v120, v2, 0, 8
	v_bfe_u32 v132, v27, 16, 4
	v_bfe_u32 v133, v27, 24, 4
	;; [unrolled: 1-line block ×3, first 2 shown]
	v_mul_i32_i24_e32 v131, v131, v106
	v_mul_i32_i24_e32 v144, v144, v117
	v_bfe_u32 v160, v88, 16, 4
	v_bfe_u32 v161, v88, 24, 4
	;; [unrolled: 1-line block ×11, first 2 shown]
	v_mul_i32_i24_e32 v28, v28, v1
	v_mul_i32_i24_e32 v159, v159, v106
	;; [unrolled: 1-line block ×10, first 2 shown]
	v_add3_u32 v108, v130, v137, v141
	v_add3_u32 v130, v134, v165, v169
	;; [unrolled: 1-line block ×4, first 2 shown]
	v_bfe_i32 v119, v6, 16, 8
	v_ashrrev_i32_e32 v6, 24, v6
	v_bfe_i32 v123, v7, 0, 8
	v_and_b32_e32 v151, 15, v30
	v_and_b32_e32 v179, 15, v91
	v_bfe_u32 v203, v94, 24, 4
	v_and_b32_e32 v207, 15, v95
	v_and_b32_e32 v235, 15, v99
	v_mul_i32_i24_e32 v132, v132, v107
	v_mul_i32_i24_e32 v133, v133, v4
	;; [unrolled: 1-line block ×14, first 2 shown]
	v_add3_u32 v108, v108, v144, v131
	v_add3_u32 v114, v130, v172, v159
	;; [unrolled: 1-line block ×4, first 2 shown]
	v_bfe_i32 v109, v0, 8, 8
	v_bfe_i32 v110, v0, 16, 8
	v_bfe_u32 v129, v27, 20, 4
	v_bfe_u32 v135, v27, 12, 4
	;; [unrolled: 1-line block ×8, first 2 shown]
	v_mul_i32_i24_e32 v151, v151, v123
	v_mul_i32_i24_e32 v179, v179, v123
	;; [unrolled: 1-line block ×5, first 2 shown]
	v_add3_u32 v106, v108, v132, v133
	v_add3_u32 v108, v114, v160, v161
	;; [unrolled: 1-line block ×4, first 2 shown]
	v_ashrrev_i32_e32 v0, 24, v0
	v_bfe_i32 v112, v5, 8, 8
	v_lshrrev_b32_e32 v27, 28, v27
	v_lshrrev_b32_e32 v88, 28, v88
	;; [unrolled: 1-line block ×4, first 2 shown]
	v_mul_i32_i24_e32 v135, v135, v109
	v_mul_i32_i24_e32 v129, v129, v110
	;; [unrolled: 1-line block ×8, first 2 shown]
	v_add3_u32 v97, v106, v148, v151
	v_add3_u32 v106, v108, v176, v179
	;; [unrolled: 1-line block ×4, first 2 shown]
	v_bfe_i32 v113, v5, 16, 8
	v_ashrrev_i32_e32 v5, 24, v5
	v_mul_i32_i24_e32 v27, v27, v0
	v_mul_i32_i24_e32 v138, v138, v112
	;; [unrolled: 1-line block ×8, first 2 shown]
	v_add3_u32 v97, v97, v135, v129
	v_add3_u32 v106, v106, v163, v157
	;; [unrolled: 1-line block ×4, first 2 shown]
	v_bfe_i32 v126, v3, 0, 8
	v_bfe_u32 v155, v30, 4, 4
	v_bfe_u32 v183, v91, 4, 4
	;; [unrolled: 1-line block ×4, first 2 shown]
	v_mul_i32_i24_e32 v139, v139, v113
	v_mul_i32_i24_e32 v140, v140, v5
	;; [unrolled: 1-line block ×8, first 2 shown]
	v_add3_u32 v27, v97, v27, v138
	v_add3_u32 v88, v106, v88, v96
	;; [unrolled: 1-line block ×4, first 2 shown]
	v_mul_i32_i24_e32 v142, v142, v115
	v_mul_i32_i24_e32 v155, v155, v126
	;; [unrolled: 1-line block ×8, first 2 shown]
	v_add3_u32 v27, v27, v139, v140
	v_add3_u32 v88, v88, v167, v168
	;; [unrolled: 1-line block ×4, first 2 shown]
	v_bfe_u32 v145, v29, 8, 4
	v_bfe_u32 v146, v29, 16, 4
	v_bfe_u32 v174, v90, 16, 4
	v_bfe_u32 v202, v94, 16, 4
	v_bfe_u32 v229, v98, 8, 4
	v_bfe_u32 v230, v98, 16, 4
	v_mul_i32_i24_e32 v136, v136, v116
	v_mul_i32_i24_e32 v164, v164, v116
	v_mul_i32_i24_e32 v192, v192, v116
	v_mul_i32_i24_e32 v116, v222, v116
	v_add3_u32 v5, v27, v155, v142
	v_add3_u32 v27, v88, v183, v170
	v_add3_u32 v88, v92, v208, v196
	v_add3_u32 v0, v0, v4, v115
	v_bfe_i32 v121, v2, 8, 8
	v_bfe_u32 v147, v29, 24, 4
	v_bfe_u32 v149, v29, 12, 4
	;; [unrolled: 1-line block ×7, first 2 shown]
	v_mul_i32_i24_e32 v145, v145, v118
	v_mul_i32_i24_e32 v146, v146, v119
	;; [unrolled: 1-line block ×6, first 2 shown]
	v_add3_u32 v5, v5, v136, v28
	v_add3_u32 v27, v27, v164, v89
	;; [unrolled: 1-line block ×4, first 2 shown]
	v_bfe_i32 v122, v2, 16, 8
	v_ashrrev_i32_e32 v2, 24, v2
	v_bfe_u32 v143, v29, 20, 4
	v_lshrrev_b32_e32 v29, 28, v29
	v_bfe_u32 v171, v90, 20, 4
	v_lshrrev_b32_e32 v90, 28, v90
	;; [unrolled: 2-line block ×4, first 2 shown]
	v_mul_i32_i24_e32 v147, v147, v6
	v_mul_i32_i24_e32 v149, v149, v121
	;; [unrolled: 1-line block ×7, first 2 shown]
	v_add3_u32 v5, v5, v145, v146
	v_add3_u32 v27, v27, v117, v174
	;; [unrolled: 1-line block ×4, first 2 shown]
	v_bfe_i32 v124, v7, 8, 8
	v_bfe_i32 v125, v7, 16, 8
	v_bfe_u32 v152, v30, 8, 4
	v_bfe_u32 v153, v30, 16, 4
	;; [unrolled: 1-line block ×8, first 2 shown]
	v_mul_i32_i24_e32 v143, v143, v122
	v_mul_i32_i24_e32 v29, v29, v2
	;; [unrolled: 1-line block ×8, first 2 shown]
	v_add3_u32 v5, v5, v147, v149
	v_add3_u32 v27, v27, v175, v177
	;; [unrolled: 1-line block ×4, first 2 shown]
	v_ashrrev_i32_e32 v7, 24, v7
	v_bfe_i32 v127, v3, 8, 8
	v_bfe_u32 v154, v30, 24, 4
	v_bfe_u32 v156, v30, 12, 4
	;; [unrolled: 1-line block ×8, first 2 shown]
	v_mul_i32_i24_e32 v152, v152, v124
	v_mul_i32_i24_e32 v153, v153, v125
	;; [unrolled: 1-line block ×8, first 2 shown]
	v_add3_u32 v5, v5, v143, v29
	v_add3_u32 v27, v27, v171, v90
	;; [unrolled: 1-line block ×4, first 2 shown]
	v_bfe_i32 v128, v3, 16, 8
	v_ashrrev_i32_e32 v3, 24, v3
	v_bfe_u32 v150, v30, 20, 4
	v_lshrrev_b32_e32 v30, 28, v30
	v_bfe_u32 v178, v91, 20, 4
	v_lshrrev_b32_e32 v91, 28, v91
	;; [unrolled: 2-line block ×4, first 2 shown]
	v_mul_i32_i24_e32 v154, v154, v7
	v_mul_i32_i24_e32 v156, v156, v127
	;; [unrolled: 1-line block ×8, first 2 shown]
	v_add3_u32 v5, v5, v152, v153
	v_add3_u32 v27, v27, v180, v181
	;; [unrolled: 1-line block ×4, first 2 shown]
	v_mul_i32_i24_e32 v150, v150, v128
	v_mul_i32_i24_e32 v30, v30, v3
	;; [unrolled: 1-line block ×8, first 2 shown]
	v_add3_u32 v3, v5, v154, v156
	v_add3_u32 v4, v27, v182, v184
	;; [unrolled: 1-line block ×4, first 2 shown]
	s_waitcnt lgkmcnt(0)
	v_pk_mul_f16 v101, v104, v101
	v_add3_u32 v3, v3, v150, v30
	v_add3_u32 v4, v4, v178, v91
	;; [unrolled: 1-line block ×4, first 2 shown]
	v_pk_mul_f16 v100, v104, v100
	v_pk_mul_f16 v6, v104, v102
	;; [unrolled: 1-line block ×3, first 2 shown]
	v_cvt_f32_i32_e32 v2, v3
	v_cvt_f32_i32_e32 v3, v4
	;; [unrolled: 1-line block ×4, first 2 shown]
	s_delay_alu instid0(VALU_DEP_4) | instskip(NEXT) | instid1(VALU_DEP_4)
	v_fma_mix_f32 v2, v101, v2, v101 op_sel:[0,0,1] op_sel_hi:[1,0,1]
	v_fma_mix_f32 v3, v100, v3, v100 op_sel:[0,0,1] op_sel_hi:[1,0,1]
	s_delay_alu instid0(VALU_DEP_4) | instskip(NEXT) | instid1(VALU_DEP_4)
	v_fma_mix_f32 v4, v6, v4, v6 op_sel:[0,0,1] op_sel_hi:[1,0,1]
	v_fma_mix_f32 v0, v1, v0, v1 op_sel:[0,0,1] op_sel_hi:[1,0,1]
	v_add_nc_u32_e32 v87, 4, v87
	s_delay_alu instid0(VALU_DEP_4)
	v_dual_add_f32 v58, v58, v3 :: v_dual_add_nc_u32 v85, 4, v85
	v_add_f32_e32 v33, v33, v2
	v_add_f32_e32 v55, v55, v4
	;; [unrolled: 1-line block ×3, first 2 shown]
	s_cbranch_scc1 .LBB220_12
; %bb.13:                               ;   in Loop: Header=BB220_5 Depth=1
	s_bitset1_b32 s18, 7
	s_delay_alu instid0(SALU_CYCLE_1)
	s_cmp_ge_i32 s18, s5
	s_barrier
	buffer_gl0_inv
	s_cbranch_scc1 .LBB220_4
; %bb.14:                               ;   in Loop: Header=BB220_5 Depth=1
	v_add_nc_u32_e32 v0, s6, v63
	s_delay_alu instid0(VALU_DEP_1) | instskip(NEXT) | instid1(VALU_DEP_1)
	v_cmp_gt_i32_e64 s1, s8, v0
	s_and_b32 s18, s0, s1
	s_delay_alu instid0(SALU_CYCLE_1)
	s_and_saveexec_b32 s1, s18
	s_cbranch_execz .LBB220_16
; %bb.15:                               ;   in Loop: Header=BB220_5 Depth=1
	v_add_nc_u32_e32 v2, v64, v0
	s_delay_alu instid0(VALU_DEP_1)
	v_mad_i64_i32 v[0:1], null, v2, 36, v[25:26]
	global_load_b32 v0, v[0:1], off offset:4
	s_waitcnt vmcnt(0)
	ds_store_b32 v60, v0
.LBB220_16:                             ;   in Loop: Header=BB220_5 Depth=1
	s_or_b32 exec_lo, exec_lo, s1
	s_and_saveexec_b32 s18, vcc_lo
	s_cbranch_execz .LBB220_19
; %bb.17:                               ;   in Loop: Header=BB220_5 Depth=1
	v_or_b32_e32 v0, s6, v32
	s_delay_alu instid0(VALU_DEP_1) | instskip(NEXT) | instid1(VALU_DEP_1)
	v_or_b32_e32 v1, 4, v0
	v_cmp_gt_i32_e64 s1, s8, v1
	s_delay_alu instid0(VALU_DEP_1) | instskip(NEXT) | instid1(SALU_CYCLE_1)
	s_and_b32 s1, s0, s1
	s_and_b32 exec_lo, exec_lo, s1
	s_cbranch_execz .LBB220_19
; %bb.18:                               ;   in Loop: Header=BB220_5 Depth=1
	v_ashrrev_i32_e32 v1, 31, v0
	v_add_co_u32 v2, s1, v64, v0
	s_delay_alu instid0(VALU_DEP_1) | instskip(NEXT) | instid1(VALU_DEP_2)
	v_add_co_ci_u32_e64 v3, s1, v65, v1, s1
	v_mad_u64_u32 v[0:1], null, v2, 36, s[14:15]
	s_delay_alu instid0(VALU_DEP_1)
	v_mad_i32_i24 v1, v3, 36, v1
	global_load_b32 v0, v[0:1], off
	s_waitcnt vmcnt(0)
	ds_store_b32 v61, v0
.LBB220_19:                             ;   in Loop: Header=BB220_5 Depth=1
	s_or_b32 exec_lo, exec_lo, s18
	v_dual_mov_b32 v0, v71 :: v_dual_mov_b32 v1, v70
	v_dual_mov_b32 v2, v76 :: v_dual_mov_b32 v3, v75
	;; [unrolled: 1-line block ×3, first 2 shown]
	v_mov_b32_e32 v6, v72
	s_mov_b32 s1, 12
	s_waitcnt lgkmcnt(0)
	s_barrier
	buffer_gl0_inv
.LBB220_20:                             ;   Parent Loop BB220_5 Depth=1
                                        ; =>  This Inner Loop Header: Depth=2
	v_add_nc_u32_e32 v89, 0x1080, v2
	v_add_nc_u32_e32 v91, 0x1088, v2
	ds_load_b128 v[27:30], v1
	ds_load_b128 v[81:84], v1 offset:16
	ds_load_b32 v7, v0
	ds_load_2addr_b32 v[85:86], v2 offset1:1
	ds_load_b32 v101, v4
	ds_load_b32 v102, v3
	ds_load_2addr_b32 v[87:88], v2 offset0:2 offset1:3
	v_add_nc_u32_e32 v93, 0x2100, v2
	v_add_nc_u32_e32 v95, 0x2108, v2
	;; [unrolled: 1-line block ×4, first 2 shown]
	ds_load_b32 v103, v5
	ds_load_b32 v104, v6
	ds_load_2addr_b32 v[89:90], v89 offset1:1
	ds_load_2addr_b32 v[91:92], v91 offset1:1
	;; [unrolled: 1-line block ×6, first 2 shown]
	v_add_nc_u32_e32 v3, 4, v3
	v_add_nc_u32_e32 v2, 16, v2
	;; [unrolled: 1-line block ×4, first 2 shown]
	s_add_i32 s1, s1, 4
	s_delay_alu instid0(SALU_CYCLE_1)
	s_cmp_lt_u32 s1, 28
	s_waitcnt lgkmcnt(14)
	v_bfe_i32 v105, v27, 0, 8
	v_bfe_i32 v106, v27, 8, 8
	;; [unrolled: 1-line block ×3, first 2 shown]
	s_waitcnt lgkmcnt(11)
	v_and_b32_e32 v130, 15, v85
	v_ashrrev_i32_e32 v27, 24, v27
	v_bfe_i32 v108, v81, 0, 8
	v_bfe_i32 v109, v81, 8, 8
	v_bfe_i32 v111, v28, 0, 8
	v_bfe_i32 v112, v28, 8, 8
	v_bfe_i32 v113, v28, 16, 8
	v_ashrrev_i32_e32 v28, 24, v28
	v_bfe_i32 v114, v82, 0, 8
	v_bfe_i32 v115, v82, 8, 8
	v_bfe_i32 v117, v29, 0, 8
	v_bfe_i32 v118, v29, 8, 8
	v_bfe_i32 v119, v29, 16, 8
	;; [unrolled: 6-line block ×3, first 2 shown]
	v_ashrrev_i32_e32 v30, 24, v30
	v_bfe_i32 v126, v84, 0, 8
	v_bfe_i32 v127, v84, 8, 8
	v_bfe_u32 v134, v85, 4, 4
	v_mul_i32_i24_e32 v130, v130, v105
	s_waitcnt lgkmcnt(5)
	v_and_b32_e32 v158, 15, v89
	v_bfe_u32 v159, v89, 8, 4
	v_bfe_u32 v160, v89, 16, 4
	;; [unrolled: 1-line block ×4, first 2 shown]
	v_and_b32_e32 v165, 15, v90
	v_bfe_u32 v166, v90, 8, 4
	v_bfe_u32 v167, v90, 16, 4
	;; [unrolled: 1-line block ×5, first 2 shown]
	s_waitcnt lgkmcnt(4)
	v_and_b32_e32 v172, 15, v91
	v_bfe_u32 v173, v91, 8, 4
	v_bfe_u32 v174, v91, 16, 4
	;; [unrolled: 1-line block ×5, first 2 shown]
	v_and_b32_e32 v179, 15, v92
	v_bfe_u32 v180, v92, 8, 4
	v_bfe_u32 v181, v92, 16, 4
	;; [unrolled: 1-line block ×5, first 2 shown]
	s_waitcnt lgkmcnt(3)
	v_and_b32_e32 v186, 15, v93
	s_waitcnt lgkmcnt(1)
	v_and_b32_e32 v214, 15, v97
	v_bfe_i32 v110, v81, 16, 8
	v_ashrrev_i32_e32 v81, 24, v81
	v_bfe_i32 v116, v82, 16, 8
	v_ashrrev_i32_e32 v82, 24, v82
	v_bfe_u32 v129, v85, 20, 4
	v_bfe_u32 v131, v85, 8, 4
	;; [unrolled: 1-line block ×5, first 2 shown]
	v_lshrrev_b32_e32 v85, 28, v85
	v_bfe_u32 v136, v86, 20, 4
	v_and_b32_e32 v137, 15, v86
	v_bfe_u32 v138, v86, 8, 4
	v_bfe_u32 v139, v86, 16, 4
	v_bfe_u32 v140, v86, 24, 4
	v_bfe_u32 v141, v86, 4, 4
	v_bfe_u32 v142, v86, 12, 4
	v_lshrrev_b32_e32 v86, 28, v86
	v_and_b32_e32 v144, 15, v87
	v_bfe_u32 v145, v87, 8, 4
	v_bfe_u32 v157, v89, 20, 4
	;; [unrolled: 1-line block ×3, first 2 shown]
	v_lshrrev_b32_e32 v89, 28, v89
	v_bfe_u32 v164, v90, 20, 4
	v_lshrrev_b32_e32 v90, 28, v90
	v_bfe_u32 v185, v93, 20, 4
	v_bfe_u32 v187, v93, 8, 4
	;; [unrolled: 1-line block ×6, first 2 shown]
	v_lshrrev_b32_e32 v93, 28, v93
	v_bfe_u32 v192, v94, 20, 4
	v_and_b32_e32 v193, 15, v94
	v_bfe_u32 v194, v94, 8, 4
	v_bfe_u32 v195, v94, 16, 4
	;; [unrolled: 1-line block ×5, first 2 shown]
	v_lshrrev_b32_e32 v94, 28, v94
	v_and_b32_e32 v200, 15, v95
	v_bfe_u32 v201, v95, 8, 4
	v_bfe_u32 v213, v97, 20, 4
	;; [unrolled: 1-line block ×7, first 2 shown]
	v_lshrrev_b32_e32 v97, 28, v97
	v_bfe_u32 v220, v98, 20, 4
	v_and_b32_e32 v221, 15, v98
	v_bfe_u32 v222, v98, 8, 4
	v_bfe_u32 v223, v98, 16, 4
	;; [unrolled: 1-line block ×5, first 2 shown]
	v_lshrrev_b32_e32 v98, 28, v98
	s_waitcnt lgkmcnt(0)
	v_and_b32_e32 v228, 15, v99
	v_bfe_u32 v229, v99, 8, 4
	v_mad_i32_i24 v130, v134, v108, v130
	v_mul_i32_i24_e32 v134, v158, v105
	v_mul_i32_i24_e32 v158, v159, v106
	;; [unrolled: 1-line block ×25, first 2 shown]
	v_bfe_u32 v146, v87, 16, 4
	v_mul_i32_i24_e32 v85, v85, v81
	v_mul_i32_i24_e32 v137, v137, v111
	;; [unrolled: 1-line block ×10, first 2 shown]
	v_bfe_u32 v202, v95, 16, 4
	v_bfe_u32 v230, v99, 16, 4
	v_mul_i32_i24_e32 v89, v89, v81
	v_mul_i32_i24_e32 v164, v164, v116
	;; [unrolled: 1-line block ×28, first 2 shown]
	v_mad_i32_i24 v117, v162, v108, v134
	v_mad_i32_i24 v118, v190, v108, v184
	;; [unrolled: 1-line block ×3, first 2 shown]
	v_mul_i32_i24_e32 v131, v131, v106
	v_mul_i32_i24_e32 v146, v146, v119
	;; [unrolled: 1-line block ×5, first 2 shown]
	v_add3_u32 v119, v130, v137, v141
	v_add3_u32 v117, v117, v163, v168
	v_add3_u32 v118, v118, v191, v196
	v_add3_u32 v97, v105, v97, v113
	v_bfe_u32 v148, v87, 4, 4
	v_and_b32_e32 v151, 15, v88
	v_mul_i32_i24_e32 v132, v132, v107
	v_mul_i32_i24_e32 v133, v133, v27
	v_bfe_u32 v203, v95, 24, 4
	v_bfe_u32 v204, v95, 4, 4
	;; [unrolled: 1-line block ×3, first 2 shown]
	v_and_b32_e32 v207, 15, v96
	v_bfe_u32 v232, v99, 4, 4
	v_and_b32_e32 v235, 15, v100
	v_mul_i32_i24_e32 v107, v216, v107
	v_mul_i32_i24_e32 v27, v217, v27
	v_add3_u32 v113, v119, v144, v131
	v_add3_u32 v117, v117, v170, v158
	;; [unrolled: 1-line block ×4, first 2 shown]
	v_mul_i32_i24_e32 v148, v148, v120
	v_mul_i32_i24_e32 v151, v151, v123
	;; [unrolled: 1-line block ×8, first 2 shown]
	v_add3_u32 v106, v113, v132, v133
	v_add3_u32 v113, v117, v159, v160
	;; [unrolled: 1-line block ×4, first 2 shown]
	v_mul_i32_i24_e32 v135, v135, v109
	v_mul_i32_i24_e32 v129, v129, v110
	;; [unrolled: 1-line block ×6, first 2 shown]
	v_add3_u32 v97, v106, v148, v151
	v_add3_u32 v106, v113, v175, v177
	;; [unrolled: 1-line block ×4, first 2 shown]
	v_bfe_u32 v155, v88, 4, 4
	v_add3_u32 v97, v97, v135, v129
	v_add3_u32 v105, v106, v161, v157
	;; [unrolled: 1-line block ×4, first 2 shown]
	v_mul_i32_i24_e32 v140, v140, v28
	v_bfe_u32 v208, v96, 8, 4
	v_bfe_u32 v209, v96, 16, 4
	;; [unrolled: 1-line block ×5, first 2 shown]
	v_mul_i32_i24_e32 v28, v224, v28
	v_add3_u32 v85, v97, v85, v138
	v_add3_u32 v89, v105, v89, v165
	v_add3_u32 v93, v106, v93, v193
	v_add3_u32 v27, v27, v81, v111
	v_bfe_i32 v122, v83, 16, 8
	v_ashrrev_i32_e32 v83, 24, v83
	v_bfe_u32 v143, v87, 20, 4
	v_bfe_u32 v147, v87, 24, 4
	;; [unrolled: 1-line block ×3, first 2 shown]
	v_lshrrev_b32_e32 v87, 28, v87
	v_mul_i32_i24_e32 v155, v155, v126
	v_bfe_u32 v171, v91, 20, 4
	v_lshrrev_b32_e32 v91, 28, v91
	v_bfe_u32 v199, v95, 20, 4
	v_lshrrev_b32_e32 v95, 28, v95
	v_bfe_u32 v227, v99, 20, 4
	v_bfe_u32 v231, v99, 24, 4
	;; [unrolled: 1-line block ×3, first 2 shown]
	v_lshrrev_b32_e32 v99, 28, v99
	v_mul_i32_i24_e32 v207, v208, v124
	v_mul_i32_i24_e32 v208, v209, v125
	;; [unrolled: 1-line block ×5, first 2 shown]
	v_add3_u32 v85, v85, v139, v140
	v_add3_u32 v89, v89, v166, v167
	;; [unrolled: 1-line block ×4, first 2 shown]
	v_mul_i32_i24_e32 v87, v87, v83
	v_mul_i32_i24_e32 v91, v91, v83
	;; [unrolled: 1-line block ×4, first 2 shown]
	v_add3_u32 v83, v85, v155, v142
	v_add3_u32 v85, v89, v182, v169
	v_add3_u32 v89, v93, v210, v197
	v_add3_u32 v27, v27, v81, v114
	v_mul_i32_i24_e32 v147, v147, v29
	v_add3_u32 v83, v83, v136, v86
	v_add3_u32 v85, v85, v164, v90
	;; [unrolled: 1-line block ×4, first 2 shown]
	v_mul_i32_i24_e32 v149, v149, v121
	v_mul_i32_i24_e32 v29, v231, v29
	;; [unrolled: 1-line block ×3, first 2 shown]
	v_add3_u32 v83, v83, v145, v146
	v_add3_u32 v85, v85, v172, v173
	;; [unrolled: 1-line block ×4, first 2 shown]
	v_bfe_u32 v152, v88, 8, 4
	v_bfe_u32 v153, v88, 16, 4
	v_mul_i32_i24_e32 v143, v143, v122
	v_bfe_u32 v236, v100, 8, 4
	v_bfe_u32 v237, v100, 16, 4
	v_mul_i32_i24_e32 v171, v171, v122
	v_mul_i32_i24_e32 v199, v199, v122
	v_mul_i32_i24_e32 v107, v227, v122
	v_add3_u32 v83, v83, v147, v149
	v_add3_u32 v85, v85, v174, v176
	;; [unrolled: 1-line block ×4, first 2 shown]
	v_bfe_u32 v154, v88, 24, 4
	v_bfe_u32 v156, v88, 12, 4
	v_mul_i32_i24_e32 v152, v152, v124
	v_mul_i32_i24_e32 v153, v153, v125
	v_bfe_u32 v212, v96, 12, 4
	v_bfe_u32 v238, v100, 24, 4
	;; [unrolled: 1-line block ×3, first 2 shown]
	v_mul_i32_i24_e32 v81, v236, v124
	v_mul_i32_i24_e32 v82, v237, v125
	v_add3_u32 v83, v83, v143, v87
	v_add3_u32 v85, v85, v171, v91
	;; [unrolled: 1-line block ×4, first 2 shown]
	v_bfe_i32 v128, v84, 16, 8
	v_ashrrev_i32_e32 v84, 24, v84
	v_bfe_u32 v150, v88, 20, 4
	v_lshrrev_b32_e32 v88, 28, v88
	v_mul_i32_i24_e32 v154, v154, v30
	v_mul_i32_i24_e32 v156, v156, v127
	v_bfe_u32 v178, v92, 20, 4
	v_lshrrev_b32_e32 v92, 28, v92
	v_bfe_u32 v206, v96, 20, 4
	v_lshrrev_b32_e32 v96, 28, v96
	;; [unrolled: 2-line block ×3, first 2 shown]
	v_mul_i32_i24_e32 v211, v212, v127
	v_mul_i32_i24_e32 v30, v238, v30
	;; [unrolled: 1-line block ×3, first 2 shown]
	v_add3_u32 v83, v83, v152, v153
	v_add3_u32 v85, v85, v179, v180
	;; [unrolled: 1-line block ×4, first 2 shown]
	v_mul_i32_i24_e32 v150, v150, v128
	v_mul_i32_i24_e32 v88, v88, v84
	;; [unrolled: 1-line block ×8, first 2 shown]
	v_add3_u32 v82, v83, v154, v156
	v_add3_u32 v83, v85, v181, v183
	;; [unrolled: 1-line block ×4, first 2 shown]
	v_pk_mul_f16 v102, v7, v102
	v_add3_u32 v30, v82, v150, v88
	v_add3_u32 v82, v83, v178, v92
	;; [unrolled: 1-line block ×4, first 2 shown]
	v_pk_mul_f16 v101, v7, v101
	v_pk_mul_f16 v29, v7, v103
	;; [unrolled: 1-line block ×3, first 2 shown]
	v_cvt_f32_i32_e32 v28, v30
	v_cvt_f32_i32_e32 v30, v82
	;; [unrolled: 1-line block ×4, first 2 shown]
	s_delay_alu instid0(VALU_DEP_4) | instskip(NEXT) | instid1(VALU_DEP_4)
	v_fma_mix_f32 v28, v102, v28, v102 op_sel:[0,0,1] op_sel_hi:[1,0,1]
	v_fma_mix_f32 v30, v101, v30, v101 op_sel:[0,0,1] op_sel_hi:[1,0,1]
	s_delay_alu instid0(VALU_DEP_4) | instskip(NEXT) | instid1(VALU_DEP_4)
	v_fma_mix_f32 v29, v29, v81, v29 op_sel:[0,0,1] op_sel_hi:[1,0,1]
	v_fma_mix_f32 v7, v7, v27, v7 op_sel:[0,0,1] op_sel_hi:[1,0,1]
	s_delay_alu instid0(VALU_DEP_4) | instskip(NEXT) | instid1(VALU_DEP_4)
	v_dual_add_f32 v33, v33, v28 :: v_dual_add_nc_u32 v6, 4, v6
	v_dual_add_f32 v58, v58, v30 :: v_dual_add_nc_u32 v5, 4, v5
	s_delay_alu instid0(VALU_DEP_4) | instskip(NEXT) | instid1(VALU_DEP_4)
	v_dual_add_f32 v55, v55, v29 :: v_dual_add_nc_u32 v4, 4, v4
	v_add_f32_e32 v20, v20, v7
	s_cbranch_scc1 .LBB220_20
; %bb.21:                               ;   in Loop: Header=BB220_5 Depth=1
	s_barrier
	buffer_gl0_inv
	s_branch .LBB220_4
.LBB220_22:
	s_mul_i32 s0, s10, s7
	s_waitcnt vmcnt(0)
	v_cmp_gt_i32_e32 vcc_lo, s0, v31
	s_and_saveexec_b32 s0, vcc_lo
	s_cbranch_execz .LBB220_31
; %bb.23:
	v_mul_lo_u32 v0, v31, s9
	v_add_nc_u32_e32 v1, s11, v32
	s_mov_b32 s0, exec_lo
	s_delay_alu instid0(VALU_DEP_1)
	v_cmpx_gt_u32_e64 s9, v1
	s_cbranch_execz .LBB220_25
; %bb.24:
	v_bfe_u32 v3, v33, 16, 1
	s_delay_alu instid0(VALU_DEP_4) | instskip(SKIP_1) | instid1(VALU_DEP_3)
	v_add_nc_u32_e32 v2, v0, v1
	v_cmp_o_f32_e32 vcc_lo, v33, v33
	v_add3_u32 v4, v33, v3, 0x7fff
	v_mov_b32_e32 v3, 0
	s_delay_alu instid0(VALU_DEP_2) | instskip(NEXT) | instid1(VALU_DEP_2)
	v_lshrrev_b32_e32 v4, 16, v4
	v_lshlrev_b64 v[2:3], 1, v[2:3]
	s_delay_alu instid0(VALU_DEP_2) | instskip(NEXT) | instid1(VALU_DEP_2)
	v_cndmask_b32_e32 v4, 0x7fc0, v4, vcc_lo
	v_add_co_u32 v2, vcc_lo, s12, v2
	s_delay_alu instid0(VALU_DEP_3)
	v_add_co_ci_u32_e32 v3, vcc_lo, s13, v3, vcc_lo
	global_store_b16 v[2:3], v4, off
.LBB220_25:
	s_or_b32 exec_lo, exec_lo, s0
	v_add_nc_u32_e32 v2, 32, v1
	s_mov_b32 s0, exec_lo
	s_delay_alu instid0(VALU_DEP_1)
	v_cmpx_gt_u32_e64 s9, v2
	s_cbranch_execz .LBB220_27
; %bb.26:
	v_bfe_u32 v3, v58, 16, 1
	v_add_nc_u32_e32 v2, v0, v2
	v_cmp_o_f32_e32 vcc_lo, v58, v58
	s_delay_alu instid0(VALU_DEP_3) | instskip(SKIP_1) | instid1(VALU_DEP_2)
	v_add3_u32 v4, v58, v3, 0x7fff
	v_mov_b32_e32 v3, 0
	v_lshrrev_b32_e32 v4, 16, v4
	s_delay_alu instid0(VALU_DEP_2) | instskip(NEXT) | instid1(VALU_DEP_2)
	v_lshlrev_b64 v[2:3], 1, v[2:3]
	v_cndmask_b32_e32 v4, 0x7fc0, v4, vcc_lo
	s_delay_alu instid0(VALU_DEP_2) | instskip(NEXT) | instid1(VALU_DEP_3)
	v_add_co_u32 v2, vcc_lo, s12, v2
	v_add_co_ci_u32_e32 v3, vcc_lo, s13, v3, vcc_lo
	global_store_b16 v[2:3], v4, off
.LBB220_27:
	s_or_b32 exec_lo, exec_lo, s0
	v_add_nc_u32_e32 v2, 64, v1
	s_mov_b32 s0, exec_lo
	s_delay_alu instid0(VALU_DEP_1)
	v_cmpx_gt_u32_e64 s9, v2
	s_cbranch_execz .LBB220_29
; %bb.28:
	v_bfe_u32 v3, v55, 16, 1
	v_add_nc_u32_e32 v2, v0, v2
	v_cmp_o_f32_e32 vcc_lo, v55, v55
	s_delay_alu instid0(VALU_DEP_3) | instskip(SKIP_1) | instid1(VALU_DEP_2)
	v_add3_u32 v4, v55, v3, 0x7fff
	v_mov_b32_e32 v3, 0
	v_lshrrev_b32_e32 v4, 16, v4
	s_delay_alu instid0(VALU_DEP_2) | instskip(NEXT) | instid1(VALU_DEP_2)
	v_lshlrev_b64 v[2:3], 1, v[2:3]
	v_cndmask_b32_e32 v4, 0x7fc0, v4, vcc_lo
	s_delay_alu instid0(VALU_DEP_2) | instskip(NEXT) | instid1(VALU_DEP_3)
	v_add_co_u32 v2, vcc_lo, s12, v2
	v_add_co_ci_u32_e32 v3, vcc_lo, s13, v3, vcc_lo
	global_store_b16 v[2:3], v4, off
.LBB220_29:
	s_or_b32 exec_lo, exec_lo, s0
	v_add_nc_u32_e32 v1, 0x60, v1
	s_delay_alu instid0(VALU_DEP_1)
	v_cmp_gt_u32_e32 vcc_lo, s9, v1
	s_and_b32 exec_lo, exec_lo, vcc_lo
	s_cbranch_execz .LBB220_31
; %bb.30:
	v_bfe_u32 v2, v20, 16, 1
	v_dual_mov_b32 v1, 0 :: v_dual_add_nc_u32 v0, v0, v1
	v_cmp_o_f32_e32 vcc_lo, v20, v20
	s_delay_alu instid0(VALU_DEP_3) | instskip(NEXT) | instid1(VALU_DEP_3)
	v_add3_u32 v2, v20, v2, 0x7fff
	v_lshlrev_b64 v[0:1], 1, v[0:1]
	s_delay_alu instid0(VALU_DEP_2) | instskip(NEXT) | instid1(VALU_DEP_1)
	v_lshrrev_b32_e32 v2, 16, v2
	v_cndmask_b32_e32 v2, 0x7fc0, v2, vcc_lo
	s_delay_alu instid0(VALU_DEP_3) | instskip(NEXT) | instid1(VALU_DEP_4)
	v_add_co_u32 v0, vcc_lo, s12, v0
	v_add_co_ci_u32_e32 v1, vcc_lo, s13, v1, vcc_lo
	global_store_b16 v[0:1], v2, off
.LBB220_31:
	s_nop 0
	s_sendmsg sendmsg(MSG_DEALLOC_VGPRS)
	s_endpgm
	.section	.rodata,"a",@progbits
	.p2align	6, 0x0
	.amdhsa_kernel _ZL8moe_q4_1IN3c108BFloat16ELb1EEvPKvS3_PT_PKiS7_S7_iiiiiii
		.amdhsa_group_segment_fixed_size 22272
		.amdhsa_private_segment_fixed_size 0
		.amdhsa_kernarg_size 76
		.amdhsa_user_sgpr_count 14
		.amdhsa_user_sgpr_dispatch_ptr 0
		.amdhsa_user_sgpr_queue_ptr 0
		.amdhsa_user_sgpr_kernarg_segment_ptr 1
		.amdhsa_user_sgpr_dispatch_id 0
		.amdhsa_user_sgpr_private_segment_size 0
		.amdhsa_wavefront_size32 1
		.amdhsa_uses_dynamic_stack 0
		.amdhsa_enable_private_segment 0
		.amdhsa_system_sgpr_workgroup_id_x 1
		.amdhsa_system_sgpr_workgroup_id_y 1
		.amdhsa_system_sgpr_workgroup_id_z 0
		.amdhsa_system_sgpr_workgroup_info 0
		.amdhsa_system_vgpr_workitem_id 1
		.amdhsa_next_free_vgpr 241
		.amdhsa_next_free_sgpr 20
		.amdhsa_reserve_vcc 1
		.amdhsa_float_round_mode_32 0
		.amdhsa_float_round_mode_16_64 0
		.amdhsa_float_denorm_mode_32 3
		.amdhsa_float_denorm_mode_16_64 3
		.amdhsa_dx10_clamp 1
		.amdhsa_ieee_mode 1
		.amdhsa_fp16_overflow 0
		.amdhsa_workgroup_processor_mode 1
		.amdhsa_memory_ordered 1
		.amdhsa_forward_progress 0
		.amdhsa_shared_vgpr_count 0
		.amdhsa_exception_fp_ieee_invalid_op 0
		.amdhsa_exception_fp_denorm_src 0
		.amdhsa_exception_fp_ieee_div_zero 0
		.amdhsa_exception_fp_ieee_overflow 0
		.amdhsa_exception_fp_ieee_underflow 0
		.amdhsa_exception_fp_ieee_inexact 0
		.amdhsa_exception_int_div_zero 0
	.end_amdhsa_kernel
	.section	.text._ZL8moe_q4_1IN3c108BFloat16ELb1EEvPKvS3_PT_PKiS7_S7_iiiiiii,"axG",@progbits,_ZL8moe_q4_1IN3c108BFloat16ELb1EEvPKvS3_PT_PKiS7_S7_iiiiiii,comdat
.Lfunc_end220:
	.size	_ZL8moe_q4_1IN3c108BFloat16ELb1EEvPKvS3_PT_PKiS7_S7_iiiiiii, .Lfunc_end220-_ZL8moe_q4_1IN3c108BFloat16ELb1EEvPKvS3_PT_PKiS7_S7_iiiiiii
                                        ; -- End function
	.section	.AMDGPU.csdata,"",@progbits
; Kernel info:
; codeLenInByte = 8040
; NumSgprs: 22
; NumVgprs: 241
; ScratchSize: 0
; MemoryBound: 0
; FloatMode: 240
; IeeeMode: 1
; LDSByteSize: 22272 bytes/workgroup (compile time only)
; SGPRBlocks: 2
; VGPRBlocks: 30
; NumSGPRsForWavesPerEU: 22
; NumVGPRsForWavesPerEU: 241
; Occupancy: 5
; WaveLimiterHint : 1
; COMPUTE_PGM_RSRC2:SCRATCH_EN: 0
; COMPUTE_PGM_RSRC2:USER_SGPR: 14
; COMPUTE_PGM_RSRC2:TRAP_HANDLER: 0
; COMPUTE_PGM_RSRC2:TGID_X_EN: 1
; COMPUTE_PGM_RSRC2:TGID_Y_EN: 1
; COMPUTE_PGM_RSRC2:TGID_Z_EN: 0
; COMPUTE_PGM_RSRC2:TIDIG_COMP_CNT: 1
	.section	.text._ZL8moe_q5_0IN3c108BFloat16ELb0EEvPKvS3_PT_PKiS7_S7_iiiiiii,"axG",@progbits,_ZL8moe_q5_0IN3c108BFloat16ELb0EEvPKvS3_PT_PKiS7_S7_iiiiiii,comdat
	.globl	_ZL8moe_q5_0IN3c108BFloat16ELb0EEvPKvS3_PT_PKiS7_S7_iiiiiii ; -- Begin function _ZL8moe_q5_0IN3c108BFloat16ELb0EEvPKvS3_PT_PKiS7_S7_iiiiiii
	.p2align	8
	.type	_ZL8moe_q5_0IN3c108BFloat16ELb0EEvPKvS3_PT_PKiS7_S7_iiiiiii,@function
_ZL8moe_q5_0IN3c108BFloat16ELb0EEvPKvS3_PT_PKiS7_S7_iiiiiii: ; @_ZL8moe_q5_0IN3c108BFloat16ELb0EEvPKvS3_PT_PKiS7_S7_iiiiiii
; %bb.0:
	s_load_b128 s[4:7], s[0:1], 0x18
	s_mov_b32 s2, s15
	s_mov_b32 s3, 0
	s_delay_alu instid0(SALU_CYCLE_1)
	s_lshl_b64 s[8:9], s[2:3], 2
	s_waitcnt lgkmcnt(0)
	s_add_u32 s6, s6, s8
	s_addc_u32 s7, s7, s9
	s_load_b32 s12, s[6:7], 0x0
	s_waitcnt lgkmcnt(0)
	s_cmpk_gt_u32 s12, 0xff
	s_cbranch_scc1 .LBB221_31
; %bb.1:
	s_load_b64 s[6:7], s[0:1], 0x28
	s_lshl_b32 s2, s2, 3
	s_waitcnt lgkmcnt(0)
	s_load_b32 s3, s[6:7], 0x0
	s_waitcnt lgkmcnt(0)
	s_cmp_gt_u32 s2, s3
	s_cbranch_scc1 .LBB221_31
; %bb.2:
	v_bfe_u32 v3, v0, 10, 10
	v_mov_b32_e32 v2, 0
	s_lshl_b32 s16, s14, 7
	s_mov_b32 s17, 0
	s_delay_alu instid0(VALU_DEP_2) | instskip(NEXT) | instid1(VALU_DEP_2)
	v_add_nc_u32_e32 v1, s2, v3
	v_dual_mov_b32 v7, v2 :: v_dual_and_b32 v6, 0x3ff, v0
	v_mov_b32_e32 v36, v2
	v_mov_b32_e32 v46, v2
	s_delay_alu instid0(VALU_DEP_4) | instskip(NEXT) | instid1(VALU_DEP_1)
	v_lshlrev_b64 v[4:5], 2, v[1:2]
	v_add_co_u32 v4, vcc_lo, s4, v4
	s_delay_alu instid0(VALU_DEP_2)
	v_add_co_ci_u32_e32 v5, vcc_lo, s5, v5, vcc_lo
	global_load_b32 v5, v[4:5], off
	s_clause 0x2
	s_load_b64 s[10:11], s[0:1], 0x30
	s_load_b64 s[8:9], s[0:1], 0x10
	s_load_b128 s[4:7], s[0:1], 0x3c
	s_waitcnt lgkmcnt(0)
	s_cmp_lt_i32 s11, 32
	s_cbranch_scc1 .LBB221_22
; %bb.3:
	s_load_b128 s[0:3], s[0:1], 0x0
	s_ashr_i32 s13, s11, 31
	s_ashr_i32 s14, s5, 31
	s_mul_i32 s12, s12, s10
	s_lshr_b32 s10, s13, 27
	s_lshr_b32 s13, s14, 27
	s_add_i32 s15, s11, s10
	s_add_i32 s10, s5, s13
	s_ashr_i32 s5, s15, 5
	s_ashr_i32 s14, s12, 31
	s_mul_i32 s13, s5, s16
	s_ashr_i32 s10, s10, 5
	s_mul_hi_i32 s19, s13, 22
	s_mul_i32 s13, s13, 22
	v_lshlrev_b32_e32 v1, 3, v6
	s_waitcnt vmcnt(0)
	v_sub_nc_u32_e32 v17, 0, v5
	v_mul_lo_u32 v9, s5, v3
	v_lshrrev_b32_e32 v12, 3, v6
	v_and_b32_e32 v51, 31, v6
	v_mad_u32_u24 v15, 0x104, v3, v1
	s_waitcnt lgkmcnt(0)
	s_add_u32 s0, s0, s12
	s_addc_u32 s1, s1, s14
	s_add_u32 s18, s0, s13
	s_addc_u32 s19, s1, s19
	s_abs_i32 s1, s7
	v_max_i32_e32 v46, v5, v17
	v_cvt_f32_u32_e32 v4, s1
	s_sub_i32 s12, 0, s1
	s_lshl_b32 s0, s5, 3
	v_dual_mov_b32 v7, 0 :: v_dual_lshlrev_b32 v60, 7, v3
	v_lshlrev_b32_e32 v0, 2, v6
	v_rcp_iflag_f32_e32 v1, v4
	v_and_b32_e32 v10, 7, v6
	s_delay_alu instid0(VALU_DEP_3)
	v_lshl_or_b32 v51, v51, 2, v60
	v_add_nc_u32_e32 v55, 64, v6
	v_add_nc_u32_e32 v56, 0x60, v6
	v_and_b32_e32 v14, 12, v0
	s_and_not1_b32 s15, s15, 31
	v_and_b32_e32 v0, 28, v0
	v_lshlrev_b32_e32 v57, 5, v6
	v_and_b32_e32 v56, 0x1fc, v56
	v_dual_mul_f32 v1, 0x4f7ffffe, v1 :: v_dual_lshlrev_b32 v36, 2, v10
	v_and_b32_e32 v55, 0x1fc, v55
	v_and_b32_e32 v58, 0xfc, v6
	v_lshrrev_b32_e32 v8, 2, v6
	s_delay_alu instid0(VALU_DEP_4)
	v_cvt_u32_f32_e32 v1, v1
	v_add_nc_u32_e32 v17, 0x820, v15
	v_add_nc_u32_e32 v63, v57, v55
	;; [unrolled: 1-line block ×4, first 2 shown]
	v_mul_lo_u32 v38, s12, v1
	v_add_nc_u32_e32 v20, 0x1860, v15
	v_add_nc_u32_e32 v21, 0x2080, v15
	;; [unrolled: 1-line block ×7, first 2 shown]
	v_mul_hi_u32 v41, v1, v38
	v_add_nc_u32_e32 v30, 0x5140, v15
	v_add_nc_u32_e32 v31, 0x5960, v15
	;; [unrolled: 1-line block ×9, first 2 shown]
	v_lshl_add_u32 v61, v3, 4, 0x9680
	v_add_nc_u32_e32 v65, 0x8210, v65
	s_add_u32 s12, s2, 0x90
	v_mul_hi_u32 v1, v46, v1
	s_addc_u32 s13, s3, 0
	s_delay_alu instid0(VALU_DEP_1) | instskip(SKIP_1) | instid1(VALU_DEP_2)
	v_mul_lo_u32 v49, v1, s1
	v_add_nc_u32_e32 v50, 1, v1
	v_sub_nc_u32_e32 v46, v46, v49
	s_delay_alu instid0(VALU_DEP_1) | instskip(SKIP_1) | instid1(VALU_DEP_4)
	v_subrev_nc_u32_e32 v52, s1, v46
	v_cmp_le_u32_e32 vcc_lo, s1, v46
	v_dual_cndmask_b32 v1, v1, v50 :: v_dual_lshlrev_b32 v2, 2, v3
	s_delay_alu instid0(VALU_DEP_3) | instskip(NEXT) | instid1(VALU_DEP_2)
	v_cndmask_b32_e32 v46, v46, v52, vcc_lo
	v_add_nc_u32_e32 v4, v12, v2
	v_xor_b32_e32 v50, s7, v5
	v_or_b32_e32 v2, v2, v6
	v_add_nc_u32_e32 v52, 1, v1
	v_cmp_le_u32_e32 vcc_lo, s1, v46
	v_add_nc_u32_e32 v11, s0, v9
	v_and_b32_e32 v42, 0x1ffc, v4
	v_ashrrev_i32_e32 v53, 31, v50
	v_add_nc_u32_e32 v44, 64, v4
	s_delay_alu instid0(VALU_DEP_4) | instskip(NEXT) | instid1(VALU_DEP_4)
	v_dual_cndmask_b32 v46, v1, v52 :: v_dual_add_nc_u32 v13, s0, v11
	v_add3_u32 v68, v42, v36, 0x8200
	v_mul_lo_u32 v38, s5, v4
	s_delay_alu instid0(VALU_DEP_4) | instskip(NEXT) | instid1(VALU_DEP_4)
	v_and_b32_e32 v47, 0x3ffc, v44
	v_xor_b32_e32 v46, v46, v53
	v_add_nc_u32_e32 v16, s0, v13
	v_lshlrev_b32_e32 v70, 5, v44
	v_lshlrev_b32_e32 v67, 5, v4
	v_add_nc_u32_e32 v43, 32, v4
	v_add_nc_u32_e32 v4, 0x60, v4
	;; [unrolled: 1-line block ×4, first 2 shown]
	v_lshl_add_u32 v51, v2, 2, 0x9680
	v_add_nc_u32_e32 v2, 32, v6
	v_sub_nc_u32_e32 v46, v46, v53
	v_add_nc_u32_e32 v22, s0, v18
	v_add3_u32 v72, v47, v36, 0x8200
	v_and_b32_e32 v45, 0x3ffc, v43
	v_lshlrev_b32_e32 v69, 5, v43
	v_and_b32_e32 v48, 0x3ffc, v4
	v_add_nc_u32_e32 v26, s0, v22
	v_add_nc_u32_e32 v43, s15, v38
	v_lshrrev_b32_e32 v53, 3, v2
	v_and_b32_e32 v2, 0x1fc, v2
	v_mul_lo_u32 v54, v46, s10
	v_add_nc_u32_e32 v29, s0, v26
	v_lshlrev_b32_e32 v4, 5, v4
	v_add3_u32 v71, v45, v36, 0x8200
	v_add_nc_u32_e32 v45, s15, v43
	v_add3_u32 v36, v48, v36, 0x8200
	v_add_nc_u32_e32 v34, s0, v29
	v_add_nc_u32_e32 v2, v57, v2
	s_movk_i32 s1, 0x80
	v_add_nc_u32_e32 v48, s15, v45
	v_cmp_gt_u32_e32 vcc_lo, 4, v6
	v_add_nc_u32_e32 v39, s0, v34
	v_mul_u32_u24_e32 v52, 0x104, v6
	v_ashrrev_i32_e32 v55, 31, v54
	v_add_nc_u32_e32 v58, 0x8600, v2
	v_add_nc_u32_e32 v64, 0x8610, v2
	;; [unrolled: 1-line block ×3, first 2 shown]
	v_mad_u32_u24 v66, 0x104, v6, s1
	v_add_nc_u32_e32 v67, v68, v67
	v_add_nc_u32_e32 v68, v71, v69
	;; [unrolled: 1-line block ×5, first 2 shown]
	v_mov_b32_e32 v36, 0
	v_mov_b32_e32 v2, 0
	s_delay_alu instid0(VALU_DEP_4) | instskip(NEXT) | instid1(VALU_DEP_1)
	v_add_nc_u32_e32 v42, s0, v41
	v_add_nc_u32_e32 v44, s0, v42
	s_delay_alu instid0(VALU_DEP_1) | instskip(NEXT) | instid1(VALU_DEP_1)
	v_add_nc_u32_e32 v47, s0, v44
	v_add_nc_u32_e32 v49, s0, v47
	v_add_co_u32 v0, s0, s2, v0
	s_delay_alu instid0(VALU_DEP_1) | instskip(SKIP_4) | instid1(VALU_DEP_3)
	v_add_co_ci_u32_e64 v1, null, s3, 0, s0
	v_cmp_gt_i32_e64 s0, s4, v46
	v_add_nc_u32_e32 v46, v57, v56
	v_add_nc_u32_e32 v57, 0x8a00, v63
	;; [unrolled: 1-line block ×5, first 2 shown]
	v_mov_b32_e32 v46, 0
	s_branch .LBB221_5
.LBB221_4:                              ;   in Loop: Header=BB221_5 Depth=1
	s_add_i32 s17, s17, 8
	s_delay_alu instid0(SALU_CYCLE_1)
	s_cmp_ge_i32 s17, s5
	s_cbranch_scc1 .LBB221_22
.LBB221_5:                              ; =>This Loop Header: Depth=1
                                        ;     Child Loop BB221_12 Depth 2
                                        ;     Child Loop BB221_20 Depth 2
	s_mul_i32 s1, s17, 22
	s_mul_hi_u32 s15, s17, 22
	s_add_u32 s14, s18, s1
	s_addc_u32 s15, s19, s15
	s_delay_alu instid0(SALU_CYCLE_1) | instskip(NEXT) | instid1(VALU_DEP_1)
	v_mad_u64_u32 v[3:4], null, v8, 22, s[14:15]
	v_mad_u64_u32 v[71:72], null, v9, 22, v[3:4]
	v_mad_u64_u32 v[73:74], null, v11, 22, v[3:4]
	v_mad_u64_u32 v[75:76], null, v13, 22, v[3:4]
	v_mad_u64_u32 v[77:78], null, v16, 22, v[3:4]
	v_mad_u64_u32 v[79:80], null, v18, 22, v[3:4]
	v_mad_u64_u32 v[81:82], null, v22, 22, v[3:4]
	v_add_co_u32 v83, s1, v71, v14
	s_delay_alu instid0(VALU_DEP_1)
	v_add_co_ci_u32_e64 v84, s1, 0, v72, s1
	s_clause 0x5
	global_load_b32 v89, v[71:72], off offset:2
	global_load_b32 v90, v[73:74], off offset:2
	;; [unrolled: 1-line block ×7, first 2 shown]
	v_add_co_u32 v71, s1, v73, v14
	s_delay_alu instid0(VALU_DEP_1) | instskip(SKIP_3) | instid1(VALU_DEP_1)
	v_add_co_ci_u32_e64 v72, s1, 0, v74, s1
	v_mad_u64_u32 v[73:74], null, v29, 22, v[3:4]
	global_load_b32 v96, v[71:72], off offset:6
	v_add_co_u32 v71, s1, v75, v14
	v_add_co_ci_u32_e64 v72, s1, 0, v76, s1
	v_mad_u64_u32 v[75:76], null, v34, 22, v[3:4]
	global_load_b32 v102, v[73:74], off offset:2
	global_load_b32 v97, v[71:72], off offset:6
	v_add_co_u32 v71, s1, v77, v14
	s_delay_alu instid0(VALU_DEP_1) | instskip(SKIP_3) | instid1(VALU_DEP_1)
	v_add_co_ci_u32_e64 v72, s1, 0, v78, s1
	v_mad_u64_u32 v[77:78], null, v39, 22, v[3:4]
	global_load_b32 v98, v[71:72], off offset:6
	v_add_co_u32 v71, s1, v79, v14
	v_add_co_ci_u32_e64 v72, s1, 0, v80, s1
	v_mad_u64_u32 v[79:80], null, v40, 22, v[3:4]
	global_load_b32 v99, v[71:72], off offset:6
	v_add_co_u32 v71, s1, v81, v14
	s_delay_alu instid0(VALU_DEP_1) | instskip(SKIP_2) | instid1(VALU_DEP_1)
	v_add_co_ci_u32_e64 v72, s1, 0, v82, s1
	global_load_b32 v100, v[71:72], off offset:6
	v_mad_u64_u32 v[71:72], null, v26, 22, v[3:4]
	v_add_co_u32 v81, s1, v71, v14
	global_load_b32 v101, v[71:72], off offset:2
	v_add_co_ci_u32_e64 v82, s1, 0, v72, s1
	v_add_co_u32 v83, s1, v73, v14
	s_delay_alu instid0(VALU_DEP_1) | instskip(SKIP_1) | instid1(VALU_DEP_1)
	v_add_co_ci_u32_e64 v84, s1, 0, v74, s1
	v_add_co_u32 v85, s1, v75, v14
	v_add_co_ci_u32_e64 v86, s1, 0, v76, s1
	v_add_co_u32 v87, s1, v77, v14
	s_delay_alu instid0(VALU_DEP_1) | instskip(SKIP_4) | instid1(VALU_DEP_1)
	v_add_co_ci_u32_e64 v88, s1, 0, v78, s1
	s_clause 0x1
	global_load_b32 v76, v[75:76], off offset:2
	global_load_b32 v74, v[77:78], off offset:2
	v_add_co_u32 v77, s1, v79, v14
	v_add_co_ci_u32_e64 v78, s1, 0, v80, s1
	global_load_b32 v72, v[79:80], off offset:2
	s_clause 0x4
	global_load_b32 v82, v[81:82], off offset:6
	global_load_b32 v81, v[83:84], off offset:6
	;; [unrolled: 1-line block ×5, first 2 shown]
	s_waitcnt vmcnt(21)
	v_ashrrev_i32_e32 v77, v14, v89
	s_waitcnt vmcnt(20)
	v_ashrrev_i32_e32 v78, v14, v90
	s_waitcnt vmcnt(19)
	v_ashrrev_i32_e32 v79, v14, v91
	s_waitcnt vmcnt(18)
	v_ashrrev_i32_e32 v80, v14, v92
	s_waitcnt vmcnt(17)
	v_ashrrev_i32_e32 v83, v14, v93
	s_waitcnt vmcnt(16)
	v_ashrrev_i32_e32 v84, v14, v94
	s_waitcnt vmcnt(15)
	v_and_b32_e32 v85, 0xf0f0f0f, v95
	v_lshlrev_b32_e32 v86, 4, v77
	v_lshlrev_b32_e32 v87, 11, v77
	;; [unrolled: 1-line block ×4, first 2 shown]
	v_lshrrev_b32_e32 v90, 4, v95
	v_lshrrev_b32_e32 v91, 12, v77
	;; [unrolled: 1-line block ×3, first 2 shown]
	v_lshlrev_b32_e32 v93, 2, v77
	v_lshlrev_b32_e32 v95, 4, v78
	;; [unrolled: 1-line block ×5, first 2 shown]
	v_lshrrev_b32_e32 v106, 12, v78
	v_lshrrev_b32_e32 v107, 5, v78
	v_lshlrev_b32_e32 v108, 2, v78
	v_lshlrev_b32_e32 v77, 9, v77
	s_waitcnt vmcnt(14)
	v_and_b32_e32 v94, 0xf0f0f0f, v96
	v_lshrrev_b32_e32 v96, 4, v96
	v_lshlrev_b32_e32 v78, 9, v78
	v_lshlrev_b32_e32 v110, 4, v79
	;; [unrolled: 1-line block ×5, first 2 shown]
	v_lshrrev_b32_e32 v114, 12, v79
	v_lshrrev_b32_e32 v115, 5, v79
	v_lshlrev_b32_e32 v116, 2, v79
	v_lshrrev_b32_e32 v122, 12, v80
	v_lshrrev_b32_e32 v123, 5, v80
	v_lshlrev_b32_e32 v124, 2, v80
	v_lshlrev_b32_e32 v126, 4, v83
	v_lshlrev_b32_e32 v127, 11, v83
	v_lshrrev_b32_e32 v130, 12, v83
	v_lshrrev_b32_e32 v131, 5, v83
	v_lshlrev_b32_e32 v132, 2, v83
	v_lshlrev_b32_e32 v136, 18, v84
	;; [unrolled: 1-line block ×3, first 2 shown]
	v_and_b32_e32 v86, 16, v86
	v_and_b32_e32 v87, 0x1000, v87
	;; [unrolled: 1-line block ×14, first 2 shown]
	s_waitcnt vmcnt(12)
	v_and_b32_e32 v109, 0xf0f0f0f, v97
	v_lshrrev_b32_e32 v97, 4, v97
	v_lshlrev_b32_e32 v79, 9, v79
	s_waitcnt vmcnt(11)
	v_and_b32_e32 v117, 0xf0f0f0f, v98
	v_lshlrev_b32_e32 v118, 4, v80
	v_lshlrev_b32_e32 v119, 11, v80
	;; [unrolled: 1-line block ×4, first 2 shown]
	v_lshrrev_b32_e32 v98, 4, v98
	v_lshlrev_b32_e32 v80, 9, v80
	s_waitcnt vmcnt(10)
	v_and_b32_e32 v125, 0xf0f0f0f, v99
	v_lshlrev_b32_e32 v128, 18, v83
	v_lshlrev_b32_e32 v129, 25, v83
	v_lshrrev_b32_e32 v99, 4, v99
	v_lshlrev_b32_e32 v83, 9, v83
	s_waitcnt vmcnt(9)
	v_and_b32_e32 v133, 0xf0f0f0f, v100
	v_and_b32_e32 v90, 0xf0f0f0f, v90
	;; [unrolled: 1-line block ×22, first 2 shown]
	v_or3_b32 v86, v86, v85, v87
	v_or3_b32 v85, v85, v88, v89
	;; [unrolled: 1-line block ×6, first 2 shown]
	v_and_b32_e32 v97, 0xf0f0f0f, v97
	v_and_b32_e32 v79, 0x10000000, v79
	;; [unrolled: 1-line block ×10, first 2 shown]
	v_or3_b32 v92, v110, v109, v111
	v_or3_b32 v93, v109, v112, v113
	;; [unrolled: 1-line block ×8, first 2 shown]
	v_lshrrev_b32_e32 v87, 16, v89
	v_and_b32_e32 v89, 0x1f00, v88
	v_lshlrev_b16 v88, 8, v88
	v_or3_b32 v78, v91, v78, v96
	v_or3_b32 v103, v117, v120, v121
	;; [unrolled: 1-line block ×3, first 2 shown]
	v_lshrrev_b32_e32 v85, 16, v85
	v_lshrrev_b32_e32 v90, 16, v93
	v_and_b32_e32 v91, 0x1f00, v92
	v_lshlrev_b16 v92, 8, v92
	v_or3_b32 v79, v94, v79, v97
	v_or3_b32 v80, v104, v80, v98
	v_and_b32_e32 v97, 0x1f00, v105
	v_lshlrev_b16 v98, 8, v105
	v_or3_b32 v83, v107, v83, v99
	v_lshrrev_b32_e32 v99, 16, v109
	v_lshrrev_b32_e32 v104, 16, v77
	v_and_b32_e32 v105, 0x1f00, v77
	v_lshlrev_b16 v77, 8, v77
	v_add_nc_u16 v88, v88, 0xf000
	v_lshrrev_b32_e32 v107, 16, v78
	v_and_b32_e32 v109, 0x1f00, v78
	v_lshlrev_b16 v78, 8, v78
	v_and_b32_e32 v118, 16, v118
	v_and_b32_e32 v119, 0x1000, v119
	;; [unrolled: 1-line block ×3, first 2 shown]
	v_lshlrev_b16 v86, 8, v86
	v_lshrrev_b32_e32 v93, 16, v103
	v_lshrrev_b32_e32 v96, 16, v106
	v_and_b32_e32 v103, 0x1f00, v85
	v_lshlrev_b16 v85, 8, v85
	v_and_b32_e32 v106, 0x1f00, v87
	v_lshlrev_b16 v87, 8, v87
	v_add_nc_u16 v92, v92, 0xf000
	v_and_b32_e32 v111, 0x1f00, v90
	v_lshlrev_b16 v90, 8, v90
	v_lshrrev_b32_e32 v112, 16, v79
	v_and_b32_e32 v113, 0x1f00, v79
	v_lshlrev_b16 v79, 8, v79
	v_add_nc_i16 v77, v77, 0xf000 clamp
	v_lshrrev_b16 v88, 8, v88
	v_add_nc_i16 v78, v78, 0xf000 clamp
	v_and_b32_e32 v121, 0xffffff00, v107
	v_lshlrev_b16 v107, 8, v107
	v_or3_b32 v95, v118, v117, v119
	v_add_nc_u16 v86, v86, 0xf000
	v_add_nc_u16 v85, v85, 0xf000
	;; [unrolled: 1-line block ×3, first 2 shown]
	v_lshrrev_b16 v92, 8, v92
	v_add_nc_u16 v90, v90, 0xf000
	v_add_nc_i16 v79, v79, 0xf000 clamp
	v_and_b32_e32 v122, 0xffffff00, v112
	v_lshlrev_b16 v112, 8, v112
	v_lshrrev_b16 v77, 8, v77
	v_or_b32_e32 v88, v89, v88
	v_lshrrev_b16 v78, 8, v78
	v_add_nc_i16 v89, v121, 0xf000 clamp
	v_add_nc_i16 v107, v107, 0xf000 clamp
	v_and_b32_e32 v94, 0x1f00, v95
	v_lshlrev_b16 v95, 8, v95
	v_and_b32_e32 v114, 0x1f00, v93
	v_lshlrev_b16 v93, 8, v93
	v_lshrrev_b16 v86, 8, v86
	v_lshrrev_b16 v85, 8, v85
	;; [unrolled: 1-line block ×3, first 2 shown]
	v_or_b32_e32 v91, v91, v92
	v_lshrrev_b16 v90, 8, v90
	v_lshrrev_b16 v79, 8, v79
	v_add_nc_i16 v92, v122, 0xf000 clamp
	v_add_nc_i16 v112, v112, 0xf000 clamp
	v_or_b32_e32 v77, v105, v77
	v_or_b32_e32 v78, v109, v78
	v_and_b32_e32 v89, 0xffffff00, v89
	v_lshrrev_b16 v105, 8, v107
	v_add_nc_u16 v95, v95, 0xf000
	v_lshrrev_b32_e32 v115, 16, v80
	v_and_b32_e32 v116, 0x1f00, v80
	v_lshlrev_b16 v80, 8, v80
	v_lshlrev_b32_e32 v134, 4, v84
	v_lshlrev_b32_e32 v135, 11, v84
	v_add_nc_u16 v98, v98, 0xf000
	v_and_b32_e32 v117, 0x1f00, v96
	v_lshlrev_b16 v96, 8, v96
	v_lshrrev_b32_e32 v118, 16, v83
	v_and_b32_e32 v119, 0x1f00, v83
	v_lshlrev_b16 v83, 8, v83
	v_and_b32_e32 v120, 0xffffff00, v104
	v_lshlrev_b16 v104, 8, v104
	v_add_nc_u16 v93, v93, 0xf000
	v_or_b32_e32 v86, v110, v86
	v_or_b32_e32 v85, v103, v85
	;; [unrolled: 1-line block ×5, first 2 shown]
	v_and_b32_e32 v92, 0xffffff00, v92
	v_lshrrev_b16 v106, 8, v112
	v_add_nc_u16 v78, v78, 0xf000
	v_or_b32_e32 v89, v105, v89
	v_lshrrev_b16 v95, 8, v95
	v_add_nc_i16 v80, v80, 0xf000 clamp
	v_and_b32_e32 v123, 0xffffff00, v115
	v_lshlrev_b16 v115, 8, v115
	v_lshrrev_b32_e32 v138, 12, v84
	v_lshrrev_b32_e32 v139, 5, v84
	v_lshlrev_b32_e32 v140, 2, v84
	v_and_b32_e32 v134, 16, v134
	v_and_b32_e32 v135, 0x1000, v135
	v_lshrrev_b16 v98, 8, v98
	v_add_nc_u16 v96, v96, 0xf000
	v_add_nc_i16 v83, v83, 0xf000 clamp
	v_and_b32_e32 v124, 0xffffff00, v118
	v_lshlrev_b16 v118, 8, v118
	v_add_nc_i16 v110, v120, 0xf000 clamp
	v_add_nc_i16 v104, v104, 0xf000 clamp
	v_lshrrev_b16 v93, 8, v93
	v_add_nc_u16 v86, v86, 0xf000
	v_add_nc_u16 v88, v88, 0xf000
	;; [unrolled: 1-line block ×7, first 2 shown]
	v_or_b32_e32 v92, v106, v92
	v_and_b32_e32 v78, 0xffff, v78
	v_lshlrev_b32_e32 v89, 16, v89
	v_or_b32_e32 v94, v94, v95
	v_lshrrev_b16 v80, 8, v80
	v_add_nc_i16 v95, v123, 0xf000 clamp
	v_add_nc_i16 v115, v115, 0xf000 clamp
	v_lshrrev_b32_e32 v100, 4, v100
	v_lshlrev_b32_e32 v84, 9, v84
	v_and_b32_e32 v138, 16, v138
	v_and_b32_e32 v139, 0x1000, v139
	v_or3_b32 v108, v134, v133, v135
	v_or_b32_e32 v97, v97, v98
	v_lshrrev_b16 v96, 8, v96
	v_lshrrev_b16 v83, 8, v83
	v_add_nc_i16 v98, v124, 0xf000 clamp
	v_add_nc_i16 v118, v118, 0xf000 clamp
	v_and_b32_e32 v103, 0xffffff00, v110
	v_lshrrev_b16 v104, 8, v104
	v_or_b32_e32 v93, v114, v93
	v_and_b32_e32 v86, 0xffff, v86
	v_and_b32_e32 v88, 0xffff, v88
	;; [unrolled: 1-line block ×3, first 2 shown]
	v_lshlrev_b32_e32 v85, 16, v85
	v_lshlrev_b32_e32 v87, 16, v87
	;; [unrolled: 1-line block ×3, first 2 shown]
	v_and_b32_e32 v79, 0xffff, v79
	v_lshlrev_b32_e32 v92, 16, v92
	v_or_b32_e32 v78, v78, v89
	v_and_b32_e32 v89, 0x100000, v140
	v_or_b32_e32 v80, v116, v80
	v_and_b32_e32 v95, 0xffffff00, v95
	v_lshrrev_b16 v107, 8, v115
	v_add_nc_u16 v94, v94, 0xf000
	v_or_b32_e32 v96, v117, v96
	v_or_b32_e32 v83, v119, v83
	v_and_b32_e32 v98, 0xffffff00, v98
	v_lshrrev_b16 v109, 8, v118
	v_add_nc_u16 v77, v77, 0xf000
	v_or_b32_e32 v103, v104, v103
	v_add_nc_u16 v93, v93, 0xf000
	v_or_b32_e32 v85, v86, v85
	v_or_b32_e32 v86, v88, v87
	v_or_b32_e32 v87, v91, v90
	v_or_b32_e32 v79, v79, v92
	v_lshlrev_b16 v90, 8, v108
	v_and_b32_e32 v92, 0xf0f0f0f, v100
	v_and_b32_e32 v84, 0x10000000, v84
	v_or3_b32 v89, v139, v138, v89
	v_add_nc_u16 v80, v80, 0xf000
	v_or_b32_e32 v95, v107, v95
	v_lshlrev_b16 v91, 8, v99
	v_add_nc_u16 v97, v97, 0xf000
	v_and_b32_e32 v94, 0xffff, v94
	v_add_nc_u16 v96, v96, 0xf000
	v_add_nc_u16 v83, v83, 0xf000
	v_or_b32_e32 v98, v109, v98
	v_and_b32_e32 v77, 0xffff, v77
	v_lshlrev_b32_e32 v103, 16, v103
	v_lshlrev_b32_e32 v93, 16, v93
	v_add_nc_u16 v90, v90, 0xf000
	v_or3_b32 v84, v89, v84, v92
	v_and_b32_e32 v80, 0xffff, v80
	v_lshlrev_b32_e32 v95, 16, v95
	v_add_nc_u16 v91, v91, 0xf000
	v_and_b32_e32 v97, 0xffff, v97
	v_lshlrev_b32_e32 v96, 16, v96
	v_and_b32_e32 v83, 0xffff, v83
	v_lshlrev_b32_e32 v98, 16, v98
	v_or_b32_e32 v77, v77, v103
	v_or_b32_e32 v88, v94, v93
	v_and_b32_e32 v89, 0x1f00, v108
	v_lshrrev_b16 v90, 8, v90
	v_lshlrev_b16 v94, 8, v84
	v_or_b32_e32 v80, v80, v95
	v_and_b32_e32 v92, 0x1f00, v99
	v_lshrrev_b16 v91, 8, v91
	v_or_b32_e32 v93, v97, v96
	v_or_b32_e32 v83, v83, v98
	ds_store_2addr_b32 v15, v85, v77 offset1:1
	ds_store_2addr_b32 v17, v86, v78 offset1:1
	;; [unrolled: 1-line block ×4, first 2 shown]
	v_or_b32_e32 v77, v89, v90
	v_add_nc_i16 v79, v94, 0xf000 clamp
	v_lshrrev_b32_e32 v80, 16, v84
	v_or_b32_e32 v78, v92, v91
	ds_store_2addr_b32 v21, v93, v83 offset1:1
	v_add_nc_u16 v77, v77, 0xf000
	v_and_b32_e32 v83, 0x1f00, v84
	v_lshrrev_b16 v79, 8, v79
	v_and_b32_e32 v84, 0xffffff00, v80
	s_waitcnt vmcnt(8)
	v_ashrrev_i32_e32 v86, v14, v101
	v_add_nc_u16 v78, v78, 0xf000
	v_and_b32_e32 v85, 0xffff, v77
	v_or_b32_e32 v83, v83, v79
	v_add_nc_i16 v77, v84, 0xf000 clamp
	v_lshlrev_b16 v84, 8, v80
	v_mad_u64_u32 v[79:80], null, v41, 22, v[3:4]
	v_lshlrev_b32_e32 v89, 18, v86
	v_lshlrev_b32_e32 v90, 25, v86
	;; [unrolled: 1-line block ×5, first 2 shown]
	s_waitcnt vmcnt(4)
	v_and_b32_e32 v91, 0xf0f0f0f, v82
	v_and_b32_e32 v89, 0x100000, v89
	;; [unrolled: 1-line block ×4, first 2 shown]
	global_load_b32 v78, v[79:80], off offset:2
	v_add_co_u32 v79, s1, v79, v14
	v_and_b32_e32 v88, 0x1000, v88
	v_add_co_ci_u32_e64 v80, s1, 0, v80, s1
	v_or3_b32 v89, v91, v89, v90
	v_add_nc_i16 v84, v84, 0xf000 clamp
	s_delay_alu instid0(VALU_DEP_4)
	v_or3_b32 v88, v92, v91, v88
	v_and_b32_e32 v90, 0xffffff00, v77
	global_load_b32 v77, v[79:80], off offset:6
	v_lshrrev_b32_e32 v80, 16, v89
	v_lshrrev_b16 v79, 8, v84
	v_and_b32_e32 v84, 0x1f00, v88
	v_lshlrev_b16 v88, 8, v88
	v_lshrrev_b32_e32 v89, 12, v86
	v_lshrrev_b32_e32 v91, 5, v86
	v_lshlrev_b16 v92, 8, v80
	v_lshlrev_b32_e32 v93, 2, v86
	v_add_nc_u16 v88, v88, 0xf000
	v_and_b32_e32 v89, 16, v89
	v_and_b32_e32 v91, 0x1000, v91
	v_add_nc_u16 v92, v92, 0xf000
	v_and_b32_e32 v93, 0x100000, v93
	v_lshrrev_b32_e32 v82, 4, v82
	v_lshlrev_b32_e32 v86, 9, v86
	v_lshrrev_b16 v88, 8, v88
	v_and_b32_e32 v80, 0x1f00, v80
	v_or3_b32 v89, v91, v89, v93
	v_lshrrev_b16 v91, 8, v92
	v_and_b32_e32 v82, 0xf0f0f0f, v82
	v_and_b32_e32 v86, 0x10000000, v86
	v_add_nc_u16 v83, v83, 0xf000
	v_or_b32_e32 v79, v79, v90
	v_or_b32_e32 v84, v84, v88
	;; [unrolled: 1-line block ×3, first 2 shown]
	v_or3_b32 v82, v89, v86, v82
	v_and_b32_e32 v83, 0xffff, v83
	v_lshlrev_b32_e32 v79, 16, v79
	v_add_nc_u16 v84, v84, 0xf000
	v_add_nc_u16 v80, v80, 0xf000
	v_lshlrev_b16 v86, 8, v82
	v_or_b32_e32 v85, v85, v87
	v_or_b32_e32 v79, v83, v79
	v_and_b32_e32 v83, 0xffff, v84
	v_lshlrev_b32_e32 v80, 16, v80
	v_ashrrev_i32_e32 v88, v14, v102
	v_add_nc_i16 v86, v86, 0xf000 clamp
	v_and_b32_e32 v84, 0x1f00, v82
	v_lshrrev_b32_e32 v87, 16, v82
	ds_store_2addr_b32 v23, v85, v79 offset1:1
	v_or_b32_e32 v85, v83, v80
	v_mad_u64_u32 v[82:83], null, v42, 22, v[3:4]
	v_lshlrev_b32_e32 v80, 25, v88
	v_lshrrev_b16 v86, 8, v86
	v_lshlrev_b32_e32 v79, 18, v88
	v_lshlrev_b32_e32 v90, 4, v88
	;; [unrolled: 1-line block ×3, first 2 shown]
	v_and_b32_e32 v92, 0x10000000, v80
	global_load_b32 v80, v[82:83], off offset:2
	v_add_co_u32 v82, s1, v82, v14
	v_or_b32_e32 v84, v84, v86
	s_waitcnt vmcnt(6)
	v_and_b32_e32 v89, 0xf0f0f0f, v81
	v_and_b32_e32 v79, 0x100000, v79
	v_add_co_ci_u32_e64 v83, s1, 0, v83, s1
	v_and_b32_e32 v90, 16, v90
	v_and_b32_e32 v91, 0x1000, v91
	;; [unrolled: 1-line block ×3, first 2 shown]
	v_lshlrev_b16 v87, 8, v87
	v_or3_b32 v92, v89, v79, v92
	global_load_b32 v79, v[82:83], off offset:6
	v_add_nc_u16 v82, v84, 0xf000
	v_or3_b32 v84, v90, v89, v91
	v_add_nc_i16 v83, v86, 0xf000 clamp
	v_add_nc_i16 v86, v87, 0xf000 clamp
	v_lshrrev_b32_e32 v87, 16, v92
	v_lshrrev_b32_e32 v89, 12, v88
	;; [unrolled: 1-line block ×3, first 2 shown]
	v_lshlrev_b16 v91, 8, v84
	v_lshlrev_b32_e32 v92, 2, v88
	v_lshrrev_b32_e32 v81, 4, v81
	v_and_b32_e32 v89, 16, v89
	v_and_b32_e32 v90, 0x1000, v90
	v_lshlrev_b32_e32 v88, 9, v88
	v_and_b32_e32 v92, 0x100000, v92
	v_add_nc_u16 v91, v91, 0xf000
	v_and_b32_e32 v81, 0xf0f0f0f, v81
	v_and_b32_e32 v83, 0xffffff00, v83
	;; [unrolled: 1-line block ×3, first 2 shown]
	v_or3_b32 v89, v90, v89, v92
	v_lshrrev_b16 v90, 8, v91
	v_lshlrev_b16 v91, 8, v87
	v_lshrrev_b16 v86, 8, v86
	v_and_b32_e32 v84, 0x1f00, v84
	v_or3_b32 v81, v89, v88, v81
	v_and_b32_e32 v88, 0xffff, v82
	v_add_nc_u16 v82, v91, 0xf000
	v_or_b32_e32 v83, v86, v83
	v_and_b32_e32 v87, 0x1f00, v87
	v_lshlrev_b16 v86, 8, v81
	v_or_b32_e32 v84, v84, v90
	v_lshrrev_b16 v82, 8, v82
	v_lshrrev_b32_e32 v89, 16, v81
	v_and_b32_e32 v90, 0x1f00, v81
	v_add_nc_i16 v86, v86, 0xf000 clamp
	v_ashrrev_i32_e32 v92, v14, v76
	v_or_b32_e32 v87, v87, v82
	v_mad_u64_u32 v[81:82], null, v44, 22, v[3:4]
	s_delay_alu instid0(VALU_DEP_4)
	v_lshrrev_b16 v86, 8, v86
	v_and_b32_e32 v91, 0xffffff00, v89
	v_lshlrev_b32_e32 v76, 4, v92
	v_lshlrev_b32_e32 v93, 11, v92
	v_lshlrev_b16 v89, 8, v89
	v_or_b32_e32 v86, v90, v86
	global_load_b32 v94, v[81:82], off offset:2
	v_add_co_u32 v81, s1, v81, v14
	v_add_nc_i16 v90, v91, 0xf000 clamp
	s_waitcnt vmcnt(7)
	v_and_b32_e32 v91, 0xf0f0f0f, v75
	v_add_co_ci_u32_e64 v82, s1, 0, v82, s1
	v_and_b32_e32 v95, 16, v76
	v_and_b32_e32 v93, 0x1000, v93
	v_add_nc_i16 v89, v89, 0xf000 clamp
	v_lshlrev_b32_e32 v96, 18, v92
	v_lshlrev_b32_e32 v97, 25, v92
	global_load_b32 v76, v[81:82], off offset:6
	v_or3_b32 v82, v95, v91, v93
	v_and_b32_e32 v81, 0xffffff00, v90
	v_lshrrev_b16 v89, 8, v89
	v_and_b32_e32 v90, 0x100000, v96
	v_and_b32_e32 v93, 0x10000000, v97
	v_lshlrev_b16 v95, 8, v82
	v_add_nc_u16 v86, v86, 0xf000
	v_or_b32_e32 v81, v89, v81
	v_lshlrev_b32_e32 v83, 16, v83
	v_or3_b32 v89, v91, v90, v93
	v_add_nc_u16 v90, v95, 0xf000
	v_and_b32_e32 v86, 0xffff, v86
	v_lshlrev_b32_e32 v81, 16, v81
	v_and_b32_e32 v82, 0x1f00, v82
	v_or_b32_e32 v83, v88, v83
	v_lshrrev_b16 v90, 8, v90
	v_lshrrev_b32_e32 v88, 5, v92
	v_or_b32_e32 v86, v86, v81
	v_add_nc_u16 v84, v84, 0xf000
	v_add_nc_u16 v87, v87, 0xf000
	v_or_b32_e32 v81, v82, v90
	v_lshrrev_b32_e32 v82, 12, v92
	v_lshlrev_b32_e32 v90, 2, v92
	v_lshrrev_b32_e32 v75, 4, v75
	v_and_b32_e32 v88, 0x1000, v88
	v_lshlrev_b32_e32 v91, 9, v92
	v_and_b32_e32 v82, 16, v82
	v_and_b32_e32 v90, 0x100000, v90
	;; [unrolled: 1-line block ×3, first 2 shown]
	v_lshlrev_b32_e32 v87, 16, v87
	v_lshrrev_b32_e32 v89, 16, v89
	v_and_b32_e32 v75, 0xf0f0f0f, v75
	v_and_b32_e32 v91, 0x10000000, v91
	v_or3_b32 v88, v88, v82, v90
	v_or_b32_e32 v84, v84, v87
	v_lshlrev_b16 v87, 8, v89
	v_add_nc_u16 v90, v81, 0xf000
	v_mad_u64_u32 v[81:82], null, v47, 22, v[3:4]
	v_or3_b32 v75, v88, v91, v75
	s_delay_alu instid0(VALU_DEP_4)
	v_add_nc_u16 v87, v87, 0xf000
	ds_store_2addr_b32 v24, v85, v83 offset1:1
	ds_store_2addr_b32 v25, v84, v86 offset1:1
	v_and_b32_e32 v89, 0x1f00, v89
	v_ashrrev_i32_e32 v74, v14, v74
	v_lshlrev_b16 v85, 8, v75
	global_load_b32 v86, v[81:82], off offset:2
	v_add_co_u32 v81, s1, v81, v14
	v_lshrrev_b16 v87, 8, v87
	v_add_co_ci_u32_e64 v82, s1, 0, v82, s1
	v_add_nc_i16 v85, v85, 0xf000 clamp
	v_and_b32_e32 v83, 0xffff, v90
	s_delay_alu instid0(VALU_DEP_4)
	v_or_b32_e32 v87, v89, v87
	global_load_b32 v88, v[81:82], off offset:6
	v_lshlrev_b32_e32 v89, 11, v74
	v_lshrrev_b16 v81, 8, v85
	v_lshlrev_b32_e32 v85, 4, v74
	v_add_nc_u16 v84, v87, 0xf000
	v_lshrrev_b32_e32 v87, 16, v75
	v_and_b32_e32 v75, 0x1f00, v75
	s_waitcnt vmcnt(9)
	v_and_b32_e32 v90, 0xf0f0f0f, v73
	v_lshlrev_b32_e32 v91, 18, v74
	v_lshlrev_b32_e32 v92, 25, v74
	v_and_b32_e32 v85, 16, v85
	v_and_b32_e32 v89, 0x1000, v89
	;; [unrolled: 1-line block ×3, first 2 shown]
	v_lshlrev_b16 v87, 8, v87
	v_and_b32_e32 v91, 0x100000, v91
	v_and_b32_e32 v92, 0x10000000, v92
	v_or_b32_e32 v75, v75, v81
	v_or3_b32 v81, v85, v90, v89
	v_lshlrev_b32_e32 v84, 16, v84
	v_add_nc_i16 v82, v82, 0xf000 clamp
	v_add_nc_i16 v85, v87, 0xf000 clamp
	v_or3_b32 v87, v90, v91, v92
	v_lshlrev_b16 v89, 8, v81
	v_or_b32_e32 v83, v83, v84
	v_and_b32_e32 v82, 0xffffff00, v82
	v_lshrrev_b16 v85, 8, v85
	v_lshrrev_b32_e32 v87, 16, v87
	v_add_nc_u16 v84, v89, 0xf000
	v_lshrrev_b32_e32 v89, 12, v74
	v_lshrrev_b32_e32 v90, 5, v74
	v_lshlrev_b32_e32 v91, 2, v74
	v_lshrrev_b32_e32 v73, 4, v73
	v_or_b32_e32 v82, v85, v82
	v_lshlrev_b16 v85, 8, v87
	v_and_b32_e32 v89, 16, v89
	v_and_b32_e32 v90, 0x1000, v90
	v_lshlrev_b32_e32 v92, 9, v74
	v_and_b32_e32 v91, 0x100000, v91
	v_and_b32_e32 v93, 0xf0f0f0f, v73
	v_mad_u64_u32 v[73:74], null, v49, 22, v[3:4]
	v_add_nc_u16 v75, v75, 0xf000
	v_and_b32_e32 v81, 0x1f00, v81
	v_lshrrev_b16 v84, 8, v84
	v_add_nc_u16 v85, v85, 0xf000
	v_and_b32_e32 v3, 0x10000000, v92
	v_or3_b32 v4, v90, v89, v91
	v_and_b32_e32 v75, 0xffff, v75
	v_lshlrev_b32_e32 v82, 16, v82
	v_or_b32_e32 v81, v81, v84
	v_and_b32_e32 v84, 0x1f00, v87
	v_lshrrev_b16 v85, 8, v85
	v_or3_b32 v87, v4, v3, v93
	global_load_b32 v89, v[73:74], off offset:2
	v_add_co_u32 v3, s1, v73, v14
	s_delay_alu instid0(VALU_DEP_1)
	v_add_co_ci_u32_e64 v4, s1, 0, v74, s1
	v_or_b32_e32 v73, v75, v82
	v_add_nc_u16 v74, v81, 0xf000
	v_or_b32_e32 v75, v84, v85
	v_lshlrev_b16 v81, 8, v87
	v_ashrrev_i32_e32 v72, v14, v72
	global_load_b32 v85, v[3:4], off offset:6
	ds_store_2addr_b32 v27, v83, v73 offset1:1
	v_add_nc_u16 v4, v75, 0xf000
	v_add_nc_i16 v73, v81, 0xf000 clamp
	v_lshlrev_b32_e32 v75, 4, v72
	v_lshlrev_b32_e32 v81, 11, v72
	v_and_b32_e32 v3, 0xffff, v74
	v_lshrrev_b32_e32 v74, 16, v87
	s_waitcnt vmcnt(10)
	v_and_b32_e32 v83, 0xf0f0f0f, v71
	v_and_b32_e32 v75, 16, v75
	;; [unrolled: 1-line block ×4, first 2 shown]
	v_lshrrev_b16 v73, 8, v73
	v_lshlrev_b32_e32 v84, 18, v72
	v_lshlrev_b32_e32 v87, 25, v72
	v_and_b32_e32 v90, 0xffffff00, v74
	v_lshlrev_b16 v74, 8, v74
	v_or3_b32 v75, v75, v83, v81
	v_and_b32_e32 v81, 0x100000, v84
	v_and_b32_e32 v84, 0x10000000, v87
	v_add_nc_i16 v87, v90, 0xf000 clamp
	v_add_nc_i16 v74, v74, 0xf000 clamp
	v_or_b32_e32 v73, v82, v73
	v_lshlrev_b16 v82, 8, v75
	v_or3_b32 v81, v83, v81, v84
	v_and_b32_e32 v83, 0xffffff00, v87
	v_lshrrev_b16 v74, 8, v74
	v_lshlrev_b32_e32 v4, 16, v4
	v_add_nc_u16 v82, v82, 0xf000
	v_lshrrev_b32_e32 v87, 16, v81
	v_add_nc_u16 v73, v73, 0xf000
	v_or_b32_e32 v74, v74, v83
	v_and_b32_e32 v75, 0x1f00, v75
	v_lshrrev_b16 v81, 8, v82
	v_or_b32_e32 v90, v3, v4
	v_mad_u64_u32 v[3:4], null, v10, 22, s[14:15]
	v_and_b32_e32 v91, 0xffff, v73
	v_lshlrev_b32_e32 v92, 16, v74
	v_or_b32_e32 v75, v75, v81
	v_lshrrev_b32_e32 v71, 4, v71
	v_lshrrev_b32_e32 v73, 12, v72
	;; [unrolled: 1-line block ×3, first 2 shown]
	v_lshlrev_b32_e32 v81, 2, v72
	v_lshlrev_b32_e32 v72, 9, v72
	v_and_b32_e32 v95, 0xf0f0f0f, v71
	v_and_b32_e32 v73, 16, v73
	;; [unrolled: 1-line block ×5, first 2 shown]
	v_mad_u64_u32 v[71:72], null, v38, 22, v[3:4]
	v_lshlrev_b16 v82, 8, v87
	s_delay_alu instid0(VALU_DEP_4) | instskip(SKIP_2) | instid1(VALU_DEP_4)
	v_or3_b32 v97, v74, v73, v81
	v_mad_u64_u32 v[73:74], null, v43, 22, v[3:4]
	v_mad_u64_u32 v[83:84], null, v48, 22, v[3:4]
	v_add_nc_u16 v93, v82, 0xf000
	v_mad_u64_u32 v[81:82], null, v45, 22, v[3:4]
	s_clause 0x1
	global_load_u16 v3, v[71:72], off
	global_load_u16 v73, v[73:74], off
	v_add_nc_u16 v4, v75, 0xf000
	s_clause 0x1
	global_load_u16 v75, v[81:82], off
	global_load_u16 v81, v[83:84], off
	v_or3_b32 v72, v97, v96, v95
	v_and_b32_e32 v71, 0x1f00, v87
	v_lshrrev_b16 v74, 8, v93
	v_or_b32_e32 v83, v91, v92
	s_waitcnt vmcnt(13)
	v_ashrrev_i32_e32 v78, v14, v78
	v_lshlrev_b16 v82, 8, v72
	v_and_b32_e32 v4, 0xffff, v4
	v_or_b32_e32 v71, v71, v74
	ds_store_2addr_b32 v28, v90, v83 offset1:1
	v_lshlrev_b32_e32 v84, 4, v78
	v_lshlrev_b32_e32 v87, 11, v78
	v_add_nc_i16 v74, v82, 0xf000 clamp
	v_lshrrev_b32_e32 v82, 16, v72
	v_and_b32_e32 v72, 0x1f00, v72
	s_waitcnt vmcnt(12)
	v_and_b32_e32 v92, 0xf0f0f0f, v77
	v_and_b32_e32 v84, 16, v84
	;; [unrolled: 1-line block ×3, first 2 shown]
	v_lshrrev_b16 v74, 8, v74
	v_and_b32_e32 v91, 0xffffff00, v82
	v_lshlrev_b16 v82, 8, v82
	v_lshlrev_b32_e32 v93, 18, v78
	v_or3_b32 v84, v84, v92, v87
	v_or_b32_e32 v72, v72, v74
	v_lshlrev_b32_e32 v95, 25, v78
	v_add_nc_i16 v91, v91, 0xf000 clamp
	v_add_nc_i16 v82, v82, 0xf000 clamp
	v_lshlrev_b16 v74, 8, v84
	v_and_b32_e32 v87, 0x100000, v93
	v_and_b32_e32 v93, 0x10000000, v95
	v_and_b32_e32 v84, 0x1f00, v84
	v_and_b32_e32 v91, 0xffffff00, v91
	v_add_nc_u16 v74, v74, 0xf000
	v_lshrrev_b16 v82, 8, v82
	v_or3_b32 v87, v92, v87, v93
	v_lshrrev_b32_e32 v92, 5, v78
	v_lshlrev_b32_e32 v93, 2, v78
	v_lshrrev_b16 v74, 8, v74
	v_add_nc_u16 v71, v71, 0xf000
	v_add_nc_u16 v72, v72, 0xf000
	v_or_b32_e32 v82, v82, v91
	v_lshrrev_b32_e32 v87, 16, v87
	v_or_b32_e32 v74, v84, v74
	v_lshrrev_b32_e32 v84, 12, v78
	v_lshrrev_b32_e32 v77, 4, v77
	v_and_b32_e32 v92, 0x1000, v92
	v_lshlrev_b32_e32 v78, 9, v78
	v_and_b32_e32 v93, 0x100000, v93
	v_and_b32_e32 v84, 16, v84
	v_lshlrev_b32_e32 v71, 16, v71
	v_and_b32_e32 v72, 0xffff, v72
	v_lshlrev_b16 v91, 8, v87
	v_lshlrev_b32_e32 v82, 16, v82
	v_and_b32_e32 v77, 0xf0f0f0f, v77
	v_and_b32_e32 v78, 0x10000000, v78
	v_or3_b32 v84, v92, v84, v93
	v_add_nc_u16 v91, v91, 0xf000
	v_or_b32_e32 v4, v4, v71
	v_or_b32_e32 v72, v72, v82
	v_add_nc_u16 v74, v74, 0xf000
	v_or3_b32 v77, v84, v78, v77
	v_and_b32_e32 v87, 0x1f00, v87
	v_lshrrev_b16 v91, 8, v91
	ds_store_2addr_b32 v30, v4, v72 offset1:1
	v_and_b32_e32 v4, 0xffff, v74
	s_waitcnt vmcnt(11)
	v_ashrrev_i32_e32 v78, v14, v80
	v_lshlrev_b16 v72, 8, v77
	v_lshrrev_b32_e32 v74, 16, v77
	v_or_b32_e32 v71, v87, v91
	v_and_b32_e32 v77, 0x1f00, v77
	v_lshlrev_b32_e32 v83, 18, v78
	v_lshlrev_b32_e32 v84, 25, v78
	v_add_nc_i16 v72, v72, 0xf000 clamp
	v_and_b32_e32 v80, 0xffffff00, v74
	v_lshlrev_b32_e32 v82, 4, v78
	v_lshlrev_b32_e32 v87, 11, v78
	v_and_b32_e32 v83, 0x100000, v83
	v_and_b32_e32 v84, 0x10000000, v84
	s_waitcnt vmcnt(10)
	v_and_b32_e32 v90, 0xf0f0f0f, v79
	v_and_b32_e32 v82, 16, v82
	;; [unrolled: 1-line block ×3, first 2 shown]
	v_lshrrev_b16 v72, 8, v72
	v_add_nc_i16 v80, v80, 0xf000 clamp
	v_or3_b32 v83, v90, v83, v84
	v_lshrrev_b32_e32 v84, 12, v78
	v_or3_b32 v82, v82, v90, v87
	v_or_b32_e32 v72, v77, v72
	v_and_b32_e32 v77, 0xffffff00, v80
	v_lshrrev_b32_e32 v80, 16, v83
	v_lshrrev_b32_e32 v87, 5, v78
	v_lshlrev_b32_e32 v91, 2, v78
	v_lshlrev_b16 v74, 8, v74
	v_and_b32_e32 v83, 0x1f00, v82
	v_lshlrev_b16 v82, 8, v82
	v_lshlrev_b16 v90, 8, v80
	v_lshrrev_b32_e32 v79, 4, v79
	v_and_b32_e32 v84, 16, v84
	v_and_b32_e32 v87, 0x1000, v87
	v_lshlrev_b32_e32 v78, 9, v78
	v_and_b32_e32 v91, 0x100000, v91
	v_add_nc_i16 v74, v74, 0xf000 clamp
	v_add_nc_u16 v82, v82, 0xf000
	v_add_nc_u16 v90, v90, 0xf000
	v_and_b32_e32 v79, 0xf0f0f0f, v79
	v_and_b32_e32 v78, 0x10000000, v78
	v_or3_b32 v84, v87, v84, v91
	v_add_nc_u16 v71, v71, 0xf000
	v_lshrrev_b16 v74, 8, v74
	v_lshrrev_b16 v82, 8, v82
	v_and_b32_e32 v80, 0x1f00, v80
	v_lshrrev_b16 v87, 8, v90
	v_or3_b32 v78, v84, v78, v79
	v_lshlrev_b32_e32 v71, 16, v71
	v_add_nc_u16 v72, v72, 0xf000
	v_or_b32_e32 v74, v74, v77
	v_or_b32_e32 v77, v83, v82
	;; [unrolled: 1-line block ×3, first 2 shown]
	v_lshlrev_b16 v80, 8, v78
	v_and_b32_e32 v72, 0xffff, v72
	v_lshlrev_b32_e32 v74, 16, v74
	v_add_nc_u16 v77, v77, 0xf000
	v_add_nc_u16 v79, v79, 0xf000
	v_or_b32_e32 v4, v4, v71
	v_add_nc_i16 v71, v80, 0xf000 clamp
	v_or_b32_e32 v72, v72, v74
	v_and_b32_e32 v74, 0xffff, v77
	v_lshlrev_b32_e32 v77, 16, v79
	v_and_b32_e32 v79, 0x1f00, v78
	v_lshrrev_b16 v71, 8, v71
	s_waitcnt vmcnt(9)
	v_ashrrev_i32_e32 v80, v14, v94
	ds_store_2addr_b32 v31, v4, v72 offset1:1
	v_or_b32_e32 v4, v74, v77
	v_lshrrev_b32_e32 v78, 16, v78
	v_or_b32_e32 v71, v79, v71
	v_lshlrev_b32_e32 v74, 18, v80
	v_lshlrev_b32_e32 v77, 25, v80
	;; [unrolled: 1-line block ×4, first 2 shown]
	s_waitcnt vmcnt(8)
	v_and_b32_e32 v83, 0xf0f0f0f, v76
	v_and_b32_e32 v74, 0x100000, v74
	;; [unrolled: 1-line block ×6, first 2 shown]
	v_lshrrev_b32_e32 v76, 4, v76
	v_or3_b32 v74, v83, v74, v77
	v_lshlrev_b16 v77, 8, v78
	v_or3_b32 v78, v79, v83, v82
	v_lshrrev_b32_e32 v79, 12, v80
	v_lshrrev_b32_e32 v82, 5, v80
	v_lshlrev_b32_e32 v83, 2, v80
	v_lshlrev_b32_e32 v80, 9, v80
	v_lshrrev_b32_e32 v74, 16, v74
	v_and_b32_e32 v79, 16, v79
	v_and_b32_e32 v82, 0x1000, v82
	v_and_b32_e32 v83, 0x100000, v83
	v_lshlrev_b16 v84, 8, v78
	v_and_b32_e32 v76, 0xf0f0f0f, v76
	v_and_b32_e32 v80, 0x10000000, v80
	v_lshlrev_b16 v87, 8, v74
	v_or3_b32 v79, v82, v79, v83
	v_add_nc_u16 v82, v84, 0xf000
	v_add_nc_i16 v72, v72, 0xf000 clamp
	v_add_nc_i16 v77, v77, 0xf000 clamp
	v_add_nc_u16 v83, v87, 0xf000
	v_or3_b32 v76, v79, v80, v76
	v_and_b32_e32 v78, 0x1f00, v78
	v_lshrrev_b16 v79, 8, v82
	v_and_b32_e32 v74, 0x1f00, v74
	v_lshrrev_b16 v80, 8, v83
	v_lshlrev_b16 v82, 8, v76
	v_and_b32_e32 v72, 0xffffff00, v72
	v_lshrrev_b16 v77, 8, v77
	v_or_b32_e32 v78, v78, v79
	v_or_b32_e32 v74, v74, v80
	v_add_nc_i16 v79, v82, 0xf000 clamp
	v_add_nc_u16 v71, v71, 0xf000
	v_or_b32_e32 v72, v77, v72
	v_add_nc_u16 v77, v78, 0xf000
	v_and_b32_e32 v78, 0x1f00, v76
	v_lshrrev_b16 v79, 8, v79
	s_waitcnt vmcnt(7)
	v_ashrrev_i32_e32 v80, v14, v86
	v_add_nc_u16 v74, v74, 0xf000
	v_and_b32_e32 v71, 0xffff, v71
	v_lshlrev_b32_e32 v72, 16, v72
	v_or_b32_e32 v78, v78, v79
	v_lshlrev_b32_e32 v79, 18, v80
	v_lshlrev_b32_e32 v83, 25, v80
	v_and_b32_e32 v77, 0xffff, v77
	v_lshlrev_b32_e32 v74, 16, v74
	s_waitcnt vmcnt(6)
	v_and_b32_e32 v82, 0xf0f0f0f, v88
	v_and_b32_e32 v79, 0x100000, v79
	v_lshrrev_b32_e32 v86, 12, v80
	v_lshrrev_b32_e32 v87, 5, v80
	v_and_b32_e32 v83, 0x10000000, v83
	v_lshlrev_b32_e32 v90, 2, v80
	v_or_b32_e32 v71, v71, v72
	v_or_b32_e32 v72, v77, v74
	v_lshlrev_b32_e32 v74, 4, v80
	v_lshlrev_b32_e32 v84, 11, v80
	v_lshrrev_b32_e32 v88, 4, v88
	v_and_b32_e32 v86, 16, v86
	v_and_b32_e32 v87, 0x1000, v87
	v_lshlrev_b32_e32 v80, 9, v80
	v_and_b32_e32 v90, 0x100000, v90
	v_or3_b32 v79, v82, v79, v83
	v_lshrrev_b32_e32 v76, 16, v76
	v_and_b32_e32 v83, 0xf0f0f0f, v88
	v_and_b32_e32 v80, 0x10000000, v80
	v_or3_b32 v86, v87, v86, v90
	v_lshrrev_b32_e32 v79, 16, v79
	v_add_nc_u16 v77, v78, 0xf000
	v_and_b32_e32 v78, 0xffffff00, v76
	v_and_b32_e32 v74, 16, v74
	;; [unrolled: 1-line block ×3, first 2 shown]
	v_lshlrev_b16 v76, 8, v76
	v_or3_b32 v80, v86, v80, v83
	v_lshlrev_b16 v83, 8, v79
	v_add_nc_i16 v78, v78, 0xf000 clamp
	v_or3_b32 v74, v74, v82, v84
	v_add_nc_i16 v76, v76, 0xf000 clamp
	v_lshlrev_b16 v84, 8, v80
	v_add_nc_u16 v83, v83, 0xf000
	v_and_b32_e32 v78, 0xffffff00, v78
	v_and_b32_e32 v79, 0x1f00, v79
	v_lshrrev_b16 v76, 8, v76
	v_add_nc_i16 v84, v84, 0xf000 clamp
	v_lshrrev_b16 v83, 8, v83
	v_and_b32_e32 v86, 0x1f00, v80
	v_lshlrev_b16 v82, 8, v74
	v_or_b32_e32 v76, v76, v78
	v_lshrrev_b16 v84, 8, v84
	v_or_b32_e32 v78, v79, v83
	v_and_b32_e32 v74, 0x1f00, v74
	v_add_nc_u16 v82, v82, 0xf000
	v_lshrrev_b32_e32 v80, 16, v80
	v_or_b32_e32 v79, v86, v84
	v_add_nc_u16 v78, v78, 0xf000
	v_and_b32_e32 v77, 0xffff, v77
	v_lshrrev_b16 v82, 8, v82
	v_lshlrev_b32_e32 v76, 16, v76
	v_add_nc_u16 v79, v79, 0xf000
	v_lshlrev_b32_e32 v78, 16, v78
	s_waitcnt vmcnt(5)
	v_ashrrev_i32_e32 v83, v14, v89
	v_or_b32_e32 v74, v74, v82
	v_and_b32_e32 v82, 0xffffff00, v80
	v_lshlrev_b16 v80, 8, v80
	v_and_b32_e32 v79, 0xffff, v79
	v_lshlrev_b32_e32 v84, 4, v83
	v_lshlrev_b32_e32 v86, 11, v83
	;; [unrolled: 1-line block ×4, first 2 shown]
	v_lshrrev_b32_e32 v90, 12, v83
	v_lshrrev_b32_e32 v91, 5, v83
	v_lshlrev_b32_e32 v92, 2, v83
	s_waitcnt vmcnt(4)
	v_and_b32_e32 v88, 0xf0f0f0f, v85
	v_and_b32_e32 v84, 16, v84
	;; [unrolled: 1-line block ×5, first 2 shown]
	v_lshrrev_b32_e32 v85, 4, v85
	v_and_b32_e32 v90, 16, v90
	v_and_b32_e32 v91, 0x1000, v91
	v_lshlrev_b32_e32 v83, 9, v83
	v_and_b32_e32 v92, 0x100000, v92
	v_or3_b32 v84, v84, v88, v86
	v_or3_b32 v86, v88, v87, v89
	v_and_b32_e32 v85, 0xf0f0f0f, v85
	v_and_b32_e32 v83, 0x10000000, v83
	v_or3_b32 v87, v91, v90, v92
	v_lshlrev_b16 v88, 8, v84
	v_lshrrev_b32_e32 v86, 16, v86
	v_add_nc_i16 v82, v82, 0xf000 clamp
	v_add_nc_i16 v80, v80, 0xf000 clamp
	v_or3_b32 v83, v87, v83, v85
	v_add_nc_u16 v85, v88, 0xf000
	v_lshlrev_b16 v87, 8, v86
	v_and_b32_e32 v84, 0x1f00, v84
	v_and_b32_e32 v86, 0x1f00, v86
	v_lshlrev_b16 v88, 8, v83
	v_lshrrev_b32_e32 v89, 16, v83
	v_add_nc_u16 v87, v87, 0xf000
	v_lshrrev_b16 v85, 8, v85
	v_and_b32_e32 v83, 0x1f00, v83
	v_add_nc_i16 v88, v88, 0xf000 clamp
	v_and_b32_e32 v90, 0xffffff00, v89
	v_lshlrev_b16 v89, 8, v89
	v_lshrrev_b16 v87, 8, v87
	v_and_b32_e32 v82, 0xffffff00, v82
	v_lshrrev_b16 v88, 8, v88
	v_add_nc_i16 v90, v90, 0xf000 clamp
	v_add_nc_i16 v89, v89, 0xf000 clamp
	v_lshrrev_b16 v80, 8, v80
	v_or_b32_e32 v84, v84, v85
	v_or_b32_e32 v85, v86, v87
	;; [unrolled: 1-line block ×3, first 2 shown]
	v_and_b32_e32 v86, 0xffffff00, v90
	v_lshrrev_b16 v87, 8, v89
	v_add_nc_u16 v74, v74, 0xf000
	v_or_b32_e32 v80, v80, v82
	v_add_nc_u16 v82, v84, 0xf000
	v_add_nc_u16 v84, v85, 0xf000
	;; [unrolled: 1-line block ×3, first 2 shown]
	v_or_b32_e32 v85, v87, v86
	v_and_b32_e32 v74, 0xffff, v74
	v_lshlrev_b32_e32 v80, 16, v80
	v_and_b32_e32 v82, 0xffff, v82
	v_lshlrev_b32_e32 v84, 16, v84
	;; [unrolled: 2-line block ×3, first 2 shown]
	v_or_b32_e32 v76, v77, v76
	v_or_b32_e32 v74, v74, v78
	;; [unrolled: 1-line block ×4, first 2 shown]
	s_waitcnt vmcnt(3)
	v_cvt_f32_f16_e32 v3, v3
	v_or_b32_e32 v79, v83, v85
	ds_store_2addr_b32 v32, v4, v71 offset1:1
	ds_store_2addr_b32 v33, v72, v76 offset1:1
	;; [unrolled: 1-line block ×4, first 2 shown]
	s_waitcnt vmcnt(2)
	v_cvt_f32_f16_e32 v4, v73
	ds_store_b32 v67, v3
	s_waitcnt vmcnt(1)
	v_cvt_f32_f16_e32 v3, v75
	s_waitcnt vmcnt(0)
	v_cvt_f32_f16_e32 v71, v81
	s_lshl_b32 s14, s17, 5
	ds_store_b32 v68, v4
	s_cmp_lt_i32 s14, s11
	ds_store_b32 v69, v3
	ds_store_b32 v70, v71
	s_cbranch_scc0 .LBB221_4
; %bb.6:                                ;   in Loop: Header=BB221_5 Depth=1
	v_add_nc_u32_e32 v3, s17, v12
	s_delay_alu instid0(VALU_DEP_1) | instskip(NEXT) | instid1(VALU_DEP_1)
	v_cmp_gt_i32_e64 s1, s10, v3
	s_and_b32 s15, s0, s1
	s_delay_alu instid0(SALU_CYCLE_1)
	s_and_saveexec_b32 s1, s15
	s_cbranch_execz .LBB221_8
; %bb.7:                                ;   in Loop: Header=BB221_5 Depth=1
	v_add_nc_u32_e32 v71, v54, v3
	s_delay_alu instid0(VALU_DEP_1)
	v_mad_i64_i32 v[3:4], null, v71, 36, v[0:1]
	global_load_b32 v3, v[3:4], off offset:4
	s_waitcnt vmcnt(0)
	ds_store_b32 v50, v3
.LBB221_8:                              ;   in Loop: Header=BB221_5 Depth=1
	s_or_b32 exec_lo, exec_lo, s1
	s_and_saveexec_b32 s15, vcc_lo
	s_cbranch_execz .LBB221_11
; %bb.9:                                ;   in Loop: Header=BB221_5 Depth=1
	v_or_b32_e32 v3, s17, v6
	s_delay_alu instid0(VALU_DEP_1) | instskip(NEXT) | instid1(VALU_DEP_1)
	v_cmp_gt_i32_e64 s1, s10, v3
	s_and_b32 s1, s0, s1
	s_delay_alu instid0(SALU_CYCLE_1)
	s_and_b32 exec_lo, exec_lo, s1
	s_cbranch_execz .LBB221_11
; %bb.10:                               ;   in Loop: Header=BB221_5 Depth=1
	v_add_nc_u32_e32 v71, v54, v3
	s_delay_alu instid0(VALU_DEP_1)
	v_mad_i64_i32 v[3:4], null, v71, 36, s[2:3]
	global_load_b32 v3, v[3:4], off
	s_waitcnt vmcnt(0)
	v_cvt_f32_f16_e32 v3, v3
	ds_store_b32 v51, v3
.LBB221_11:                             ;   in Loop: Header=BB221_5 Depth=1
	s_or_b32 exec_lo, exec_lo, s15
	v_dual_mov_b32 v3, v61 :: v_dual_mov_b32 v4, v60
	v_dual_mov_b32 v71, v52 :: v_dual_mov_b32 v72, v59
	;; [unrolled: 1-line block ×3, first 2 shown]
	v_mov_b32_e32 v75, v56
	s_mov_b32 s1, -4
	s_waitcnt lgkmcnt(0)
	s_barrier
	buffer_gl0_inv
.LBB221_12:                             ;   Parent Loop BB221_5 Depth=1
                                        ; =>  This Inner Loop Header: Depth=2
	ds_load_b128 v[76:79], v4
	ds_load_b32 v116, v3
	ds_load_b128 v[80:83], v4 offset:16
	ds_load_2addr_b32 v[84:85], v71 offset1:1
	ds_load_2addr_b32 v[86:87], v71 offset0:2 offset1:3
	ds_load_2addr_b32 v[88:89], v71 offset0:4 offset1:5
	ds_load_b32 v117, v72
	ds_load_2addr_b32 v[90:91], v71 offset0:6 offset1:7
	v_add_nc_u32_e32 v92, 0x2080, v71
	v_add_nc_u32_e32 v94, 0x4100, v71
	;; [unrolled: 1-line block ×3, first 2 shown]
	ds_load_b32 v118, v73
	ds_load_b32 v119, v74
	ds_load_2addr_b32 v[92:93], v92 offset1:1
	ds_load_2addr_b32 v[94:95], v94 offset1:1
	;; [unrolled: 1-line block ×3, first 2 shown]
	ds_load_b32 v120, v75
	v_add_nc_u32_e32 v98, 0x2088, v71
	v_add_nc_u32_e32 v100, 0x4108, v71
	;; [unrolled: 1-line block ×9, first 2 shown]
	ds_load_2addr_b32 v[98:99], v98 offset1:1
	ds_load_2addr_b32 v[100:101], v100 offset1:1
	;; [unrolled: 1-line block ×9, first 2 shown]
	v_add_nc_u32_e32 v75, 4, v75
	s_waitcnt lgkmcnt(19)
	v_dot4_i32_iu8 v84, v84, v76, 0 neg_lo:[1,1,0]
	v_add_nc_u32_e32 v74, 4, v74
	v_add_nc_u32_e32 v73, 4, v73
	;; [unrolled: 1-line block ×4, first 2 shown]
	s_waitcnt lgkmcnt(12)
	v_dot4_i32_iu8 v92, v92, v76, 0 neg_lo:[1,1,0]
	s_waitcnt lgkmcnt(11)
	v_dot4_i32_iu8 v94, v94, v76, 0 neg_lo:[1,1,0]
	;; [unrolled: 2-line block ×3, first 2 shown]
	v_dot4_i32_iu8 v84, v85, v80, v84 neg_lo:[1,1,0]
	s_add_i32 s1, s1, 4
	v_dot4_i32_iu8 v85, v93, v80, v92 neg_lo:[1,1,0]
	v_dot4_i32_iu8 v92, v95, v80, v94 neg_lo:[1,1,0]
	;; [unrolled: 1-line block ×4, first 2 shown]
	s_cmp_lt_u32 s1, 12
	s_waitcnt lgkmcnt(8)
	v_dot4_i32_iu8 v84, v98, v77, v85 neg_lo:[1,1,0]
	s_waitcnt lgkmcnt(7)
	v_dot4_i32_iu8 v85, v100, v77, v92 neg_lo:[1,1,0]
	;; [unrolled: 2-line block ×3, first 2 shown]
	v_dot4_i32_iu8 v77, v87, v81, v80 neg_lo:[1,1,0]
	v_dot4_i32_iu8 v80, v99, v81, v84 neg_lo:[1,1,0]
	;; [unrolled: 1-line block ×3, first 2 shown]
	s_delay_alu instid0(VALU_DEP_4) | instskip(NEXT) | instid1(VALU_DEP_4)
	v_dot4_i32_iu8 v76, v103, v81, v76 neg_lo:[1,1,0]
	v_dot4_i32_iu8 v77, v88, v78, v77 neg_lo:[1,1,0]
	s_waitcnt lgkmcnt(5)
	v_dot4_i32_iu8 v80, v104, v78, v80 neg_lo:[1,1,0]
	s_waitcnt lgkmcnt(3)
	;; [unrolled: 2-line block ×3, first 2 shown]
	v_dot4_i32_iu8 v76, v112, v78, v76 neg_lo:[1,1,0]
	v_dot4_i32_iu8 v77, v89, v82, v77 neg_lo:[1,1,0]
	v_mul_f32_e32 v78, v116, v117
	v_dot4_i32_iu8 v80, v105, v82, v80 neg_lo:[1,1,0]
	v_dot4_i32_iu8 v81, v109, v82, v81 neg_lo:[1,1,0]
	;; [unrolled: 1-line block ×3, first 2 shown]
	v_mul_f32_e32 v82, v116, v118
	v_dot4_i32_iu8 v77, v90, v79, v77 neg_lo:[1,1,0]
	v_dot4_i32_iu8 v80, v106, v79, v80 neg_lo:[1,1,0]
	;; [unrolled: 1-line block ×3, first 2 shown]
	s_waitcnt lgkmcnt(0)
	v_dot4_i32_iu8 v76, v114, v79, v76 neg_lo:[1,1,0]
	v_mul_f32_e32 v79, v116, v119
	v_dot4_i32_iu8 v77, v91, v83, v77 neg_lo:[1,1,0]
	v_dot4_i32_iu8 v80, v107, v83, v80 neg_lo:[1,1,0]
	;; [unrolled: 1-line block ×4, first 2 shown]
	v_mul_f32_e32 v83, v116, v120
	v_cvt_f32_i32_e32 v77, v77
	v_cvt_f32_i32_e32 v80, v80
	;; [unrolled: 1-line block ×4, first 2 shown]
	v_add_nc_u32_e32 v71, 32, v71
	v_add_nc_u32_e32 v3, 4, v3
	v_fmac_f32_e32 v7, v78, v77
	v_fmac_f32_e32 v36, v79, v81
	;; [unrolled: 1-line block ×4, first 2 shown]
	s_cbranch_scc1 .LBB221_12
; %bb.13:                               ;   in Loop: Header=BB221_5 Depth=1
	s_bitset1_b32 s14, 7
	s_delay_alu instid0(SALU_CYCLE_1)
	s_cmp_ge_i32 s14, s11
	s_barrier
	buffer_gl0_inv
	s_cbranch_scc1 .LBB221_4
; %bb.14:                               ;   in Loop: Header=BB221_5 Depth=1
	v_add_nc_u32_e32 v3, s17, v53
	s_delay_alu instid0(VALU_DEP_1) | instskip(NEXT) | instid1(VALU_DEP_1)
	v_cmp_gt_i32_e64 s1, s10, v3
	s_and_b32 s14, s0, s1
	s_delay_alu instid0(SALU_CYCLE_1)
	s_and_saveexec_b32 s1, s14
	s_cbranch_execz .LBB221_16
; %bb.15:                               ;   in Loop: Header=BB221_5 Depth=1
	v_add_nc_u32_e32 v71, v54, v3
	s_delay_alu instid0(VALU_DEP_1)
	v_mad_i64_i32 v[3:4], null, v71, 36, v[0:1]
	global_load_b32 v3, v[3:4], off offset:4
	s_waitcnt vmcnt(0)
	ds_store_b32 v50, v3
.LBB221_16:                             ;   in Loop: Header=BB221_5 Depth=1
	s_or_b32 exec_lo, exec_lo, s1
	s_and_saveexec_b32 s14, vcc_lo
	s_cbranch_execz .LBB221_19
; %bb.17:                               ;   in Loop: Header=BB221_5 Depth=1
	v_or_b32_e32 v3, s17, v6
	s_delay_alu instid0(VALU_DEP_1) | instskip(NEXT) | instid1(VALU_DEP_1)
	v_or_b32_e32 v4, 4, v3
	v_cmp_gt_i32_e64 s1, s10, v4
	s_delay_alu instid0(VALU_DEP_1) | instskip(NEXT) | instid1(SALU_CYCLE_1)
	s_and_b32 s1, s0, s1
	s_and_b32 exec_lo, exec_lo, s1
	s_cbranch_execz .LBB221_19
; %bb.18:                               ;   in Loop: Header=BB221_5 Depth=1
	v_ashrrev_i32_e32 v4, 31, v3
	v_add_co_u32 v71, s1, v54, v3
	s_delay_alu instid0(VALU_DEP_1) | instskip(NEXT) | instid1(VALU_DEP_2)
	v_add_co_ci_u32_e64 v72, s1, v55, v4, s1
	v_mad_u64_u32 v[3:4], null, v71, 36, s[12:13]
	s_delay_alu instid0(VALU_DEP_1)
	v_mad_i32_i24 v4, v72, 36, v4
	global_load_b32 v3, v[3:4], off
	s_waitcnt vmcnt(0)
	v_cvt_f32_f16_e32 v3, v3
	ds_store_b32 v51, v3
.LBB221_19:                             ;   in Loop: Header=BB221_5 Depth=1
	s_or_b32 exec_lo, exec_lo, s14
	v_dual_mov_b32 v3, v61 :: v_dual_mov_b32 v4, v60
	v_dual_mov_b32 v71, v66 :: v_dual_mov_b32 v72, v65
	;; [unrolled: 1-line block ×3, first 2 shown]
	v_mov_b32_e32 v75, v62
	s_mov_b32 s1, 12
	s_waitcnt lgkmcnt(0)
	s_barrier
	buffer_gl0_inv
.LBB221_20:                             ;   Parent Loop BB221_5 Depth=1
                                        ; =>  This Inner Loop Header: Depth=2
	ds_load_b128 v[76:79], v4
	ds_load_b32 v116, v3
	ds_load_b128 v[80:83], v4 offset:16
	ds_load_2addr_b32 v[84:85], v71 offset1:1
	ds_load_2addr_b32 v[86:87], v71 offset0:2 offset1:3
	ds_load_2addr_b32 v[88:89], v71 offset0:4 offset1:5
	ds_load_b32 v117, v72
	ds_load_2addr_b32 v[90:91], v71 offset0:6 offset1:7
	v_add_nc_u32_e32 v92, 0x2080, v71
	v_add_nc_u32_e32 v94, 0x4100, v71
	;; [unrolled: 1-line block ×3, first 2 shown]
	ds_load_b32 v118, v73
	ds_load_b32 v119, v74
	ds_load_2addr_b32 v[92:93], v92 offset1:1
	ds_load_2addr_b32 v[94:95], v94 offset1:1
	;; [unrolled: 1-line block ×3, first 2 shown]
	ds_load_b32 v120, v75
	v_add_nc_u32_e32 v98, 0x2088, v71
	v_add_nc_u32_e32 v100, 0x4108, v71
	;; [unrolled: 1-line block ×9, first 2 shown]
	ds_load_2addr_b32 v[98:99], v98 offset1:1
	ds_load_2addr_b32 v[100:101], v100 offset1:1
	;; [unrolled: 1-line block ×9, first 2 shown]
	v_add_nc_u32_e32 v75, 4, v75
	s_waitcnt lgkmcnt(19)
	v_dot4_i32_iu8 v84, v84, v76, 0 neg_lo:[1,1,0]
	v_add_nc_u32_e32 v74, 4, v74
	v_add_nc_u32_e32 v73, 4, v73
	;; [unrolled: 1-line block ×4, first 2 shown]
	s_waitcnt lgkmcnt(12)
	v_dot4_i32_iu8 v92, v92, v76, 0 neg_lo:[1,1,0]
	s_waitcnt lgkmcnt(11)
	v_dot4_i32_iu8 v94, v94, v76, 0 neg_lo:[1,1,0]
	;; [unrolled: 2-line block ×3, first 2 shown]
	v_dot4_i32_iu8 v84, v85, v80, v84 neg_lo:[1,1,0]
	s_add_i32 s1, s1, 4
	v_dot4_i32_iu8 v85, v93, v80, v92 neg_lo:[1,1,0]
	v_dot4_i32_iu8 v92, v95, v80, v94 neg_lo:[1,1,0]
	;; [unrolled: 1-line block ×4, first 2 shown]
	s_cmp_lt_u32 s1, 28
	s_waitcnt lgkmcnt(8)
	v_dot4_i32_iu8 v84, v98, v77, v85 neg_lo:[1,1,0]
	s_waitcnt lgkmcnt(7)
	v_dot4_i32_iu8 v85, v100, v77, v92 neg_lo:[1,1,0]
	;; [unrolled: 2-line block ×3, first 2 shown]
	v_dot4_i32_iu8 v77, v87, v81, v80 neg_lo:[1,1,0]
	v_dot4_i32_iu8 v80, v99, v81, v84 neg_lo:[1,1,0]
	;; [unrolled: 1-line block ×3, first 2 shown]
	s_delay_alu instid0(VALU_DEP_4) | instskip(NEXT) | instid1(VALU_DEP_4)
	v_dot4_i32_iu8 v76, v103, v81, v76 neg_lo:[1,1,0]
	v_dot4_i32_iu8 v77, v88, v78, v77 neg_lo:[1,1,0]
	s_waitcnt lgkmcnt(5)
	v_dot4_i32_iu8 v80, v104, v78, v80 neg_lo:[1,1,0]
	s_waitcnt lgkmcnt(3)
	v_dot4_i32_iu8 v81, v108, v78, v84 neg_lo:[1,1,0]
	s_waitcnt lgkmcnt(1)
	v_dot4_i32_iu8 v76, v112, v78, v76 neg_lo:[1,1,0]
	v_dot4_i32_iu8 v77, v89, v82, v77 neg_lo:[1,1,0]
	v_mul_f32_e32 v78, v116, v117
	v_dot4_i32_iu8 v80, v105, v82, v80 neg_lo:[1,1,0]
	v_dot4_i32_iu8 v81, v109, v82, v81 neg_lo:[1,1,0]
	;; [unrolled: 1-line block ×3, first 2 shown]
	v_mul_f32_e32 v82, v116, v118
	v_dot4_i32_iu8 v77, v90, v79, v77 neg_lo:[1,1,0]
	v_dot4_i32_iu8 v80, v106, v79, v80 neg_lo:[1,1,0]
	;; [unrolled: 1-line block ×3, first 2 shown]
	s_waitcnt lgkmcnt(0)
	v_dot4_i32_iu8 v76, v114, v79, v76 neg_lo:[1,1,0]
	v_mul_f32_e32 v79, v116, v119
	v_dot4_i32_iu8 v77, v91, v83, v77 neg_lo:[1,1,0]
	v_dot4_i32_iu8 v80, v107, v83, v80 neg_lo:[1,1,0]
	v_dot4_i32_iu8 v81, v111, v83, v81 neg_lo:[1,1,0]
	v_dot4_i32_iu8 v76, v115, v83, v76 neg_lo:[1,1,0]
	v_mul_f32_e32 v83, v116, v120
	v_cvt_f32_i32_e32 v77, v77
	v_cvt_f32_i32_e32 v80, v80
	;; [unrolled: 1-line block ×4, first 2 shown]
	v_add_nc_u32_e32 v71, 32, v71
	v_add_nc_u32_e32 v3, 4, v3
	v_fmac_f32_e32 v7, v78, v77
	v_fmac_f32_e32 v36, v79, v81
	;; [unrolled: 1-line block ×4, first 2 shown]
	s_cbranch_scc1 .LBB221_20
; %bb.21:                               ;   in Loop: Header=BB221_5 Depth=1
	s_barrier
	buffer_gl0_inv
	s_branch .LBB221_4
.LBB221_22:
	s_mul_i32 s0, s7, s4
	s_waitcnt vmcnt(0)
	v_cmp_gt_i32_e32 vcc_lo, s0, v5
	s_and_saveexec_b32 s0, vcc_lo
	s_cbranch_execz .LBB221_31
; %bb.23:
	v_mul_lo_u32 v0, v5, s6
	v_add_nc_u32_e32 v1, s16, v6
	s_mov_b32 s0, exec_lo
	s_delay_alu instid0(VALU_DEP_1)
	v_cmpx_gt_u32_e64 s6, v1
	s_cbranch_execz .LBB221_25
; %bb.24:
	v_bfe_u32 v4, v7, 16, 1
	s_delay_alu instid0(VALU_DEP_4) | instskip(SKIP_1) | instid1(VALU_DEP_3)
	v_add_nc_u32_e32 v3, v0, v1
	v_cmp_o_f32_e32 vcc_lo, v7, v7
	v_add3_u32 v5, v7, v4, 0x7fff
	v_mov_b32_e32 v4, 0
	s_delay_alu instid0(VALU_DEP_2) | instskip(NEXT) | instid1(VALU_DEP_2)
	v_lshrrev_b32_e32 v5, 16, v5
	v_lshlrev_b64 v[3:4], 1, v[3:4]
	s_delay_alu instid0(VALU_DEP_2) | instskip(NEXT) | instid1(VALU_DEP_2)
	v_cndmask_b32_e32 v5, 0x7fc0, v5, vcc_lo
	v_add_co_u32 v3, vcc_lo, s8, v3
	s_delay_alu instid0(VALU_DEP_3)
	v_add_co_ci_u32_e32 v4, vcc_lo, s9, v4, vcc_lo
	global_store_b16 v[3:4], v5, off
.LBB221_25:
	s_or_b32 exec_lo, exec_lo, s0
	v_add_nc_u32_e32 v3, 32, v1
	s_mov_b32 s0, exec_lo
	s_delay_alu instid0(VALU_DEP_1)
	v_cmpx_gt_u32_e64 s6, v3
	s_cbranch_execz .LBB221_27
; %bb.26:
	v_bfe_u32 v4, v46, 16, 1
	v_add_nc_u32_e32 v3, v0, v3
	v_cmp_o_f32_e32 vcc_lo, v46, v46
	s_delay_alu instid0(VALU_DEP_3) | instskip(SKIP_1) | instid1(VALU_DEP_2)
	v_add3_u32 v5, v46, v4, 0x7fff
	v_mov_b32_e32 v4, 0
	v_lshrrev_b32_e32 v5, 16, v5
	s_delay_alu instid0(VALU_DEP_2) | instskip(NEXT) | instid1(VALU_DEP_2)
	v_lshlrev_b64 v[3:4], 1, v[3:4]
	v_cndmask_b32_e32 v5, 0x7fc0, v5, vcc_lo
	s_delay_alu instid0(VALU_DEP_2) | instskip(NEXT) | instid1(VALU_DEP_3)
	v_add_co_u32 v3, vcc_lo, s8, v3
	v_add_co_ci_u32_e32 v4, vcc_lo, s9, v4, vcc_lo
	global_store_b16 v[3:4], v5, off
.LBB221_27:
	s_or_b32 exec_lo, exec_lo, s0
	v_add_nc_u32_e32 v3, 64, v1
	s_mov_b32 s0, exec_lo
	s_delay_alu instid0(VALU_DEP_1)
	v_cmpx_gt_u32_e64 s6, v3
	s_cbranch_execz .LBB221_29
; %bb.28:
	v_bfe_u32 v4, v36, 16, 1
	v_add_nc_u32_e32 v3, v0, v3
	v_cmp_o_f32_e32 vcc_lo, v36, v36
	s_delay_alu instid0(VALU_DEP_3) | instskip(SKIP_1) | instid1(VALU_DEP_2)
	v_add3_u32 v5, v36, v4, 0x7fff
	v_mov_b32_e32 v4, 0
	v_lshrrev_b32_e32 v5, 16, v5
	s_delay_alu instid0(VALU_DEP_2) | instskip(NEXT) | instid1(VALU_DEP_2)
	v_lshlrev_b64 v[3:4], 1, v[3:4]
	v_cndmask_b32_e32 v5, 0x7fc0, v5, vcc_lo
	s_delay_alu instid0(VALU_DEP_2) | instskip(NEXT) | instid1(VALU_DEP_3)
	v_add_co_u32 v3, vcc_lo, s8, v3
	v_add_co_ci_u32_e32 v4, vcc_lo, s9, v4, vcc_lo
	global_store_b16 v[3:4], v5, off
.LBB221_29:
	s_or_b32 exec_lo, exec_lo, s0
	v_add_nc_u32_e32 v1, 0x60, v1
	s_delay_alu instid0(VALU_DEP_1)
	v_cmp_gt_u32_e32 vcc_lo, s6, v1
	s_and_b32 exec_lo, exec_lo, vcc_lo
	s_cbranch_execz .LBB221_31
; %bb.30:
	v_bfe_u32 v3, v2, 16, 1
	v_dual_mov_b32 v1, 0 :: v_dual_add_nc_u32 v0, v0, v1
	v_cmp_o_f32_e32 vcc_lo, v2, v2
	s_delay_alu instid0(VALU_DEP_3) | instskip(NEXT) | instid1(VALU_DEP_3)
	v_add3_u32 v3, v2, v3, 0x7fff
	v_lshlrev_b64 v[0:1], 1, v[0:1]
	s_delay_alu instid0(VALU_DEP_2) | instskip(NEXT) | instid1(VALU_DEP_1)
	v_lshrrev_b32_e32 v3, 16, v3
	v_cndmask_b32_e32 v2, 0x7fc0, v3, vcc_lo
	s_delay_alu instid0(VALU_DEP_3) | instskip(NEXT) | instid1(VALU_DEP_4)
	v_add_co_u32 v0, vcc_lo, s8, v0
	v_add_co_ci_u32_e32 v1, vcc_lo, s9, v1, vcc_lo
	global_store_b16 v[0:1], v2, off
.LBB221_31:
	s_nop 0
	s_sendmsg sendmsg(MSG_DEALLOC_VGPRS)
	s_endpgm
	.section	.rodata,"a",@progbits
	.p2align	6, 0x0
	.amdhsa_kernel _ZL8moe_q5_0IN3c108BFloat16ELb0EEvPKvS3_PT_PKiS7_S7_iiiiiii
		.amdhsa_group_segment_fixed_size 38656
		.amdhsa_private_segment_fixed_size 0
		.amdhsa_kernarg_size 76
		.amdhsa_user_sgpr_count 14
		.amdhsa_user_sgpr_dispatch_ptr 0
		.amdhsa_user_sgpr_queue_ptr 0
		.amdhsa_user_sgpr_kernarg_segment_ptr 1
		.amdhsa_user_sgpr_dispatch_id 0
		.amdhsa_user_sgpr_private_segment_size 0
		.amdhsa_wavefront_size32 1
		.amdhsa_uses_dynamic_stack 0
		.amdhsa_enable_private_segment 0
		.amdhsa_system_sgpr_workgroup_id_x 1
		.amdhsa_system_sgpr_workgroup_id_y 1
		.amdhsa_system_sgpr_workgroup_id_z 0
		.amdhsa_system_sgpr_workgroup_info 0
		.amdhsa_system_vgpr_workitem_id 1
		.amdhsa_next_free_vgpr 141
		.amdhsa_next_free_sgpr 20
		.amdhsa_reserve_vcc 1
		.amdhsa_float_round_mode_32 0
		.amdhsa_float_round_mode_16_64 0
		.amdhsa_float_denorm_mode_32 3
		.amdhsa_float_denorm_mode_16_64 3
		.amdhsa_dx10_clamp 1
		.amdhsa_ieee_mode 1
		.amdhsa_fp16_overflow 0
		.amdhsa_workgroup_processor_mode 1
		.amdhsa_memory_ordered 1
		.amdhsa_forward_progress 0
		.amdhsa_shared_vgpr_count 0
		.amdhsa_exception_fp_ieee_invalid_op 0
		.amdhsa_exception_fp_denorm_src 0
		.amdhsa_exception_fp_ieee_div_zero 0
		.amdhsa_exception_fp_ieee_overflow 0
		.amdhsa_exception_fp_ieee_underflow 0
		.amdhsa_exception_fp_ieee_inexact 0
		.amdhsa_exception_int_div_zero 0
	.end_amdhsa_kernel
	.section	.text._ZL8moe_q5_0IN3c108BFloat16ELb0EEvPKvS3_PT_PKiS7_S7_iiiiiii,"axG",@progbits,_ZL8moe_q5_0IN3c108BFloat16ELb0EEvPKvS3_PT_PKiS7_S7_iiiiiii,comdat
.Lfunc_end221:
	.size	_ZL8moe_q5_0IN3c108BFloat16ELb0EEvPKvS3_PT_PKiS7_S7_iiiiiii, .Lfunc_end221-_ZL8moe_q5_0IN3c108BFloat16ELb0EEvPKvS3_PT_PKiS7_S7_iiiiiii
                                        ; -- End function
	.section	.AMDGPU.csdata,"",@progbits
; Kernel info:
; codeLenInByte = 11008
; NumSgprs: 22
; NumVgprs: 141
; ScratchSize: 0
; MemoryBound: 0
; FloatMode: 240
; IeeeMode: 1
; LDSByteSize: 38656 bytes/workgroup (compile time only)
; SGPRBlocks: 2
; VGPRBlocks: 17
; NumSGPRsForWavesPerEU: 22
; NumVGPRsForWavesPerEU: 141
; Occupancy: 6
; WaveLimiterHint : 1
; COMPUTE_PGM_RSRC2:SCRATCH_EN: 0
; COMPUTE_PGM_RSRC2:USER_SGPR: 14
; COMPUTE_PGM_RSRC2:TRAP_HANDLER: 0
; COMPUTE_PGM_RSRC2:TGID_X_EN: 1
; COMPUTE_PGM_RSRC2:TGID_Y_EN: 1
; COMPUTE_PGM_RSRC2:TGID_Z_EN: 0
; COMPUTE_PGM_RSRC2:TIDIG_COMP_CNT: 1
	.section	.text._ZL8moe_q5_0IN3c108BFloat16ELb1EEvPKvS3_PT_PKiS7_S7_iiiiiii,"axG",@progbits,_ZL8moe_q5_0IN3c108BFloat16ELb1EEvPKvS3_PT_PKiS7_S7_iiiiiii,comdat
	.globl	_ZL8moe_q5_0IN3c108BFloat16ELb1EEvPKvS3_PT_PKiS7_S7_iiiiiii ; -- Begin function _ZL8moe_q5_0IN3c108BFloat16ELb1EEvPKvS3_PT_PKiS7_S7_iiiiiii
	.p2align	8
	.type	_ZL8moe_q5_0IN3c108BFloat16ELb1EEvPKvS3_PT_PKiS7_S7_iiiiiii,@function
_ZL8moe_q5_0IN3c108BFloat16ELb1EEvPKvS3_PT_PKiS7_S7_iiiiiii: ; @_ZL8moe_q5_0IN3c108BFloat16ELb1EEvPKvS3_PT_PKiS7_S7_iiiiiii
; %bb.0:
	s_load_b128 s[4:7], s[0:1], 0x18
	s_mov_b32 s2, s15
	s_mov_b32 s3, 0
	s_delay_alu instid0(SALU_CYCLE_1)
	s_lshl_b64 s[8:9], s[2:3], 2
	s_waitcnt lgkmcnt(0)
	s_add_u32 s6, s6, s8
	s_addc_u32 s7, s7, s9
	s_load_b32 s15, s[6:7], 0x0
	s_waitcnt lgkmcnt(0)
	s_cmpk_gt_u32 s15, 0xff
	s_cbranch_scc1 .LBB222_31
; %bb.1:
	s_load_b64 s[6:7], s[0:1], 0x28
	s_lshl_b32 s2, s2, 3
	s_waitcnt lgkmcnt(0)
	s_load_b32 s3, s[6:7], 0x0
	s_waitcnt lgkmcnt(0)
	s_cmp_gt_u32 s2, s3
	s_cbranch_scc1 .LBB222_31
; %bb.2:
	v_bfe_u32 v19, v0, 10, 10
	v_mov_b32_e32 v12, 0
	s_mov_b32 s18, 0
	s_delay_alu instid0(VALU_DEP_2) | instskip(NEXT) | instid1(VALU_DEP_2)
	v_add_nc_u32_e32 v11, s2, v19
	v_dual_mov_b32 v45, v12 :: v_dual_and_b32 v22, 0x3ff, v0
	v_mov_b32_e32 v48, v12
	v_mov_b32_e32 v23, v12
	s_delay_alu instid0(VALU_DEP_4) | instskip(NEXT) | instid1(VALU_DEP_1)
	v_lshlrev_b64 v[1:2], 2, v[11:12]
	v_add_co_u32 v1, vcc_lo, s4, v1
	s_delay_alu instid0(VALU_DEP_2)
	v_add_co_ci_u32_e32 v2, vcc_lo, s5, v2, vcc_lo
	global_load_b32 v21, v[1:2], off
	s_clause 0x1
	s_load_b256 s[4:11], s[0:1], 0x30
	s_load_b64 s[12:13], s[0:1], 0x10
	s_waitcnt lgkmcnt(0)
	s_lshl_b32 s11, s14, 7
	s_cmp_lt_i32 s5, 32
	s_cbranch_scc1 .LBB222_22
; %bb.3:
	s_load_b128 s[0:3], s[0:1], 0x0
	s_ashr_i32 s14, s5, 31
	s_mul_i32 s15, s15, s4
	s_lshr_b32 s4, s14, 27
	s_ashr_i32 s16, s8, 31
	s_add_i32 s4, s5, s4
	s_lshr_b32 s14, s16, 27
	s_ashr_i32 s4, s4, 5
	s_add_i32 s8, s8, s14
	s_mul_i32 s14, s4, s11
	s_ashr_i32 s16, s15, 31
	s_ashr_i32 s8, s8, 5
	s_mul_hi_i32 s17, s14, 22
	s_mul_i32 s14, s14, 22
	v_add_nc_u32_e32 v0, 8, v19
	v_add_nc_u32_e32 v3, 16, v19
	v_lshlrev_b32_e32 v18, 3, v22
	v_add_nc_u32_e32 v4, 24, v19
	v_add_nc_u32_e32 v8, 48, v19
	;; [unrolled: 1-line block ×3, first 2 shown]
	s_waitcnt lgkmcnt(0)
	s_add_u32 s0, s0, s15
	s_addc_u32 s1, s1, s16
	s_add_u32 s19, s0, s14
	s_addc_u32 s20, s1, s17
	s_not_b32 s0, s11
	v_add_nc_u32_e32 v14, 0x60, v19
	s_add_i32 s0, s0, s6
	s_abs_i32 s1, s10
	v_min_i32_e32 v2, s0, v19
	v_min_i32_e32 v5, s0, v0
	;; [unrolled: 1-line block ×5, first 2 shown]
	v_mad_u64_u32 v[0:1], null, 0x104, v2, v[18:19]
	v_mul_lo_u32 v26, v2, s4
	v_mul_lo_u32 v27, v5, s4
	v_mad_u64_u32 v[1:2], null, 0x104, v5, v[18:19]
	v_min_i32_e32 v5, s0, v4
	v_add_nc_u32_e32 v4, 32, v19
	v_mul_lo_u32 v28, v6, s4
	v_mad_u64_u32 v[2:3], null, 0x104, v6, v[18:19]
	v_add_nc_u32_e32 v6, 40, v19
	s_delay_alu instid0(VALU_DEP_4) | instskip(SKIP_2) | instid1(VALU_DEP_4)
	v_min_i32_e32 v7, s0, v4
	v_mad_u64_u32 v[3:4], null, 0x104, v5, v[18:19]
	v_mul_lo_u32 v29, v5, s4
	v_min_i32_e32 v9, s0, v6
	s_delay_alu instid0(VALU_DEP_4) | instskip(SKIP_2) | instid1(VALU_DEP_4)
	v_mul_lo_u32 v30, v7, s4
	v_mad_u64_u32 v[4:5], null, 0x104, v7, v[18:19]
	v_add_nc_u32_e32 v7, 56, v19
	v_mul_lo_u32 v31, v9, s4
	v_mad_u64_u32 v[5:6], null, 0x104, v9, v[18:19]
	v_add_nc_u32_e32 v9, 64, v19
	s_delay_alu instid0(VALU_DEP_4) | instskip(SKIP_2) | instid1(VALU_DEP_4)
	v_min_i32_e32 v10, s0, v7
	v_mad_u64_u32 v[6:7], null, 0x104, v8, v[18:19]
	v_mul_lo_u32 v32, v8, s4
	v_min_i32_e32 v12, s0, v9
	s_delay_alu instid0(VALU_DEP_4) | instskip(SKIP_2) | instid1(VALU_DEP_4)
	v_mul_lo_u32 v33, v10, s4
	v_mad_u64_u32 v[7:8], null, 0x104, v10, v[18:19]
	v_add_nc_u32_e32 v10, 0x50, v19
	v_mul_lo_u32 v34, v12, s4
	v_mad_u64_u32 v[8:9], null, 0x104, v12, v[18:19]
	v_add_nc_u32_e32 v12, 0x58, v19
	s_delay_alu instid0(VALU_DEP_4) | instskip(SKIP_2) | instid1(VALU_DEP_4)
	v_min_i32_e32 v13, s0, v10
	v_mad_u64_u32 v[9:10], null, 0x104, v11, v[18:19]
	v_mul_lo_u32 v35, v11, s4
	v_min_i32_e32 v15, s0, v12
	s_delay_alu instid0(VALU_DEP_4) | instskip(SKIP_2) | instid1(VALU_DEP_4)
	v_mad_u64_u32 v[10:11], null, 0x104, v13, v[18:19]
	v_min_i32_e32 v16, s0, v14
	v_mul_lo_u32 v36, v13, s4
	v_mul_lo_u32 v37, v15, s4
	v_mad_u64_u32 v[11:12], null, 0x104, v15, v[18:19]
	v_cvt_f32_u32_e32 v15, s1
	v_mul_lo_u32 v38, v16, s4
	v_mad_u64_u32 v[13:14], null, 0x104, v16, v[18:19]
	v_add_nc_u32_e32 v12, 0x68, v19
	s_delay_alu instid0(VALU_DEP_4)
	v_rcp_iflag_f32_e32 v16, v15
	v_add_nc_u32_e32 v17, 0x70, v19
	v_add_nc_u32_e32 v42, 0x78, v19
	v_lshlrev_b32_e32 v45, 2, v19
	v_lshrrev_b32_e32 v39, 3, v22
	v_min_i32_e32 v12, s0, v12
	v_min_i32_e32 v17, s0, v17
	;; [unrolled: 1-line block ×3, first 2 shown]
	s_sub_i32 s6, 0, s1
	v_add_nc_u32_e32 v46, v39, v45
	v_mul_f32_e32 v44, 0x4f7ffffe, v16
	v_mad_u64_u32 v[14:15], null, 0x104, v12, v[18:19]
	v_mad_u64_u32 v[15:16], null, 0x104, v17, v[18:19]
	s_delay_alu instid0(VALU_DEP_3) | instskip(SKIP_3) | instid1(VALU_DEP_4)
	v_cvt_u32_f32_e32 v48, v44
	v_mul_lo_u32 v41, v17, s4
	v_mad_u64_u32 v[16:17], null, 0x104, v43, v[18:19]
	v_add_nc_u32_e32 v17, 32, v46
	v_mul_lo_u32 v18, s6, v48
	v_min_i32_e32 v47, s0, v46
	v_add_nc_u32_e32 v49, 64, v46
	v_add_nc_u32_e32 v46, 0x60, v46
	v_min_i32_e32 v17, s0, v17
	s_waitcnt vmcnt(0)
	v_sub_nc_u32_e32 v51, 0, v21
	v_mul_lo_u32 v40, v12, s4
	v_min_i32_e32 v49, s0, v49
	v_mul_hi_u32 v18, v48, v18
	v_ashrrev_i32_e32 v50, 31, v17
	v_min_i32_e32 v54, s0, v46
	v_ashrrev_i32_e32 v12, 31, v47
	v_ashrrev_i32_e32 v53, 31, v49
	v_mul_lo_u32 v42, v43, s4
	v_lshrrev_b32_e32 v46, 30, v50
	v_max_i32_e32 v50, v21, v51
	v_add_nc_u32_e32 v18, v48, v18
	v_ashrrev_i32_e32 v51, 31, v54
	v_lshrrev_b32_e32 v12, 30, v12
	v_lshrrev_b32_e32 v48, 30, v53
	v_and_b32_e32 v43, 7, v22
	v_mul_hi_u32 v18, v50, v18
	v_lshrrev_b32_e32 v51, 30, v51
	v_add_nc_u32_e32 v12, v47, v12
	v_add_nc_u32_e32 v46, v17, v46
	;; [unrolled: 1-line block ×3, first 2 shown]
	v_mul_lo_u32 v44, v47, s4
	v_add_nc_u32_e32 v51, v54, v51
	v_and_b32_e32 v12, -4, v12
	v_mul_lo_u32 v53, v18, s1
	v_lshlrev_b32_e32 v52, 2, v43
	v_lshlrev_b32_e32 v67, 5, v47
	v_and_b32_e32 v47, -4, v46
	v_mul_lo_u32 v46, v17, s4
	v_and_b32_e32 v48, -4, v48
	v_lshlrev_b32_e32 v69, 5, v17
	v_and_b32_e32 v17, -4, v51
	v_sub_nc_u32_e32 v50, v50, v53
	v_add3_u32 v12, v12, v52, 0x8200
	v_add3_u32 v68, v47, v52, 0x8200
	;; [unrolled: 1-line block ×4, first 2 shown]
	v_add_nc_u32_e32 v17, 1, v18
	v_subrev_nc_u32_e32 v52, s1, v50
	v_cmp_le_u32_e32 vcc_lo, s1, v50
	v_dual_mov_b32 v23, 0 :: v_dual_lshlrev_b32 v20, 2, v22
	v_and_b32_e32 v51, 31, v22
	v_dual_cndmask_b32 v17, v18, v17 :: v_dual_lshlrev_b32 v60, 7, v19
	v_cndmask_b32_e32 v50, v50, v52, vcc_lo
	s_delay_alu instid0(VALU_DEP_4)
	v_and_b32_e32 v25, 12, v20
	v_and_b32_e32 v18, 28, v20
	v_xor_b32_e32 v20, s10, v21
	v_add_nc_u32_e32 v52, 1, v17
	v_cmp_le_u32_e32 vcc_lo, s1, v50
	v_lshl_or_b32 v51, v51, 2, v60
	v_or_b32_e32 v45, v45, v22
	v_ashrrev_i32_e32 v20, 31, v20
	v_dual_cndmask_b32 v52, v17, v52 :: v_dual_add_nc_u32 v55, 64, v22
	s_delay_alu instid0(VALU_DEP_4) | instskip(NEXT) | instid1(VALU_DEP_4)
	v_add_nc_u32_e32 v50, 0x9280, v51
	v_lshl_add_u32 v51, v45, 2, 0x9680
	v_add_nc_u32_e32 v45, 32, v22
	v_add_nc_u32_e32 v56, 0x60, v22
	v_xor_b32_e32 v52, v52, v20
	v_lshlrev_b32_e32 v57, 5, v22
	v_and_b32_e32 v55, 0x1fc, v55
	v_lshrrev_b32_e32 v53, 3, v45
	v_and_b32_e32 v56, 0x1fc, v56
	v_sub_nc_u32_e32 v20, v52, v20
	v_and_b32_e32 v45, 0x1fc, v45
	v_and_b32_e32 v58, 0xfc, v22
	v_mul_lo_u32 v47, v49, s4
	v_lshlrev_b32_e32 v70, 5, v49
	v_mul_lo_u32 v49, v54, s4
	v_lshlrev_b32_e32 v72, 5, v54
	v_mul_lo_u32 v54, v20, s8
	v_add_co_u32 v17, s0, s2, v18
	s_delay_alu instid0(VALU_DEP_1)
	v_add_co_ci_u32_e64 v18, null, s3, 0, s0
	v_cmp_gt_i32_e64 s0, s7, v20
	v_add_nc_u32_e32 v20, v57, v56
	v_add_nc_u32_e32 v63, v57, v55
	;; [unrolled: 1-line block ×4, first 2 shown]
	s_movk_i32 s1, 0x80
	v_lshrrev_b32_e32 v24, 2, v22
	v_cmp_gt_u32_e32 vcc_lo, 4, v22
	v_mul_u32_u24_e32 v52, 0x104, v22
	v_ashrrev_i32_e32 v55, 31, v54
	v_add_nc_u32_e32 v56, 0x8e00, v20
	v_add_nc_u32_e32 v57, 0x8a00, v63
	;; [unrolled: 1-line block ×5, first 2 shown]
	v_lshl_add_u32 v61, v19, 4, 0x9680
	v_add_nc_u32_e32 v62, 0x8e10, v20
	v_add_nc_u32_e32 v63, 0x8a10, v63
	;; [unrolled: 1-line block ×4, first 2 shown]
	v_mad_u32_u24 v66, 0x104, v22, s1
	v_add_nc_u32_e32 v67, v12, v67
	v_add_nc_u32_e32 v68, v68, v69
	v_dual_mov_b32 v48, 0 :: v_dual_add_nc_u32 v69, v48, v70
	v_dual_mov_b32 v45, 0 :: v_dual_add_nc_u32 v70, v71, v72
	v_mov_b32_e32 v12, 0
	s_add_u32 s14, s2, 0x90
	s_addc_u32 s15, s3, 0
	s_branch .LBB222_5
.LBB222_4:                              ;   in Loop: Header=BB222_5 Depth=1
	s_add_i32 s18, s18, 8
	s_delay_alu instid0(SALU_CYCLE_1)
	s_cmp_ge_i32 s18, s4
	s_cbranch_scc1 .LBB222_22
.LBB222_5:                              ; =>This Loop Header: Depth=1
                                        ;     Child Loop BB222_12 Depth 2
                                        ;     Child Loop BB222_20 Depth 2
	s_mul_i32 s1, s18, 22
	s_mul_hi_u32 s6, s18, 22
	s_add_u32 s16, s19, s1
	s_addc_u32 s17, s20, s6
	s_lshl_b32 s6, s18, 5
	v_mad_u64_u32 v[19:20], null, v24, 22, s[16:17]
	s_cmp_lt_i32 s6, s5
	s_delay_alu instid0(VALU_DEP_1)
	v_mad_i64_i32 v[71:72], null, v26, 22, v[19:20]
	v_mad_i64_i32 v[73:74], null, v27, 22, v[19:20]
	v_mad_i64_i32 v[83:84], null, v28, 22, v[19:20]
	v_mad_i64_i32 v[85:86], null, v29, 22, v[19:20]
	v_mad_i64_i32 v[87:88], null, v30, 22, v[19:20]
	v_mad_i64_i32 v[89:90], null, v31, 22, v[19:20]
	v_add_co_u32 v75, s1, v71, v25
	s_delay_alu instid0(VALU_DEP_1)
	v_add_co_ci_u32_e64 v76, s1, 0, v72, s1
	s_clause 0x5
	global_load_b32 v77, v[71:72], off offset:2
	global_load_b32 v78, v[73:74], off offset:2
	;; [unrolled: 1-line block ×7, first 2 shown]
	v_add_co_u32 v71, s1, v73, v25
	s_delay_alu instid0(VALU_DEP_1) | instskip(SKIP_4) | instid1(VALU_DEP_1)
	v_add_co_ci_u32_e64 v72, s1, 0, v74, s1
	v_mad_i64_i32 v[91:92], null, v35, 22, v[19:20]
	v_mad_i64_i32 v[93:94], null, v36, 22, v[19:20]
	global_load_b32 v75, v[71:72], off offset:6
	v_add_co_u32 v71, s1, v83, v25
	v_add_co_ci_u32_e64 v72, s1, 0, v84, s1
	global_load_b32 v74, v[71:72], off offset:6
	v_add_co_u32 v71, s1, v85, v25
	s_delay_alu instid0(VALU_DEP_1) | instskip(SKIP_3) | instid1(VALU_DEP_1)
	v_add_co_ci_u32_e64 v72, s1, 0, v86, s1
	v_mad_i64_i32 v[85:86], null, v32, 22, v[19:20]
	global_load_b32 v73, v[71:72], off offset:6
	v_add_co_u32 v71, s1, v87, v25
	v_add_co_ci_u32_e64 v72, s1, 0, v88, s1
	v_add_co_u32 v83, s1, v89, v25
	s_delay_alu instid0(VALU_DEP_1)
	v_add_co_ci_u32_e64 v84, s1, 0, v90, s1
	global_load_b32 v72, v[71:72], off offset:6
	v_mad_i64_i32 v[87:88], null, v33, 22, v[19:20]
	global_load_b32 v71, v[83:84], off offset:6
	v_mad_i64_i32 v[89:90], null, v34, 22, v[19:20]
	v_mad_u64_u32 v[83:84], null, v43, 22, s[16:17]
	v_add_co_u32 v103, s1, v85, v25
	s_delay_alu instid0(VALU_DEP_1)
	v_add_co_ci_u32_e64 v104, s1, 0, v86, s1
	s_clause 0x2
	global_load_b32 v105, v[85:86], off offset:2
	global_load_b32 v106, v[87:88], off offset:2
	;; [unrolled: 1-line block ×3, first 2 shown]
	v_add_co_u32 v85, s1, v87, v25
	v_mad_i64_i32 v[95:96], null, v44, 22, v[83:84]
	v_mad_i64_i32 v[97:98], null, v46, 22, v[83:84]
	v_add_co_ci_u32_e64 v86, s1, 0, v88, s1
	v_mad_i64_i32 v[99:100], null, v47, 22, v[83:84]
	v_add_co_u32 v87, s1, v89, v25
	v_mad_i64_i32 v[101:102], null, v49, 22, v[83:84]
	v_add_co_ci_u32_e64 v88, s1, 0, v90, s1
	v_add_co_u32 v89, s1, v91, v25
	s_delay_alu instid0(VALU_DEP_1)
	v_add_co_ci_u32_e64 v90, s1, 0, v92, s1
	s_clause 0x4
	global_load_b32 v84, v[91:92], off offset:2
	global_load_u16 v91, v[95:96], off
	global_load_u16 v92, v[97:98], off
	;; [unrolled: 1-line block ×4, first 2 shown]
	s_clause 0x3
	global_load_b32 v97, v[103:104], off offset:6
	global_load_b32 v85, v[85:86], off offset:6
	;; [unrolled: 1-line block ×4, first 2 shown]
	s_waitcnt vmcnt(23)
	v_ashrrev_i32_e32 v77, v25, v77
	s_waitcnt vmcnt(22)
	v_ashrrev_i32_e32 v78, v25, v78
	;; [unrolled: 2-line block ×5, first 2 shown]
	v_lshlrev_b32_e32 v88, 4, v77
	v_lshlrev_b32_e32 v89, 11, v77
	;; [unrolled: 1-line block ×4, first 2 shown]
	v_lshrrev_b32_e32 v99, 12, v77
	v_lshrrev_b32_e32 v100, 5, v77
	v_lshlrev_b32_e32 v101, 2, v77
	s_waitcnt vmcnt(17)
	v_and_b32_e32 v87, 0xf0f0f0f, v76
	v_lshrrev_b32_e32 v76, 4, v76
	v_lshlrev_b32_e32 v77, 9, v77
	v_lshlrev_b32_e32 v103, 4, v78
	v_lshlrev_b32_e32 v104, 11, v78
	v_lshlrev_b32_e32 v108, 18, v78
	v_lshlrev_b32_e32 v109, 25, v78
	v_lshrrev_b32_e32 v110, 12, v78
	v_lshrrev_b32_e32 v111, 5, v78
	v_lshlrev_b32_e32 v112, 2, v78
	v_lshlrev_b32_e32 v114, 4, v79
	v_lshlrev_b32_e32 v115, 11, v79
	v_lshlrev_b32_e32 v116, 18, v79
	v_lshlrev_b32_e32 v117, 25, v79
	v_lshrrev_b32_e32 v118, 12, v79
	;; [unrolled: 7-line block ×3, first 2 shown]
	v_lshrrev_b32_e32 v127, 5, v80
	v_lshlrev_b32_e32 v128, 2, v80
	v_lshrrev_b32_e32 v134, 12, v81
	v_lshrrev_b32_e32 v135, 5, v81
	v_lshlrev_b32_e32 v136, 2, v81
	v_and_b32_e32 v88, 16, v88
	v_and_b32_e32 v89, 0x1000, v89
	v_and_b32_e32 v90, 0x100000, v90
	v_and_b32_e32 v98, 0x10000000, v98
	v_and_b32_e32 v99, 16, v99
	v_and_b32_e32 v100, 0x1000, v100
	v_and_b32_e32 v101, 0x100000, v101
	s_waitcnt vmcnt(16)
	v_and_b32_e32 v102, 0xf0f0f0f, v75
	v_lshrrev_b32_e32 v75, 4, v75
	v_lshlrev_b32_e32 v78, 9, v78
	s_waitcnt vmcnt(15)
	v_and_b32_e32 v113, 0xf0f0f0f, v74
	v_lshrrev_b32_e32 v74, 4, v74
	v_lshlrev_b32_e32 v79, 9, v79
	;; [unrolled: 4-line block ×3, first 2 shown]
	s_waitcnt vmcnt(13)
	v_and_b32_e32 v129, 0xf0f0f0f, v72
	v_lshlrev_b32_e32 v130, 4, v81
	v_lshlrev_b32_e32 v131, 11, v81
	;; [unrolled: 1-line block ×4, first 2 shown]
	v_lshrrev_b32_e32 v72, 4, v72
	v_lshlrev_b32_e32 v81, 9, v81
	v_and_b32_e32 v76, 0xf0f0f0f, v76
	v_and_b32_e32 v77, 0x10000000, v77
	;; [unrolled: 1-line block ×26, first 2 shown]
	v_or3_b32 v88, v88, v87, v89
	v_or3_b32 v87, v87, v90, v98
	;; [unrolled: 1-line block ×3, first 2 shown]
	v_and_b32_e32 v75, 0xf0f0f0f, v75
	v_and_b32_e32 v78, 0x10000000, v78
	v_and_b32_e32 v74, 0xf0f0f0f, v74
	v_and_b32_e32 v79, 0x10000000, v79
	v_and_b32_e32 v73, 0xf0f0f0f, v73
	v_and_b32_e32 v80, 0x10000000, v80
	v_and_b32_e32 v132, 0x100000, v132
	v_and_b32_e32 v133, 0x10000000, v133
	v_and_b32_e32 v72, 0xf0f0f0f, v72
	v_and_b32_e32 v81, 0x10000000, v81
	v_or3_b32 v90, v103, v102, v104
	v_or3_b32 v98, v102, v108, v109
	;; [unrolled: 1-line block ×10, first 2 shown]
	v_lshrrev_b32_e32 v87, 16, v87
	v_and_b32_e32 v114, 0x1f00, v88
	v_lshlrev_b16 v88, 8, v88
	v_or3_b32 v76, v89, v77, v76
	v_or3_b32 v110, v129, v132, v133
	;; [unrolled: 1-line block ×3, first 2 shown]
	v_lshrrev_b32_e32 v78, 16, v101
	v_or3_b32 v74, v102, v79, v74
	v_lshrrev_b32_e32 v79, 16, v104
	v_lshlrev_b16 v101, 8, v103
	v_or3_b32 v73, v108, v80, v73
	v_or3_b32 v72, v111, v81, v72
	v_add_nc_u16 v81, v88, 0xf000
	v_and_b32_e32 v88, 0x1f00, v87
	v_lshlrev_b16 v87, 8, v87
	v_lshrrev_b32_e32 v104, 16, v76
	v_and_b32_e32 v108, 0x1f00, v76
	v_lshlrev_b16 v76, 8, v76
	v_and_b32_e32 v130, 16, v130
	v_and_b32_e32 v131, 0x1000, v131
	v_lshrrev_b32_e32 v80, 16, v110
	v_lshrrev_b32_e32 v110, 16, v75
	v_add_nc_u16 v101, v101, 0xf000
	v_lshrrev_b32_e32 v119, 16, v73
	v_and_b32_e32 v120, 0x1f00, v73
	v_lshlrev_b16 v73, 8, v73
	v_lshrrev_b16 v81, 8, v81
	v_add_nc_u16 v87, v87, 0xf000
	v_add_nc_i16 v76, v76, 0xf000 clamp
	v_and_b32_e32 v124, 0xffffff00, v104
	v_lshlrev_b16 v104, 8, v104
	v_lshrrev_b32_e32 v122, 16, v72
	v_and_b32_e32 v123, 0x1f00, v72
	v_lshlrev_b16 v72, 8, v72
	v_or3_b32 v109, v130, v129, v131
	v_lshrrev_b32_e32 v77, 16, v98
	v_and_b32_e32 v98, 0x1f00, v100
	v_lshlrev_b16 v99, 8, v100
	v_and_b32_e32 v100, 0x1f00, v103
	v_and_b32_e32 v125, 0xffffff00, v110
	v_lshlrev_b16 v110, 8, v110
	v_lshrrev_b16 v101, 8, v101
	v_add_nc_i16 v73, v73, 0xf000 clamp
	v_and_b32_e32 v127, 0xffffff00, v119
	v_lshlrev_b16 v119, 8, v119
	v_or_b32_e32 v81, v114, v81
	v_lshrrev_b16 v87, 8, v87
	v_lshrrev_b16 v76, 8, v76
	v_add_nc_i16 v114, v124, 0xf000 clamp
	v_add_nc_i16 v104, v104, 0xf000 clamp
	;; [unrolled: 1-line block ×3, first 2 shown]
	v_and_b32_e32 v89, 0x1f00, v90
	v_lshlrev_b16 v90, 8, v90
	v_and_b32_e32 v102, 0x1f00, v109
	v_lshlrev_b16 v103, 8, v109
	;; [unrolled: 2-line block ×3, first 2 shown]
	v_add_nc_i16 v110, v110, 0xf000 clamp
	v_or_b32_e32 v100, v100, v101
	v_lshrrev_b16 v73, 8, v73
	v_add_nc_i16 v101, v127, 0xf000 clamp
	v_add_nc_i16 v119, v119, 0xf000 clamp
	v_or_b32_e32 v87, v88, v87
	v_or_b32_e32 v76, v108, v76
	v_and_b32_e32 v88, 0xffffff00, v114
	v_lshrrev_b16 v104, 8, v104
	v_lshrrev_b16 v72, 8, v72
	v_add_nc_u16 v90, v90, 0xf000
	v_and_b32_e32 v115, 0x1f00, v78
	v_lshlrev_b16 v78, 8, v78
	v_and_b32_e32 v118, 0x1f00, v79
	v_lshlrev_b16 v79, 8, v79
	v_add_nc_u16 v77, v77, 0xf000
	v_lshrrev_b16 v108, 8, v110
	v_or_b32_e32 v73, v120, v73
	v_and_b32_e32 v101, 0xffffff00, v101
	v_lshrrev_b16 v110, 8, v119
	v_add_nc_u16 v76, v76, 0xf000
	v_or_b32_e32 v88, v104, v88
	v_add_nc_u16 v99, v99, 0xf000
	v_lshrrev_b32_e32 v116, 16, v74
	v_and_b32_e32 v117, 0x1f00, v74
	v_lshlrev_b16 v74, 8, v74
	v_or_b32_e32 v72, v123, v72
	v_ashrrev_i32_e32 v82, v25, v82
	v_lshrrev_b16 v90, 8, v90
	v_add_nc_u16 v78, v78, 0xf000
	v_add_nc_u16 v79, v79, 0xf000
	v_lshrrev_b16 v77, 8, v77
	v_add_nc_u16 v81, v81, 0xf000
	v_add_nc_u16 v87, v87, 0xf000
	;; [unrolled: 1-line block ×3, first 2 shown]
	v_or_b32_e32 v101, v110, v101
	v_and_b32_e32 v76, 0xffff, v76
	v_lshlrev_b32_e32 v88, 16, v88
	v_lshrrev_b16 v99, 8, v99
	v_add_nc_i16 v74, v74, 0xf000 clamp
	v_and_b32_e32 v126, 0xffffff00, v116
	v_lshlrev_b16 v116, 8, v116
	v_add_nc_u16 v72, v72, 0xf000
	v_lshlrev_b32_e32 v138, 4, v82
	v_lshlrev_b32_e32 v139, 11, v82
	v_or_b32_e32 v89, v89, v90
	v_lshrrev_b16 v78, 8, v78
	v_lshrrev_b16 v79, 8, v79
	v_or_b32_e32 v77, v109, v77
	v_and_b32_e32 v81, 0xffff, v81
	v_lshlrev_b32_e32 v87, 16, v87
	v_and_b32_e32 v73, 0xffff, v73
	v_lshlrev_b32_e32 v101, 16, v101
	v_or_b32_e32 v76, v76, v88
	global_load_b32 v88, v[93:94], off offset:2
	v_lshlrev_b32_e32 v140, 18, v82
	v_lshlrev_b32_e32 v141, 25, v82
	v_or_b32_e32 v98, v98, v99
	v_lshrrev_b16 v74, 8, v74
	v_add_nc_i16 v99, v126, 0xf000 clamp
	v_add_nc_i16 v116, v116, 0xf000 clamp
	v_and_b32_e32 v104, 0xffff, v72
	v_add_co_u32 v72, s1, v93, v25
	v_and_b32_e32 v111, 0x1f00, v75
	v_lshlrev_b16 v75, 8, v75
	s_waitcnt vmcnt(13)
	v_and_b32_e32 v137, 0xf0f0f0f, v71
	v_and_b32_e32 v138, 16, v138
	;; [unrolled: 1-line block ×3, first 2 shown]
	v_add_nc_u16 v89, v89, 0xf000
	v_or_b32_e32 v78, v115, v78
	v_or_b32_e32 v79, v118, v79
	v_add_nc_u16 v77, v77, 0xf000
	v_or_b32_e32 v81, v81, v87
	v_or_b32_e32 v87, v73, v101
	v_add_co_ci_u32_e64 v73, s1, 0, v94, s1
	v_and_b32_e32 v140, 0x100000, v140
	v_and_b32_e32 v141, 0x10000000, v141
	v_or_b32_e32 v74, v117, v74
	v_and_b32_e32 v99, 0xffffff00, v99
	v_lshrrev_b16 v109, 8, v116
	v_add_nc_i16 v75, v75, 0xf000 clamp
	v_or3_b32 v112, v138, v137, v139
	v_add_nc_u16 v103, v103, 0xf000
	v_and_b32_e32 v121, 0x1f00, v80
	v_lshlrev_b16 v80, 8, v80
	v_add_nc_u16 v98, v98, 0xf000
	v_add_nc_u16 v100, v100, 0xf000
	v_and_b32_e32 v89, 0xffff, v89
	v_add_nc_u16 v78, v78, 0xf000
	v_add_nc_u16 v79, v79, 0xf000
	v_lshlrev_b32_e32 v77, 16, v77
	global_load_b32 v94, v[72:73], off offset:6
	v_or3_b32 v113, v137, v140, v141
	v_add_nc_u16 v74, v74, 0xf000
	v_or_b32_e32 v99, v109, v99
	v_lshrrev_b16 v75, 8, v75
	v_add_nc_i16 v90, v125, 0xf000 clamp
	v_lshrrev_b16 v103, 8, v103
	v_add_nc_u16 v80, v80, 0xf000
	v_and_b32_e32 v128, 0xffffff00, v122
	v_lshlrev_b16 v122, 8, v122
	v_and_b32_e32 v98, 0xffff, v98
	v_and_b32_e32 v100, 0xffff, v100
	v_lshlrev_b32_e32 v78, 16, v78
	v_lshlrev_b32_e32 v79, 16, v79
	v_or_b32_e32 v77, v89, v77
	v_lshlrev_b16 v89, 8, v112
	v_and_b32_e32 v74, 0xffff, v74
	v_lshlrev_b32_e32 v99, 16, v99
	v_lshrrev_b32_e32 v93, 16, v113
	v_or_b32_e32 v75, v111, v75
	v_and_b32_e32 v90, 0xffffff00, v90
	v_or_b32_e32 v102, v102, v103
	v_lshrrev_b16 v80, 8, v80
	v_add_nc_i16 v103, v128, 0xf000 clamp
	v_add_nc_i16 v122, v122, 0xf000 clamp
	v_or_b32_e32 v78, v98, v78
	v_or_b32_e32 v79, v100, v79
	v_add_nc_u16 v73, v89, 0xf000
	v_lshrrev_b32_e32 v89, 12, v82
	v_lshrrev_b32_e32 v98, 5, v82
	v_lshlrev_b32_e32 v100, 2, v82
	v_or_b32_e32 v74, v74, v99
	v_lshlrev_b16 v99, 8, v93
	v_add_nc_u16 v75, v75, 0xf000
	v_or_b32_e32 v90, v108, v90
	v_or_b32_e32 v80, v121, v80
	v_and_b32_e32 v103, 0xffffff00, v103
	v_lshrrev_b16 v111, 8, v122
	v_lshrrev_b32_e32 v71, 4, v71
	v_and_b32_e32 v89, 16, v89
	v_and_b32_e32 v98, 0x1000, v98
	v_lshlrev_b32_e32 v82, 9, v82
	v_and_b32_e32 v100, 0x100000, v100
	v_and_b32_e32 v72, 0x1f00, v112
	v_lshrrev_b16 v73, 8, v73
	v_add_nc_u16 v99, v99, 0xf000
	v_and_b32_e32 v75, 0xffff, v75
	v_lshlrev_b32_e32 v90, 16, v90
	v_add_nc_u16 v102, v102, 0xf000
	v_add_nc_u16 v80, v80, 0xf000
	v_or_b32_e32 v103, v111, v103
	v_and_b32_e32 v71, 0xf0f0f0f, v71
	v_and_b32_e32 v82, 0x10000000, v82
	v_or3_b32 v89, v98, v89, v100
	v_or_b32_e32 v72, v72, v73
	v_and_b32_e32 v73, 0x1f00, v93
	v_lshrrev_b16 v93, 8, v99
	s_waitcnt vmcnt(9)
	v_cvt_f32_f16_e32 v91, v91
	v_or_b32_e32 v75, v75, v90
	v_and_b32_e32 v102, 0xffff, v102
	v_lshlrev_b32_e32 v80, 16, v80
	v_lshlrev_b32_e32 v103, 16, v103
	v_or3_b32 v82, v89, v82, v71
	s_waitcnt vmcnt(8)
	v_cvt_f32_f16_e32 v71, v92
	s_waitcnt vmcnt(7)
	v_cvt_f32_f16_e32 v89, v95
	ds_store_2addr_b32 v0, v81, v76 offset1:1
	ds_store_b32 v67, v91
	ds_store_2addr_b32 v1, v77, v75 offset1:1
	ds_store_b32 v68, v71
	;; [unrolled: 2-line block ×3, first 2 shown]
	v_add_nc_u16 v74, v72, 0xf000
	v_or_b32_e32 v75, v73, v93
	v_mad_i64_i32 v[72:73], null, v37, 22, v[19:20]
	v_or_b32_e32 v80, v102, v80
	v_or_b32_e32 v90, v104, v103
	ds_store_2addr_b32 v3, v79, v87 offset1:1
	ds_store_2addr_b32 v4, v80, v90 offset1:1
	global_load_b32 v80, v[72:73], off offset:2
	v_lshlrev_b16 v76, 8, v82
	v_lshrrev_b32_e32 v77, 16, v82
	v_add_co_u32 v72, s1, v72, v25
	s_delay_alu instid0(VALU_DEP_1) | instskip(NEXT) | instid1(VALU_DEP_4)
	v_add_co_ci_u32_e64 v73, s1, 0, v73, s1
	v_add_nc_i16 v76, v76, 0xf000 clamp
	s_delay_alu instid0(VALU_DEP_4)
	v_and_b32_e32 v79, 0xffffff00, v77
	v_lshlrev_b16 v77, 8, v77
	v_and_b32_e32 v78, 0x1f00, v82
	global_load_b32 v82, v[72:73], off offset:6
	v_lshrrev_b16 v76, 8, v76
	v_ashrrev_i32_e32 v81, v25, v105
	v_add_nc_i16 v77, v77, 0xf000 clamp
	v_add_nc_u16 v75, v75, 0xf000
	v_add_nc_i16 v79, v79, 0xf000 clamp
	v_or_b32_e32 v73, v78, v76
	v_lshlrev_b32_e32 v78, 25, v81
	v_lshrrev_b16 v76, 8, v77
	v_lshlrev_b32_e32 v77, 18, v81
	v_lshlrev_b32_e32 v87, 4, v81
	v_lshlrev_b32_e32 v89, 11, v81
	v_and_b32_e32 v74, 0xffff, v74
	v_lshlrev_b32_e32 v72, 16, v75
	v_and_b32_e32 v75, 0xffffff00, v79
	s_waitcnt vmcnt(7)
	v_and_b32_e32 v79, 0xf0f0f0f, v97
	v_and_b32_e32 v77, 0x100000, v77
	v_and_b32_e32 v78, 0x10000000, v78
	v_add_nc_u16 v73, v73, 0xf000
	v_and_b32_e32 v87, 16, v87
	v_and_b32_e32 v89, 0x1000, v89
	v_or_b32_e32 v75, v76, v75
	v_or3_b32 v76, v79, v77, v78
	v_or_b32_e32 v74, v74, v72
	v_and_b32_e32 v77, 0xffff, v73
	v_or3_b32 v72, v87, v79, v89
	v_lshrrev_b32_e32 v73, 12, v81
	v_lshrrev_b32_e32 v78, 5, v81
	v_lshlrev_b32_e32 v87, 2, v81
	v_lshrrev_b32_e32 v89, 4, v97
	v_lshlrev_b16 v79, 8, v72
	v_and_b32_e32 v73, 16, v73
	v_and_b32_e32 v78, 0x1000, v78
	v_lshlrev_b32_e32 v81, 9, v81
	v_and_b32_e32 v87, 0x100000, v87
	v_lshrrev_b32_e32 v76, 16, v76
	v_add_nc_u16 v79, v79, 0xf000
	v_and_b32_e32 v90, 0x1f00, v72
	v_and_b32_e32 v89, 0xf0f0f0f, v89
	;; [unrolled: 1-line block ×3, first 2 shown]
	v_or3_b32 v78, v78, v73, v87
	v_mad_i64_i32 v[72:73], null, v38, 22, v[19:20]
	v_lshlrev_b32_e32 v75, 16, v75
	v_lshrrev_b16 v79, 8, v79
	v_lshlrev_b16 v87, 8, v76
	v_or3_b32 v78, v78, v81, v89
	v_and_b32_e32 v76, 0x1f00, v76
	v_or_b32_e32 v75, v77, v75
	global_load_b32 v89, v[72:73], off offset:2
	v_or_b32_e32 v77, v90, v79
	v_add_nc_u16 v79, v87, 0xf000
	v_lshrrev_b32_e32 v81, 16, v78
	v_lshlrev_b16 v87, 8, v78
	v_add_co_u32 v72, s1, v72, v25
	s_delay_alu instid0(VALU_DEP_1) | instskip(NEXT) | instid1(VALU_DEP_3)
	v_add_co_ci_u32_e64 v73, s1, 0, v73, s1
	v_add_nc_i16 v87, v87, 0xf000 clamp
	v_and_b32_e32 v90, 0xffffff00, v81
	v_lshlrev_b16 v81, 8, v81
	global_load_b32 v91, v[72:73], off offset:6
	v_lshrrev_b16 v79, 8, v79
	v_and_b32_e32 v72, 0x1f00, v78
	v_lshrrev_b16 v73, 8, v87
	v_add_nc_i16 v78, v90, 0xf000 clamp
	v_add_nc_i16 v81, v81, 0xf000 clamp
	v_or_b32_e32 v76, v76, v79
	v_ashrrev_i32_e32 v79, v25, v106
	v_or_b32_e32 v72, v72, v73
	v_and_b32_e32 v73, 0xffffff00, v78
	v_lshrrev_b16 v78, 8, v81
	s_waitcnt vmcnt(8)
	v_and_b32_e32 v92, 0xf0f0f0f, v85
	v_lshlrev_b32_e32 v81, 11, v79
	v_add_nc_u16 v72, v72, 0xf000
	v_lshlrev_b32_e32 v87, 18, v79
	v_or_b32_e32 v73, v78, v73
	v_lshlrev_b32_e32 v78, 4, v79
	v_lshlrev_b32_e32 v90, 25, v79
	v_and_b32_e32 v81, 0x1000, v81
	v_add_nc_u16 v77, v77, 0xf000
	v_add_nc_u16 v76, v76, 0xf000
	v_and_b32_e32 v78, 16, v78
	v_and_b32_e32 v87, 0x100000, v87
	;; [unrolled: 1-line block ×4, first 2 shown]
	v_lshlrev_b32_e32 v73, 16, v73
	v_or3_b32 v78, v78, v92, v81
	v_and_b32_e32 v77, 0xffff, v77
	v_lshlrev_b32_e32 v76, 16, v76
	v_or3_b32 v81, v92, v87, v90
	ds_store_2addr_b32 v5, v74, v75 offset1:1
	v_or_b32_e32 v75, v72, v73
	v_lshlrev_b16 v72, 8, v78
	v_or_b32_e32 v74, v77, v76
	v_lshrrev_b32_e32 v76, 16, v81
	v_and_b32_e32 v73, 0x1f00, v78
	v_lshrrev_b32_e32 v77, 12, v79
	v_lshrrev_b32_e32 v78, 5, v79
	v_add_nc_u16 v72, v72, 0xf000
	v_lshlrev_b32_e32 v81, 2, v79
	v_lshrrev_b32_e32 v85, 4, v85
	v_and_b32_e32 v77, 16, v77
	v_and_b32_e32 v78, 0x1000, v78
	v_lshrrev_b16 v72, 8, v72
	v_and_b32_e32 v81, 0x100000, v81
	v_lshlrev_b32_e32 v79, 9, v79
	v_and_b32_e32 v85, 0xf0f0f0f, v85
	v_lshlrev_b16 v87, 8, v76
	ds_store_2addr_b32 v6, v74, v75 offset1:1
	v_or3_b32 v77, v78, v77, v81
	v_or_b32_e32 v78, v73, v72
	v_mad_i64_i32 v[72:73], null, v40, 22, v[19:20]
	v_and_b32_e32 v79, 0x10000000, v79
	v_add_nc_u16 v81, v87, 0xf000
	v_and_b32_e32 v75, 0x1f00, v76
	v_add_nc_u16 v74, v78, 0xf000
	s_waitcnt vmcnt(7)
	v_and_b32_e32 v93, 0xf0f0f0f, v86
	v_or3_b32 v77, v77, v79, v85
	global_load_b32 v79, v[72:73], off offset:2
	v_add_co_u32 v72, s1, v72, v25
	s_delay_alu instid0(VALU_DEP_1)
	v_add_co_ci_u32_e64 v73, s1, 0, v73, s1
	v_lshrrev_b16 v76, 8, v81
	v_lshlrev_b16 v78, 8, v77
	v_ashrrev_i32_e32 v85, v25, v107
	global_load_b32 v81, v[72:73], off offset:6
	v_and_b32_e32 v72, 0x1f00, v77
	v_or_b32_e32 v75, v75, v76
	v_add_nc_i16 v76, v78, 0xf000 clamp
	v_lshrrev_b32_e32 v78, 16, v77
	v_lshlrev_b32_e32 v87, 11, v85
	v_lshlrev_b32_e32 v90, 18, v85
	;; [unrolled: 1-line block ×3, first 2 shown]
	v_lshrrev_b16 v73, 8, v76
	v_and_b32_e32 v76, 0xffffff00, v78
	v_lshlrev_b16 v77, 8, v78
	v_lshlrev_b32_e32 v78, 4, v85
	v_and_b32_e32 v87, 0x1000, v87
	v_and_b32_e32 v90, 0x100000, v90
	;; [unrolled: 1-line block ×3, first 2 shown]
	v_or_b32_e32 v72, v72, v73
	v_and_b32_e32 v78, 16, v78
	v_add_nc_i16 v76, v76, 0xf000 clamp
	v_add_nc_i16 v77, v77, 0xf000 clamp
	v_cvt_f32_f16_e32 v71, v96
	v_add_nc_u16 v72, v72, 0xf000
	v_or3_b32 v73, v78, v93, v87
	v_or3_b32 v78, v93, v90, v92
	v_and_b32_e32 v76, 0xffffff00, v76
	v_lshrrev_b16 v77, 8, v77
	v_and_b32_e32 v90, 0xffff, v72
	v_lshlrev_b16 v87, 8, v73
	v_lshrrev_b32_e32 v78, 16, v78
	v_and_b32_e32 v92, 0x1f00, v73
	v_lshrrev_b32_e32 v93, 12, v85
	v_lshrrev_b32_e32 v95, 5, v85
	v_mad_i64_i32 v[72:73], null, v41, 22, v[19:20]
	v_lshlrev_b32_e32 v96, 2, v85
	v_or_b32_e32 v76, v77, v76
	v_add_nc_u16 v77, v87, 0xf000
	v_lshlrev_b16 v87, 8, v78
	v_lshrrev_b32_e32 v86, 4, v86
	v_lshlrev_b32_e32 v85, 9, v85
	v_and_b32_e32 v93, 16, v93
	v_and_b32_e32 v95, 0x1000, v95
	;; [unrolled: 1-line block ×3, first 2 shown]
	global_load_b32 v97, v[72:73], off offset:2
	v_add_co_u32 v72, s1, v72, v25
	v_add_nc_u16 v75, v75, 0xf000
	v_lshrrev_b16 v77, 8, v77
	v_add_nc_u16 v87, v87, 0xf000
	v_and_b32_e32 v86, 0xf0f0f0f, v86
	v_and_b32_e32 v85, 0x10000000, v85
	v_add_co_ci_u32_e64 v73, s1, 0, v73, s1
	v_or3_b32 v93, v95, v93, v96
	v_and_b32_e32 v74, 0xffff, v74
	v_lshlrev_b32_e32 v75, 16, v75
	v_lshlrev_b32_e32 v76, 16, v76
	v_or_b32_e32 v77, v92, v77
	v_and_b32_e32 v78, 0x1f00, v78
	v_lshrrev_b16 v87, 8, v87
	global_load_b32 v92, v[72:73], off offset:6
	v_or3_b32 v72, v93, v85, v86
	v_or_b32_e32 v73, v74, v75
	v_or_b32_e32 v74, v90, v76
	v_add_nc_u16 v75, v77, 0xf000
	v_or_b32_e32 v76, v78, v87
	v_lshlrev_b16 v77, 8, v72
	v_lshrrev_b32_e32 v78, 16, v72
	ds_store_2addr_b32 v7, v73, v74 offset1:1
	v_and_b32_e32 v74, 0xffff, v75
	v_add_nc_u16 v73, v76, 0xf000
	v_add_nc_i16 v75, v77, 0xf000 clamp
	v_and_b32_e32 v76, 0xffffff00, v78
	v_lshlrev_b16 v77, 8, v78
	v_ashrrev_i32_e32 v78, v25, v84
	v_and_b32_e32 v72, 0x1f00, v72
	v_lshrrev_b16 v75, 8, v75
	v_add_nc_i16 v76, v76, 0xf000 clamp
	v_add_nc_i16 v77, v77, 0xf000 clamp
	v_lshlrev_b32_e32 v85, 18, v78
	v_lshlrev_b32_e32 v86, 25, v78
	s_waitcnt vmcnt(10)
	v_and_b32_e32 v90, 0xf0f0f0f, v83
	v_or_b32_e32 v72, v72, v75
	v_and_b32_e32 v75, 0xffffff00, v76
	v_and_b32_e32 v85, 0x100000, v85
	;; [unrolled: 1-line block ×3, first 2 shown]
	v_lshrrev_b16 v76, 8, v77
	v_lshlrev_b32_e32 v84, 4, v78
	v_lshlrev_b32_e32 v87, 11, v78
	v_lshrrev_b32_e32 v83, 4, v83
	v_or3_b32 v77, v90, v85, v86
	v_lshlrev_b32_e32 v85, 16, v73
	v_add_nc_u16 v86, v72, 0xf000
	v_mad_i64_i32 v[72:73], null, v42, 22, v[19:20]
	v_lshlrev_b32_e32 v19, 2, v78
	v_and_b32_e32 v84, 16, v84
	v_and_b32_e32 v87, 0x1000, v87
	v_or_b32_e32 v75, v76, v75
	v_lshrrev_b32_e32 v76, 16, v77
	v_and_b32_e32 v93, 0x100000, v19
	global_load_b32 v95, v[72:73], off offset:2
	v_add_co_u32 v19, s1, v72, v25
	s_delay_alu instid0(VALU_DEP_1)
	v_add_co_ci_u32_e64 v20, s1, 0, v73, s1
	v_or3_b32 v84, v84, v90, v87
	v_lshrrev_b32_e32 v87, 12, v78
	v_lshrrev_b32_e32 v90, 5, v78
	global_load_b32 v19, v[19:20], off offset:6
	v_lshlrev_b32_e32 v78, 9, v78
	v_and_b32_e32 v77, 0x1f00, v84
	v_lshlrev_b16 v84, 8, v84
	v_and_b32_e32 v87, 16, v87
	v_and_b32_e32 v90, 0x1000, v90
	v_and_b32_e32 v73, 0xf0f0f0f, v83
	v_and_b32_e32 v78, 0x10000000, v78
	v_add_nc_u16 v84, v84, 0xf000
	v_and_b32_e32 v20, 0xffff, v86
	v_or3_b32 v83, v90, v87, v93
	v_lshlrev_b32_e32 v75, 16, v75
	v_or_b32_e32 v74, v74, v85
	v_lshrrev_b16 v72, 8, v84
	v_lshlrev_b16 v84, 8, v76
	v_or3_b32 v73, v83, v78, v73
	v_or_b32_e32 v20, v20, v75
	v_and_b32_e32 v76, 0x1f00, v76
	v_or_b32_e32 v72, v77, v72
	v_add_nc_u16 v77, v84, 0xf000
	v_lshlrev_b16 v75, 8, v73
	ds_store_2addr_b32 v8, v74, v20 offset1:1
	v_lshrrev_b32_e32 v74, 16, v73
	v_add_nc_u16 v72, v72, 0xf000
	v_lshrrev_b16 v77, 8, v77
	v_and_b32_e32 v73, 0x1f00, v73
	s_waitcnt vmcnt(10)
	v_and_b32_e32 v86, 0xf0f0f0f, v94
	v_lshrrev_b32_e32 v87, 4, v94
	v_and_b32_e32 v20, 0xffff, v72
	v_add_nc_i16 v72, v75, 0xf000 clamp
	v_or_b32_e32 v75, v76, v77
	v_ashrrev_i32_e32 v76, v25, v88
	v_and_b32_e32 v77, 0xffffff00, v74
	v_lshlrev_b16 v74, 8, v74
	v_lshrrev_b16 v72, 8, v72
	v_add_nc_u16 v75, v75, 0xf000
	v_lshlrev_b32_e32 v83, 18, v76
	v_lshlrev_b32_e32 v84, 25, v76
	v_lshlrev_b32_e32 v78, 4, v76
	v_lshlrev_b32_e32 v85, 11, v76
	v_add_nc_i16 v77, v77, 0xf000 clamp
	v_and_b32_e32 v83, 0x100000, v83
	v_and_b32_e32 v84, 0x10000000, v84
	;; [unrolled: 1-line block ×4, first 2 shown]
	v_add_nc_i16 v74, v74, 0xf000 clamp
	v_or_b32_e32 v72, v73, v72
	v_or3_b32 v73, v86, v83, v84
	v_and_b32_e32 v77, 0xffffff00, v77
	v_or3_b32 v78, v78, v86, v85
	v_lshrrev_b16 v74, 8, v74
	v_lshrrev_b32_e32 v84, 12, v76
	v_lshrrev_b32_e32 v73, 16, v73
	v_lshrrev_b32_e32 v85, 5, v76
	v_lshlrev_b16 v83, 8, v78
	v_or_b32_e32 v74, v74, v77
	v_lshlrev_b32_e32 v86, 2, v76
	v_lshlrev_b16 v77, 8, v73
	v_add_nc_u16 v72, v72, 0xf000
	v_add_nc_u16 v83, v83, 0xf000
	v_and_b32_e32 v78, 0x1f00, v78
	v_and_b32_e32 v73, 0x1f00, v73
	v_add_nc_u16 v77, v77, 0xf000
	v_and_b32_e32 v84, 16, v84
	v_lshrrev_b16 v83, 8, v83
	v_and_b32_e32 v85, 0x1000, v85
	v_lshlrev_b32_e32 v76, 9, v76
	v_lshrrev_b16 v77, 8, v77
	v_and_b32_e32 v86, 0x100000, v86
	v_lshlrev_b32_e32 v75, 16, v75
	v_and_b32_e32 v72, 0xffff, v72
	v_lshlrev_b32_e32 v74, 16, v74
	v_or_b32_e32 v78, v78, v83
	v_or_b32_e32 v73, v73, v77
	v_and_b32_e32 v77, 0xf0f0f0f, v87
	v_and_b32_e32 v76, 0x10000000, v76
	v_or3_b32 v83, v85, v84, v86
	v_or_b32_e32 v20, v20, v75
	v_or_b32_e32 v72, v72, v74
	v_add_nc_u16 v74, v78, 0xf000
	v_add_nc_u16 v73, v73, 0xf000
	v_or3_b32 v75, v83, v76, v77
	s_waitcnt vmcnt(9)
	v_ashrrev_i32_e32 v76, v25, v80
	ds_store_2addr_b32 v9, v20, v72 offset1:1
	v_and_b32_e32 v20, 0xffff, v74
	s_waitcnt vmcnt(8)
	v_and_b32_e32 v80, 0xf0f0f0f, v82
	v_lshlrev_b16 v78, 8, v75
	v_lshlrev_b32_e32 v74, 4, v76
	v_lshlrev_b32_e32 v77, 11, v76
	;; [unrolled: 1-line block ×5, first 2 shown]
	v_and_b32_e32 v74, 16, v74
	v_and_b32_e32 v77, 0x1000, v77
	v_lshrrev_b32_e32 v73, 16, v75
	v_add_nc_i16 v78, v78, 0xf000 clamp
	v_and_b32_e32 v75, 0x1f00, v75
	v_or_b32_e32 v20, v20, v72
	v_or3_b32 v74, v74, v80, v77
	v_and_b32_e32 v77, 0x100000, v83
	v_and_b32_e32 v83, 0x10000000, v84
	;; [unrolled: 1-line block ×3, first 2 shown]
	v_lshlrev_b16 v73, 8, v73
	v_lshrrev_b16 v78, 8, v78
	v_lshlrev_b16 v84, 8, v74
	v_or3_b32 v77, v80, v77, v83
	v_add_nc_i16 v85, v85, 0xf000 clamp
	v_add_nc_i16 v73, v73, 0xf000 clamp
	v_or_b32_e32 v75, v75, v78
	v_add_nc_u16 v78, v84, 0xf000
	v_lshrrev_b32_e32 v77, 16, v77
	v_and_b32_e32 v80, 0xffffff00, v85
	v_lshrrev_b16 v73, 8, v73
	v_and_b32_e32 v74, 0x1f00, v74
	v_lshrrev_b16 v78, 8, v78
	v_add_nc_u16 v72, v75, 0xf000
	v_lshlrev_b16 v75, 8, v77
	v_or_b32_e32 v73, v73, v80
	v_lshrrev_b32_e32 v80, 5, v76
	v_or_b32_e32 v74, v74, v78
	v_lshrrev_b32_e32 v78, 12, v76
	v_add_nc_u16 v75, v75, 0xf000
	v_lshlrev_b32_e32 v83, 2, v76
	v_lshrrev_b32_e32 v82, 4, v82
	v_and_b32_e32 v80, 0x1000, v80
	v_and_b32_e32 v78, 16, v78
	v_lshlrev_b32_e32 v76, 9, v76
	v_and_b32_e32 v83, 0x100000, v83
	v_and_b32_e32 v77, 0x1f00, v77
	v_lshrrev_b16 v75, 8, v75
	v_and_b32_e32 v82, 0xf0f0f0f, v82
	v_and_b32_e32 v76, 0x10000000, v76
	v_or3_b32 v78, v80, v78, v83
	v_and_b32_e32 v72, 0xffff, v72
	v_or_b32_e32 v75, v77, v75
	s_waitcnt vmcnt(7)
	v_ashrrev_i32_e32 v77, v25, v89
	v_lshlrev_b32_e32 v73, 16, v73
	v_or3_b32 v76, v78, v76, v82
	v_add_nc_u16 v74, v74, 0xf000
	s_delay_alu instid0(VALU_DEP_4)
	v_lshlrev_b32_e32 v78, 4, v77
	v_lshlrev_b32_e32 v80, 11, v77
	;; [unrolled: 1-line block ×4, first 2 shown]
	v_lshlrev_b16 v82, 8, v76
	s_waitcnt vmcnt(6)
	v_and_b32_e32 v83, 0xf0f0f0f, v91
	v_and_b32_e32 v78, 16, v78
	;; [unrolled: 1-line block ×3, first 2 shown]
	v_or_b32_e32 v72, v72, v73
	v_and_b32_e32 v73, 0xffff, v74
	v_add_nc_u16 v74, v75, 0xf000
	v_lshrrev_b32_e32 v75, 16, v76
	v_or3_b32 v78, v78, v83, v80
	v_and_b32_e32 v80, 0x100000, v84
	v_and_b32_e32 v84, 0x10000000, v85
	v_add_nc_i16 v82, v82, 0xf000 clamp
	v_and_b32_e32 v76, 0x1f00, v76
	v_and_b32_e32 v86, 0xffffff00, v75
	v_lshlrev_b16 v75, 8, v75
	v_or3_b32 v80, v83, v80, v84
	v_lshrrev_b16 v82, 8, v82
	v_lshlrev_b16 v85, 8, v78
	v_add_nc_i16 v86, v86, 0xf000 clamp
	v_add_nc_i16 v75, v75, 0xf000 clamp
	v_lshrrev_b32_e32 v80, 16, v80
	v_or_b32_e32 v76, v76, v82
	v_add_nc_u16 v82, v85, 0xf000
	v_and_b32_e32 v83, 0xffffff00, v86
	v_lshrrev_b16 v75, 8, v75
	v_lshlrev_b16 v84, 8, v80
	v_and_b32_e32 v78, 0x1f00, v78
	v_lshrrev_b16 v82, 8, v82
	v_lshlrev_b32_e32 v85, 2, v77
	v_or_b32_e32 v75, v75, v83
	v_add_nc_u16 v84, v84, 0xf000
	v_lshrrev_b32_e32 v83, 5, v77
	v_or_b32_e32 v78, v78, v82
	v_lshrrev_b32_e32 v82, 12, v77
	v_and_b32_e32 v80, 0x1f00, v80
	v_lshrrev_b16 v84, 8, v84
	v_lshlrev_b32_e32 v74, 16, v74
	v_add_nc_u16 v76, v76, 0xf000
	v_lshrrev_b32_e32 v86, 4, v91
	v_and_b32_e32 v82, 16, v82
	v_and_b32_e32 v83, 0x1000, v83
	v_lshlrev_b32_e32 v77, 9, v77
	v_and_b32_e32 v85, 0x100000, v85
	v_or_b32_e32 v80, v80, v84
	v_and_b32_e32 v86, 0xf0f0f0f, v86
	v_and_b32_e32 v76, 0xffff, v76
	v_and_b32_e32 v77, 0x10000000, v77
	v_or3_b32 v82, v83, v82, v85
	v_lshlrev_b32_e32 v75, 16, v75
	v_add_nc_u16 v78, v78, 0xf000
	v_or_b32_e32 v73, v73, v74
	v_add_nc_u16 v74, v80, 0xf000
	v_or3_b32 v77, v82, v77, v86
	v_or_b32_e32 v75, v76, v75
	v_and_b32_e32 v76, 0xffff, v78
	ds_store_2addr_b32 v10, v20, v72 offset1:1
	ds_store_2addr_b32 v11, v73, v75 offset1:1
	v_lshlrev_b32_e32 v74, 16, v74
	v_lshlrev_b16 v78, 8, v77
	v_lshrrev_b32_e32 v80, 16, v77
	v_and_b32_e32 v75, 0x1f00, v77
	s_delay_alu instid0(VALU_DEP_4)
	v_or_b32_e32 v73, v76, v74
	s_waitcnt vmcnt(5)
	v_ashrrev_i32_e32 v74, v25, v79
	v_add_nc_i16 v20, v78, 0xf000 clamp
	v_and_b32_e32 v72, 0xffffff00, v80
	v_lshlrev_b16 v76, 8, v80
	s_waitcnt vmcnt(4)
	v_and_b32_e32 v82, 0xf0f0f0f, v81
	v_lshlrev_b32_e32 v77, 18, v74
	v_lshlrev_b32_e32 v78, 25, v74
	;; [unrolled: 1-line block ×4, first 2 shown]
	v_lshrrev_b16 v20, 8, v20
	v_and_b32_e32 v77, 0x100000, v77
	v_and_b32_e32 v78, 0x10000000, v78
	;; [unrolled: 1-line block ×4, first 2 shown]
	v_or_b32_e32 v20, v75, v20
	v_lshrrev_b32_e32 v81, 4, v81
	v_or3_b32 v75, v82, v77, v78
	v_lshrrev_b32_e32 v78, 12, v74
	v_or3_b32 v77, v79, v82, v80
	v_lshrrev_b32_e32 v79, 5, v74
	v_lshlrev_b32_e32 v80, 2, v74
	v_lshrrev_b32_e32 v75, 16, v75
	v_and_b32_e32 v78, 16, v78
	v_lshlrev_b32_e32 v74, 9, v74
	v_and_b32_e32 v79, 0x1000, v79
	v_and_b32_e32 v80, 0x100000, v80
	v_lshlrev_b16 v82, 8, v77
	v_lshlrev_b16 v83, 8, v75
	v_and_b32_e32 v81, 0xf0f0f0f, v81
	v_and_b32_e32 v74, 0x10000000, v74
	v_or3_b32 v78, v79, v78, v80
	v_add_nc_i16 v72, v72, 0xf000 clamp
	v_add_nc_i16 v76, v76, 0xf000 clamp
	v_add_nc_u16 v79, v82, 0xf000
	v_add_nc_u16 v80, v83, 0xf000
	v_or3_b32 v74, v78, v74, v81
	v_and_b32_e32 v72, 0xffffff00, v72
	v_lshrrev_b16 v76, 8, v76
	v_and_b32_e32 v77, 0x1f00, v77
	v_lshrrev_b16 v78, 8, v79
	v_lshrrev_b16 v79, 8, v80
	v_lshlrev_b16 v80, 8, v74
	v_add_nc_u16 v20, v20, 0xf000
	v_or_b32_e32 v72, v76, v72
	v_or_b32_e32 v76, v77, v78
	v_and_b32_e32 v75, 0x1f00, v75
	v_add_nc_i16 v77, v80, 0xf000 clamp
	v_and_b32_e32 v20, 0xffff, v20
	v_lshlrev_b32_e32 v72, 16, v72
	v_add_nc_u16 v76, v76, 0xf000
	v_and_b32_e32 v78, 0x1f00, v74
	v_lshrrev_b16 v77, 8, v77
	v_or_b32_e32 v75, v75, v79
	v_or_b32_e32 v20, v20, v72
	v_and_b32_e32 v72, 0xffff, v76
	s_waitcnt vmcnt(3)
	v_ashrrev_i32_e32 v76, v25, v97
	v_or_b32_e32 v77, v78, v77
	v_add_nc_u16 v75, v75, 0xf000
	ds_store_2addr_b32 v13, v73, v20 offset1:1
	v_lshrrev_b32_e32 v74, 16, v74
	v_lshlrev_b32_e32 v79, 25, v76
	v_add_nc_u16 v73, v77, 0xf000
	v_lshlrev_b32_e32 v77, 18, v76
	v_lshlrev_b32_e32 v75, 16, v75
	s_waitcnt vmcnt(2)
	v_and_b32_e32 v78, 0xf0f0f0f, v92
	v_lshrrev_b32_e32 v81, 12, v76
	v_lshrrev_b32_e32 v82, 5, v76
	v_and_b32_e32 v77, 0x100000, v77
	v_and_b32_e32 v79, 0x10000000, v79
	v_lshlrev_b32_e32 v83, 2, v76
	v_or_b32_e32 v20, v72, v75
	v_lshlrev_b32_e32 v72, 4, v76
	v_lshlrev_b32_e32 v80, 11, v76
	v_lshrrev_b32_e32 v84, 4, v92
	v_and_b32_e32 v81, 16, v81
	v_and_b32_e32 v82, 0x1000, v82
	v_lshlrev_b32_e32 v76, 9, v76
	v_and_b32_e32 v83, 0x100000, v83
	v_or3_b32 v77, v78, v77, v79
	v_and_b32_e32 v79, 0xf0f0f0f, v84
	v_and_b32_e32 v75, 0xffffff00, v74
	;; [unrolled: 1-line block ×3, first 2 shown]
	v_or3_b32 v81, v82, v81, v83
	v_lshrrev_b32_e32 v77, 16, v77
	v_and_b32_e32 v72, 16, v72
	v_and_b32_e32 v80, 0x1000, v80
	v_lshlrev_b16 v74, 8, v74
	v_or3_b32 v76, v81, v76, v79
	v_lshlrev_b16 v79, 8, v77
	v_add_nc_i16 v75, v75, 0xf000 clamp
	v_or3_b32 v72, v72, v78, v80
	v_add_nc_i16 v74, v74, 0xf000 clamp
	v_lshlrev_b16 v80, 8, v76
	v_add_nc_u16 v79, v79, 0xf000
	v_and_b32_e32 v75, 0xffffff00, v75
	v_and_b32_e32 v77, 0x1f00, v77
	v_lshrrev_b16 v74, 8, v74
	v_add_nc_i16 v80, v80, 0xf000 clamp
	v_lshrrev_b16 v79, 8, v79
	v_and_b32_e32 v81, 0x1f00, v76
	v_lshlrev_b16 v78, 8, v72
	v_or_b32_e32 v74, v74, v75
	v_lshrrev_b16 v80, 8, v80
	v_or_b32_e32 v75, v77, v79
	s_waitcnt vmcnt(1)
	v_ashrrev_i32_e32 v79, v25, v95
	v_add_nc_u16 v78, v78, 0xf000
	v_and_b32_e32 v72, 0x1f00, v72
	v_or_b32_e32 v77, v81, v80
	v_lshrrev_b32_e32 v76, 16, v76
	v_lshlrev_b32_e32 v80, 4, v79
	v_lshlrev_b32_e32 v81, 11, v79
	;; [unrolled: 1-line block ×4, first 2 shown]
	v_lshrrev_b32_e32 v85, 12, v79
	v_lshrrev_b32_e32 v86, 5, v79
	v_lshlrev_b32_e32 v87, 2, v79
	s_waitcnt vmcnt(0)
	v_and_b32_e32 v83, 0xf0f0f0f, v19
	v_and_b32_e32 v80, 16, v80
	;; [unrolled: 1-line block ×5, first 2 shown]
	v_lshrrev_b32_e32 v19, 4, v19
	v_and_b32_e32 v85, 16, v85
	v_and_b32_e32 v86, 0x1000, v86
	v_lshlrev_b32_e32 v79, 9, v79
	v_and_b32_e32 v87, 0x100000, v87
	v_or3_b32 v80, v80, v83, v81
	v_or3_b32 v81, v83, v82, v84
	v_and_b32_e32 v19, 0xf0f0f0f, v19
	v_and_b32_e32 v79, 0x10000000, v79
	v_or3_b32 v82, v86, v85, v87
	v_lshlrev_b16 v83, 8, v80
	v_lshrrev_b32_e32 v81, 16, v81
	v_lshrrev_b16 v78, 8, v78
	v_and_b32_e32 v80, 0x1f00, v80
	v_or3_b32 v19, v82, v79, v19
	v_add_nc_u16 v79, v83, 0xf000
	v_lshlrev_b16 v82, 8, v81
	v_or_b32_e32 v72, v72, v78
	v_and_b32_e32 v78, 0xffffff00, v76
	v_lshlrev_b16 v83, 8, v19
	v_lshrrev_b32_e32 v84, 16, v19
	v_lshlrev_b16 v76, 8, v76
	v_add_nc_u16 v82, v82, 0xf000
	v_add_nc_i16 v78, v78, 0xf000 clamp
	v_add_nc_i16 v83, v83, 0xf000 clamp
	v_and_b32_e32 v85, 0xffffff00, v84
	v_lshlrev_b16 v84, 8, v84
	v_add_nc_i16 v76, v76, 0xf000 clamp
	v_lshrrev_b16 v79, 8, v79
	v_and_b32_e32 v81, 0x1f00, v81
	v_lshrrev_b16 v82, 8, v82
	v_and_b32_e32 v19, 0x1f00, v19
	v_lshrrev_b16 v83, 8, v83
	v_add_nc_i16 v85, v85, 0xf000 clamp
	v_add_nc_i16 v84, v84, 0xf000 clamp
	v_and_b32_e32 v78, 0xffffff00, v78
	v_lshrrev_b16 v76, 8, v76
	v_or_b32_e32 v79, v80, v79
	v_or_b32_e32 v80, v81, v82
	;; [unrolled: 1-line block ×3, first 2 shown]
	v_and_b32_e32 v81, 0xffffff00, v85
	v_lshrrev_b16 v82, 8, v84
	v_add_nc_u16 v72, v72, 0xf000
	v_add_nc_u16 v75, v75, 0xf000
	;; [unrolled: 1-line block ×3, first 2 shown]
	v_or_b32_e32 v76, v76, v78
	v_add_nc_u16 v78, v79, 0xf000
	v_add_nc_u16 v79, v80, 0xf000
	;; [unrolled: 1-line block ×3, first 2 shown]
	v_or_b32_e32 v80, v82, v81
	v_and_b32_e32 v73, 0xffff, v73
	v_lshlrev_b32_e32 v74, 16, v74
	v_and_b32_e32 v72, 0xffff, v72
	v_lshlrev_b32_e32 v75, 16, v75
	;; [unrolled: 2-line block ×5, first 2 shown]
	v_or_b32_e32 v73, v73, v74
	v_or_b32_e32 v72, v72, v75
	;; [unrolled: 1-line block ×5, first 2 shown]
	ds_store_2addr_b32 v14, v20, v73 offset1:1
	ds_store_2addr_b32 v15, v72, v74 offset1:1
	ds_store_2addr_b32 v16, v75, v19 offset1:1
	ds_store_b32 v70, v71
	s_cbranch_scc0 .LBB222_4
; %bb.6:                                ;   in Loop: Header=BB222_5 Depth=1
	v_add_nc_u32_e32 v19, s18, v39
	s_delay_alu instid0(VALU_DEP_1) | instskip(NEXT) | instid1(VALU_DEP_1)
	v_cmp_gt_i32_e64 s1, s8, v19
	s_and_b32 s16, s0, s1
	s_delay_alu instid0(SALU_CYCLE_1)
	s_and_saveexec_b32 s1, s16
	s_cbranch_execz .LBB222_8
; %bb.7:                                ;   in Loop: Header=BB222_5 Depth=1
	v_add_nc_u32_e32 v71, v54, v19
	s_delay_alu instid0(VALU_DEP_1)
	v_mad_i64_i32 v[19:20], null, v71, 36, v[17:18]
	global_load_b32 v19, v[19:20], off offset:4
	s_waitcnt vmcnt(0)
	ds_store_b32 v50, v19
.LBB222_8:                              ;   in Loop: Header=BB222_5 Depth=1
	s_or_b32 exec_lo, exec_lo, s1
	s_and_saveexec_b32 s16, vcc_lo
	s_cbranch_execz .LBB222_11
; %bb.9:                                ;   in Loop: Header=BB222_5 Depth=1
	v_or_b32_e32 v19, s18, v22
	s_delay_alu instid0(VALU_DEP_1) | instskip(NEXT) | instid1(VALU_DEP_1)
	v_cmp_gt_i32_e64 s1, s8, v19
	s_and_b32 s1, s0, s1
	s_delay_alu instid0(SALU_CYCLE_1)
	s_and_b32 exec_lo, exec_lo, s1
	s_cbranch_execz .LBB222_11
; %bb.10:                               ;   in Loop: Header=BB222_5 Depth=1
	v_add_nc_u32_e32 v71, v54, v19
	s_delay_alu instid0(VALU_DEP_1)
	v_mad_i64_i32 v[19:20], null, v71, 36, s[2:3]
	global_load_b32 v19, v[19:20], off
	s_waitcnt vmcnt(0)
	v_cvt_f32_f16_e32 v19, v19
	ds_store_b32 v51, v19
.LBB222_11:                             ;   in Loop: Header=BB222_5 Depth=1
	s_or_b32 exec_lo, exec_lo, s16
	v_dual_mov_b32 v19, v61 :: v_dual_mov_b32 v20, v60
	v_dual_mov_b32 v71, v52 :: v_dual_mov_b32 v72, v59
	;; [unrolled: 1-line block ×3, first 2 shown]
	v_mov_b32_e32 v75, v56
	s_mov_b32 s1, -4
	s_waitcnt lgkmcnt(0)
	s_barrier
	buffer_gl0_inv
.LBB222_12:                             ;   Parent Loop BB222_5 Depth=1
                                        ; =>  This Inner Loop Header: Depth=2
	ds_load_b128 v[76:79], v20
	ds_load_b32 v116, v19
	ds_load_b128 v[80:83], v20 offset:16
	ds_load_2addr_b32 v[84:85], v71 offset1:1
	ds_load_2addr_b32 v[86:87], v71 offset0:2 offset1:3
	ds_load_2addr_b32 v[88:89], v71 offset0:4 offset1:5
	ds_load_b32 v117, v72
	ds_load_2addr_b32 v[90:91], v71 offset0:6 offset1:7
	v_add_nc_u32_e32 v92, 0x2080, v71
	v_add_nc_u32_e32 v94, 0x4100, v71
	;; [unrolled: 1-line block ×3, first 2 shown]
	ds_load_b32 v118, v73
	ds_load_b32 v119, v74
	ds_load_2addr_b32 v[92:93], v92 offset1:1
	ds_load_2addr_b32 v[94:95], v94 offset1:1
	;; [unrolled: 1-line block ×3, first 2 shown]
	ds_load_b32 v120, v75
	v_add_nc_u32_e32 v98, 0x2088, v71
	v_add_nc_u32_e32 v100, 0x4108, v71
	;; [unrolled: 1-line block ×9, first 2 shown]
	ds_load_2addr_b32 v[98:99], v98 offset1:1
	ds_load_2addr_b32 v[100:101], v100 offset1:1
	;; [unrolled: 1-line block ×9, first 2 shown]
	v_add_nc_u32_e32 v75, 4, v75
	s_waitcnt lgkmcnt(19)
	v_dot4_i32_iu8 v84, v84, v76, 0 neg_lo:[1,1,0]
	v_add_nc_u32_e32 v74, 4, v74
	v_add_nc_u32_e32 v73, 4, v73
	;; [unrolled: 1-line block ×4, first 2 shown]
	s_waitcnt lgkmcnt(12)
	v_dot4_i32_iu8 v92, v92, v76, 0 neg_lo:[1,1,0]
	s_waitcnt lgkmcnt(11)
	v_dot4_i32_iu8 v94, v94, v76, 0 neg_lo:[1,1,0]
	;; [unrolled: 2-line block ×3, first 2 shown]
	v_dot4_i32_iu8 v84, v85, v80, v84 neg_lo:[1,1,0]
	s_add_i32 s1, s1, 4
	v_dot4_i32_iu8 v85, v93, v80, v92 neg_lo:[1,1,0]
	v_dot4_i32_iu8 v92, v95, v80, v94 neg_lo:[1,1,0]
	;; [unrolled: 1-line block ×4, first 2 shown]
	s_cmp_lt_u32 s1, 12
	s_waitcnt lgkmcnt(8)
	v_dot4_i32_iu8 v84, v98, v77, v85 neg_lo:[1,1,0]
	s_waitcnt lgkmcnt(7)
	v_dot4_i32_iu8 v85, v100, v77, v92 neg_lo:[1,1,0]
	;; [unrolled: 2-line block ×3, first 2 shown]
	v_dot4_i32_iu8 v77, v87, v81, v80 neg_lo:[1,1,0]
	v_dot4_i32_iu8 v80, v99, v81, v84 neg_lo:[1,1,0]
	;; [unrolled: 1-line block ×3, first 2 shown]
	s_delay_alu instid0(VALU_DEP_4) | instskip(NEXT) | instid1(VALU_DEP_4)
	v_dot4_i32_iu8 v76, v103, v81, v76 neg_lo:[1,1,0]
	v_dot4_i32_iu8 v77, v88, v78, v77 neg_lo:[1,1,0]
	s_waitcnt lgkmcnt(5)
	v_dot4_i32_iu8 v80, v104, v78, v80 neg_lo:[1,1,0]
	s_waitcnt lgkmcnt(3)
	;; [unrolled: 2-line block ×3, first 2 shown]
	v_dot4_i32_iu8 v76, v112, v78, v76 neg_lo:[1,1,0]
	v_dot4_i32_iu8 v77, v89, v82, v77 neg_lo:[1,1,0]
	v_mul_f32_e32 v78, v116, v117
	v_dot4_i32_iu8 v80, v105, v82, v80 neg_lo:[1,1,0]
	v_dot4_i32_iu8 v81, v109, v82, v81 neg_lo:[1,1,0]
	;; [unrolled: 1-line block ×3, first 2 shown]
	v_mul_f32_e32 v82, v116, v118
	v_dot4_i32_iu8 v77, v90, v79, v77 neg_lo:[1,1,0]
	v_dot4_i32_iu8 v80, v106, v79, v80 neg_lo:[1,1,0]
	;; [unrolled: 1-line block ×3, first 2 shown]
	s_waitcnt lgkmcnt(0)
	v_dot4_i32_iu8 v76, v114, v79, v76 neg_lo:[1,1,0]
	v_mul_f32_e32 v79, v116, v119
	v_dot4_i32_iu8 v77, v91, v83, v77 neg_lo:[1,1,0]
	v_dot4_i32_iu8 v80, v107, v83, v80 neg_lo:[1,1,0]
	;; [unrolled: 1-line block ×4, first 2 shown]
	v_mul_f32_e32 v83, v116, v120
	v_cvt_f32_i32_e32 v77, v77
	v_cvt_f32_i32_e32 v80, v80
	;; [unrolled: 1-line block ×4, first 2 shown]
	v_add_nc_u32_e32 v71, 32, v71
	v_add_nc_u32_e32 v19, 4, v19
	v_fmac_f32_e32 v23, v78, v77
	v_fmac_f32_e32 v48, v82, v80
	;; [unrolled: 1-line block ×4, first 2 shown]
	s_cbranch_scc1 .LBB222_12
; %bb.13:                               ;   in Loop: Header=BB222_5 Depth=1
	s_bitset1_b32 s6, 7
	s_delay_alu instid0(SALU_CYCLE_1)
	s_cmp_ge_i32 s6, s5
	s_barrier
	buffer_gl0_inv
	s_cbranch_scc1 .LBB222_4
; %bb.14:                               ;   in Loop: Header=BB222_5 Depth=1
	v_add_nc_u32_e32 v19, s18, v53
	s_delay_alu instid0(VALU_DEP_1) | instskip(NEXT) | instid1(VALU_DEP_1)
	v_cmp_gt_i32_e64 s1, s8, v19
	s_and_b32 s6, s0, s1
	s_delay_alu instid0(SALU_CYCLE_1)
	s_and_saveexec_b32 s1, s6
	s_cbranch_execz .LBB222_16
; %bb.15:                               ;   in Loop: Header=BB222_5 Depth=1
	v_add_nc_u32_e32 v71, v54, v19
	s_delay_alu instid0(VALU_DEP_1)
	v_mad_i64_i32 v[19:20], null, v71, 36, v[17:18]
	global_load_b32 v19, v[19:20], off offset:4
	s_waitcnt vmcnt(0)
	ds_store_b32 v50, v19
.LBB222_16:                             ;   in Loop: Header=BB222_5 Depth=1
	s_or_b32 exec_lo, exec_lo, s1
	s_and_saveexec_b32 s6, vcc_lo
	s_cbranch_execz .LBB222_19
; %bb.17:                               ;   in Loop: Header=BB222_5 Depth=1
	v_or_b32_e32 v19, s18, v22
	s_delay_alu instid0(VALU_DEP_1) | instskip(NEXT) | instid1(VALU_DEP_1)
	v_or_b32_e32 v20, 4, v19
	v_cmp_gt_i32_e64 s1, s8, v20
	s_delay_alu instid0(VALU_DEP_1) | instskip(NEXT) | instid1(SALU_CYCLE_1)
	s_and_b32 s1, s0, s1
	s_and_b32 exec_lo, exec_lo, s1
	s_cbranch_execz .LBB222_19
; %bb.18:                               ;   in Loop: Header=BB222_5 Depth=1
	v_ashrrev_i32_e32 v20, 31, v19
	v_add_co_u32 v71, s1, v54, v19
	s_delay_alu instid0(VALU_DEP_1) | instskip(NEXT) | instid1(VALU_DEP_2)
	v_add_co_ci_u32_e64 v72, s1, v55, v20, s1
	v_mad_u64_u32 v[19:20], null, v71, 36, s[14:15]
	s_delay_alu instid0(VALU_DEP_1)
	v_mad_i32_i24 v20, v72, 36, v20
	global_load_b32 v19, v[19:20], off
	s_waitcnt vmcnt(0)
	v_cvt_f32_f16_e32 v19, v19
	ds_store_b32 v51, v19
.LBB222_19:                             ;   in Loop: Header=BB222_5 Depth=1
	s_or_b32 exec_lo, exec_lo, s6
	v_dual_mov_b32 v19, v61 :: v_dual_mov_b32 v20, v60
	v_dual_mov_b32 v71, v66 :: v_dual_mov_b32 v72, v65
	;; [unrolled: 1-line block ×3, first 2 shown]
	v_mov_b32_e32 v75, v62
	s_mov_b32 s1, 12
	s_waitcnt lgkmcnt(0)
	s_barrier
	buffer_gl0_inv
.LBB222_20:                             ;   Parent Loop BB222_5 Depth=1
                                        ; =>  This Inner Loop Header: Depth=2
	ds_load_b128 v[76:79], v20
	ds_load_b32 v116, v19
	ds_load_b128 v[80:83], v20 offset:16
	ds_load_2addr_b32 v[84:85], v71 offset1:1
	ds_load_2addr_b32 v[86:87], v71 offset0:2 offset1:3
	ds_load_2addr_b32 v[88:89], v71 offset0:4 offset1:5
	ds_load_b32 v117, v72
	ds_load_2addr_b32 v[90:91], v71 offset0:6 offset1:7
	v_add_nc_u32_e32 v92, 0x2080, v71
	v_add_nc_u32_e32 v94, 0x4100, v71
	;; [unrolled: 1-line block ×3, first 2 shown]
	ds_load_b32 v118, v73
	ds_load_b32 v119, v74
	ds_load_2addr_b32 v[92:93], v92 offset1:1
	ds_load_2addr_b32 v[94:95], v94 offset1:1
	;; [unrolled: 1-line block ×3, first 2 shown]
	ds_load_b32 v120, v75
	v_add_nc_u32_e32 v98, 0x2088, v71
	v_add_nc_u32_e32 v100, 0x4108, v71
	;; [unrolled: 1-line block ×9, first 2 shown]
	ds_load_2addr_b32 v[98:99], v98 offset1:1
	ds_load_2addr_b32 v[100:101], v100 offset1:1
	;; [unrolled: 1-line block ×9, first 2 shown]
	v_add_nc_u32_e32 v75, 4, v75
	s_waitcnt lgkmcnt(19)
	v_dot4_i32_iu8 v84, v84, v76, 0 neg_lo:[1,1,0]
	v_add_nc_u32_e32 v74, 4, v74
	v_add_nc_u32_e32 v73, 4, v73
	;; [unrolled: 1-line block ×4, first 2 shown]
	s_waitcnt lgkmcnt(12)
	v_dot4_i32_iu8 v92, v92, v76, 0 neg_lo:[1,1,0]
	s_waitcnt lgkmcnt(11)
	v_dot4_i32_iu8 v94, v94, v76, 0 neg_lo:[1,1,0]
	;; [unrolled: 2-line block ×3, first 2 shown]
	v_dot4_i32_iu8 v84, v85, v80, v84 neg_lo:[1,1,0]
	s_add_i32 s1, s1, 4
	v_dot4_i32_iu8 v85, v93, v80, v92 neg_lo:[1,1,0]
	v_dot4_i32_iu8 v92, v95, v80, v94 neg_lo:[1,1,0]
	;; [unrolled: 1-line block ×4, first 2 shown]
	s_cmp_lt_u32 s1, 28
	s_waitcnt lgkmcnt(8)
	v_dot4_i32_iu8 v84, v98, v77, v85 neg_lo:[1,1,0]
	s_waitcnt lgkmcnt(7)
	v_dot4_i32_iu8 v85, v100, v77, v92 neg_lo:[1,1,0]
	;; [unrolled: 2-line block ×3, first 2 shown]
	v_dot4_i32_iu8 v77, v87, v81, v80 neg_lo:[1,1,0]
	v_dot4_i32_iu8 v80, v99, v81, v84 neg_lo:[1,1,0]
	;; [unrolled: 1-line block ×3, first 2 shown]
	s_delay_alu instid0(VALU_DEP_4) | instskip(NEXT) | instid1(VALU_DEP_4)
	v_dot4_i32_iu8 v76, v103, v81, v76 neg_lo:[1,1,0]
	v_dot4_i32_iu8 v77, v88, v78, v77 neg_lo:[1,1,0]
	s_waitcnt lgkmcnt(5)
	v_dot4_i32_iu8 v80, v104, v78, v80 neg_lo:[1,1,0]
	s_waitcnt lgkmcnt(3)
	;; [unrolled: 2-line block ×3, first 2 shown]
	v_dot4_i32_iu8 v76, v112, v78, v76 neg_lo:[1,1,0]
	v_dot4_i32_iu8 v77, v89, v82, v77 neg_lo:[1,1,0]
	v_mul_f32_e32 v78, v116, v117
	v_dot4_i32_iu8 v80, v105, v82, v80 neg_lo:[1,1,0]
	v_dot4_i32_iu8 v81, v109, v82, v81 neg_lo:[1,1,0]
	;; [unrolled: 1-line block ×3, first 2 shown]
	v_mul_f32_e32 v82, v116, v118
	v_dot4_i32_iu8 v77, v90, v79, v77 neg_lo:[1,1,0]
	v_dot4_i32_iu8 v80, v106, v79, v80 neg_lo:[1,1,0]
	;; [unrolled: 1-line block ×3, first 2 shown]
	s_waitcnt lgkmcnt(0)
	v_dot4_i32_iu8 v76, v114, v79, v76 neg_lo:[1,1,0]
	v_mul_f32_e32 v79, v116, v119
	v_dot4_i32_iu8 v77, v91, v83, v77 neg_lo:[1,1,0]
	v_dot4_i32_iu8 v80, v107, v83, v80 neg_lo:[1,1,0]
	;; [unrolled: 1-line block ×4, first 2 shown]
	v_mul_f32_e32 v83, v116, v120
	v_cvt_f32_i32_e32 v77, v77
	v_cvt_f32_i32_e32 v80, v80
	;; [unrolled: 1-line block ×4, first 2 shown]
	v_add_nc_u32_e32 v71, 32, v71
	v_add_nc_u32_e32 v19, 4, v19
	v_fmac_f32_e32 v23, v78, v77
	v_fmac_f32_e32 v48, v82, v80
	;; [unrolled: 1-line block ×4, first 2 shown]
	s_cbranch_scc1 .LBB222_20
; %bb.21:                               ;   in Loop: Header=BB222_5 Depth=1
	s_barrier
	buffer_gl0_inv
	s_branch .LBB222_4
.LBB222_22:
	s_mul_i32 s0, s10, s7
	s_waitcnt vmcnt(0)
	v_cmp_gt_i32_e32 vcc_lo, s0, v21
	s_and_saveexec_b32 s0, vcc_lo
	s_cbranch_execz .LBB222_31
; %bb.23:
	v_mul_lo_u32 v0, v21, s9
	v_add_nc_u32_e32 v1, s11, v22
	s_mov_b32 s0, exec_lo
	s_delay_alu instid0(VALU_DEP_1)
	v_cmpx_gt_u32_e64 s9, v1
	s_cbranch_execz .LBB222_25
; %bb.24:
	v_bfe_u32 v3, v23, 16, 1
	s_delay_alu instid0(VALU_DEP_4) | instskip(SKIP_1) | instid1(VALU_DEP_3)
	v_add_nc_u32_e32 v2, v0, v1
	v_cmp_o_f32_e32 vcc_lo, v23, v23
	v_add3_u32 v4, v23, v3, 0x7fff
	v_mov_b32_e32 v3, 0
	s_delay_alu instid0(VALU_DEP_2) | instskip(NEXT) | instid1(VALU_DEP_2)
	v_lshrrev_b32_e32 v4, 16, v4
	v_lshlrev_b64 v[2:3], 1, v[2:3]
	s_delay_alu instid0(VALU_DEP_2) | instskip(NEXT) | instid1(VALU_DEP_2)
	v_cndmask_b32_e32 v4, 0x7fc0, v4, vcc_lo
	v_add_co_u32 v2, vcc_lo, s12, v2
	s_delay_alu instid0(VALU_DEP_3)
	v_add_co_ci_u32_e32 v3, vcc_lo, s13, v3, vcc_lo
	global_store_b16 v[2:3], v4, off
.LBB222_25:
	s_or_b32 exec_lo, exec_lo, s0
	v_add_nc_u32_e32 v2, 32, v1
	s_mov_b32 s0, exec_lo
	s_delay_alu instid0(VALU_DEP_1)
	v_cmpx_gt_u32_e64 s9, v2
	s_cbranch_execz .LBB222_27
; %bb.26:
	v_bfe_u32 v3, v48, 16, 1
	v_add_nc_u32_e32 v2, v0, v2
	v_cmp_o_f32_e32 vcc_lo, v48, v48
	s_delay_alu instid0(VALU_DEP_3) | instskip(SKIP_1) | instid1(VALU_DEP_2)
	v_add3_u32 v4, v48, v3, 0x7fff
	v_mov_b32_e32 v3, 0
	v_lshrrev_b32_e32 v4, 16, v4
	s_delay_alu instid0(VALU_DEP_2) | instskip(NEXT) | instid1(VALU_DEP_2)
	v_lshlrev_b64 v[2:3], 1, v[2:3]
	v_cndmask_b32_e32 v4, 0x7fc0, v4, vcc_lo
	s_delay_alu instid0(VALU_DEP_2) | instskip(NEXT) | instid1(VALU_DEP_3)
	v_add_co_u32 v2, vcc_lo, s12, v2
	v_add_co_ci_u32_e32 v3, vcc_lo, s13, v3, vcc_lo
	global_store_b16 v[2:3], v4, off
.LBB222_27:
	s_or_b32 exec_lo, exec_lo, s0
	v_add_nc_u32_e32 v2, 64, v1
	s_mov_b32 s0, exec_lo
	s_delay_alu instid0(VALU_DEP_1)
	v_cmpx_gt_u32_e64 s9, v2
	s_cbranch_execz .LBB222_29
; %bb.28:
	v_bfe_u32 v3, v45, 16, 1
	v_add_nc_u32_e32 v2, v0, v2
	v_cmp_o_f32_e32 vcc_lo, v45, v45
	s_delay_alu instid0(VALU_DEP_3) | instskip(SKIP_1) | instid1(VALU_DEP_2)
	v_add3_u32 v4, v45, v3, 0x7fff
	v_mov_b32_e32 v3, 0
	v_lshrrev_b32_e32 v4, 16, v4
	s_delay_alu instid0(VALU_DEP_2) | instskip(NEXT) | instid1(VALU_DEP_2)
	v_lshlrev_b64 v[2:3], 1, v[2:3]
	v_cndmask_b32_e32 v4, 0x7fc0, v4, vcc_lo
	s_delay_alu instid0(VALU_DEP_2) | instskip(NEXT) | instid1(VALU_DEP_3)
	v_add_co_u32 v2, vcc_lo, s12, v2
	v_add_co_ci_u32_e32 v3, vcc_lo, s13, v3, vcc_lo
	global_store_b16 v[2:3], v4, off
.LBB222_29:
	s_or_b32 exec_lo, exec_lo, s0
	v_add_nc_u32_e32 v1, 0x60, v1
	s_delay_alu instid0(VALU_DEP_1)
	v_cmp_gt_u32_e32 vcc_lo, s9, v1
	s_and_b32 exec_lo, exec_lo, vcc_lo
	s_cbranch_execz .LBB222_31
; %bb.30:
	v_bfe_u32 v2, v12, 16, 1
	v_dual_mov_b32 v1, 0 :: v_dual_add_nc_u32 v0, v0, v1
	v_cmp_o_f32_e32 vcc_lo, v12, v12
	s_delay_alu instid0(VALU_DEP_3) | instskip(NEXT) | instid1(VALU_DEP_3)
	v_add3_u32 v2, v12, v2, 0x7fff
	v_lshlrev_b64 v[0:1], 1, v[0:1]
	s_delay_alu instid0(VALU_DEP_2) | instskip(NEXT) | instid1(VALU_DEP_1)
	v_lshrrev_b32_e32 v2, 16, v2
	v_cndmask_b32_e32 v2, 0x7fc0, v2, vcc_lo
	s_delay_alu instid0(VALU_DEP_3) | instskip(NEXT) | instid1(VALU_DEP_4)
	v_add_co_u32 v0, vcc_lo, s12, v0
	v_add_co_ci_u32_e32 v1, vcc_lo, s13, v1, vcc_lo
	global_store_b16 v[0:1], v2, off
.LBB222_31:
	s_nop 0
	s_sendmsg sendmsg(MSG_DEALLOC_VGPRS)
	s_endpgm
	.section	.rodata,"a",@progbits
	.p2align	6, 0x0
	.amdhsa_kernel _ZL8moe_q5_0IN3c108BFloat16ELb1EEvPKvS3_PT_PKiS7_S7_iiiiiii
		.amdhsa_group_segment_fixed_size 38656
		.amdhsa_private_segment_fixed_size 0
		.amdhsa_kernarg_size 76
		.amdhsa_user_sgpr_count 14
		.amdhsa_user_sgpr_dispatch_ptr 0
		.amdhsa_user_sgpr_queue_ptr 0
		.amdhsa_user_sgpr_kernarg_segment_ptr 1
		.amdhsa_user_sgpr_dispatch_id 0
		.amdhsa_user_sgpr_private_segment_size 0
		.amdhsa_wavefront_size32 1
		.amdhsa_uses_dynamic_stack 0
		.amdhsa_enable_private_segment 0
		.amdhsa_system_sgpr_workgroup_id_x 1
		.amdhsa_system_sgpr_workgroup_id_y 1
		.amdhsa_system_sgpr_workgroup_id_z 0
		.amdhsa_system_sgpr_workgroup_info 0
		.amdhsa_system_vgpr_workitem_id 1
		.amdhsa_next_free_vgpr 142
		.amdhsa_next_free_sgpr 21
		.amdhsa_reserve_vcc 1
		.amdhsa_float_round_mode_32 0
		.amdhsa_float_round_mode_16_64 0
		.amdhsa_float_denorm_mode_32 3
		.amdhsa_float_denorm_mode_16_64 3
		.amdhsa_dx10_clamp 1
		.amdhsa_ieee_mode 1
		.amdhsa_fp16_overflow 0
		.amdhsa_workgroup_processor_mode 1
		.amdhsa_memory_ordered 1
		.amdhsa_forward_progress 0
		.amdhsa_shared_vgpr_count 0
		.amdhsa_exception_fp_ieee_invalid_op 0
		.amdhsa_exception_fp_denorm_src 0
		.amdhsa_exception_fp_ieee_div_zero 0
		.amdhsa_exception_fp_ieee_overflow 0
		.amdhsa_exception_fp_ieee_underflow 0
		.amdhsa_exception_fp_ieee_inexact 0
		.amdhsa_exception_int_div_zero 0
	.end_amdhsa_kernel
	.section	.text._ZL8moe_q5_0IN3c108BFloat16ELb1EEvPKvS3_PT_PKiS7_S7_iiiiiii,"axG",@progbits,_ZL8moe_q5_0IN3c108BFloat16ELb1EEvPKvS3_PT_PKiS7_S7_iiiiiii,comdat
.Lfunc_end222:
	.size	_ZL8moe_q5_0IN3c108BFloat16ELb1EEvPKvS3_PT_PKiS7_S7_iiiiiii, .Lfunc_end222-_ZL8moe_q5_0IN3c108BFloat16ELb1EEvPKvS3_PT_PKiS7_S7_iiiiiii
                                        ; -- End function
	.section	.AMDGPU.csdata,"",@progbits
; Kernel info:
; codeLenInByte = 11324
; NumSgprs: 23
; NumVgprs: 142
; ScratchSize: 0
; MemoryBound: 0
; FloatMode: 240
; IeeeMode: 1
; LDSByteSize: 38656 bytes/workgroup (compile time only)
; SGPRBlocks: 2
; VGPRBlocks: 17
; NumSGPRsForWavesPerEU: 23
; NumVGPRsForWavesPerEU: 142
; Occupancy: 6
; WaveLimiterHint : 1
; COMPUTE_PGM_RSRC2:SCRATCH_EN: 0
; COMPUTE_PGM_RSRC2:USER_SGPR: 14
; COMPUTE_PGM_RSRC2:TRAP_HANDLER: 0
; COMPUTE_PGM_RSRC2:TGID_X_EN: 1
; COMPUTE_PGM_RSRC2:TGID_Y_EN: 1
; COMPUTE_PGM_RSRC2:TGID_Z_EN: 0
; COMPUTE_PGM_RSRC2:TIDIG_COMP_CNT: 1
	.section	.text._ZL8moe_q5_1IN3c108BFloat16ELb0EEvPKvS3_PT_PKiS7_S7_iiiiiii,"axG",@progbits,_ZL8moe_q5_1IN3c108BFloat16ELb0EEvPKvS3_PT_PKiS7_S7_iiiiiii,comdat
	.globl	_ZL8moe_q5_1IN3c108BFloat16ELb0EEvPKvS3_PT_PKiS7_S7_iiiiiii ; -- Begin function _ZL8moe_q5_1IN3c108BFloat16ELb0EEvPKvS3_PT_PKiS7_S7_iiiiiii
	.p2align	8
	.type	_ZL8moe_q5_1IN3c108BFloat16ELb0EEvPKvS3_PT_PKiS7_S7_iiiiiii,@function
_ZL8moe_q5_1IN3c108BFloat16ELb0EEvPKvS3_PT_PKiS7_S7_iiiiiii: ; @_ZL8moe_q5_1IN3c108BFloat16ELb0EEvPKvS3_PT_PKiS7_S7_iiiiiii
; %bb.0:
	s_load_b128 s[4:7], s[0:1], 0x18
	s_mov_b32 s2, s15
	s_mov_b32 s3, 0
	s_delay_alu instid0(SALU_CYCLE_1)
	s_lshl_b64 s[8:9], s[2:3], 2
	s_waitcnt lgkmcnt(0)
	s_add_u32 s6, s6, s8
	s_addc_u32 s7, s7, s9
	s_load_b32 s12, s[6:7], 0x0
	s_waitcnt lgkmcnt(0)
	s_cmpk_gt_u32 s12, 0xff
	s_cbranch_scc1 .LBB223_31
; %bb.1:
	s_load_b64 s[6:7], s[0:1], 0x28
	s_lshl_b32 s2, s2, 3
	s_waitcnt lgkmcnt(0)
	s_load_b32 s3, s[6:7], 0x0
	s_waitcnt lgkmcnt(0)
	s_cmp_gt_u32 s2, s3
	s_cbranch_scc1 .LBB223_31
; %bb.2:
	v_bfe_u32 v3, v0, 10, 10
	v_mov_b32_e32 v2, 0
	s_lshl_b32 s16, s14, 7
	s_mov_b32 s17, 0
	s_delay_alu instid0(VALU_DEP_2) | instskip(NEXT) | instid1(VALU_DEP_2)
	v_add_nc_u32_e32 v1, s2, v3
	v_dual_mov_b32 v7, v2 :: v_dual_and_b32 v6, 0x3ff, v0
	v_mov_b32_e32 v36, v2
	v_mov_b32_e32 v46, v2
	s_delay_alu instid0(VALU_DEP_4) | instskip(NEXT) | instid1(VALU_DEP_1)
	v_lshlrev_b64 v[4:5], 2, v[1:2]
	v_add_co_u32 v4, vcc_lo, s4, v4
	s_delay_alu instid0(VALU_DEP_2)
	v_add_co_ci_u32_e32 v5, vcc_lo, s5, v5, vcc_lo
	global_load_b32 v5, v[4:5], off
	s_clause 0x2
	s_load_b64 s[10:11], s[0:1], 0x30
	s_load_b64 s[8:9], s[0:1], 0x10
	s_load_b128 s[4:7], s[0:1], 0x3c
	s_waitcnt lgkmcnt(0)
	s_cmp_lt_i32 s11, 32
	s_cbranch_scc1 .LBB223_22
; %bb.3:
	s_load_b128 s[0:3], s[0:1], 0x0
	s_ashr_i32 s13, s11, 31
	s_ashr_i32 s14, s5, 31
	s_mul_i32 s12, s12, s10
	s_lshr_b32 s10, s13, 27
	s_lshr_b32 s13, s14, 27
	s_add_i32 s15, s11, s10
	s_add_i32 s10, s5, s13
	s_ashr_i32 s5, s15, 5
	s_ashr_i32 s14, s12, 31
	s_mul_i32 s13, s5, s16
	s_ashr_i32 s10, s10, 5
	s_mul_hi_i32 s19, s13, 24
	s_mul_i32 s13, s13, 24
	v_lshlrev_b32_e32 v1, 3, v6
	s_waitcnt vmcnt(0)
	v_sub_nc_u32_e32 v17, 0, v5
	v_mul_lo_u32 v9, s5, v3
	v_lshrrev_b32_e32 v12, 3, v6
	v_and_b32_e32 v51, 31, v6
	v_mad_u32_u24 v15, 0x104, v3, v1
	s_waitcnt lgkmcnt(0)
	s_add_u32 s0, s0, s12
	s_addc_u32 s1, s1, s14
	s_add_u32 s18, s0, s13
	s_addc_u32 s19, s1, s19
	s_abs_i32 s1, s7
	v_max_i32_e32 v46, v5, v17
	v_cvt_f32_u32_e32 v4, s1
	s_sub_i32 s12, 0, s1
	s_lshl_b32 s0, s5, 3
	v_dual_mov_b32 v7, 0 :: v_dual_lshlrev_b32 v60, 7, v3
	v_lshlrev_b32_e32 v0, 2, v6
	v_rcp_iflag_f32_e32 v1, v4
	v_and_b32_e32 v10, 7, v6
	s_delay_alu instid0(VALU_DEP_3)
	v_lshl_or_b32 v51, v51, 2, v60
	v_add_nc_u32_e32 v55, 64, v6
	v_add_nc_u32_e32 v56, 0x60, v6
	v_and_b32_e32 v14, 12, v0
	s_and_not1_b32 s15, s15, 31
	v_and_b32_e32 v0, 28, v0
	v_lshlrev_b32_e32 v57, 5, v6
	v_and_b32_e32 v56, 0x1fc, v56
	v_dual_mul_f32 v1, 0x4f7ffffe, v1 :: v_dual_lshlrev_b32 v36, 2, v10
	v_and_b32_e32 v55, 0x1fc, v55
	v_and_b32_e32 v58, 0xfc, v6
	v_lshrrev_b32_e32 v8, 2, v6
	s_delay_alu instid0(VALU_DEP_4)
	v_cvt_u32_f32_e32 v1, v1
	v_add_nc_u32_e32 v17, 0x820, v15
	v_add_nc_u32_e32 v63, v57, v55
	;; [unrolled: 1-line block ×4, first 2 shown]
	v_mul_lo_u32 v38, s12, v1
	v_add_nc_u32_e32 v20, 0x1860, v15
	v_add_nc_u32_e32 v21, 0x2080, v15
	;; [unrolled: 1-line block ×7, first 2 shown]
	v_mul_hi_u32 v41, v1, v38
	v_add_nc_u32_e32 v30, 0x5140, v15
	v_add_nc_u32_e32 v31, 0x5960, v15
	;; [unrolled: 1-line block ×9, first 2 shown]
	v_lshl_add_u32 v61, v3, 4, 0x9680
	v_add_nc_u32_e32 v65, 0x8210, v65
	s_add_u32 s12, s2, 0x90
	v_mul_hi_u32 v1, v46, v1
	s_addc_u32 s13, s3, 0
	s_delay_alu instid0(VALU_DEP_1) | instskip(SKIP_1) | instid1(VALU_DEP_2)
	v_mul_lo_u32 v49, v1, s1
	v_add_nc_u32_e32 v50, 1, v1
	v_sub_nc_u32_e32 v46, v46, v49
	s_delay_alu instid0(VALU_DEP_1) | instskip(SKIP_1) | instid1(VALU_DEP_4)
	v_subrev_nc_u32_e32 v52, s1, v46
	v_cmp_le_u32_e32 vcc_lo, s1, v46
	v_dual_cndmask_b32 v1, v1, v50 :: v_dual_lshlrev_b32 v2, 2, v3
	s_delay_alu instid0(VALU_DEP_3) | instskip(NEXT) | instid1(VALU_DEP_2)
	v_cndmask_b32_e32 v46, v46, v52, vcc_lo
	v_add_nc_u32_e32 v4, v12, v2
	v_xor_b32_e32 v50, s7, v5
	v_or_b32_e32 v2, v2, v6
	v_add_nc_u32_e32 v52, 1, v1
	v_cmp_le_u32_e32 vcc_lo, s1, v46
	v_add_nc_u32_e32 v11, s0, v9
	v_and_b32_e32 v42, 0x1ffc, v4
	v_ashrrev_i32_e32 v53, 31, v50
	v_add_nc_u32_e32 v44, 64, v4
	s_delay_alu instid0(VALU_DEP_4) | instskip(NEXT) | instid1(VALU_DEP_4)
	v_dual_cndmask_b32 v46, v1, v52 :: v_dual_add_nc_u32 v13, s0, v11
	v_add3_u32 v68, v42, v36, 0x8200
	v_mul_lo_u32 v38, s5, v4
	s_delay_alu instid0(VALU_DEP_4) | instskip(NEXT) | instid1(VALU_DEP_4)
	v_and_b32_e32 v47, 0x3ffc, v44
	v_xor_b32_e32 v46, v46, v53
	v_add_nc_u32_e32 v16, s0, v13
	v_lshlrev_b32_e32 v70, 5, v44
	v_lshlrev_b32_e32 v67, 5, v4
	v_add_nc_u32_e32 v43, 32, v4
	v_add_nc_u32_e32 v4, 0x60, v4
	;; [unrolled: 1-line block ×4, first 2 shown]
	v_lshl_add_u32 v51, v2, 2, 0x9680
	v_add_nc_u32_e32 v2, 32, v6
	v_sub_nc_u32_e32 v46, v46, v53
	v_add_nc_u32_e32 v22, s0, v18
	v_add3_u32 v72, v47, v36, 0x8200
	v_and_b32_e32 v45, 0x3ffc, v43
	v_lshlrev_b32_e32 v69, 5, v43
	v_and_b32_e32 v48, 0x3ffc, v4
	v_add_nc_u32_e32 v26, s0, v22
	v_add_nc_u32_e32 v43, s15, v38
	v_lshrrev_b32_e32 v53, 3, v2
	v_and_b32_e32 v2, 0x1fc, v2
	v_mul_lo_u32 v54, v46, s10
	v_add_nc_u32_e32 v29, s0, v26
	v_lshlrev_b32_e32 v4, 5, v4
	v_add3_u32 v71, v45, v36, 0x8200
	v_add_nc_u32_e32 v45, s15, v43
	v_add3_u32 v36, v48, v36, 0x8200
	v_add_nc_u32_e32 v34, s0, v29
	v_add_nc_u32_e32 v2, v57, v2
	s_movk_i32 s1, 0x80
	v_add_nc_u32_e32 v48, s15, v45
	v_cmp_gt_u32_e32 vcc_lo, 4, v6
	v_add_nc_u32_e32 v39, s0, v34
	v_mul_u32_u24_e32 v52, 0x104, v6
	v_ashrrev_i32_e32 v55, 31, v54
	v_add_nc_u32_e32 v58, 0x8600, v2
	v_add_nc_u32_e32 v64, 0x8610, v2
	;; [unrolled: 1-line block ×3, first 2 shown]
	v_mad_u32_u24 v66, 0x104, v6, s1
	v_add_nc_u32_e32 v67, v68, v67
	v_add_nc_u32_e32 v68, v71, v69
	;; [unrolled: 1-line block ×5, first 2 shown]
	v_mov_b32_e32 v36, 0
	v_mov_b32_e32 v2, 0
	s_delay_alu instid0(VALU_DEP_4) | instskip(NEXT) | instid1(VALU_DEP_1)
	v_add_nc_u32_e32 v42, s0, v41
	v_add_nc_u32_e32 v44, s0, v42
	s_delay_alu instid0(VALU_DEP_1) | instskip(NEXT) | instid1(VALU_DEP_1)
	v_add_nc_u32_e32 v47, s0, v44
	v_add_nc_u32_e32 v49, s0, v47
	v_add_co_u32 v0, s0, s2, v0
	s_delay_alu instid0(VALU_DEP_1) | instskip(SKIP_4) | instid1(VALU_DEP_3)
	v_add_co_ci_u32_e64 v1, null, s3, 0, s0
	v_cmp_gt_i32_e64 s0, s4, v46
	v_add_nc_u32_e32 v46, v57, v56
	v_add_nc_u32_e32 v57, 0x8a00, v63
	v_add_nc_u32_e32 v63, 0x8a10, v63
	v_add_nc_u32_e32 v56, 0x8e00, v46
	v_add_nc_u32_e32 v62, 0x8e10, v46
	v_mov_b32_e32 v46, 0
	s_branch .LBB223_5
.LBB223_4:                              ;   in Loop: Header=BB223_5 Depth=1
	s_add_i32 s17, s17, 8
	s_delay_alu instid0(SALU_CYCLE_1)
	s_cmp_ge_i32 s17, s5
	s_cbranch_scc1 .LBB223_22
.LBB223_5:                              ; =>This Loop Header: Depth=1
                                        ;     Child Loop BB223_12 Depth 2
                                        ;     Child Loop BB223_20 Depth 2
	s_mul_i32 s1, s17, 24
	s_mul_hi_u32 s15, s17, 24
	s_add_u32 s14, s18, s1
	s_addc_u32 s15, s19, s15
	s_delay_alu instid0(SALU_CYCLE_1) | instskip(NEXT) | instid1(VALU_DEP_1)
	v_mad_u64_u32 v[3:4], null, v8, 24, s[14:15]
	v_mad_u64_u32 v[71:72], null, v9, 24, v[3:4]
	;; [unrolled: 1-line block ×5, first 2 shown]
	s_delay_alu instid0(VALU_DEP_4) | instskip(NEXT) | instid1(VALU_DEP_1)
	v_add_co_u32 v81, s1, v71, v14
	v_add_co_ci_u32_e64 v82, s1, 0, v72, s1
	s_clause 0x1
	global_load_b32 v91, v[71:72], off offset:4
	global_load_b32 v92, v[73:74], off offset:4
	v_add_co_u32 v73, s1, v73, v14
	v_mad_u64_u32 v[79:80], null, v18, 24, v[3:4]
	v_mad_u64_u32 v[71:72], null, v22, 24, v[3:4]
	v_add_co_ci_u32_e64 v74, s1, 0, v74, s1
	v_mad_u64_u32 v[83:84], null, v26, 24, v[3:4]
	v_mad_u64_u32 v[85:86], null, v29, 24, v[3:4]
	;; [unrolled: 1-line block ×4, first 2 shown]
	s_clause 0x7
	global_load_b32 v93, v[75:76], off offset:4
	global_load_b32 v94, v[77:78], off offset:4
	;; [unrolled: 1-line block ×8, first 2 shown]
	s_clause 0x1
	global_load_b32 v101, v[81:82], off offset:8
	global_load_b32 v102, v[73:74], off offset:8
	v_add_co_u32 v73, s1, v75, v14
	s_delay_alu instid0(VALU_DEP_1) | instskip(SKIP_3) | instid1(VALU_DEP_1)
	v_add_co_ci_u32_e64 v74, s1, 0, v76, s1
	v_mad_u64_u32 v[75:76], null, v44, 24, v[3:4]
	global_load_b32 v103, v[73:74], off offset:8
	v_add_co_u32 v73, s1, v77, v14
	v_add_co_ci_u32_e64 v74, s1, 0, v78, s1
	v_mad_u64_u32 v[77:78], null, v47, 24, v[3:4]
	global_load_b32 v113, v[75:76], off offset:4
	global_load_b32 v104, v[73:74], off offset:8
	v_add_co_u32 v73, s1, v79, v14
	s_delay_alu instid0(VALU_DEP_1) | instskip(SKIP_1) | instid1(VALU_DEP_1)
	v_add_co_ci_u32_e64 v74, s1, 0, v80, s1
	v_add_co_u32 v71, s1, v71, v14
	v_add_co_ci_u32_e64 v72, s1, 0, v72, s1
	global_load_b32 v105, v[73:74], off offset:8
	v_mad_u64_u32 v[79:80], null, v49, 24, v[3:4]
	global_load_b32 v106, v[71:72], off offset:8
	v_add_co_u32 v71, s1, v83, v14
	s_delay_alu instid0(VALU_DEP_1) | instskip(SKIP_3) | instid1(VALU_DEP_1)
	v_add_co_ci_u32_e64 v72, s1, 0, v84, s1
	v_mad_u64_u32 v[73:74], null, v42, 24, v[3:4]
	global_load_b32 v107, v[71:72], off offset:8
	v_add_co_u32 v71, s1, v85, v14
	v_add_co_ci_u32_e64 v72, s1, 0, v86, s1
	global_load_b32 v111, v[73:74], off offset:4
	global_load_b32 v108, v[71:72], off offset:8
	v_add_co_u32 v71, s1, v87, v14
	s_delay_alu instid0(VALU_DEP_1) | instskip(SKIP_2) | instid1(VALU_DEP_1)
	v_add_co_ci_u32_e64 v72, s1, 0, v88, s1
	global_load_b32 v87, v[71:72], off offset:8
	v_add_co_u32 v71, s1, v89, v14
	v_add_co_ci_u32_e64 v72, s1, 0, v90, s1
	global_load_b32 v88, v[71:72], off offset:8
	v_mad_u64_u32 v[71:72], null, v40, 24, v[3:4]
	global_load_b32 v89, v[71:72], off offset:4
	v_add_co_u32 v71, s1, v71, v14
	s_delay_alu instid0(VALU_DEP_1) | instskip(SKIP_4) | instid1(VALU_DEP_1)
	v_add_co_ci_u32_e64 v72, s1, 0, v72, s1
	global_load_b32 v90, v[71:72], off offset:8
	v_mad_u64_u32 v[71:72], null, v41, 24, v[3:4]
	global_load_b32 v109, v[71:72], off offset:4
	v_add_co_u32 v71, s1, v71, v14
	v_add_co_ci_u32_e64 v72, s1, 0, v72, s1
	v_add_co_u32 v73, s1, v73, v14
	s_delay_alu instid0(VALU_DEP_1)
	v_add_co_ci_u32_e64 v74, s1, 0, v74, s1
	s_clause 0x1
	global_load_b32 v110, v[71:72], off offset:8
	global_load_b32 v112, v[73:74], off offset:8
	v_mad_u64_u32 v[71:72], null, v10, 24, s[14:15]
	s_lshl_b32 s14, s17, 5
	s_delay_alu instid0(SALU_CYCLE_1) | instskip(NEXT) | instid1(VALU_DEP_1)
	s_cmp_lt_i32 s14, s11
	v_mad_u64_u32 v[3:4], null, v38, 24, v[71:72]
	v_mad_u64_u32 v[81:82], null, v43, 24, v[71:72]
	;; [unrolled: 1-line block ×4, first 2 shown]
	v_add_co_u32 v71, s1, v75, v14
	s_delay_alu instid0(VALU_DEP_1) | instskip(SKIP_1) | instid1(VALU_DEP_1)
	v_add_co_ci_u32_e64 v72, s1, 0, v76, s1
	v_add_co_u32 v73, s1, v77, v14
	v_add_co_ci_u32_e64 v74, s1, 0, v78, s1
	v_add_co_u32 v75, s1, v79, v14
	global_load_b32 v77, v[77:78], off offset:4
	v_add_co_ci_u32_e64 v76, s1, 0, v80, s1
	s_clause 0x4
	global_load_b32 v78, v[79:80], off offset:4
	global_load_b32 v3, v[3:4], off
	global_load_b32 v4, v[81:82], off
	;; [unrolled: 1-line block ×4, first 2 shown]
	s_clause 0x2
	global_load_b32 v71, v[71:72], off offset:8
	global_load_b32 v72, v[73:74], off offset:8
	;; [unrolled: 1-line block ×3, first 2 shown]
	s_waitcnt vmcnt(35)
	v_ashrrev_i32_e32 v74, v14, v91
	s_waitcnt vmcnt(34)
	v_ashrrev_i32_e32 v75, v14, v92
	s_delay_alu instid0(VALU_DEP_1)
	v_lshlrev_b32_e32 v114, 4, v75
	v_lshlrev_b32_e32 v115, 11, v75
	v_lshrrev_b32_e32 v118, 12, v75
	v_lshrrev_b32_e32 v119, 5, v75
	s_waitcnt vmcnt(33)
	v_ashrrev_i32_e32 v76, v14, v93
	s_waitcnt vmcnt(32)
	v_ashrrev_i32_e32 v81, v14, v94
	;; [unrolled: 2-line block ×7, first 2 shown]
	v_lshlrev_b32_e32 v93, 4, v74
	v_lshlrev_b32_e32 v94, 11, v74
	s_waitcnt vmcnt(25)
	v_lshrrev_b32_e32 v97, 4, v101
	v_lshrrev_b32_e32 v98, 12, v74
	;; [unrolled: 1-line block ×3, first 2 shown]
	v_and_b32_e32 v92, 0xf0f0f0f, v101
	s_waitcnt vmcnt(24)
	v_and_b32_e32 v101, 0xf0f0f0f, v102
	v_lshrrev_b32_e32 v102, 4, v102
	v_lshlrev_b32_e32 v122, 4, v76
	v_lshlrev_b32_e32 v123, 11, v76
	s_waitcnt vmcnt(23)
	v_and_b32_e32 v121, 0xf0f0f0f, v103
	v_lshrrev_b32_e32 v103, 4, v103
	v_lshrrev_b32_e32 v126, 12, v76
	;; [unrolled: 1-line block ×3, first 2 shown]
	v_lshlrev_b32_e32 v130, 4, v81
	v_lshlrev_b32_e32 v131, 11, v81
	v_lshrrev_b32_e32 v134, 12, v81
	v_lshrrev_b32_e32 v135, 5, v81
	s_waitcnt vmcnt(21)
	v_and_b32_e32 v129, 0xf0f0f0f, v104
	v_lshrrev_b32_e32 v104, 4, v104
	v_lshlrev_b32_e32 v138, 4, v82
	v_lshlrev_b32_e32 v139, 11, v82
	v_lshrrev_b32_e32 v142, 12, v82
	v_lshrrev_b32_e32 v143, 5, v82
	v_ashrrev_i32_e32 v91, v14, v100
	v_lshlrev_b32_e32 v95, 18, v74
	v_lshlrev_b32_e32 v96, 25, v74
	s_waitcnt vmcnt(20)
	v_and_b32_e32 v137, 0xf0f0f0f, v105
	v_lshrrev_b32_e32 v105, 4, v105
	v_lshlrev_b32_e32 v100, 2, v74
	v_lshlrev_b32_e32 v74, 9, v74
	s_waitcnt vmcnt(19)
	v_and_b32_e32 v145, 0xf0f0f0f, v106
	v_lshlrev_b32_e32 v146, 4, v83
	v_lshlrev_b32_e32 v147, 11, v83
	v_lshrrev_b32_e32 v106, 4, v106
	v_lshrrev_b32_e32 v150, 12, v83
	;; [unrolled: 1-line block ×3, first 2 shown]
	v_lshlrev_b32_e32 v154, 4, v84
	s_waitcnt vmcnt(18)
	v_and_b32_e32 v153, 0xf0f0f0f, v107
	v_lshlrev_b32_e32 v155, 11, v84
	v_lshrrev_b32_e32 v107, 4, v107
	v_lshrrev_b32_e32 v158, 12, v84
	;; [unrolled: 1-line block ×3, first 2 shown]
	v_and_b32_e32 v93, 16, v93
	v_and_b32_e32 v94, 0x1000, v94
	v_and_b32_e32 v97, 0xf0f0f0f, v97
	v_and_b32_e32 v98, 16, v98
	v_and_b32_e32 v99, 0x1000, v99
	v_lshlrev_b32_e32 v116, 18, v75
	v_lshlrev_b32_e32 v117, 25, v75
	v_lshlrev_b32_e32 v120, 2, v75
	v_lshlrev_b32_e32 v75, 9, v75
	v_and_b32_e32 v114, 16, v114
	v_and_b32_e32 v115, 0x1000, v115
	v_and_b32_e32 v102, 0xf0f0f0f, v102
	v_and_b32_e32 v118, 16, v118
	v_and_b32_e32 v119, 0x1000, v119
	v_lshlrev_b32_e32 v124, 18, v76
	v_lshlrev_b32_e32 v125, 25, v76
	v_lshlrev_b32_e32 v128, 2, v76
	v_lshlrev_b32_e32 v76, 9, v76
	;; [unrolled: 9-line block ×5, first 2 shown]
	v_lshlrev_b32_e32 v156, 18, v84
	v_lshlrev_b32_e32 v157, 25, v84
	;; [unrolled: 1-line block ×4, first 2 shown]
	v_and_b32_e32 v95, 0x100000, v95
	v_and_b32_e32 v96, 0x10000000, v96
	;; [unrolled: 1-line block ×14, first 2 shown]
	v_or3_b32 v92, v93, v92, v94
	v_or3_b32 v93, v98, v97, v99
	v_and_b32_e32 v116, 0x100000, v116
	v_and_b32_e32 v117, 0x10000000, v117
	v_and_b32_e32 v120, 0x100000, v120
	v_and_b32_e32 v75, 0x10000000, v75
	v_or3_b32 v94, v114, v101, v115
	v_or3_b32 v97, v118, v102, v119
	v_and_b32_e32 v124, 0x100000, v124
	v_and_b32_e32 v125, 0x10000000, v125
	v_and_b32_e32 v128, 0x100000, v128
	v_and_b32_e32 v76, 0x10000000, v76
	;; [unrolled: 6-line block ×4, first 2 shown]
	v_or3_b32 v103, v138, v137, v139
	v_or3_b32 v104, v142, v105, v143
	s_waitcnt vmcnt(15)
	v_and_b32_e32 v169, 0xf0f0f0f, v87
	v_lshrrev_b32_e32 v87, 4, v87
	v_lshrrev_b32_e32 v174, 12, v86
	;; [unrolled: 1-line block ×3, first 2 shown]
	v_and_b32_e32 v148, 0x100000, v148
	v_and_b32_e32 v149, 0x10000000, v149
	;; [unrolled: 1-line block ×8, first 2 shown]
	v_or3_b32 v105, v146, v145, v147
	v_or3_b32 v106, v150, v106, v151
	;; [unrolled: 1-line block ×14, first 2 shown]
	v_and_b32_e32 v161, 0xf0f0f0f, v108
	v_lshlrev_b32_e32 v162, 4, v85
	v_lshlrev_b32_e32 v163, 11, v85
	v_lshrrev_b32_e32 v108, 4, v108
	v_lshrrev_b32_e32 v166, 12, v85
	;; [unrolled: 1-line block ×3, first 2 shown]
	v_lshlrev_b32_e32 v170, 4, v86
	v_lshlrev_b32_e32 v171, 11, v86
	;; [unrolled: 1-line block ×6, first 2 shown]
	v_and_b32_e32 v87, 0xf0f0f0f, v87
	v_and_b32_e32 v174, 16, v174
	;; [unrolled: 1-line block ×3, first 2 shown]
	v_or3_b32 v97, v105, v148, v149
	v_or3_b32 v83, v106, v152, v83
	;; [unrolled: 1-line block ×4, first 2 shown]
	ds_store_2addr_b32 v15, v92, v74 offset1:1
	ds_store_2addr_b32 v17, v93, v75 offset1:1
	;; [unrolled: 1-line block ×7, first 2 shown]
	v_lshlrev_b32_e32 v75, 4, v91
	v_lshlrev_b32_e32 v76, 11, v91
	;; [unrolled: 1-line block ×6, first 2 shown]
	v_and_b32_e32 v162, 16, v162
	v_and_b32_e32 v163, 0x1000, v163
	;; [unrolled: 1-line block ×5, first 2 shown]
	v_or3_b32 v74, v174, v87, v175
	v_and_b32_e32 v81, 0x100000, v176
	v_and_b32_e32 v82, 0x10000000, v86
	s_waitcnt vmcnt(14)
	v_and_b32_e32 v83, 0xf0f0f0f, v88
	v_and_b32_e32 v75, 16, v75
	;; [unrolled: 1-line block ×7, first 2 shown]
	v_or3_b32 v115, v162, v161, v163
	v_or3_b32 v108, v166, v108, v167
	;; [unrolled: 1-line block ×4, first 2 shown]
	v_lshrrev_b32_e32 v76, 4, v88
	v_lshrrev_b32_e32 v82, 12, v91
	;; [unrolled: 1-line block ×3, first 2 shown]
	v_and_b32_e32 v170, 16, v170
	v_and_b32_e32 v171, 0x1000, v171
	v_or3_b32 v99, v115, v164, v165
	v_or3_b32 v85, v108, v168, v85
	v_and_b32_e32 v76, 0xf0f0f0f, v76
	v_and_b32_e32 v82, 16, v82
	;; [unrolled: 1-line block ×3, first 2 shown]
	s_waitcnt vmcnt(13)
	v_ashrrev_i32_e32 v86, v14, v89
	v_and_b32_e32 v172, 0x100000, v172
	v_and_b32_e32 v173, 0x10000000, v173
	v_or3_b32 v118, v170, v169, v171
	ds_store_2addr_b32 v25, v99, v85 offset1:1
	v_lshlrev_b32_e32 v81, 18, v91
	v_lshlrev_b32_e32 v85, 25, v91
	v_or3_b32 v76, v82, v76, v83
	v_lshlrev_b32_e32 v82, 4, v86
	v_lshlrev_b32_e32 v83, 11, v86
	v_or3_b32 v84, v118, v172, v173
	v_and_b32_e32 v81, 0x100000, v81
	v_and_b32_e32 v85, 0x10000000, v85
	v_lshlrev_b32_e32 v87, 2, v91
	v_lshlrev_b32_e32 v88, 9, v91
	s_waitcnt vmcnt(12)
	v_and_b32_e32 v89, 0xf0f0f0f, v90
	v_and_b32_e32 v82, 16, v82
	;; [unrolled: 1-line block ×5, first 2 shown]
	ds_store_2addr_b32 v27, v84, v74 offset1:1
	v_or3_b32 v74, v75, v81, v85
	v_or3_b32 v81, v82, v89, v83
	v_lshrrev_b32_e32 v82, 4, v90
	v_lshrrev_b32_e32 v83, 12, v86
	;; [unrolled: 1-line block ×3, first 2 shown]
	v_or3_b32 v75, v76, v87, v88
	s_waitcnt vmcnt(11)
	v_ashrrev_i32_e32 v87, v14, v109
	v_and_b32_e32 v82, 0xf0f0f0f, v82
	v_and_b32_e32 v83, 16, v83
	v_and_b32_e32 v84, 0x1000, v84
	v_lshlrev_b32_e32 v76, 18, v86
	v_lshlrev_b32_e32 v85, 25, v86
	;; [unrolled: 1-line block ×4, first 2 shown]
	v_or3_b32 v82, v83, v82, v84
	v_lshlrev_b32_e32 v83, 4, v87
	v_lshlrev_b32_e32 v84, 11, v87
	v_and_b32_e32 v76, 0x100000, v76
	v_and_b32_e32 v85, 0x10000000, v85
	;; [unrolled: 1-line block ×4, first 2 shown]
	s_waitcnt vmcnt(10)
	v_and_b32_e32 v89, 0xf0f0f0f, v110
	v_and_b32_e32 v83, 16, v83
	;; [unrolled: 1-line block ×3, first 2 shown]
	ds_store_2addr_b32 v28, v74, v75 offset1:1
	v_or3_b32 v74, v81, v76, v85
	v_or3_b32 v75, v82, v88, v86
	v_lshrrev_b32_e32 v82, 4, v110
	v_or3_b32 v81, v83, v89, v84
	v_lshrrev_b32_e32 v83, 12, v87
	v_lshrrev_b32_e32 v84, 5, v87
	v_ashrrev_i32_e32 v86, v14, v111
	v_and_b32_e32 v82, 0xf0f0f0f, v82
	v_lshlrev_b32_e32 v76, 18, v87
	v_and_b32_e32 v83, 16, v83
	v_and_b32_e32 v84, 0x1000, v84
	v_lshlrev_b32_e32 v85, 25, v87
	v_lshlrev_b32_e32 v88, 2, v87
	;; [unrolled: 1-line block ×3, first 2 shown]
	v_and_b32_e32 v76, 0x100000, v76
	v_or3_b32 v82, v83, v82, v84
	v_lshlrev_b32_e32 v83, 4, v86
	v_lshlrev_b32_e32 v84, 11, v86
	v_and_b32_e32 v85, 0x10000000, v85
	v_and_b32_e32 v88, 0x100000, v88
	;; [unrolled: 1-line block ×3, first 2 shown]
	s_waitcnt vmcnt(9)
	v_and_b32_e32 v89, 0xf0f0f0f, v112
	v_and_b32_e32 v83, 16, v83
	;; [unrolled: 1-line block ×3, first 2 shown]
	ds_store_2addr_b32 v30, v74, v75 offset1:1
	v_or3_b32 v74, v81, v76, v85
	v_or3_b32 v75, v82, v88, v87
	v_lshrrev_b32_e32 v82, 4, v112
	v_or3_b32 v81, v83, v89, v84
	v_lshrrev_b32_e32 v83, 12, v86
	v_lshrrev_b32_e32 v84, 5, v86
	v_ashrrev_i32_e32 v87, v14, v113
	v_and_b32_e32 v82, 0xf0f0f0f, v82
	v_lshlrev_b32_e32 v76, 18, v86
	v_and_b32_e32 v83, 16, v83
	v_and_b32_e32 v84, 0x1000, v84
	v_lshlrev_b32_e32 v85, 25, v86
	v_lshlrev_b32_e32 v88, 2, v86
	;; [unrolled: 1-line block ×3, first 2 shown]
	v_and_b32_e32 v76, 0x100000, v76
	v_or3_b32 v82, v83, v82, v84
	v_lshlrev_b32_e32 v83, 4, v87
	v_lshlrev_b32_e32 v84, 11, v87
	v_and_b32_e32 v85, 0x10000000, v85
	v_and_b32_e32 v88, 0x100000, v88
	;; [unrolled: 1-line block ×3, first 2 shown]
	s_waitcnt vmcnt(2)
	v_and_b32_e32 v89, 0xf0f0f0f, v71
	v_and_b32_e32 v83, 16, v83
	;; [unrolled: 1-line block ×3, first 2 shown]
	v_lshlrev_b32_e32 v90, 18, v87
	v_lshlrev_b32_e32 v91, 25, v87
	v_or3_b32 v76, v81, v76, v85
	v_or3_b32 v81, v82, v88, v86
	;; [unrolled: 1-line block ×3, first 2 shown]
	v_and_b32_e32 v83, 0x100000, v90
	v_and_b32_e32 v84, 0x10000000, v91
	v_lshrrev_b32_e32 v85, 12, v87
	v_lshrrev_b32_e32 v86, 5, v87
	v_ashrrev_i32_e32 v77, v14, v77
	v_lshrrev_b32_e32 v71, 4, v71
	v_or3_b32 v82, v82, v83, v84
	v_and_b32_e32 v83, 16, v85
	v_and_b32_e32 v84, 0x1000, v86
	v_lshlrev_b32_e32 v85, 4, v77
	v_lshlrev_b32_e32 v86, 11, v77
	v_and_b32_e32 v71, 0xf0f0f0f, v71
	v_lshlrev_b32_e32 v88, 2, v87
	v_lshlrev_b32_e32 v87, 9, v87
	s_waitcnt vmcnt(1)
	v_and_b32_e32 v89, 0xf0f0f0f, v72
	v_and_b32_e32 v85, 16, v85
	;; [unrolled: 1-line block ×3, first 2 shown]
	v_lshlrev_b32_e32 v90, 18, v77
	v_ashrrev_i32_e32 v78, v14, v78
	v_or3_b32 v71, v83, v71, v84
	v_and_b32_e32 v83, 0x100000, v88
	v_and_b32_e32 v84, 0x10000000, v87
	v_or3_b32 v85, v85, v89, v86
	v_and_b32_e32 v86, 0x100000, v90
	v_lshrrev_b32_e32 v72, 4, v72
	v_lshrrev_b32_e32 v87, 12, v77
	;; [unrolled: 1-line block ×3, first 2 shown]
	v_lshlrev_b32_e32 v90, 4, v78
	v_lshlrev_b32_e32 v91, 11, v78
	v_and_b32_e32 v72, 0xf0f0f0f, v72
	v_and_b32_e32 v87, 16, v87
	;; [unrolled: 1-line block ×3, first 2 shown]
	s_waitcnt vmcnt(0)
	v_and_b32_e32 v93, 0xf0f0f0f, v73
	v_and_b32_e32 v90, 16, v90
	;; [unrolled: 1-line block ×3, first 2 shown]
	v_lshlrev_b32_e32 v92, 2, v77
	v_or3_b32 v72, v87, v72, v88
	v_lshrrev_b32_e32 v73, 4, v73
	v_lshlrev_b32_e32 v89, 25, v77
	v_or3_b32 v88, v90, v93, v91
	v_lshrrev_b32_e32 v90, 12, v78
	v_lshrrev_b32_e32 v91, 5, v78
	v_lshlrev_b32_e32 v77, 9, v77
	v_and_b32_e32 v87, 0x100000, v92
	v_lshlrev_b32_e32 v92, 18, v78
	v_lshlrev_b32_e32 v93, 25, v78
	v_and_b32_e32 v73, 0xf0f0f0f, v73
	v_and_b32_e32 v90, 16, v90
	;; [unrolled: 1-line block ×3, first 2 shown]
	v_lshlrev_b32_e32 v94, 2, v78
	v_lshlrev_b32_e32 v78, 9, v78
	v_and_b32_e32 v89, 0x10000000, v89
	v_and_b32_e32 v77, 0x10000000, v77
	;; [unrolled: 1-line block ×4, first 2 shown]
	v_or3_b32 v73, v90, v73, v91
	v_and_b32_e32 v90, 0x100000, v94
	v_and_b32_e32 v78, 0x10000000, v78
	v_or3_b32 v71, v71, v83, v84
	v_or3_b32 v83, v85, v86, v89
	v_or3_b32 v72, v72, v87, v77
	v_or3_b32 v77, v88, v92, v93
	v_or3_b32 v73, v73, v90, v78
	ds_store_2addr_b32 v31, v74, v75 offset1:1
	ds_store_2addr_b32 v32, v76, v81 offset1:1
	;; [unrolled: 1-line block ×5, first 2 shown]
	ds_store_b32 v67, v3
	ds_store_b32 v68, v4
	ds_store_b32 v69, v79
	ds_store_b32 v70, v80
	s_cbranch_scc0 .LBB223_4
; %bb.6:                                ;   in Loop: Header=BB223_5 Depth=1
	v_add_nc_u32_e32 v3, s17, v12
	s_delay_alu instid0(VALU_DEP_1) | instskip(NEXT) | instid1(VALU_DEP_1)
	v_cmp_gt_i32_e64 s1, s10, v3
	s_and_b32 s15, s0, s1
	s_delay_alu instid0(SALU_CYCLE_1)
	s_and_saveexec_b32 s1, s15
	s_cbranch_execz .LBB223_8
; %bb.7:                                ;   in Loop: Header=BB223_5 Depth=1
	v_add_nc_u32_e32 v71, v54, v3
	s_delay_alu instid0(VALU_DEP_1)
	v_mad_i64_i32 v[3:4], null, v71, 36, v[0:1]
	global_load_b32 v3, v[3:4], off offset:4
	s_waitcnt vmcnt(0)
	ds_store_b32 v50, v3
.LBB223_8:                              ;   in Loop: Header=BB223_5 Depth=1
	s_or_b32 exec_lo, exec_lo, s1
	s_and_saveexec_b32 s15, vcc_lo
	s_cbranch_execz .LBB223_11
; %bb.9:                                ;   in Loop: Header=BB223_5 Depth=1
	v_or_b32_e32 v3, s17, v6
	s_delay_alu instid0(VALU_DEP_1) | instskip(NEXT) | instid1(VALU_DEP_1)
	v_cmp_gt_i32_e64 s1, s10, v3
	s_and_b32 s1, s0, s1
	s_delay_alu instid0(SALU_CYCLE_1)
	s_and_b32 exec_lo, exec_lo, s1
	s_cbranch_execz .LBB223_11
; %bb.10:                               ;   in Loop: Header=BB223_5 Depth=1
	v_add_nc_u32_e32 v71, v54, v3
	s_delay_alu instid0(VALU_DEP_1)
	v_mad_i64_i32 v[3:4], null, v71, 36, s[2:3]
	global_load_b32 v3, v[3:4], off
	s_waitcnt vmcnt(0)
	ds_store_b32 v51, v3
.LBB223_11:                             ;   in Loop: Header=BB223_5 Depth=1
	s_or_b32 exec_lo, exec_lo, s15
	v_dual_mov_b32 v3, v61 :: v_dual_mov_b32 v4, v60
	v_dual_mov_b32 v71, v52 :: v_dual_mov_b32 v72, v59
	;; [unrolled: 1-line block ×3, first 2 shown]
	v_mov_b32_e32 v75, v56
	s_mov_b32 s1, -4
	s_waitcnt lgkmcnt(0)
	s_barrier
	buffer_gl0_inv
.LBB223_12:                             ;   Parent Loop BB223_5 Depth=1
                                        ; =>  This Inner Loop Header: Depth=2
	v_add_nc_u32_e32 v92, 0x2080, v71
	v_add_nc_u32_e32 v94, 0x4100, v71
	;; [unrolled: 1-line block ×3, first 2 shown]
	ds_load_b128 v[76:79], v4
	ds_load_b32 v116, v3
	ds_load_b128 v[80:83], v4 offset:16
	ds_load_2addr_b32 v[84:85], v71 offset1:1
	ds_load_2addr_b32 v[86:87], v71 offset0:2 offset1:3
	ds_load_2addr_b32 v[88:89], v71 offset0:4 offset1:5
	ds_load_b32 v117, v72
	ds_load_2addr_b32 v[90:91], v71 offset0:6 offset1:7
	ds_load_b32 v118, v73
	ds_load_2addr_b32 v[92:93], v92 offset1:1
	ds_load_2addr_b32 v[94:95], v94 offset1:1
	;; [unrolled: 1-line block ×3, first 2 shown]
	ds_load_b32 v119, v74
	ds_load_b32 v120, v75
	v_add_nc_u32_e32 v98, 0x2088, v71
	v_add_nc_u32_e32 v100, 0x4108, v71
	;; [unrolled: 1-line block ×9, first 2 shown]
	ds_load_2addr_b32 v[98:99], v98 offset1:1
	ds_load_2addr_b32 v[100:101], v100 offset1:1
	;; [unrolled: 1-line block ×9, first 2 shown]
	v_add_nc_u32_e32 v74, 4, v74
	v_add_nc_u32_e32 v72, 4, v72
	;; [unrolled: 1-line block ×4, first 2 shown]
	s_waitcnt lgkmcnt(19)
	v_dot4_i32_iu8 v84, v84, v76, 0 neg_lo:[1,1,0]
	s_waitcnt lgkmcnt(13)
	v_dot4_i32_iu8 v92, v92, v76, 0 neg_lo:[1,1,0]
	;; [unrolled: 2-line block ×4, first 2 shown]
	s_add_i32 s1, s1, 4
	v_dot4_i32_iu8 v84, v85, v80, v84 neg_lo:[1,1,0]
	v_dot4_i32_iu8 v85, v93, v80, v92 neg_lo:[1,1,0]
	;; [unrolled: 1-line block ×4, first 2 shown]
	s_cmp_lt_u32 s1, 12
	v_dot4_i32_iu8 v80, v86, v77, v84 neg_lo:[1,1,0]
	s_waitcnt lgkmcnt(8)
	v_dot4_i32_iu8 v84, v98, v77, v85 neg_lo:[1,1,0]
	s_waitcnt lgkmcnt(7)
	;; [unrolled: 2-line block ×3, first 2 shown]
	v_dot4_i32_iu8 v76, v102, v77, v76 neg_lo:[1,1,0]
	v_dot4_i32_iu8 v77, v87, v81, v80 neg_lo:[1,1,0]
	;; [unrolled: 1-line block ×4, first 2 shown]
	s_delay_alu instid0(VALU_DEP_4) | instskip(NEXT) | instid1(VALU_DEP_4)
	v_dot4_i32_iu8 v76, v103, v81, v76 neg_lo:[1,1,0]
	v_dot4_i32_iu8 v77, v88, v78, v77 neg_lo:[1,1,0]
	s_waitcnt lgkmcnt(5)
	v_dot4_i32_iu8 v80, v104, v78, v80 neg_lo:[1,1,0]
	s_waitcnt lgkmcnt(3)
	;; [unrolled: 2-line block ×3, first 2 shown]
	v_dot4_i32_iu8 v76, v112, v78, v76 neg_lo:[1,1,0]
	v_pk_mul_f16 v78, v116, v117
	v_dot4_i32_iu8 v77, v89, v82, v77 neg_lo:[1,1,0]
	v_dot4_i32_iu8 v80, v105, v82, v80 neg_lo:[1,1,0]
	;; [unrolled: 1-line block ×4, first 2 shown]
	v_pk_mul_f16 v82, v116, v118
	v_dot4_i32_iu8 v77, v90, v79, v77 neg_lo:[1,1,0]
	v_dot4_i32_iu8 v80, v106, v79, v80 neg_lo:[1,1,0]
	;; [unrolled: 1-line block ×3, first 2 shown]
	s_waitcnt lgkmcnt(0)
	v_dot4_i32_iu8 v76, v114, v79, v76 neg_lo:[1,1,0]
	v_pk_mul_f16 v79, v116, v119
	v_dot4_i32_iu8 v77, v91, v83, v77 neg_lo:[1,1,0]
	v_dot4_i32_iu8 v80, v107, v83, v80 neg_lo:[1,1,0]
	;; [unrolled: 1-line block ×4, first 2 shown]
	v_pk_mul_f16 v83, v116, v120
	v_cvt_f32_i32_e32 v77, v77
	v_cvt_f32_i32_e32 v80, v80
	;; [unrolled: 1-line block ×4, first 2 shown]
	s_delay_alu instid0(VALU_DEP_4) | instskip(NEXT) | instid1(VALU_DEP_4)
	v_fma_mix_f32 v77, v78, v77, v78 op_sel:[0,0,1] op_sel_hi:[1,0,1]
	v_fma_mix_f32 v78, v82, v80, v82 op_sel:[0,0,1] op_sel_hi:[1,0,1]
	s_delay_alu instid0(VALU_DEP_4) | instskip(NEXT) | instid1(VALU_DEP_4)
	v_fma_mix_f32 v79, v79, v81, v79 op_sel:[0,0,1] op_sel_hi:[1,0,1]
	v_fma_mix_f32 v76, v83, v76, v83 op_sel:[0,0,1] op_sel_hi:[1,0,1]
	v_add_nc_u32_e32 v75, 4, v75
	v_add_nc_u32_e32 v73, 4, v73
	;; [unrolled: 1-line block ×3, first 2 shown]
	s_delay_alu instid0(VALU_DEP_4)
	v_dual_add_f32 v7, v7, v77 :: v_dual_add_f32 v2, v2, v76
	v_add_f32_e32 v46, v46, v78
	v_add_f32_e32 v36, v36, v79
	s_cbranch_scc1 .LBB223_12
; %bb.13:                               ;   in Loop: Header=BB223_5 Depth=1
	s_bitset1_b32 s14, 7
	s_delay_alu instid0(SALU_CYCLE_1)
	s_cmp_ge_i32 s14, s11
	s_barrier
	buffer_gl0_inv
	s_cbranch_scc1 .LBB223_4
; %bb.14:                               ;   in Loop: Header=BB223_5 Depth=1
	v_add_nc_u32_e32 v3, s17, v53
	s_delay_alu instid0(VALU_DEP_1) | instskip(NEXT) | instid1(VALU_DEP_1)
	v_cmp_gt_i32_e64 s1, s10, v3
	s_and_b32 s14, s0, s1
	s_delay_alu instid0(SALU_CYCLE_1)
	s_and_saveexec_b32 s1, s14
	s_cbranch_execz .LBB223_16
; %bb.15:                               ;   in Loop: Header=BB223_5 Depth=1
	v_add_nc_u32_e32 v71, v54, v3
	s_delay_alu instid0(VALU_DEP_1)
	v_mad_i64_i32 v[3:4], null, v71, 36, v[0:1]
	global_load_b32 v3, v[3:4], off offset:4
	s_waitcnt vmcnt(0)
	ds_store_b32 v50, v3
.LBB223_16:                             ;   in Loop: Header=BB223_5 Depth=1
	s_or_b32 exec_lo, exec_lo, s1
	s_and_saveexec_b32 s14, vcc_lo
	s_cbranch_execz .LBB223_19
; %bb.17:                               ;   in Loop: Header=BB223_5 Depth=1
	v_or_b32_e32 v3, s17, v6
	s_delay_alu instid0(VALU_DEP_1) | instskip(NEXT) | instid1(VALU_DEP_1)
	v_or_b32_e32 v4, 4, v3
	v_cmp_gt_i32_e64 s1, s10, v4
	s_delay_alu instid0(VALU_DEP_1) | instskip(NEXT) | instid1(SALU_CYCLE_1)
	s_and_b32 s1, s0, s1
	s_and_b32 exec_lo, exec_lo, s1
	s_cbranch_execz .LBB223_19
; %bb.18:                               ;   in Loop: Header=BB223_5 Depth=1
	v_ashrrev_i32_e32 v4, 31, v3
	v_add_co_u32 v71, s1, v54, v3
	s_delay_alu instid0(VALU_DEP_1) | instskip(NEXT) | instid1(VALU_DEP_2)
	v_add_co_ci_u32_e64 v72, s1, v55, v4, s1
	v_mad_u64_u32 v[3:4], null, v71, 36, s[12:13]
	s_delay_alu instid0(VALU_DEP_1)
	v_mad_i32_i24 v4, v72, 36, v4
	global_load_b32 v3, v[3:4], off
	s_waitcnt vmcnt(0)
	ds_store_b32 v51, v3
.LBB223_19:                             ;   in Loop: Header=BB223_5 Depth=1
	s_or_b32 exec_lo, exec_lo, s14
	v_dual_mov_b32 v3, v61 :: v_dual_mov_b32 v4, v60
	v_dual_mov_b32 v71, v66 :: v_dual_mov_b32 v72, v65
	;; [unrolled: 1-line block ×3, first 2 shown]
	v_mov_b32_e32 v75, v62
	s_mov_b32 s1, 12
	s_waitcnt lgkmcnt(0)
	s_barrier
	buffer_gl0_inv
.LBB223_20:                             ;   Parent Loop BB223_5 Depth=1
                                        ; =>  This Inner Loop Header: Depth=2
	v_add_nc_u32_e32 v92, 0x2080, v71
	v_add_nc_u32_e32 v94, 0x4100, v71
	;; [unrolled: 1-line block ×3, first 2 shown]
	ds_load_b128 v[76:79], v4
	ds_load_b32 v116, v3
	ds_load_b128 v[80:83], v4 offset:16
	ds_load_2addr_b32 v[84:85], v71 offset1:1
	ds_load_2addr_b32 v[86:87], v71 offset0:2 offset1:3
	ds_load_2addr_b32 v[88:89], v71 offset0:4 offset1:5
	ds_load_b32 v117, v72
	ds_load_2addr_b32 v[90:91], v71 offset0:6 offset1:7
	ds_load_b32 v118, v73
	ds_load_2addr_b32 v[92:93], v92 offset1:1
	ds_load_2addr_b32 v[94:95], v94 offset1:1
	ds_load_2addr_b32 v[96:97], v96 offset1:1
	ds_load_b32 v119, v74
	ds_load_b32 v120, v75
	v_add_nc_u32_e32 v98, 0x2088, v71
	v_add_nc_u32_e32 v100, 0x4108, v71
	;; [unrolled: 1-line block ×9, first 2 shown]
	ds_load_2addr_b32 v[98:99], v98 offset1:1
	ds_load_2addr_b32 v[100:101], v100 offset1:1
	;; [unrolled: 1-line block ×9, first 2 shown]
	v_add_nc_u32_e32 v74, 4, v74
	v_add_nc_u32_e32 v72, 4, v72
	v_add_nc_u32_e32 v4, 32, v4
	v_add_nc_u32_e32 v3, 4, v3
	s_waitcnt lgkmcnt(19)
	v_dot4_i32_iu8 v84, v84, v76, 0 neg_lo:[1,1,0]
	s_waitcnt lgkmcnt(13)
	v_dot4_i32_iu8 v92, v92, v76, 0 neg_lo:[1,1,0]
	s_waitcnt lgkmcnt(12)
	v_dot4_i32_iu8 v94, v94, v76, 0 neg_lo:[1,1,0]
	s_waitcnt lgkmcnt(11)
	v_dot4_i32_iu8 v76, v96, v76, 0 neg_lo:[1,1,0]
	s_add_i32 s1, s1, 4
	v_dot4_i32_iu8 v84, v85, v80, v84 neg_lo:[1,1,0]
	v_dot4_i32_iu8 v85, v93, v80, v92 neg_lo:[1,1,0]
	;; [unrolled: 1-line block ×4, first 2 shown]
	s_cmp_lt_u32 s1, 28
	v_dot4_i32_iu8 v80, v86, v77, v84 neg_lo:[1,1,0]
	s_waitcnt lgkmcnt(8)
	v_dot4_i32_iu8 v84, v98, v77, v85 neg_lo:[1,1,0]
	s_waitcnt lgkmcnt(7)
	;; [unrolled: 2-line block ×3, first 2 shown]
	v_dot4_i32_iu8 v76, v102, v77, v76 neg_lo:[1,1,0]
	v_dot4_i32_iu8 v77, v87, v81, v80 neg_lo:[1,1,0]
	;; [unrolled: 1-line block ×4, first 2 shown]
	s_delay_alu instid0(VALU_DEP_4) | instskip(NEXT) | instid1(VALU_DEP_4)
	v_dot4_i32_iu8 v76, v103, v81, v76 neg_lo:[1,1,0]
	v_dot4_i32_iu8 v77, v88, v78, v77 neg_lo:[1,1,0]
	s_waitcnt lgkmcnt(5)
	v_dot4_i32_iu8 v80, v104, v78, v80 neg_lo:[1,1,0]
	s_waitcnt lgkmcnt(3)
	;; [unrolled: 2-line block ×3, first 2 shown]
	v_dot4_i32_iu8 v76, v112, v78, v76 neg_lo:[1,1,0]
	v_pk_mul_f16 v78, v116, v117
	v_dot4_i32_iu8 v77, v89, v82, v77 neg_lo:[1,1,0]
	v_dot4_i32_iu8 v80, v105, v82, v80 neg_lo:[1,1,0]
	;; [unrolled: 1-line block ×4, first 2 shown]
	v_pk_mul_f16 v82, v116, v118
	v_dot4_i32_iu8 v77, v90, v79, v77 neg_lo:[1,1,0]
	v_dot4_i32_iu8 v80, v106, v79, v80 neg_lo:[1,1,0]
	;; [unrolled: 1-line block ×3, first 2 shown]
	s_waitcnt lgkmcnt(0)
	v_dot4_i32_iu8 v76, v114, v79, v76 neg_lo:[1,1,0]
	v_pk_mul_f16 v79, v116, v119
	v_dot4_i32_iu8 v77, v91, v83, v77 neg_lo:[1,1,0]
	v_dot4_i32_iu8 v80, v107, v83, v80 neg_lo:[1,1,0]
	;; [unrolled: 1-line block ×4, first 2 shown]
	v_pk_mul_f16 v83, v116, v120
	v_cvt_f32_i32_e32 v77, v77
	v_cvt_f32_i32_e32 v80, v80
	;; [unrolled: 1-line block ×4, first 2 shown]
	s_delay_alu instid0(VALU_DEP_4) | instskip(NEXT) | instid1(VALU_DEP_4)
	v_fma_mix_f32 v77, v78, v77, v78 op_sel:[0,0,1] op_sel_hi:[1,0,1]
	v_fma_mix_f32 v78, v82, v80, v82 op_sel:[0,0,1] op_sel_hi:[1,0,1]
	s_delay_alu instid0(VALU_DEP_4) | instskip(NEXT) | instid1(VALU_DEP_4)
	v_fma_mix_f32 v79, v79, v81, v79 op_sel:[0,0,1] op_sel_hi:[1,0,1]
	v_fma_mix_f32 v76, v83, v76, v83 op_sel:[0,0,1] op_sel_hi:[1,0,1]
	v_add_nc_u32_e32 v75, 4, v75
	v_add_nc_u32_e32 v73, 4, v73
	;; [unrolled: 1-line block ×3, first 2 shown]
	s_delay_alu instid0(VALU_DEP_4)
	v_dual_add_f32 v7, v7, v77 :: v_dual_add_f32 v2, v2, v76
	v_add_f32_e32 v46, v46, v78
	v_add_f32_e32 v36, v36, v79
	s_cbranch_scc1 .LBB223_20
; %bb.21:                               ;   in Loop: Header=BB223_5 Depth=1
	s_barrier
	buffer_gl0_inv
	s_branch .LBB223_4
.LBB223_22:
	s_mul_i32 s0, s7, s4
	s_waitcnt vmcnt(0)
	v_cmp_gt_i32_e32 vcc_lo, s0, v5
	s_and_saveexec_b32 s0, vcc_lo
	s_cbranch_execz .LBB223_31
; %bb.23:
	v_mul_lo_u32 v0, v5, s6
	v_add_nc_u32_e32 v1, s16, v6
	s_mov_b32 s0, exec_lo
	s_delay_alu instid0(VALU_DEP_1)
	v_cmpx_gt_u32_e64 s6, v1
	s_cbranch_execz .LBB223_25
; %bb.24:
	v_bfe_u32 v4, v7, 16, 1
	s_delay_alu instid0(VALU_DEP_4) | instskip(SKIP_1) | instid1(VALU_DEP_3)
	v_add_nc_u32_e32 v3, v0, v1
	v_cmp_o_f32_e32 vcc_lo, v7, v7
	v_add3_u32 v5, v7, v4, 0x7fff
	v_mov_b32_e32 v4, 0
	s_delay_alu instid0(VALU_DEP_2) | instskip(NEXT) | instid1(VALU_DEP_2)
	v_lshrrev_b32_e32 v5, 16, v5
	v_lshlrev_b64 v[3:4], 1, v[3:4]
	s_delay_alu instid0(VALU_DEP_2) | instskip(NEXT) | instid1(VALU_DEP_2)
	v_cndmask_b32_e32 v5, 0x7fc0, v5, vcc_lo
	v_add_co_u32 v3, vcc_lo, s8, v3
	s_delay_alu instid0(VALU_DEP_3)
	v_add_co_ci_u32_e32 v4, vcc_lo, s9, v4, vcc_lo
	global_store_b16 v[3:4], v5, off
.LBB223_25:
	s_or_b32 exec_lo, exec_lo, s0
	v_add_nc_u32_e32 v3, 32, v1
	s_mov_b32 s0, exec_lo
	s_delay_alu instid0(VALU_DEP_1)
	v_cmpx_gt_u32_e64 s6, v3
	s_cbranch_execz .LBB223_27
; %bb.26:
	v_bfe_u32 v4, v46, 16, 1
	v_add_nc_u32_e32 v3, v0, v3
	v_cmp_o_f32_e32 vcc_lo, v46, v46
	s_delay_alu instid0(VALU_DEP_3) | instskip(SKIP_1) | instid1(VALU_DEP_2)
	v_add3_u32 v5, v46, v4, 0x7fff
	v_mov_b32_e32 v4, 0
	v_lshrrev_b32_e32 v5, 16, v5
	s_delay_alu instid0(VALU_DEP_2) | instskip(NEXT) | instid1(VALU_DEP_2)
	v_lshlrev_b64 v[3:4], 1, v[3:4]
	v_cndmask_b32_e32 v5, 0x7fc0, v5, vcc_lo
	s_delay_alu instid0(VALU_DEP_2) | instskip(NEXT) | instid1(VALU_DEP_3)
	v_add_co_u32 v3, vcc_lo, s8, v3
	v_add_co_ci_u32_e32 v4, vcc_lo, s9, v4, vcc_lo
	global_store_b16 v[3:4], v5, off
.LBB223_27:
	s_or_b32 exec_lo, exec_lo, s0
	v_add_nc_u32_e32 v3, 64, v1
	s_mov_b32 s0, exec_lo
	s_delay_alu instid0(VALU_DEP_1)
	v_cmpx_gt_u32_e64 s6, v3
	s_cbranch_execz .LBB223_29
; %bb.28:
	v_bfe_u32 v4, v36, 16, 1
	v_add_nc_u32_e32 v3, v0, v3
	v_cmp_o_f32_e32 vcc_lo, v36, v36
	s_delay_alu instid0(VALU_DEP_3) | instskip(SKIP_1) | instid1(VALU_DEP_2)
	v_add3_u32 v5, v36, v4, 0x7fff
	v_mov_b32_e32 v4, 0
	v_lshrrev_b32_e32 v5, 16, v5
	s_delay_alu instid0(VALU_DEP_2) | instskip(NEXT) | instid1(VALU_DEP_2)
	v_lshlrev_b64 v[3:4], 1, v[3:4]
	v_cndmask_b32_e32 v5, 0x7fc0, v5, vcc_lo
	s_delay_alu instid0(VALU_DEP_2) | instskip(NEXT) | instid1(VALU_DEP_3)
	v_add_co_u32 v3, vcc_lo, s8, v3
	v_add_co_ci_u32_e32 v4, vcc_lo, s9, v4, vcc_lo
	global_store_b16 v[3:4], v5, off
.LBB223_29:
	s_or_b32 exec_lo, exec_lo, s0
	v_add_nc_u32_e32 v1, 0x60, v1
	s_delay_alu instid0(VALU_DEP_1)
	v_cmp_gt_u32_e32 vcc_lo, s6, v1
	s_and_b32 exec_lo, exec_lo, vcc_lo
	s_cbranch_execz .LBB223_31
; %bb.30:
	v_bfe_u32 v3, v2, 16, 1
	v_dual_mov_b32 v1, 0 :: v_dual_add_nc_u32 v0, v0, v1
	v_cmp_o_f32_e32 vcc_lo, v2, v2
	s_delay_alu instid0(VALU_DEP_3) | instskip(NEXT) | instid1(VALU_DEP_3)
	v_add3_u32 v3, v2, v3, 0x7fff
	v_lshlrev_b64 v[0:1], 1, v[0:1]
	s_delay_alu instid0(VALU_DEP_2) | instskip(NEXT) | instid1(VALU_DEP_1)
	v_lshrrev_b32_e32 v3, 16, v3
	v_cndmask_b32_e32 v2, 0x7fc0, v3, vcc_lo
	s_delay_alu instid0(VALU_DEP_3) | instskip(NEXT) | instid1(VALU_DEP_4)
	v_add_co_u32 v0, vcc_lo, s8, v0
	v_add_co_ci_u32_e32 v1, vcc_lo, s9, v1, vcc_lo
	global_store_b16 v[0:1], v2, off
.LBB223_31:
	s_nop 0
	s_sendmsg sendmsg(MSG_DEALLOC_VGPRS)
	s_endpgm
	.section	.rodata,"a",@progbits
	.p2align	6, 0x0
	.amdhsa_kernel _ZL8moe_q5_1IN3c108BFloat16ELb0EEvPKvS3_PT_PKiS7_S7_iiiiiii
		.amdhsa_group_segment_fixed_size 38656
		.amdhsa_private_segment_fixed_size 0
		.amdhsa_kernarg_size 76
		.amdhsa_user_sgpr_count 14
		.amdhsa_user_sgpr_dispatch_ptr 0
		.amdhsa_user_sgpr_queue_ptr 0
		.amdhsa_user_sgpr_kernarg_segment_ptr 1
		.amdhsa_user_sgpr_dispatch_id 0
		.amdhsa_user_sgpr_private_segment_size 0
		.amdhsa_wavefront_size32 1
		.amdhsa_uses_dynamic_stack 0
		.amdhsa_enable_private_segment 0
		.amdhsa_system_sgpr_workgroup_id_x 1
		.amdhsa_system_sgpr_workgroup_id_y 1
		.amdhsa_system_sgpr_workgroup_id_z 0
		.amdhsa_system_sgpr_workgroup_info 0
		.amdhsa_system_vgpr_workitem_id 1
		.amdhsa_next_free_vgpr 177
		.amdhsa_next_free_sgpr 20
		.amdhsa_reserve_vcc 1
		.amdhsa_float_round_mode_32 0
		.amdhsa_float_round_mode_16_64 0
		.amdhsa_float_denorm_mode_32 3
		.amdhsa_float_denorm_mode_16_64 3
		.amdhsa_dx10_clamp 1
		.amdhsa_ieee_mode 1
		.amdhsa_fp16_overflow 0
		.amdhsa_workgroup_processor_mode 1
		.amdhsa_memory_ordered 1
		.amdhsa_forward_progress 0
		.amdhsa_shared_vgpr_count 0
		.amdhsa_exception_fp_ieee_invalid_op 0
		.amdhsa_exception_fp_denorm_src 0
		.amdhsa_exception_fp_ieee_div_zero 0
		.amdhsa_exception_fp_ieee_overflow 0
		.amdhsa_exception_fp_ieee_underflow 0
		.amdhsa_exception_fp_ieee_inexact 0
		.amdhsa_exception_int_div_zero 0
	.end_amdhsa_kernel
	.section	.text._ZL8moe_q5_1IN3c108BFloat16ELb0EEvPKvS3_PT_PKiS7_S7_iiiiiii,"axG",@progbits,_ZL8moe_q5_1IN3c108BFloat16ELb0EEvPKvS3_PT_PKiS7_S7_iiiiiii,comdat
.Lfunc_end223:
	.size	_ZL8moe_q5_1IN3c108BFloat16ELb0EEvPKvS3_PT_PKiS7_S7_iiiiiii, .Lfunc_end223-_ZL8moe_q5_1IN3c108BFloat16ELb0EEvPKvS3_PT_PKiS7_S7_iiiiiii
                                        ; -- End function
	.section	.AMDGPU.csdata,"",@progbits
; Kernel info:
; codeLenInByte = 6980
; NumSgprs: 22
; NumVgprs: 177
; ScratchSize: 0
; MemoryBound: 0
; FloatMode: 240
; IeeeMode: 1
; LDSByteSize: 38656 bytes/workgroup (compile time only)
; SGPRBlocks: 2
; VGPRBlocks: 22
; NumSGPRsForWavesPerEU: 22
; NumVGPRsForWavesPerEU: 177
; Occupancy: 6
; WaveLimiterHint : 1
; COMPUTE_PGM_RSRC2:SCRATCH_EN: 0
; COMPUTE_PGM_RSRC2:USER_SGPR: 14
; COMPUTE_PGM_RSRC2:TRAP_HANDLER: 0
; COMPUTE_PGM_RSRC2:TGID_X_EN: 1
; COMPUTE_PGM_RSRC2:TGID_Y_EN: 1
; COMPUTE_PGM_RSRC2:TGID_Z_EN: 0
; COMPUTE_PGM_RSRC2:TIDIG_COMP_CNT: 1
	.section	.text._ZL8moe_q5_1IN3c108BFloat16ELb1EEvPKvS3_PT_PKiS7_S7_iiiiiii,"axG",@progbits,_ZL8moe_q5_1IN3c108BFloat16ELb1EEvPKvS3_PT_PKiS7_S7_iiiiiii,comdat
	.globl	_ZL8moe_q5_1IN3c108BFloat16ELb1EEvPKvS3_PT_PKiS7_S7_iiiiiii ; -- Begin function _ZL8moe_q5_1IN3c108BFloat16ELb1EEvPKvS3_PT_PKiS7_S7_iiiiiii
	.p2align	8
	.type	_ZL8moe_q5_1IN3c108BFloat16ELb1EEvPKvS3_PT_PKiS7_S7_iiiiiii,@function
_ZL8moe_q5_1IN3c108BFloat16ELb1EEvPKvS3_PT_PKiS7_S7_iiiiiii: ; @_ZL8moe_q5_1IN3c108BFloat16ELb1EEvPKvS3_PT_PKiS7_S7_iiiiiii
; %bb.0:
	s_load_b128 s[4:7], s[0:1], 0x18
	s_mov_b32 s2, s15
	s_mov_b32 s3, 0
	s_delay_alu instid0(SALU_CYCLE_1)
	s_lshl_b64 s[8:9], s[2:3], 2
	s_waitcnt lgkmcnt(0)
	s_add_u32 s6, s6, s8
	s_addc_u32 s7, s7, s9
	s_load_b32 s15, s[6:7], 0x0
	s_waitcnt lgkmcnt(0)
	s_cmpk_gt_u32 s15, 0xff
	s_cbranch_scc1 .LBB224_31
; %bb.1:
	s_load_b64 s[6:7], s[0:1], 0x28
	s_lshl_b32 s2, s2, 3
	s_waitcnt lgkmcnt(0)
	s_load_b32 s3, s[6:7], 0x0
	s_waitcnt lgkmcnt(0)
	s_cmp_gt_u32 s2, s3
	s_cbranch_scc1 .LBB224_31
; %bb.2:
	v_bfe_u32 v19, v0, 10, 10
	v_mov_b32_e32 v12, 0
	s_mov_b32 s18, 0
	s_delay_alu instid0(VALU_DEP_2) | instskip(NEXT) | instid1(VALU_DEP_2)
	v_add_nc_u32_e32 v11, s2, v19
	v_dual_mov_b32 v45, v12 :: v_dual_and_b32 v22, 0x3ff, v0
	v_mov_b32_e32 v48, v12
	v_mov_b32_e32 v23, v12
	s_delay_alu instid0(VALU_DEP_4) | instskip(NEXT) | instid1(VALU_DEP_1)
	v_lshlrev_b64 v[1:2], 2, v[11:12]
	v_add_co_u32 v1, vcc_lo, s4, v1
	s_delay_alu instid0(VALU_DEP_2)
	v_add_co_ci_u32_e32 v2, vcc_lo, s5, v2, vcc_lo
	global_load_b32 v21, v[1:2], off
	s_clause 0x1
	s_load_b256 s[4:11], s[0:1], 0x30
	s_load_b64 s[12:13], s[0:1], 0x10
	s_waitcnt lgkmcnt(0)
	s_lshl_b32 s11, s14, 7
	s_cmp_lt_i32 s5, 32
	s_cbranch_scc1 .LBB224_22
; %bb.3:
	s_load_b128 s[0:3], s[0:1], 0x0
	s_ashr_i32 s14, s5, 31
	s_mul_i32 s15, s15, s4
	s_lshr_b32 s4, s14, 27
	s_ashr_i32 s16, s8, 31
	s_add_i32 s4, s5, s4
	s_lshr_b32 s14, s16, 27
	s_ashr_i32 s4, s4, 5
	s_add_i32 s8, s8, s14
	s_mul_i32 s14, s4, s11
	s_ashr_i32 s16, s15, 31
	s_ashr_i32 s8, s8, 5
	s_mul_hi_i32 s17, s14, 24
	s_mul_i32 s14, s14, 24
	v_add_nc_u32_e32 v0, 8, v19
	v_add_nc_u32_e32 v3, 16, v19
	v_lshlrev_b32_e32 v18, 3, v22
	v_add_nc_u32_e32 v4, 24, v19
	v_add_nc_u32_e32 v8, 48, v19
	;; [unrolled: 1-line block ×3, first 2 shown]
	s_waitcnt lgkmcnt(0)
	s_add_u32 s0, s0, s15
	s_addc_u32 s1, s1, s16
	s_add_u32 s19, s0, s14
	s_addc_u32 s20, s1, s17
	s_not_b32 s0, s11
	v_add_nc_u32_e32 v14, 0x60, v19
	s_add_i32 s0, s0, s6
	s_abs_i32 s1, s10
	v_min_i32_e32 v2, s0, v19
	v_min_i32_e32 v5, s0, v0
	;; [unrolled: 1-line block ×5, first 2 shown]
	v_mad_u64_u32 v[0:1], null, 0x104, v2, v[18:19]
	v_mul_lo_u32 v26, v2, s4
	v_mul_lo_u32 v27, v5, s4
	v_mad_u64_u32 v[1:2], null, 0x104, v5, v[18:19]
	v_min_i32_e32 v5, s0, v4
	v_add_nc_u32_e32 v4, 32, v19
	v_mul_lo_u32 v28, v6, s4
	v_mad_u64_u32 v[2:3], null, 0x104, v6, v[18:19]
	v_add_nc_u32_e32 v6, 40, v19
	s_delay_alu instid0(VALU_DEP_4) | instskip(SKIP_2) | instid1(VALU_DEP_4)
	v_min_i32_e32 v7, s0, v4
	v_mad_u64_u32 v[3:4], null, 0x104, v5, v[18:19]
	v_mul_lo_u32 v29, v5, s4
	v_min_i32_e32 v9, s0, v6
	s_delay_alu instid0(VALU_DEP_4) | instskip(SKIP_2) | instid1(VALU_DEP_4)
	v_mul_lo_u32 v30, v7, s4
	v_mad_u64_u32 v[4:5], null, 0x104, v7, v[18:19]
	v_add_nc_u32_e32 v7, 56, v19
	v_mul_lo_u32 v31, v9, s4
	v_mad_u64_u32 v[5:6], null, 0x104, v9, v[18:19]
	v_add_nc_u32_e32 v9, 64, v19
	s_delay_alu instid0(VALU_DEP_4) | instskip(SKIP_2) | instid1(VALU_DEP_4)
	v_min_i32_e32 v10, s0, v7
	v_mad_u64_u32 v[6:7], null, 0x104, v8, v[18:19]
	v_mul_lo_u32 v32, v8, s4
	v_min_i32_e32 v12, s0, v9
	s_delay_alu instid0(VALU_DEP_4) | instskip(SKIP_2) | instid1(VALU_DEP_4)
	v_mul_lo_u32 v33, v10, s4
	v_mad_u64_u32 v[7:8], null, 0x104, v10, v[18:19]
	v_add_nc_u32_e32 v10, 0x50, v19
	v_mul_lo_u32 v34, v12, s4
	v_mad_u64_u32 v[8:9], null, 0x104, v12, v[18:19]
	v_add_nc_u32_e32 v12, 0x58, v19
	s_delay_alu instid0(VALU_DEP_4) | instskip(SKIP_2) | instid1(VALU_DEP_4)
	v_min_i32_e32 v13, s0, v10
	v_mad_u64_u32 v[9:10], null, 0x104, v11, v[18:19]
	v_mul_lo_u32 v35, v11, s4
	v_min_i32_e32 v15, s0, v12
	s_delay_alu instid0(VALU_DEP_4) | instskip(SKIP_2) | instid1(VALU_DEP_4)
	v_mad_u64_u32 v[10:11], null, 0x104, v13, v[18:19]
	v_min_i32_e32 v16, s0, v14
	v_mul_lo_u32 v36, v13, s4
	v_mul_lo_u32 v37, v15, s4
	v_mad_u64_u32 v[11:12], null, 0x104, v15, v[18:19]
	v_cvt_f32_u32_e32 v15, s1
	v_mul_lo_u32 v38, v16, s4
	v_mad_u64_u32 v[13:14], null, 0x104, v16, v[18:19]
	v_add_nc_u32_e32 v12, 0x68, v19
	s_delay_alu instid0(VALU_DEP_4)
	v_rcp_iflag_f32_e32 v16, v15
	v_add_nc_u32_e32 v17, 0x70, v19
	v_add_nc_u32_e32 v42, 0x78, v19
	v_lshlrev_b32_e32 v45, 2, v19
	v_lshrrev_b32_e32 v39, 3, v22
	v_min_i32_e32 v12, s0, v12
	v_min_i32_e32 v17, s0, v17
	;; [unrolled: 1-line block ×3, first 2 shown]
	s_sub_i32 s6, 0, s1
	v_add_nc_u32_e32 v46, v39, v45
	v_mul_f32_e32 v44, 0x4f7ffffe, v16
	v_mad_u64_u32 v[14:15], null, 0x104, v12, v[18:19]
	v_mad_u64_u32 v[15:16], null, 0x104, v17, v[18:19]
	s_delay_alu instid0(VALU_DEP_3) | instskip(SKIP_3) | instid1(VALU_DEP_4)
	v_cvt_u32_f32_e32 v48, v44
	v_mul_lo_u32 v41, v17, s4
	v_mad_u64_u32 v[16:17], null, 0x104, v43, v[18:19]
	v_add_nc_u32_e32 v17, 32, v46
	v_mul_lo_u32 v18, s6, v48
	v_min_i32_e32 v47, s0, v46
	v_add_nc_u32_e32 v49, 64, v46
	v_add_nc_u32_e32 v46, 0x60, v46
	v_min_i32_e32 v17, s0, v17
	s_waitcnt vmcnt(0)
	v_sub_nc_u32_e32 v51, 0, v21
	v_mul_lo_u32 v40, v12, s4
	v_min_i32_e32 v49, s0, v49
	v_mul_hi_u32 v18, v48, v18
	v_ashrrev_i32_e32 v50, 31, v17
	v_min_i32_e32 v54, s0, v46
	v_ashrrev_i32_e32 v12, 31, v47
	v_ashrrev_i32_e32 v53, 31, v49
	v_mul_lo_u32 v42, v43, s4
	v_lshrrev_b32_e32 v46, 30, v50
	v_max_i32_e32 v50, v21, v51
	v_add_nc_u32_e32 v18, v48, v18
	v_ashrrev_i32_e32 v51, 31, v54
	v_lshrrev_b32_e32 v12, 30, v12
	v_lshrrev_b32_e32 v48, 30, v53
	v_and_b32_e32 v43, 7, v22
	v_mul_hi_u32 v18, v50, v18
	v_lshrrev_b32_e32 v51, 30, v51
	v_add_nc_u32_e32 v12, v47, v12
	v_add_nc_u32_e32 v46, v17, v46
	;; [unrolled: 1-line block ×3, first 2 shown]
	v_mul_lo_u32 v44, v47, s4
	v_add_nc_u32_e32 v51, v54, v51
	v_and_b32_e32 v12, -4, v12
	v_mul_lo_u32 v53, v18, s1
	v_lshlrev_b32_e32 v52, 2, v43
	v_lshlrev_b32_e32 v67, 5, v47
	v_and_b32_e32 v47, -4, v46
	v_mul_lo_u32 v46, v17, s4
	v_and_b32_e32 v48, -4, v48
	v_lshlrev_b32_e32 v69, 5, v17
	v_and_b32_e32 v17, -4, v51
	v_sub_nc_u32_e32 v50, v50, v53
	v_add3_u32 v12, v12, v52, 0x8200
	v_add3_u32 v68, v47, v52, 0x8200
	;; [unrolled: 1-line block ×4, first 2 shown]
	v_add_nc_u32_e32 v17, 1, v18
	v_subrev_nc_u32_e32 v52, s1, v50
	v_cmp_le_u32_e32 vcc_lo, s1, v50
	v_dual_mov_b32 v23, 0 :: v_dual_lshlrev_b32 v20, 2, v22
	v_and_b32_e32 v51, 31, v22
	v_dual_cndmask_b32 v17, v18, v17 :: v_dual_lshlrev_b32 v60, 7, v19
	v_cndmask_b32_e32 v50, v50, v52, vcc_lo
	s_delay_alu instid0(VALU_DEP_4)
	v_and_b32_e32 v25, 12, v20
	v_and_b32_e32 v18, 28, v20
	v_xor_b32_e32 v20, s10, v21
	v_add_nc_u32_e32 v52, 1, v17
	v_cmp_le_u32_e32 vcc_lo, s1, v50
	v_lshl_or_b32 v51, v51, 2, v60
	v_or_b32_e32 v45, v45, v22
	v_ashrrev_i32_e32 v20, 31, v20
	v_dual_cndmask_b32 v52, v17, v52 :: v_dual_add_nc_u32 v55, 64, v22
	s_delay_alu instid0(VALU_DEP_4) | instskip(NEXT) | instid1(VALU_DEP_4)
	v_add_nc_u32_e32 v50, 0x9280, v51
	v_lshl_add_u32 v51, v45, 2, 0x9680
	v_add_nc_u32_e32 v45, 32, v22
	v_add_nc_u32_e32 v56, 0x60, v22
	v_xor_b32_e32 v52, v52, v20
	v_lshlrev_b32_e32 v57, 5, v22
	v_and_b32_e32 v55, 0x1fc, v55
	v_lshrrev_b32_e32 v53, 3, v45
	v_and_b32_e32 v56, 0x1fc, v56
	v_sub_nc_u32_e32 v20, v52, v20
	v_and_b32_e32 v45, 0x1fc, v45
	v_and_b32_e32 v58, 0xfc, v22
	v_mul_lo_u32 v47, v49, s4
	v_lshlrev_b32_e32 v70, 5, v49
	v_mul_lo_u32 v49, v54, s4
	v_lshlrev_b32_e32 v72, 5, v54
	v_mul_lo_u32 v54, v20, s8
	v_add_co_u32 v17, s0, s2, v18
	s_delay_alu instid0(VALU_DEP_1)
	v_add_co_ci_u32_e64 v18, null, s3, 0, s0
	v_cmp_gt_i32_e64 s0, s7, v20
	v_add_nc_u32_e32 v20, v57, v56
	v_add_nc_u32_e32 v63, v57, v55
	v_add_nc_u32_e32 v45, v57, v45
	v_add_nc_u32_e32 v65, v57, v58
	s_movk_i32 s1, 0x80
	v_lshrrev_b32_e32 v24, 2, v22
	v_cmp_gt_u32_e32 vcc_lo, 4, v22
	v_mul_u32_u24_e32 v52, 0x104, v22
	v_ashrrev_i32_e32 v55, 31, v54
	v_add_nc_u32_e32 v56, 0x8e00, v20
	v_add_nc_u32_e32 v57, 0x8a00, v63
	;; [unrolled: 1-line block ×5, first 2 shown]
	v_lshl_add_u32 v61, v19, 4, 0x9680
	v_add_nc_u32_e32 v62, 0x8e10, v20
	v_add_nc_u32_e32 v63, 0x8a10, v63
	;; [unrolled: 1-line block ×4, first 2 shown]
	v_mad_u32_u24 v66, 0x104, v22, s1
	v_add_nc_u32_e32 v67, v12, v67
	v_add_nc_u32_e32 v68, v68, v69
	v_dual_mov_b32 v48, 0 :: v_dual_add_nc_u32 v69, v48, v70
	v_dual_mov_b32 v45, 0 :: v_dual_add_nc_u32 v70, v71, v72
	v_mov_b32_e32 v12, 0
	s_add_u32 s14, s2, 0x90
	s_addc_u32 s15, s3, 0
	s_branch .LBB224_5
.LBB224_4:                              ;   in Loop: Header=BB224_5 Depth=1
	s_add_i32 s18, s18, 8
	s_delay_alu instid0(SALU_CYCLE_1)
	s_cmp_ge_i32 s18, s4
	s_cbranch_scc1 .LBB224_22
.LBB224_5:                              ; =>This Loop Header: Depth=1
                                        ;     Child Loop BB224_12 Depth 2
                                        ;     Child Loop BB224_20 Depth 2
	s_mul_i32 s1, s18, 24
	s_mul_hi_u32 s6, s18, 24
	s_add_u32 s16, s19, s1
	s_addc_u32 s17, s20, s6
	s_lshl_b32 s6, s18, 5
	v_mad_u64_u32 v[19:20], null, v24, 24, s[16:17]
	s_cmp_lt_i32 s6, s5
	s_delay_alu instid0(VALU_DEP_1) | instskip(SKIP_3) | instid1(VALU_DEP_4)
	v_mad_i64_i32 v[71:72], null, v26, 24, v[19:20]
	v_mad_i64_i32 v[73:74], null, v27, 24, v[19:20]
	;; [unrolled: 1-line block ×4, first 2 shown]
	v_add_co_u32 v81, s1, v71, v25
	s_delay_alu instid0(VALU_DEP_1)
	v_add_co_ci_u32_e64 v82, s1, 0, v72, s1
	s_clause 0x1
	global_load_b32 v91, v[71:72], off offset:4
	global_load_b32 v92, v[73:74], off offset:4
	v_add_co_u32 v73, s1, v73, v25
	v_mad_i64_i32 v[79:80], null, v30, 24, v[19:20]
	v_mad_i64_i32 v[71:72], null, v31, 24, v[19:20]
	v_add_co_ci_u32_e64 v74, s1, 0, v74, s1
	v_mad_i64_i32 v[83:84], null, v32, 24, v[19:20]
	v_mad_i64_i32 v[85:86], null, v33, 24, v[19:20]
	;; [unrolled: 1-line block ×4, first 2 shown]
	s_clause 0x7
	global_load_b32 v93, v[75:76], off offset:4
	global_load_b32 v94, v[77:78], off offset:4
	;; [unrolled: 1-line block ×8, first 2 shown]
	s_clause 0x1
	global_load_b32 v101, v[81:82], off offset:8
	global_load_b32 v102, v[73:74], off offset:8
	v_add_co_u32 v73, s1, v75, v25
	s_delay_alu instid0(VALU_DEP_1) | instskip(SKIP_3) | instid1(VALU_DEP_1)
	v_add_co_ci_u32_e64 v74, s1, 0, v76, s1
	v_mad_i64_i32 v[75:76], null, v40, 24, v[19:20]
	global_load_b32 v103, v[73:74], off offset:8
	v_add_co_u32 v73, s1, v77, v25
	v_add_co_ci_u32_e64 v74, s1, 0, v78, s1
	v_mad_i64_i32 v[77:78], null, v41, 24, v[19:20]
	global_load_b32 v113, v[75:76], off offset:4
	global_load_b32 v104, v[73:74], off offset:8
	v_add_co_u32 v73, s1, v79, v25
	s_delay_alu instid0(VALU_DEP_1) | instskip(SKIP_1) | instid1(VALU_DEP_1)
	v_add_co_ci_u32_e64 v74, s1, 0, v80, s1
	v_add_co_u32 v71, s1, v71, v25
	v_add_co_ci_u32_e64 v72, s1, 0, v72, s1
	global_load_b32 v105, v[73:74], off offset:8
	v_mad_i64_i32 v[79:80], null, v42, 24, v[19:20]
	global_load_b32 v106, v[71:72], off offset:8
	v_add_co_u32 v71, s1, v83, v25
	s_delay_alu instid0(VALU_DEP_1) | instskip(SKIP_3) | instid1(VALU_DEP_1)
	v_add_co_ci_u32_e64 v72, s1, 0, v84, s1
	v_mad_i64_i32 v[73:74], null, v38, 24, v[19:20]
	global_load_b32 v107, v[71:72], off offset:8
	v_add_co_u32 v71, s1, v85, v25
	v_add_co_ci_u32_e64 v72, s1, 0, v86, s1
	global_load_b32 v111, v[73:74], off offset:4
	global_load_b32 v108, v[71:72], off offset:8
	v_add_co_u32 v71, s1, v87, v25
	s_delay_alu instid0(VALU_DEP_1) | instskip(SKIP_2) | instid1(VALU_DEP_1)
	v_add_co_ci_u32_e64 v72, s1, 0, v88, s1
	global_load_b32 v87, v[71:72], off offset:8
	v_add_co_u32 v71, s1, v89, v25
	v_add_co_ci_u32_e64 v72, s1, 0, v90, s1
	global_load_b32 v88, v[71:72], off offset:8
	v_mad_i64_i32 v[71:72], null, v36, 24, v[19:20]
	global_load_b32 v89, v[71:72], off offset:4
	v_add_co_u32 v71, s1, v71, v25
	s_delay_alu instid0(VALU_DEP_1) | instskip(SKIP_4) | instid1(VALU_DEP_1)
	v_add_co_ci_u32_e64 v72, s1, 0, v72, s1
	global_load_b32 v90, v[71:72], off offset:8
	v_mad_i64_i32 v[71:72], null, v37, 24, v[19:20]
	global_load_b32 v109, v[71:72], off offset:4
	v_add_co_u32 v71, s1, v71, v25
	v_add_co_ci_u32_e64 v72, s1, 0, v72, s1
	v_add_co_u32 v73, s1, v73, v25
	s_delay_alu instid0(VALU_DEP_1) | instskip(SKIP_4) | instid1(VALU_DEP_1)
	v_add_co_ci_u32_e64 v74, s1, 0, v74, s1
	s_clause 0x1
	global_load_b32 v110, v[71:72], off offset:8
	global_load_b32 v112, v[73:74], off offset:8
	v_mad_u64_u32 v[71:72], null, v43, 24, s[16:17]
	v_mad_i64_i32 v[19:20], null, v44, 24, v[71:72]
	v_mad_i64_i32 v[81:82], null, v46, 24, v[71:72]
	v_mad_i64_i32 v[83:84], null, v47, 24, v[71:72]
	v_mad_i64_i32 v[85:86], null, v49, 24, v[71:72]
	v_add_co_u32 v71, s1, v75, v25
	s_delay_alu instid0(VALU_DEP_1) | instskip(SKIP_1) | instid1(VALU_DEP_1)
	v_add_co_ci_u32_e64 v72, s1, 0, v76, s1
	v_add_co_u32 v73, s1, v77, v25
	v_add_co_ci_u32_e64 v74, s1, 0, v78, s1
	v_add_co_u32 v75, s1, v79, v25
	global_load_b32 v77, v[77:78], off offset:4
	v_add_co_ci_u32_e64 v76, s1, 0, v80, s1
	s_clause 0x4
	global_load_b32 v78, v[79:80], off offset:4
	global_load_b32 v19, v[19:20], off
	global_load_b32 v20, v[81:82], off
	;; [unrolled: 1-line block ×4, first 2 shown]
	s_clause 0x2
	global_load_b32 v71, v[71:72], off offset:8
	global_load_b32 v72, v[73:74], off offset:8
	;; [unrolled: 1-line block ×3, first 2 shown]
	s_waitcnt vmcnt(35)
	v_ashrrev_i32_e32 v74, v25, v91
	s_waitcnt vmcnt(34)
	v_ashrrev_i32_e32 v75, v25, v92
	s_delay_alu instid0(VALU_DEP_1)
	v_lshlrev_b32_e32 v114, 4, v75
	v_lshlrev_b32_e32 v115, 11, v75
	v_lshrrev_b32_e32 v118, 12, v75
	v_lshrrev_b32_e32 v119, 5, v75
	s_waitcnt vmcnt(33)
	v_ashrrev_i32_e32 v76, v25, v93
	s_waitcnt vmcnt(32)
	v_ashrrev_i32_e32 v81, v25, v94
	;; [unrolled: 2-line block ×7, first 2 shown]
	v_lshlrev_b32_e32 v93, 4, v74
	v_lshlrev_b32_e32 v94, 11, v74
	s_waitcnt vmcnt(25)
	v_lshrrev_b32_e32 v97, 4, v101
	v_lshrrev_b32_e32 v98, 12, v74
	;; [unrolled: 1-line block ×3, first 2 shown]
	v_and_b32_e32 v92, 0xf0f0f0f, v101
	s_waitcnt vmcnt(24)
	v_and_b32_e32 v101, 0xf0f0f0f, v102
	v_lshrrev_b32_e32 v102, 4, v102
	v_lshlrev_b32_e32 v122, 4, v76
	v_lshlrev_b32_e32 v123, 11, v76
	s_waitcnt vmcnt(23)
	v_and_b32_e32 v121, 0xf0f0f0f, v103
	v_lshrrev_b32_e32 v103, 4, v103
	v_lshrrev_b32_e32 v126, 12, v76
	;; [unrolled: 1-line block ×3, first 2 shown]
	v_lshlrev_b32_e32 v130, 4, v81
	v_lshlrev_b32_e32 v131, 11, v81
	v_lshrrev_b32_e32 v134, 12, v81
	v_lshrrev_b32_e32 v135, 5, v81
	s_waitcnt vmcnt(21)
	v_and_b32_e32 v129, 0xf0f0f0f, v104
	v_lshrrev_b32_e32 v104, 4, v104
	v_lshlrev_b32_e32 v138, 4, v82
	v_lshlrev_b32_e32 v139, 11, v82
	v_lshrrev_b32_e32 v142, 12, v82
	v_lshrrev_b32_e32 v143, 5, v82
	v_ashrrev_i32_e32 v91, v25, v100
	v_lshlrev_b32_e32 v95, 18, v74
	v_lshlrev_b32_e32 v96, 25, v74
	s_waitcnt vmcnt(20)
	v_and_b32_e32 v137, 0xf0f0f0f, v105
	v_lshrrev_b32_e32 v105, 4, v105
	v_lshlrev_b32_e32 v100, 2, v74
	v_lshlrev_b32_e32 v74, 9, v74
	s_waitcnt vmcnt(19)
	v_and_b32_e32 v145, 0xf0f0f0f, v106
	v_lshlrev_b32_e32 v146, 4, v83
	v_lshlrev_b32_e32 v147, 11, v83
	v_lshrrev_b32_e32 v106, 4, v106
	v_lshrrev_b32_e32 v150, 12, v83
	;; [unrolled: 1-line block ×3, first 2 shown]
	v_lshlrev_b32_e32 v154, 4, v84
	s_waitcnt vmcnt(18)
	v_and_b32_e32 v153, 0xf0f0f0f, v107
	v_lshlrev_b32_e32 v155, 11, v84
	v_lshrrev_b32_e32 v107, 4, v107
	v_lshrrev_b32_e32 v158, 12, v84
	;; [unrolled: 1-line block ×3, first 2 shown]
	v_and_b32_e32 v93, 16, v93
	v_and_b32_e32 v94, 0x1000, v94
	v_and_b32_e32 v97, 0xf0f0f0f, v97
	v_and_b32_e32 v98, 16, v98
	v_and_b32_e32 v99, 0x1000, v99
	v_lshlrev_b32_e32 v116, 18, v75
	v_lshlrev_b32_e32 v117, 25, v75
	v_lshlrev_b32_e32 v120, 2, v75
	v_lshlrev_b32_e32 v75, 9, v75
	v_and_b32_e32 v114, 16, v114
	v_and_b32_e32 v115, 0x1000, v115
	v_and_b32_e32 v102, 0xf0f0f0f, v102
	v_and_b32_e32 v118, 16, v118
	v_and_b32_e32 v119, 0x1000, v119
	v_lshlrev_b32_e32 v124, 18, v76
	v_lshlrev_b32_e32 v125, 25, v76
	v_lshlrev_b32_e32 v128, 2, v76
	v_lshlrev_b32_e32 v76, 9, v76
	;; [unrolled: 9-line block ×5, first 2 shown]
	v_lshlrev_b32_e32 v156, 18, v84
	v_lshlrev_b32_e32 v157, 25, v84
	;; [unrolled: 1-line block ×4, first 2 shown]
	v_and_b32_e32 v95, 0x100000, v95
	v_and_b32_e32 v96, 0x10000000, v96
	;; [unrolled: 1-line block ×14, first 2 shown]
	v_or3_b32 v92, v93, v92, v94
	v_or3_b32 v93, v98, v97, v99
	v_and_b32_e32 v116, 0x100000, v116
	v_and_b32_e32 v117, 0x10000000, v117
	v_and_b32_e32 v120, 0x100000, v120
	v_and_b32_e32 v75, 0x10000000, v75
	v_or3_b32 v94, v114, v101, v115
	v_or3_b32 v97, v118, v102, v119
	v_and_b32_e32 v124, 0x100000, v124
	v_and_b32_e32 v125, 0x10000000, v125
	v_and_b32_e32 v128, 0x100000, v128
	v_and_b32_e32 v76, 0x10000000, v76
	;; [unrolled: 6-line block ×4, first 2 shown]
	v_or3_b32 v103, v138, v137, v139
	v_or3_b32 v104, v142, v105, v143
	s_waitcnt vmcnt(15)
	v_and_b32_e32 v169, 0xf0f0f0f, v87
	v_lshrrev_b32_e32 v87, 4, v87
	v_lshrrev_b32_e32 v174, 12, v86
	;; [unrolled: 1-line block ×3, first 2 shown]
	v_and_b32_e32 v148, 0x100000, v148
	v_and_b32_e32 v149, 0x10000000, v149
	;; [unrolled: 1-line block ×8, first 2 shown]
	v_or3_b32 v105, v146, v145, v147
	v_or3_b32 v106, v150, v106, v151
	;; [unrolled: 1-line block ×14, first 2 shown]
	v_and_b32_e32 v161, 0xf0f0f0f, v108
	v_lshlrev_b32_e32 v162, 4, v85
	v_lshlrev_b32_e32 v163, 11, v85
	v_lshrrev_b32_e32 v108, 4, v108
	v_lshrrev_b32_e32 v166, 12, v85
	;; [unrolled: 1-line block ×3, first 2 shown]
	v_lshlrev_b32_e32 v170, 4, v86
	v_lshlrev_b32_e32 v171, 11, v86
	;; [unrolled: 1-line block ×6, first 2 shown]
	v_and_b32_e32 v87, 0xf0f0f0f, v87
	v_and_b32_e32 v174, 16, v174
	;; [unrolled: 1-line block ×3, first 2 shown]
	v_or3_b32 v97, v105, v148, v149
	v_or3_b32 v83, v106, v152, v83
	;; [unrolled: 1-line block ×4, first 2 shown]
	ds_store_2addr_b32 v0, v92, v74 offset1:1
	ds_store_2addr_b32 v1, v93, v75 offset1:1
	;; [unrolled: 1-line block ×7, first 2 shown]
	v_lshlrev_b32_e32 v75, 4, v91
	v_lshlrev_b32_e32 v76, 11, v91
	;; [unrolled: 1-line block ×6, first 2 shown]
	v_and_b32_e32 v162, 16, v162
	v_and_b32_e32 v163, 0x1000, v163
	;; [unrolled: 1-line block ×5, first 2 shown]
	v_or3_b32 v74, v174, v87, v175
	v_and_b32_e32 v81, 0x100000, v176
	v_and_b32_e32 v82, 0x10000000, v86
	s_waitcnt vmcnt(14)
	v_and_b32_e32 v83, 0xf0f0f0f, v88
	v_and_b32_e32 v75, 16, v75
	;; [unrolled: 1-line block ×7, first 2 shown]
	v_or3_b32 v115, v162, v161, v163
	v_or3_b32 v108, v166, v108, v167
	;; [unrolled: 1-line block ×4, first 2 shown]
	v_lshrrev_b32_e32 v76, 4, v88
	v_lshrrev_b32_e32 v82, 12, v91
	;; [unrolled: 1-line block ×3, first 2 shown]
	v_and_b32_e32 v170, 16, v170
	v_and_b32_e32 v171, 0x1000, v171
	v_or3_b32 v99, v115, v164, v165
	v_or3_b32 v85, v108, v168, v85
	v_and_b32_e32 v76, 0xf0f0f0f, v76
	v_and_b32_e32 v82, 16, v82
	;; [unrolled: 1-line block ×3, first 2 shown]
	s_waitcnt vmcnt(13)
	v_ashrrev_i32_e32 v86, v25, v89
	v_and_b32_e32 v172, 0x100000, v172
	v_and_b32_e32 v173, 0x10000000, v173
	v_or3_b32 v118, v170, v169, v171
	ds_store_2addr_b32 v7, v99, v85 offset1:1
	v_lshlrev_b32_e32 v81, 18, v91
	v_lshlrev_b32_e32 v85, 25, v91
	v_or3_b32 v76, v82, v76, v83
	v_lshlrev_b32_e32 v82, 4, v86
	v_lshlrev_b32_e32 v83, 11, v86
	v_or3_b32 v84, v118, v172, v173
	v_and_b32_e32 v81, 0x100000, v81
	v_and_b32_e32 v85, 0x10000000, v85
	v_lshlrev_b32_e32 v87, 2, v91
	v_lshlrev_b32_e32 v88, 9, v91
	s_waitcnt vmcnt(12)
	v_and_b32_e32 v89, 0xf0f0f0f, v90
	v_and_b32_e32 v82, 16, v82
	;; [unrolled: 1-line block ×5, first 2 shown]
	ds_store_2addr_b32 v8, v84, v74 offset1:1
	v_or3_b32 v74, v75, v81, v85
	v_or3_b32 v81, v82, v89, v83
	v_lshrrev_b32_e32 v82, 4, v90
	v_lshrrev_b32_e32 v83, 12, v86
	v_lshrrev_b32_e32 v84, 5, v86
	v_or3_b32 v75, v76, v87, v88
	s_waitcnt vmcnt(11)
	v_ashrrev_i32_e32 v87, v25, v109
	v_and_b32_e32 v82, 0xf0f0f0f, v82
	v_and_b32_e32 v83, 16, v83
	;; [unrolled: 1-line block ×3, first 2 shown]
	v_lshlrev_b32_e32 v76, 18, v86
	v_lshlrev_b32_e32 v85, 25, v86
	;; [unrolled: 1-line block ×4, first 2 shown]
	v_or3_b32 v82, v83, v82, v84
	v_lshlrev_b32_e32 v83, 4, v87
	v_lshlrev_b32_e32 v84, 11, v87
	v_and_b32_e32 v76, 0x100000, v76
	v_and_b32_e32 v85, 0x10000000, v85
	;; [unrolled: 1-line block ×4, first 2 shown]
	s_waitcnt vmcnt(10)
	v_and_b32_e32 v89, 0xf0f0f0f, v110
	v_and_b32_e32 v83, 16, v83
	;; [unrolled: 1-line block ×3, first 2 shown]
	ds_store_2addr_b32 v9, v74, v75 offset1:1
	v_or3_b32 v74, v81, v76, v85
	v_or3_b32 v75, v82, v88, v86
	v_lshrrev_b32_e32 v82, 4, v110
	v_or3_b32 v81, v83, v89, v84
	v_lshrrev_b32_e32 v83, 12, v87
	v_lshrrev_b32_e32 v84, 5, v87
	v_ashrrev_i32_e32 v86, v25, v111
	v_and_b32_e32 v82, 0xf0f0f0f, v82
	v_lshlrev_b32_e32 v76, 18, v87
	v_and_b32_e32 v83, 16, v83
	v_and_b32_e32 v84, 0x1000, v84
	v_lshlrev_b32_e32 v85, 25, v87
	v_lshlrev_b32_e32 v88, 2, v87
	;; [unrolled: 1-line block ×3, first 2 shown]
	v_and_b32_e32 v76, 0x100000, v76
	v_or3_b32 v82, v83, v82, v84
	v_lshlrev_b32_e32 v83, 4, v86
	v_lshlrev_b32_e32 v84, 11, v86
	v_and_b32_e32 v85, 0x10000000, v85
	v_and_b32_e32 v88, 0x100000, v88
	;; [unrolled: 1-line block ×3, first 2 shown]
	s_waitcnt vmcnt(9)
	v_and_b32_e32 v89, 0xf0f0f0f, v112
	v_and_b32_e32 v83, 16, v83
	v_and_b32_e32 v84, 0x1000, v84
	ds_store_2addr_b32 v10, v74, v75 offset1:1
	v_or3_b32 v74, v81, v76, v85
	v_or3_b32 v75, v82, v88, v87
	v_lshrrev_b32_e32 v82, 4, v112
	v_or3_b32 v81, v83, v89, v84
	v_lshrrev_b32_e32 v83, 12, v86
	v_lshrrev_b32_e32 v84, 5, v86
	v_ashrrev_i32_e32 v87, v25, v113
	v_and_b32_e32 v82, 0xf0f0f0f, v82
	v_lshlrev_b32_e32 v76, 18, v86
	v_and_b32_e32 v83, 16, v83
	v_and_b32_e32 v84, 0x1000, v84
	v_lshlrev_b32_e32 v85, 25, v86
	v_lshlrev_b32_e32 v88, 2, v86
	;; [unrolled: 1-line block ×3, first 2 shown]
	v_and_b32_e32 v76, 0x100000, v76
	v_or3_b32 v82, v83, v82, v84
	v_lshlrev_b32_e32 v83, 4, v87
	v_lshlrev_b32_e32 v84, 11, v87
	v_and_b32_e32 v85, 0x10000000, v85
	v_and_b32_e32 v88, 0x100000, v88
	;; [unrolled: 1-line block ×3, first 2 shown]
	s_waitcnt vmcnt(2)
	v_and_b32_e32 v89, 0xf0f0f0f, v71
	v_and_b32_e32 v83, 16, v83
	;; [unrolled: 1-line block ×3, first 2 shown]
	v_lshlrev_b32_e32 v90, 18, v87
	v_lshlrev_b32_e32 v91, 25, v87
	v_or3_b32 v76, v81, v76, v85
	v_or3_b32 v81, v82, v88, v86
	;; [unrolled: 1-line block ×3, first 2 shown]
	v_and_b32_e32 v83, 0x100000, v90
	v_and_b32_e32 v84, 0x10000000, v91
	v_lshrrev_b32_e32 v85, 12, v87
	v_lshrrev_b32_e32 v86, 5, v87
	v_ashrrev_i32_e32 v77, v25, v77
	v_lshrrev_b32_e32 v71, 4, v71
	v_or3_b32 v82, v82, v83, v84
	v_and_b32_e32 v83, 16, v85
	v_and_b32_e32 v84, 0x1000, v86
	v_lshlrev_b32_e32 v85, 4, v77
	v_lshlrev_b32_e32 v86, 11, v77
	v_and_b32_e32 v71, 0xf0f0f0f, v71
	v_lshlrev_b32_e32 v88, 2, v87
	v_lshlrev_b32_e32 v87, 9, v87
	s_waitcnt vmcnt(1)
	v_and_b32_e32 v89, 0xf0f0f0f, v72
	v_and_b32_e32 v85, 16, v85
	;; [unrolled: 1-line block ×3, first 2 shown]
	v_lshlrev_b32_e32 v90, 18, v77
	v_ashrrev_i32_e32 v78, v25, v78
	v_or3_b32 v71, v83, v71, v84
	v_and_b32_e32 v83, 0x100000, v88
	v_and_b32_e32 v84, 0x10000000, v87
	v_or3_b32 v85, v85, v89, v86
	v_and_b32_e32 v86, 0x100000, v90
	v_lshrrev_b32_e32 v72, 4, v72
	v_lshrrev_b32_e32 v87, 12, v77
	;; [unrolled: 1-line block ×3, first 2 shown]
	v_lshlrev_b32_e32 v90, 4, v78
	v_lshlrev_b32_e32 v91, 11, v78
	v_and_b32_e32 v72, 0xf0f0f0f, v72
	v_and_b32_e32 v87, 16, v87
	;; [unrolled: 1-line block ×3, first 2 shown]
	s_waitcnt vmcnt(0)
	v_and_b32_e32 v93, 0xf0f0f0f, v73
	v_and_b32_e32 v90, 16, v90
	;; [unrolled: 1-line block ×3, first 2 shown]
	v_lshlrev_b32_e32 v92, 2, v77
	v_or3_b32 v72, v87, v72, v88
	v_lshrrev_b32_e32 v73, 4, v73
	v_lshlrev_b32_e32 v89, 25, v77
	v_or3_b32 v88, v90, v93, v91
	v_lshrrev_b32_e32 v90, 12, v78
	v_lshrrev_b32_e32 v91, 5, v78
	v_lshlrev_b32_e32 v77, 9, v77
	v_and_b32_e32 v87, 0x100000, v92
	v_lshlrev_b32_e32 v92, 18, v78
	v_lshlrev_b32_e32 v93, 25, v78
	v_and_b32_e32 v73, 0xf0f0f0f, v73
	v_and_b32_e32 v90, 16, v90
	;; [unrolled: 1-line block ×3, first 2 shown]
	v_lshlrev_b32_e32 v94, 2, v78
	v_lshlrev_b32_e32 v78, 9, v78
	v_and_b32_e32 v89, 0x10000000, v89
	v_and_b32_e32 v77, 0x10000000, v77
	;; [unrolled: 1-line block ×4, first 2 shown]
	v_or3_b32 v73, v90, v73, v91
	v_and_b32_e32 v90, 0x100000, v94
	v_and_b32_e32 v78, 0x10000000, v78
	v_or3_b32 v71, v71, v83, v84
	v_or3_b32 v83, v85, v86, v89
	;; [unrolled: 1-line block ×5, first 2 shown]
	ds_store_2addr_b32 v11, v74, v75 offset1:1
	ds_store_2addr_b32 v13, v76, v81 offset1:1
	;; [unrolled: 1-line block ×5, first 2 shown]
	ds_store_b32 v67, v19
	ds_store_b32 v68, v20
	;; [unrolled: 1-line block ×4, first 2 shown]
	s_cbranch_scc0 .LBB224_4
; %bb.6:                                ;   in Loop: Header=BB224_5 Depth=1
	v_add_nc_u32_e32 v19, s18, v39
	s_delay_alu instid0(VALU_DEP_1) | instskip(NEXT) | instid1(VALU_DEP_1)
	v_cmp_gt_i32_e64 s1, s8, v19
	s_and_b32 s16, s0, s1
	s_delay_alu instid0(SALU_CYCLE_1)
	s_and_saveexec_b32 s1, s16
	s_cbranch_execz .LBB224_8
; %bb.7:                                ;   in Loop: Header=BB224_5 Depth=1
	v_add_nc_u32_e32 v71, v54, v19
	s_delay_alu instid0(VALU_DEP_1)
	v_mad_i64_i32 v[19:20], null, v71, 36, v[17:18]
	global_load_b32 v19, v[19:20], off offset:4
	s_waitcnt vmcnt(0)
	ds_store_b32 v50, v19
.LBB224_8:                              ;   in Loop: Header=BB224_5 Depth=1
	s_or_b32 exec_lo, exec_lo, s1
	s_and_saveexec_b32 s16, vcc_lo
	s_cbranch_execz .LBB224_11
; %bb.9:                                ;   in Loop: Header=BB224_5 Depth=1
	v_or_b32_e32 v19, s18, v22
	s_delay_alu instid0(VALU_DEP_1) | instskip(NEXT) | instid1(VALU_DEP_1)
	v_cmp_gt_i32_e64 s1, s8, v19
	s_and_b32 s1, s0, s1
	s_delay_alu instid0(SALU_CYCLE_1)
	s_and_b32 exec_lo, exec_lo, s1
	s_cbranch_execz .LBB224_11
; %bb.10:                               ;   in Loop: Header=BB224_5 Depth=1
	v_add_nc_u32_e32 v71, v54, v19
	s_delay_alu instid0(VALU_DEP_1)
	v_mad_i64_i32 v[19:20], null, v71, 36, s[2:3]
	global_load_b32 v19, v[19:20], off
	s_waitcnt vmcnt(0)
	ds_store_b32 v51, v19
.LBB224_11:                             ;   in Loop: Header=BB224_5 Depth=1
	s_or_b32 exec_lo, exec_lo, s16
	v_dual_mov_b32 v19, v61 :: v_dual_mov_b32 v20, v60
	v_dual_mov_b32 v71, v52 :: v_dual_mov_b32 v72, v59
	;; [unrolled: 1-line block ×3, first 2 shown]
	v_mov_b32_e32 v75, v56
	s_mov_b32 s1, -4
	s_waitcnt lgkmcnt(0)
	s_barrier
	buffer_gl0_inv
.LBB224_12:                             ;   Parent Loop BB224_5 Depth=1
                                        ; =>  This Inner Loop Header: Depth=2
	v_add_nc_u32_e32 v92, 0x2080, v71
	v_add_nc_u32_e32 v94, 0x4100, v71
	;; [unrolled: 1-line block ×3, first 2 shown]
	ds_load_b128 v[76:79], v20
	ds_load_b32 v116, v19
	ds_load_b128 v[80:83], v20 offset:16
	ds_load_2addr_b32 v[84:85], v71 offset1:1
	ds_load_2addr_b32 v[86:87], v71 offset0:2 offset1:3
	ds_load_2addr_b32 v[88:89], v71 offset0:4 offset1:5
	ds_load_b32 v117, v72
	ds_load_2addr_b32 v[90:91], v71 offset0:6 offset1:7
	ds_load_b32 v118, v73
	ds_load_2addr_b32 v[92:93], v92 offset1:1
	ds_load_2addr_b32 v[94:95], v94 offset1:1
	;; [unrolled: 1-line block ×3, first 2 shown]
	ds_load_b32 v119, v74
	ds_load_b32 v120, v75
	v_add_nc_u32_e32 v98, 0x2088, v71
	v_add_nc_u32_e32 v100, 0x4108, v71
	;; [unrolled: 1-line block ×9, first 2 shown]
	ds_load_2addr_b32 v[98:99], v98 offset1:1
	ds_load_2addr_b32 v[100:101], v100 offset1:1
	ds_load_2addr_b32 v[102:103], v102 offset1:1
	ds_load_2addr_b32 v[104:105], v104 offset1:1
	ds_load_2addr_b32 v[106:107], v106 offset1:1
	ds_load_2addr_b32 v[108:109], v108 offset1:1
	ds_load_2addr_b32 v[110:111], v110 offset1:1
	ds_load_2addr_b32 v[112:113], v112 offset1:1
	ds_load_2addr_b32 v[114:115], v114 offset1:1
	v_add_nc_u32_e32 v72, 4, v72
	v_add_nc_u32_e32 v71, 32, v71
	;; [unrolled: 1-line block ×4, first 2 shown]
	s_waitcnt lgkmcnt(19)
	v_dot4_i32_iu8 v84, v84, v76, 0 neg_lo:[1,1,0]
	s_waitcnt lgkmcnt(13)
	v_dot4_i32_iu8 v92, v92, v76, 0 neg_lo:[1,1,0]
	;; [unrolled: 2-line block ×4, first 2 shown]
	s_add_i32 s1, s1, 4
	v_dot4_i32_iu8 v84, v85, v80, v84 neg_lo:[1,1,0]
	v_dot4_i32_iu8 v85, v93, v80, v92 neg_lo:[1,1,0]
	v_dot4_i32_iu8 v92, v95, v80, v94 neg_lo:[1,1,0]
	v_dot4_i32_iu8 v76, v97, v80, v76 neg_lo:[1,1,0]
	s_cmp_lt_u32 s1, 12
	v_dot4_i32_iu8 v80, v86, v77, v84 neg_lo:[1,1,0]
	s_waitcnt lgkmcnt(8)
	v_dot4_i32_iu8 v84, v98, v77, v85 neg_lo:[1,1,0]
	s_waitcnt lgkmcnt(7)
	;; [unrolled: 2-line block ×3, first 2 shown]
	v_dot4_i32_iu8 v76, v102, v77, v76 neg_lo:[1,1,0]
	v_dot4_i32_iu8 v77, v87, v81, v80 neg_lo:[1,1,0]
	;; [unrolled: 1-line block ×4, first 2 shown]
	s_delay_alu instid0(VALU_DEP_4) | instskip(NEXT) | instid1(VALU_DEP_4)
	v_dot4_i32_iu8 v76, v103, v81, v76 neg_lo:[1,1,0]
	v_dot4_i32_iu8 v77, v88, v78, v77 neg_lo:[1,1,0]
	s_waitcnt lgkmcnt(5)
	v_dot4_i32_iu8 v80, v104, v78, v80 neg_lo:[1,1,0]
	s_waitcnt lgkmcnt(3)
	;; [unrolled: 2-line block ×3, first 2 shown]
	v_dot4_i32_iu8 v76, v112, v78, v76 neg_lo:[1,1,0]
	v_pk_mul_f16 v78, v116, v117
	v_dot4_i32_iu8 v77, v89, v82, v77 neg_lo:[1,1,0]
	v_dot4_i32_iu8 v80, v105, v82, v80 neg_lo:[1,1,0]
	v_dot4_i32_iu8 v81, v109, v82, v81 neg_lo:[1,1,0]
	v_dot4_i32_iu8 v76, v113, v82, v76 neg_lo:[1,1,0]
	v_pk_mul_f16 v82, v116, v118
	v_dot4_i32_iu8 v77, v90, v79, v77 neg_lo:[1,1,0]
	v_dot4_i32_iu8 v80, v106, v79, v80 neg_lo:[1,1,0]
	;; [unrolled: 1-line block ×3, first 2 shown]
	s_waitcnt lgkmcnt(0)
	v_dot4_i32_iu8 v76, v114, v79, v76 neg_lo:[1,1,0]
	v_pk_mul_f16 v79, v116, v119
	v_dot4_i32_iu8 v77, v91, v83, v77 neg_lo:[1,1,0]
	v_dot4_i32_iu8 v80, v107, v83, v80 neg_lo:[1,1,0]
	;; [unrolled: 1-line block ×4, first 2 shown]
	v_pk_mul_f16 v83, v116, v120
	v_cvt_f32_i32_e32 v77, v77
	v_cvt_f32_i32_e32 v80, v80
	v_cvt_f32_i32_e32 v81, v81
	v_cvt_f32_i32_e32 v76, v76
	s_delay_alu instid0(VALU_DEP_4) | instskip(NEXT) | instid1(VALU_DEP_4)
	v_fma_mix_f32 v77, v78, v77, v78 op_sel:[0,0,1] op_sel_hi:[1,0,1]
	v_fma_mix_f32 v78, v82, v80, v82 op_sel:[0,0,1] op_sel_hi:[1,0,1]
	s_delay_alu instid0(VALU_DEP_4) | instskip(NEXT) | instid1(VALU_DEP_4)
	v_fma_mix_f32 v79, v79, v81, v79 op_sel:[0,0,1] op_sel_hi:[1,0,1]
	v_fma_mix_f32 v76, v83, v76, v83 op_sel:[0,0,1] op_sel_hi:[1,0,1]
	v_add_nc_u32_e32 v75, 4, v75
	v_add_nc_u32_e32 v74, 4, v74
	;; [unrolled: 1-line block ×3, first 2 shown]
	s_delay_alu instid0(VALU_DEP_4)
	v_dual_add_f32 v23, v23, v77 :: v_dual_add_f32 v12, v12, v76
	v_dual_add_f32 v48, v48, v78 :: v_dual_add_f32 v45, v45, v79
	s_cbranch_scc1 .LBB224_12
; %bb.13:                               ;   in Loop: Header=BB224_5 Depth=1
	s_bitset1_b32 s6, 7
	s_delay_alu instid0(SALU_CYCLE_1)
	s_cmp_ge_i32 s6, s5
	s_barrier
	buffer_gl0_inv
	s_cbranch_scc1 .LBB224_4
; %bb.14:                               ;   in Loop: Header=BB224_5 Depth=1
	v_add_nc_u32_e32 v19, s18, v53
	s_delay_alu instid0(VALU_DEP_1) | instskip(NEXT) | instid1(VALU_DEP_1)
	v_cmp_gt_i32_e64 s1, s8, v19
	s_and_b32 s6, s0, s1
	s_delay_alu instid0(SALU_CYCLE_1)
	s_and_saveexec_b32 s1, s6
	s_cbranch_execz .LBB224_16
; %bb.15:                               ;   in Loop: Header=BB224_5 Depth=1
	v_add_nc_u32_e32 v71, v54, v19
	s_delay_alu instid0(VALU_DEP_1)
	v_mad_i64_i32 v[19:20], null, v71, 36, v[17:18]
	global_load_b32 v19, v[19:20], off offset:4
	s_waitcnt vmcnt(0)
	ds_store_b32 v50, v19
.LBB224_16:                             ;   in Loop: Header=BB224_5 Depth=1
	s_or_b32 exec_lo, exec_lo, s1
	s_and_saveexec_b32 s6, vcc_lo
	s_cbranch_execz .LBB224_19
; %bb.17:                               ;   in Loop: Header=BB224_5 Depth=1
	v_or_b32_e32 v19, s18, v22
	s_delay_alu instid0(VALU_DEP_1) | instskip(NEXT) | instid1(VALU_DEP_1)
	v_or_b32_e32 v20, 4, v19
	v_cmp_gt_i32_e64 s1, s8, v20
	s_delay_alu instid0(VALU_DEP_1) | instskip(NEXT) | instid1(SALU_CYCLE_1)
	s_and_b32 s1, s0, s1
	s_and_b32 exec_lo, exec_lo, s1
	s_cbranch_execz .LBB224_19
; %bb.18:                               ;   in Loop: Header=BB224_5 Depth=1
	v_ashrrev_i32_e32 v20, 31, v19
	v_add_co_u32 v71, s1, v54, v19
	s_delay_alu instid0(VALU_DEP_1) | instskip(NEXT) | instid1(VALU_DEP_2)
	v_add_co_ci_u32_e64 v72, s1, v55, v20, s1
	v_mad_u64_u32 v[19:20], null, v71, 36, s[14:15]
	s_delay_alu instid0(VALU_DEP_1)
	v_mad_i32_i24 v20, v72, 36, v20
	global_load_b32 v19, v[19:20], off
	s_waitcnt vmcnt(0)
	ds_store_b32 v51, v19
.LBB224_19:                             ;   in Loop: Header=BB224_5 Depth=1
	s_or_b32 exec_lo, exec_lo, s6
	v_dual_mov_b32 v19, v61 :: v_dual_mov_b32 v20, v60
	v_dual_mov_b32 v71, v66 :: v_dual_mov_b32 v72, v65
	;; [unrolled: 1-line block ×3, first 2 shown]
	v_mov_b32_e32 v75, v62
	s_mov_b32 s1, 12
	s_waitcnt lgkmcnt(0)
	s_barrier
	buffer_gl0_inv
.LBB224_20:                             ;   Parent Loop BB224_5 Depth=1
                                        ; =>  This Inner Loop Header: Depth=2
	v_add_nc_u32_e32 v92, 0x2080, v71
	v_add_nc_u32_e32 v94, 0x4100, v71
	;; [unrolled: 1-line block ×3, first 2 shown]
	ds_load_b128 v[76:79], v20
	ds_load_b32 v116, v19
	ds_load_b128 v[80:83], v20 offset:16
	ds_load_2addr_b32 v[84:85], v71 offset1:1
	ds_load_2addr_b32 v[86:87], v71 offset0:2 offset1:3
	ds_load_2addr_b32 v[88:89], v71 offset0:4 offset1:5
	ds_load_b32 v117, v72
	ds_load_2addr_b32 v[90:91], v71 offset0:6 offset1:7
	ds_load_b32 v118, v73
	ds_load_2addr_b32 v[92:93], v92 offset1:1
	ds_load_2addr_b32 v[94:95], v94 offset1:1
	;; [unrolled: 1-line block ×3, first 2 shown]
	ds_load_b32 v119, v74
	ds_load_b32 v120, v75
	v_add_nc_u32_e32 v98, 0x2088, v71
	v_add_nc_u32_e32 v100, 0x4108, v71
	;; [unrolled: 1-line block ×9, first 2 shown]
	ds_load_2addr_b32 v[98:99], v98 offset1:1
	ds_load_2addr_b32 v[100:101], v100 offset1:1
	;; [unrolled: 1-line block ×9, first 2 shown]
	v_add_nc_u32_e32 v72, 4, v72
	v_add_nc_u32_e32 v71, 32, v71
	;; [unrolled: 1-line block ×4, first 2 shown]
	s_waitcnt lgkmcnt(19)
	v_dot4_i32_iu8 v84, v84, v76, 0 neg_lo:[1,1,0]
	s_waitcnt lgkmcnt(13)
	v_dot4_i32_iu8 v92, v92, v76, 0 neg_lo:[1,1,0]
	;; [unrolled: 2-line block ×4, first 2 shown]
	s_add_i32 s1, s1, 4
	v_dot4_i32_iu8 v84, v85, v80, v84 neg_lo:[1,1,0]
	v_dot4_i32_iu8 v85, v93, v80, v92 neg_lo:[1,1,0]
	v_dot4_i32_iu8 v92, v95, v80, v94 neg_lo:[1,1,0]
	v_dot4_i32_iu8 v76, v97, v80, v76 neg_lo:[1,1,0]
	s_cmp_lt_u32 s1, 28
	v_dot4_i32_iu8 v80, v86, v77, v84 neg_lo:[1,1,0]
	s_waitcnt lgkmcnt(8)
	v_dot4_i32_iu8 v84, v98, v77, v85 neg_lo:[1,1,0]
	s_waitcnt lgkmcnt(7)
	;; [unrolled: 2-line block ×3, first 2 shown]
	v_dot4_i32_iu8 v76, v102, v77, v76 neg_lo:[1,1,0]
	v_dot4_i32_iu8 v77, v87, v81, v80 neg_lo:[1,1,0]
	v_dot4_i32_iu8 v80, v99, v81, v84 neg_lo:[1,1,0]
	v_dot4_i32_iu8 v84, v101, v81, v85 neg_lo:[1,1,0]
	s_delay_alu instid0(VALU_DEP_4) | instskip(NEXT) | instid1(VALU_DEP_4)
	v_dot4_i32_iu8 v76, v103, v81, v76 neg_lo:[1,1,0]
	v_dot4_i32_iu8 v77, v88, v78, v77 neg_lo:[1,1,0]
	s_waitcnt lgkmcnt(5)
	v_dot4_i32_iu8 v80, v104, v78, v80 neg_lo:[1,1,0]
	s_waitcnt lgkmcnt(3)
	;; [unrolled: 2-line block ×3, first 2 shown]
	v_dot4_i32_iu8 v76, v112, v78, v76 neg_lo:[1,1,0]
	v_pk_mul_f16 v78, v116, v117
	v_dot4_i32_iu8 v77, v89, v82, v77 neg_lo:[1,1,0]
	v_dot4_i32_iu8 v80, v105, v82, v80 neg_lo:[1,1,0]
	;; [unrolled: 1-line block ×4, first 2 shown]
	v_pk_mul_f16 v82, v116, v118
	v_dot4_i32_iu8 v77, v90, v79, v77 neg_lo:[1,1,0]
	v_dot4_i32_iu8 v80, v106, v79, v80 neg_lo:[1,1,0]
	;; [unrolled: 1-line block ×3, first 2 shown]
	s_waitcnt lgkmcnt(0)
	v_dot4_i32_iu8 v76, v114, v79, v76 neg_lo:[1,1,0]
	v_pk_mul_f16 v79, v116, v119
	v_dot4_i32_iu8 v77, v91, v83, v77 neg_lo:[1,1,0]
	v_dot4_i32_iu8 v80, v107, v83, v80 neg_lo:[1,1,0]
	;; [unrolled: 1-line block ×4, first 2 shown]
	v_pk_mul_f16 v83, v116, v120
	v_cvt_f32_i32_e32 v77, v77
	v_cvt_f32_i32_e32 v80, v80
	v_cvt_f32_i32_e32 v81, v81
	v_cvt_f32_i32_e32 v76, v76
	s_delay_alu instid0(VALU_DEP_4) | instskip(NEXT) | instid1(VALU_DEP_4)
	v_fma_mix_f32 v77, v78, v77, v78 op_sel:[0,0,1] op_sel_hi:[1,0,1]
	v_fma_mix_f32 v78, v82, v80, v82 op_sel:[0,0,1] op_sel_hi:[1,0,1]
	s_delay_alu instid0(VALU_DEP_4) | instskip(NEXT) | instid1(VALU_DEP_4)
	v_fma_mix_f32 v79, v79, v81, v79 op_sel:[0,0,1] op_sel_hi:[1,0,1]
	v_fma_mix_f32 v76, v83, v76, v83 op_sel:[0,0,1] op_sel_hi:[1,0,1]
	v_add_nc_u32_e32 v75, 4, v75
	v_add_nc_u32_e32 v74, 4, v74
	;; [unrolled: 1-line block ×3, first 2 shown]
	s_delay_alu instid0(VALU_DEP_4)
	v_dual_add_f32 v23, v23, v77 :: v_dual_add_f32 v12, v12, v76
	v_dual_add_f32 v48, v48, v78 :: v_dual_add_f32 v45, v45, v79
	s_cbranch_scc1 .LBB224_20
; %bb.21:                               ;   in Loop: Header=BB224_5 Depth=1
	s_barrier
	buffer_gl0_inv
	s_branch .LBB224_4
.LBB224_22:
	s_mul_i32 s0, s10, s7
	s_waitcnt vmcnt(0)
	v_cmp_gt_i32_e32 vcc_lo, s0, v21
	s_and_saveexec_b32 s0, vcc_lo
	s_cbranch_execz .LBB224_31
; %bb.23:
	v_mul_lo_u32 v0, v21, s9
	v_add_nc_u32_e32 v1, s11, v22
	s_mov_b32 s0, exec_lo
	s_delay_alu instid0(VALU_DEP_1)
	v_cmpx_gt_u32_e64 s9, v1
	s_cbranch_execz .LBB224_25
; %bb.24:
	v_bfe_u32 v3, v23, 16, 1
	s_delay_alu instid0(VALU_DEP_4) | instskip(SKIP_1) | instid1(VALU_DEP_3)
	v_add_nc_u32_e32 v2, v0, v1
	v_cmp_o_f32_e32 vcc_lo, v23, v23
	v_add3_u32 v4, v23, v3, 0x7fff
	v_mov_b32_e32 v3, 0
	s_delay_alu instid0(VALU_DEP_2) | instskip(NEXT) | instid1(VALU_DEP_2)
	v_lshrrev_b32_e32 v4, 16, v4
	v_lshlrev_b64 v[2:3], 1, v[2:3]
	s_delay_alu instid0(VALU_DEP_2) | instskip(NEXT) | instid1(VALU_DEP_2)
	v_cndmask_b32_e32 v4, 0x7fc0, v4, vcc_lo
	v_add_co_u32 v2, vcc_lo, s12, v2
	s_delay_alu instid0(VALU_DEP_3)
	v_add_co_ci_u32_e32 v3, vcc_lo, s13, v3, vcc_lo
	global_store_b16 v[2:3], v4, off
.LBB224_25:
	s_or_b32 exec_lo, exec_lo, s0
	v_add_nc_u32_e32 v2, 32, v1
	s_mov_b32 s0, exec_lo
	s_delay_alu instid0(VALU_DEP_1)
	v_cmpx_gt_u32_e64 s9, v2
	s_cbranch_execz .LBB224_27
; %bb.26:
	v_bfe_u32 v3, v48, 16, 1
	v_add_nc_u32_e32 v2, v0, v2
	v_cmp_o_f32_e32 vcc_lo, v48, v48
	s_delay_alu instid0(VALU_DEP_3) | instskip(SKIP_1) | instid1(VALU_DEP_2)
	v_add3_u32 v4, v48, v3, 0x7fff
	v_mov_b32_e32 v3, 0
	v_lshrrev_b32_e32 v4, 16, v4
	s_delay_alu instid0(VALU_DEP_2) | instskip(NEXT) | instid1(VALU_DEP_2)
	v_lshlrev_b64 v[2:3], 1, v[2:3]
	v_cndmask_b32_e32 v4, 0x7fc0, v4, vcc_lo
	s_delay_alu instid0(VALU_DEP_2) | instskip(NEXT) | instid1(VALU_DEP_3)
	v_add_co_u32 v2, vcc_lo, s12, v2
	v_add_co_ci_u32_e32 v3, vcc_lo, s13, v3, vcc_lo
	global_store_b16 v[2:3], v4, off
.LBB224_27:
	s_or_b32 exec_lo, exec_lo, s0
	v_add_nc_u32_e32 v2, 64, v1
	s_mov_b32 s0, exec_lo
	s_delay_alu instid0(VALU_DEP_1)
	v_cmpx_gt_u32_e64 s9, v2
	s_cbranch_execz .LBB224_29
; %bb.28:
	v_bfe_u32 v3, v45, 16, 1
	v_add_nc_u32_e32 v2, v0, v2
	v_cmp_o_f32_e32 vcc_lo, v45, v45
	s_delay_alu instid0(VALU_DEP_3) | instskip(SKIP_1) | instid1(VALU_DEP_2)
	v_add3_u32 v4, v45, v3, 0x7fff
	v_mov_b32_e32 v3, 0
	v_lshrrev_b32_e32 v4, 16, v4
	s_delay_alu instid0(VALU_DEP_2) | instskip(NEXT) | instid1(VALU_DEP_2)
	v_lshlrev_b64 v[2:3], 1, v[2:3]
	v_cndmask_b32_e32 v4, 0x7fc0, v4, vcc_lo
	s_delay_alu instid0(VALU_DEP_2) | instskip(NEXT) | instid1(VALU_DEP_3)
	v_add_co_u32 v2, vcc_lo, s12, v2
	v_add_co_ci_u32_e32 v3, vcc_lo, s13, v3, vcc_lo
	global_store_b16 v[2:3], v4, off
.LBB224_29:
	s_or_b32 exec_lo, exec_lo, s0
	v_add_nc_u32_e32 v1, 0x60, v1
	s_delay_alu instid0(VALU_DEP_1)
	v_cmp_gt_u32_e32 vcc_lo, s9, v1
	s_and_b32 exec_lo, exec_lo, vcc_lo
	s_cbranch_execz .LBB224_31
; %bb.30:
	v_bfe_u32 v2, v12, 16, 1
	v_dual_mov_b32 v1, 0 :: v_dual_add_nc_u32 v0, v0, v1
	v_cmp_o_f32_e32 vcc_lo, v12, v12
	s_delay_alu instid0(VALU_DEP_3) | instskip(NEXT) | instid1(VALU_DEP_3)
	v_add3_u32 v2, v12, v2, 0x7fff
	v_lshlrev_b64 v[0:1], 1, v[0:1]
	s_delay_alu instid0(VALU_DEP_2) | instskip(NEXT) | instid1(VALU_DEP_1)
	v_lshrrev_b32_e32 v2, 16, v2
	v_cndmask_b32_e32 v2, 0x7fc0, v2, vcc_lo
	s_delay_alu instid0(VALU_DEP_3) | instskip(NEXT) | instid1(VALU_DEP_4)
	v_add_co_u32 v0, vcc_lo, s12, v0
	v_add_co_ci_u32_e32 v1, vcc_lo, s13, v1, vcc_lo
	global_store_b16 v[0:1], v2, off
.LBB224_31:
	s_nop 0
	s_sendmsg sendmsg(MSG_DEALLOC_VGPRS)
	s_endpgm
	.section	.rodata,"a",@progbits
	.p2align	6, 0x0
	.amdhsa_kernel _ZL8moe_q5_1IN3c108BFloat16ELb1EEvPKvS3_PT_PKiS7_S7_iiiiiii
		.amdhsa_group_segment_fixed_size 38656
		.amdhsa_private_segment_fixed_size 0
		.amdhsa_kernarg_size 76
		.amdhsa_user_sgpr_count 14
		.amdhsa_user_sgpr_dispatch_ptr 0
		.amdhsa_user_sgpr_queue_ptr 0
		.amdhsa_user_sgpr_kernarg_segment_ptr 1
		.amdhsa_user_sgpr_dispatch_id 0
		.amdhsa_user_sgpr_private_segment_size 0
		.amdhsa_wavefront_size32 1
		.amdhsa_uses_dynamic_stack 0
		.amdhsa_enable_private_segment 0
		.amdhsa_system_sgpr_workgroup_id_x 1
		.amdhsa_system_sgpr_workgroup_id_y 1
		.amdhsa_system_sgpr_workgroup_id_z 0
		.amdhsa_system_sgpr_workgroup_info 0
		.amdhsa_system_vgpr_workitem_id 1
		.amdhsa_next_free_vgpr 177
		.amdhsa_next_free_sgpr 21
		.amdhsa_reserve_vcc 1
		.amdhsa_float_round_mode_32 0
		.amdhsa_float_round_mode_16_64 0
		.amdhsa_float_denorm_mode_32 3
		.amdhsa_float_denorm_mode_16_64 3
		.amdhsa_dx10_clamp 1
		.amdhsa_ieee_mode 1
		.amdhsa_fp16_overflow 0
		.amdhsa_workgroup_processor_mode 1
		.amdhsa_memory_ordered 1
		.amdhsa_forward_progress 0
		.amdhsa_shared_vgpr_count 0
		.amdhsa_exception_fp_ieee_invalid_op 0
		.amdhsa_exception_fp_denorm_src 0
		.amdhsa_exception_fp_ieee_div_zero 0
		.amdhsa_exception_fp_ieee_overflow 0
		.amdhsa_exception_fp_ieee_underflow 0
		.amdhsa_exception_fp_ieee_inexact 0
		.amdhsa_exception_int_div_zero 0
	.end_amdhsa_kernel
	.section	.text._ZL8moe_q5_1IN3c108BFloat16ELb1EEvPKvS3_PT_PKiS7_S7_iiiiiii,"axG",@progbits,_ZL8moe_q5_1IN3c108BFloat16ELb1EEvPKvS3_PT_PKiS7_S7_iiiiiii,comdat
.Lfunc_end224:
	.size	_ZL8moe_q5_1IN3c108BFloat16ELb1EEvPKvS3_PT_PKiS7_S7_iiiiiii, .Lfunc_end224-_ZL8moe_q5_1IN3c108BFloat16ELb1EEvPKvS3_PT_PKiS7_S7_iiiiiii
                                        ; -- End function
	.section	.AMDGPU.csdata,"",@progbits
; Kernel info:
; codeLenInByte = 7304
; NumSgprs: 23
; NumVgprs: 177
; ScratchSize: 0
; MemoryBound: 0
; FloatMode: 240
; IeeeMode: 1
; LDSByteSize: 38656 bytes/workgroup (compile time only)
; SGPRBlocks: 2
; VGPRBlocks: 22
; NumSGPRsForWavesPerEU: 23
; NumVGPRsForWavesPerEU: 177
; Occupancy: 6
; WaveLimiterHint : 1
; COMPUTE_PGM_RSRC2:SCRATCH_EN: 0
; COMPUTE_PGM_RSRC2:USER_SGPR: 14
; COMPUTE_PGM_RSRC2:TRAP_HANDLER: 0
; COMPUTE_PGM_RSRC2:TGID_X_EN: 1
; COMPUTE_PGM_RSRC2:TGID_Y_EN: 1
; COMPUTE_PGM_RSRC2:TGID_Z_EN: 0
; COMPUTE_PGM_RSRC2:TIDIG_COMP_CNT: 1
	.section	.text._ZL8moe_q8_0IN3c108BFloat16ELb0EEvPKvS3_PT_PKiS7_S7_iiiiiii,"axG",@progbits,_ZL8moe_q8_0IN3c108BFloat16ELb0EEvPKvS3_PT_PKiS7_S7_iiiiiii,comdat
	.globl	_ZL8moe_q8_0IN3c108BFloat16ELb0EEvPKvS3_PT_PKiS7_S7_iiiiiii ; -- Begin function _ZL8moe_q8_0IN3c108BFloat16ELb0EEvPKvS3_PT_PKiS7_S7_iiiiiii
	.p2align	8
	.type	_ZL8moe_q8_0IN3c108BFloat16ELb0EEvPKvS3_PT_PKiS7_S7_iiiiiii,@function
_ZL8moe_q8_0IN3c108BFloat16ELb0EEvPKvS3_PT_PKiS7_S7_iiiiiii: ; @_ZL8moe_q8_0IN3c108BFloat16ELb0EEvPKvS3_PT_PKiS7_S7_iiiiiii
; %bb.0:
	s_load_b128 s[4:7], s[0:1], 0x18
	s_mov_b32 s2, s15
	s_mov_b32 s3, 0
	s_delay_alu instid0(SALU_CYCLE_1)
	s_lshl_b64 s[8:9], s[2:3], 2
	s_waitcnt lgkmcnt(0)
	s_add_u32 s6, s6, s8
	s_addc_u32 s7, s7, s9
	s_load_b32 s15, s[6:7], 0x0
	s_waitcnt lgkmcnt(0)
	s_cmpk_gt_u32 s15, 0xff
	s_cbranch_scc1 .LBB225_22
; %bb.1:
	s_load_b64 s[6:7], s[0:1], 0x28
	s_lshl_b32 s2, s2, 3
	s_waitcnt lgkmcnt(0)
	s_load_b32 s3, s[6:7], 0x0
	s_waitcnt lgkmcnt(0)
	s_cmp_gt_u32 s2, s3
	s_cbranch_scc1 .LBB225_22
; %bb.2:
	v_bfe_u32 v53, v0, 10, 10
	v_mov_b32_e32 v2, 0
	s_lshl_b32 s12, s14, 7
	s_mov_b32 s13, 0
	s_delay_alu instid0(VALU_DEP_2) | instskip(NEXT) | instid1(VALU_DEP_2)
	v_add_nc_u32_e32 v1, s2, v53
	v_mov_b32_e32 v17, v2
	v_mov_b32_e32 v6, v2
	;; [unrolled: 1-line block ×3, first 2 shown]
	s_delay_alu instid0(VALU_DEP_4) | instskip(NEXT) | instid1(VALU_DEP_1)
	v_lshlrev_b64 v[3:4], 2, v[1:2]
	v_add_co_u32 v3, vcc_lo, s4, v3
	s_delay_alu instid0(VALU_DEP_2)
	v_add_co_ci_u32_e32 v4, vcc_lo, s5, v4, vcc_lo
	global_load_b32 v3, v[3:4], off
	s_clause 0x2
	s_load_b64 s[10:11], s[0:1], 0x30
	s_load_b64 s[8:9], s[0:1], 0x10
	s_load_b128 s[4:7], s[0:1], 0x3c
	v_and_b32_e32 v4, 0x3ff, v0
	s_waitcnt lgkmcnt(0)
	s_cmp_lt_i32 s11, 32
	s_cbranch_scc1 .LBB225_13
; %bb.3:
	s_load_b128 s[0:3], s[0:1], 0x0
	s_ashr_i32 s14, s11, 31
	s_mul_i32 s15, s15, s10
	s_lshr_b32 s10, s14, 27
	s_ashr_i32 s16, s5, 31
	s_add_i32 s10, s11, s10
	s_lshr_b32 s14, s16, 27
	s_ashr_i32 s10, s10, 5
	s_add_i32 s5, s5, s14
	s_mul_i32 s14, s10, s12
	s_ashr_i32 s16, s15, 31
	s_ashr_i32 s5, s5, 5
	s_mul_hi_i32 s17, s14, 34
	s_mul_i32 s14, s14, 34
	s_waitcnt vmcnt(0)
	v_sub_nc_u32_e32 v23, 0, v3
	v_dual_mov_b32 v6, 0 :: v_dual_lshlrev_b32 v1, 2, v4
	v_lshlrev_b32_e32 v2, 3, v53
	v_lshrrev_b32_e32 v11, 2, v4
	s_delay_alu instid0(VALU_DEP_4)
	v_max_i32_e32 v38, v3, v23
	s_waitcnt lgkmcnt(0)
	s_add_u32 s0, s0, s15
	s_addc_u32 s1, s1, s16
	s_add_u32 s14, s0, s14
	s_addc_u32 s15, s1, s17
	s_abs_i32 s1, s7
	v_and_b32_e32 v12, 28, v1
	v_cvt_f32_u32_e32 v0, s1
	s_sub_i32 s0, 0, s1
	v_mad_u32_u24 v14, 0x84, v53, v1
	v_add_nc_u32_e32 v1, v11, v2
	v_mul_lo_u32 v8, s10, v53
	v_rcp_iflag_f32_e32 v0, v0
	v_lshlrev_b32_e32 v17, 7, v53
	v_add_nc_u16 v2, v11, v2
	v_lshlrev_b32_e32 v55, 4, v1
	s_lshl_b32 s16, s10, 3
	v_and_b32_e32 v7, 3, v4
	v_and_b32_e32 v16, 31, v4
	v_add_nc_u32_e32 v10, s16, v8
	v_lshrrev_b16 v2, 1, v2
	v_lshl_add_u32 v18, v53, 2, v4
	v_dual_mul_f32 v0, 0x4f7ffffe, v0 :: v_dual_lshlrev_b32 v11, 2, v7
	s_delay_alu instid0(VALU_DEP_4) | instskip(NEXT) | instid1(VALU_DEP_4)
	v_add_nc_u32_e32 v13, s16, v10
	v_and_b32_e32 v2, 0x1ffc, v2
	v_add_nc_u32_e32 v19, 32, v4
	s_delay_alu instid0(VALU_DEP_4)
	v_cvt_u32_f32_e32 v0, v0
	v_xor_b32_e32 v22, s7, v3
	v_add_nc_u32_e32 v15, s16, v13
	v_add3_u32 v2, v2, v11, 0x4200
	v_lshrrev_b32_e32 v50, 1, v19
	v_mul_lo_u32 v24, s0, v0
	v_ashrrev_i32_e32 v47, 31, v22
	v_add_nc_u32_e32 v20, 64, v4
	v_add_nc_u32_e32 v21, 0x60, v4
	v_lshrrev_b32_e32 v5, 3, v4
	v_lshlrev_b32_e32 v52, 4, v4
	v_and_b32_e32 v58, 0xfc, v50
	v_lshrrev_b32_e32 v49, 1, v20
	v_mul_hi_u32 v24, v0, v24
	v_lshrrev_b32_e32 v48, 1, v21
	v_lshlrev_b32_e32 v59, 2, v5
	v_cmp_gt_u32_e32 vcc_lo, 4, v4
	v_and_b32_e32 v57, 0xfc, v49
	v_mul_u32_u24_e32 v9, 0x84, v4
	v_add_nc_u32_e32 v20, 0x420, v14
	v_add_nc_u32_e32 v21, 0x840, v14
	;; [unrolled: 1-line block ×7, first 2 shown]
	v_mul_hi_u32 v0, v38, v0
	v_add_nc_u32_e32 v27, 0x1ce0, v14
	v_add_nc_u32_e32 v29, 0x2100, v14
	;; [unrolled: 1-line block ×7, first 2 shown]
	v_mul_lo_u32 v39, v0, s1
	v_add_nc_u32_e32 v41, 1, v0
	v_add_nc_u32_e32 v36, 0x39c0, v14
	v_add3_u32 v50, v52, v57, 0x4600
	v_lshl_add_u32 v53, v53, 4, 0x4e40
	v_dual_mov_b32 v2, 0 :: v_dual_add_nc_u32 v55, v2, v55
	v_sub_nc_u32_e32 v43, v38, v39
	v_mul_lo_u32 v39, s10, v1
	v_add_nc_u32_e32 v1, 64, v1
	v_add_nc_u32_e32 v38, 0x3de0, v14
	s_delay_alu instid0(VALU_DEP_4) | instskip(SKIP_1) | instid1(VALU_DEP_4)
	v_subrev_nc_u32_e32 v44, s1, v43
	v_cmp_le_u32_e64 s0, s1, v43
	v_lshrrev_b32_e32 v46, 1, v1
	v_lshlrev_b32_e32 v56, 4, v1
	s_delay_alu instid0(VALU_DEP_3) | instskip(NEXT) | instid1(VALU_DEP_3)
	v_cndmask_b32_e64 v0, v0, v41, s0
	v_and_b32_e32 v51, 0x3ffc, v46
	v_cndmask_b32_e64 v44, v43, v44, s0
	s_delay_alu instid0(VALU_DEP_3) | instskip(NEXT) | instid1(VALU_DEP_3)
	v_add_nc_u32_e32 v45, 1, v0
	v_add3_u32 v11, v51, v11, 0x4200
	s_delay_alu instid0(VALU_DEP_3) | instskip(SKIP_1) | instid1(VALU_DEP_3)
	v_cmp_le_u32_e64 s0, s1, v44
	v_and_b32_e32 v51, 0xfc, v48
	v_dual_mov_b32 v11, 0 :: v_dual_add_nc_u32 v56, v11, v56
	v_lshl_or_b32 v42, v16, 2, v17
	v_lshl_add_u32 v16, v18, 2, 0x4e40
	v_add_nc_u32_e32 v18, s16, v15
	v_cndmask_b32_e64 v0, v0, v45, s0
	v_lshl_add_u32 v45, s10, 6, v39
	v_add_nc_u32_e32 v42, 0x4a40, v42
	v_add3_u32 v49, v52, v51, 0x4800
	v_add_nc_u32_e32 v19, s16, v18
	v_xor_b32_e32 v0, v0, v47
	v_add3_u32 v51, v52, v58, 0x4400
	v_add3_u32 v52, v52, v59, 0x4200
	s_delay_alu instid0(VALU_DEP_4) | instskip(NEXT) | instid1(VALU_DEP_4)
	v_add_nc_u32_e32 v23, s16, v19
	v_sub_nc_u32_e32 v54, v0, v47
	v_add_co_u32 v0, s0, s2, v12
	s_delay_alu instid0(VALU_DEP_1) | instskip(NEXT) | instid1(VALU_DEP_4)
	v_add_co_ci_u32_e64 v1, null, s3, 0, s0
	v_add_nc_u32_e32 v28, s16, v23
	s_delay_alu instid0(VALU_DEP_4) | instskip(SKIP_2) | instid1(VALU_DEP_4)
	v_mul_lo_u32 v48, v54, s5
	v_cmp_gt_i32_e64 s0, s4, v54
	v_dual_mov_b32 v17, 0 :: v_dual_add_nc_u32 v54, 0x4a40, v17
	v_add_nc_u32_e32 v32, s16, v28
	s_delay_alu instid0(VALU_DEP_1) | instskip(NEXT) | instid1(VALU_DEP_1)
	v_add_nc_u32_e32 v37, s16, v32
	v_add_nc_u32_e32 v40, s16, v37
	s_delay_alu instid0(VALU_DEP_1) | instskip(NEXT) | instid1(VALU_DEP_1)
	v_add_nc_u32_e32 v41, s16, v40
	;; [unrolled: 3-line block ×3, first 2 shown]
	v_add_nc_u32_e32 v46, s16, v44
	s_delay_alu instid0(VALU_DEP_1)
	v_add_nc_u32_e32 v47, s16, v46
	s_branch .LBB225_5
.LBB225_4:                              ;   in Loop: Header=BB225_5 Depth=1
	s_add_i32 s13, s13, 4
	s_delay_alu instid0(SALU_CYCLE_1)
	s_cmp_ge_i32 s13, s10
	s_cbranch_scc1 .LBB225_13
.LBB225_5:                              ; =>This Loop Header: Depth=1
                                        ;     Child Loop BB225_11 Depth 2
	s_mul_i32 s1, s13, 34
	s_mul_hi_u32 s17, s13, 34
	s_add_u32 s16, s14, s1
	s_addc_u32 s17, s15, s17
	s_delay_alu instid0(SALU_CYCLE_1) | instskip(SKIP_1) | instid1(VALU_DEP_2)
	v_mad_u64_u32 v[57:58], null, v5, 34, s[16:17]
	v_mad_u64_u32 v[75:76], null, v7, 34, s[16:17]
	v_add_co_u32 v57, s1, v57, v12
	s_delay_alu instid0(VALU_DEP_1) | instskip(NEXT) | instid1(VALU_DEP_2)
	v_add_co_ci_u32_e64 v58, s1, 0, v58, s1
	v_add_co_u32 v57, s1, v57, 2
	s_delay_alu instid0(VALU_DEP_1) | instskip(SKIP_1) | instid1(SALU_CYCLE_1)
	v_add_co_ci_u32_e64 v58, s1, 0, v58, s1
	s_lshl_b32 s1, s13, 5
	s_cmp_lt_i32 s1, s11
	s_delay_alu instid0(VALU_DEP_1)
	v_mad_u64_u32 v[59:60], null, v8, 34, v[57:58]
	v_mad_u64_u32 v[61:62], null, v10, 34, v[57:58]
	;; [unrolled: 1-line block ×8, first 2 shown]
	s_clause 0x7
	global_load_b32 v77, v[59:60], off
	global_load_b32 v78, v[61:62], off
	;; [unrolled: 1-line block ×8, first 2 shown]
	v_mad_u64_u32 v[61:62], null, v39, 34, v[75:76]
	v_mad_u64_u32 v[63:64], null, v45, 34, v[75:76]
	;; [unrolled: 1-line block ×6, first 2 shown]
	s_clause 0x1
	global_load_u16 v75, v[61:62], off
	global_load_u16 v76, v[63:64], off
	v_mad_u64_u32 v[61:62], null, v43, 34, v[57:58]
	v_mad_u64_u32 v[63:64], null, v44, 34, v[57:58]
	;; [unrolled: 1-line block ×4, first 2 shown]
	s_clause 0x7
	global_load_b32 v57, v[59:60], off
	global_load_b32 v58, v[65:66], off
	;; [unrolled: 1-line block ×8, first 2 shown]
	s_waitcnt vmcnt(9)
	v_cvt_f32_f16_e32 v65, v75
	s_waitcnt vmcnt(8)
	v_cvt_f32_f16_e32 v66, v76
	ds_store_b32 v14, v77
	ds_store_b32 v20, v78
	;; [unrolled: 1-line block ×8, first 2 shown]
	s_waitcnt vmcnt(7)
	ds_store_b32 v29, v57
	s_waitcnt vmcnt(6)
	ds_store_b32 v30, v58
	;; [unrolled: 2-line block ×8, first 2 shown]
	ds_store_b32 v55, v65
	ds_store_b32 v56, v66
	s_cbranch_scc0 .LBB225_4
; %bb.6:                                ;   in Loop: Header=BB225_5 Depth=1
	v_add_nc_u32_e32 v57, s13, v5
	s_delay_alu instid0(VALU_DEP_1) | instskip(NEXT) | instid1(VALU_DEP_1)
	v_cmp_gt_i32_e64 s1, s5, v57
	s_and_b32 s16, s0, s1
	s_delay_alu instid0(SALU_CYCLE_1)
	s_and_saveexec_b32 s1, s16
	s_cbranch_execz .LBB225_8
; %bb.7:                                ;   in Loop: Header=BB225_5 Depth=1
	v_add_nc_u32_e32 v59, v48, v57
	s_delay_alu instid0(VALU_DEP_1)
	v_mad_i64_i32 v[57:58], null, v59, 36, v[0:1]
	global_load_b32 v57, v[57:58], off offset:4
	s_waitcnt vmcnt(0)
	ds_store_b32 v42, v57
.LBB225_8:                              ;   in Loop: Header=BB225_5 Depth=1
	s_or_b32 exec_lo, exec_lo, s1
	v_or_b32_e32 v57, s13, v4
	s_delay_alu instid0(VALU_DEP_1) | instskip(NEXT) | instid1(VALU_DEP_1)
	v_cmp_gt_i32_e64 s1, s5, v57
	s_and_b32 s1, s0, s1
	s_delay_alu instid0(SALU_CYCLE_1) | instskip(NEXT) | instid1(SALU_CYCLE_1)
	s_and_b32 s16, vcc_lo, s1
	s_and_saveexec_b32 s1, s16
	s_cbranch_execz .LBB225_10
; %bb.9:                                ;   in Loop: Header=BB225_5 Depth=1
	v_add_nc_u32_e32 v59, v48, v57
	s_delay_alu instid0(VALU_DEP_1)
	v_mad_i64_i32 v[57:58], null, v59, 36, s[2:3]
	global_load_b32 v57, v[57:58], off
	s_waitcnt vmcnt(0)
	v_cvt_f32_f16_e32 v57, v57
	ds_store_b32 v16, v57
.LBB225_10:                             ;   in Loop: Header=BB225_5 Depth=1
	s_or_b32 exec_lo, exec_lo, s1
	v_dual_mov_b32 v57, v54 :: v_dual_mov_b32 v58, v53
	v_dual_mov_b32 v59, v52 :: v_dual_mov_b32 v60, v51
	;; [unrolled: 1-line block ×3, first 2 shown]
	v_mov_b32_e32 v63, v9
	s_mov_b32 s1, -8
	s_waitcnt lgkmcnt(0)
	s_barrier
	buffer_gl0_inv
.LBB225_11:                             ;   Parent Loop BB225_5 Depth=1
                                        ; =>  This Inner Loop Header: Depth=2
	ds_load_b128 v[64:67], v57
	ds_load_b128 v[68:71], v57 offset:16
	ds_load_2addr_b32 v[72:73], v63 offset0:2 offset1:3
	ds_load_2addr_b32 v[74:75], v63 offset0:4 offset1:5
	;; [unrolled: 1-line block ×3, first 2 shown]
	ds_load_b32 v104, v58
	ds_load_b32 v105, v59
	;; [unrolled: 1-line block ×4, first 2 shown]
	v_add_nc_u32_e32 v80, 0x1080, v63
	v_add_nc_u32_e32 v82, 0x2100, v63
	;; [unrolled: 1-line block ×3, first 2 shown]
	ds_load_2addr_b32 v[78:79], v63 offset1:1
	ds_load_2addr_b32 v[80:81], v80 offset1:1
	;; [unrolled: 1-line block ×4, first 2 shown]
	ds_load_b32 v108, v62
	v_add_nc_u32_e32 v86, 0x1088, v63
	v_add_nc_u32_e32 v88, 0x2108, v63
	;; [unrolled: 1-line block ×9, first 2 shown]
	ds_load_2addr_b32 v[86:87], v86 offset1:1
	ds_load_2addr_b32 v[88:89], v88 offset1:1
	;; [unrolled: 1-line block ×9, first 2 shown]
	v_add_nc_u32_e32 v63, 32, v63
	v_add_nc_u32_e32 v61, 4, v61
	;; [unrolled: 1-line block ×4, first 2 shown]
	s_add_i32 s1, s1, 8
	s_waitcnt lgkmcnt(13)
	v_dot4_i32_iu8 v78, v78, v64, 0 neg_lo:[1,1,0]
	s_waitcnt lgkmcnt(12)
	v_dot4_i32_iu8 v80, v80, v64, 0 neg_lo:[1,1,0]
	;; [unrolled: 2-line block ×4, first 2 shown]
	s_cmp_lt_u32 s1, 24
	v_dot4_i32_iu8 v78, v79, v65, v78 neg_lo:[1,1,0]
	v_dot4_i32_iu8 v79, v81, v65, v80 neg_lo:[1,1,0]
	;; [unrolled: 1-line block ×4, first 2 shown]
	s_delay_alu instid0(VALU_DEP_4)
	v_dot4_i32_iu8 v65, v72, v66, v78 neg_lo:[1,1,0]
	s_waitcnt lgkmcnt(8)
	v_dot4_i32_iu8 v72, v86, v66, v79 neg_lo:[1,1,0]
	s_waitcnt lgkmcnt(7)
	;; [unrolled: 2-line block ×3, first 2 shown]
	v_dot4_i32_iu8 v64, v90, v66, v64 neg_lo:[1,1,0]
	v_dot4_i32_iu8 v65, v73, v67, v65 neg_lo:[1,1,0]
	;; [unrolled: 1-line block ×4, first 2 shown]
	s_delay_alu instid0(VALU_DEP_4) | instskip(NEXT) | instid1(VALU_DEP_4)
	v_dot4_i32_iu8 v64, v91, v67, v64 neg_lo:[1,1,0]
	v_dot4_i32_iu8 v65, v74, v68, v65 neg_lo:[1,1,0]
	s_waitcnt lgkmcnt(5)
	v_dot4_i32_iu8 v66, v92, v68, v66 neg_lo:[1,1,0]
	s_waitcnt lgkmcnt(3)
	;; [unrolled: 2-line block ×3, first 2 shown]
	v_dot4_i32_iu8 v64, v100, v68, v64 neg_lo:[1,1,0]
	v_mul_f32_e32 v68, v104, v105
	v_dot4_i32_iu8 v65, v75, v69, v65 neg_lo:[1,1,0]
	v_dot4_i32_iu8 v66, v93, v69, v66 neg_lo:[1,1,0]
	;; [unrolled: 1-line block ×4, first 2 shown]
	v_mul_f32_e32 v69, v104, v106
	v_dot4_i32_iu8 v65, v76, v70, v65 neg_lo:[1,1,0]
	v_dot4_i32_iu8 v66, v94, v70, v66 neg_lo:[1,1,0]
	v_dot4_i32_iu8 v67, v98, v70, v67 neg_lo:[1,1,0]
	s_waitcnt lgkmcnt(0)
	v_dot4_i32_iu8 v64, v102, v70, v64 neg_lo:[1,1,0]
	v_mul_f32_e32 v70, v104, v107
	v_dot4_i32_iu8 v65, v77, v71, v65 neg_lo:[1,1,0]
	v_dot4_i32_iu8 v66, v95, v71, v66 neg_lo:[1,1,0]
	;; [unrolled: 1-line block ×4, first 2 shown]
	v_mul_f32_e32 v71, v104, v108
	v_cvt_f32_i32_e32 v65, v65
	v_cvt_f32_i32_e32 v66, v66
	;; [unrolled: 1-line block ×4, first 2 shown]
	v_add_nc_u32_e32 v62, 4, v62
	v_dual_fmac_f32 v6, v68, v65 :: v_dual_add_nc_u32 v59, 4, v59
	s_delay_alu instid0(VALU_DEP_3)
	v_dual_fmac_f32 v2, v71, v64 :: v_dual_add_nc_u32 v57, 32, v57
	v_fmac_f32_e32 v17, v69, v66
	v_fmac_f32_e32 v11, v70, v67
	s_cbranch_scc1 .LBB225_11
; %bb.12:                               ;   in Loop: Header=BB225_5 Depth=1
	s_barrier
	buffer_gl0_inv
	s_branch .LBB225_4
.LBB225_13:
	s_mul_i32 s0, s7, s4
	s_waitcnt vmcnt(0)
	v_cmp_gt_i32_e32 vcc_lo, s0, v3
	s_and_saveexec_b32 s0, vcc_lo
	s_cbranch_execz .LBB225_22
; %bb.14:
	v_mul_lo_u32 v0, v3, s6
	v_add_nc_u32_e32 v1, s12, v4
	s_mov_b32 s0, exec_lo
	s_delay_alu instid0(VALU_DEP_1)
	v_cmpx_gt_u32_e64 s6, v1
	s_cbranch_execz .LBB225_16
; %bb.15:
	v_bfe_u32 v4, v6, 16, 1
	s_delay_alu instid0(VALU_DEP_4) | instskip(SKIP_1) | instid1(VALU_DEP_3)
	v_add_nc_u32_e32 v3, v0, v1
	v_cmp_o_f32_e32 vcc_lo, v6, v6
	v_add3_u32 v5, v6, v4, 0x7fff
	v_mov_b32_e32 v4, 0
	s_delay_alu instid0(VALU_DEP_2) | instskip(NEXT) | instid1(VALU_DEP_2)
	v_lshrrev_b32_e32 v5, 16, v5
	v_lshlrev_b64 v[3:4], 1, v[3:4]
	s_delay_alu instid0(VALU_DEP_2) | instskip(NEXT) | instid1(VALU_DEP_2)
	v_cndmask_b32_e32 v5, 0x7fc0, v5, vcc_lo
	v_add_co_u32 v3, vcc_lo, s8, v3
	s_delay_alu instid0(VALU_DEP_3)
	v_add_co_ci_u32_e32 v4, vcc_lo, s9, v4, vcc_lo
	global_store_b16 v[3:4], v5, off
.LBB225_16:
	s_or_b32 exec_lo, exec_lo, s0
	v_add_nc_u32_e32 v3, 32, v1
	s_mov_b32 s0, exec_lo
	s_delay_alu instid0(VALU_DEP_1)
	v_cmpx_gt_u32_e64 s6, v3
	s_cbranch_execz .LBB225_18
; %bb.17:
	v_bfe_u32 v4, v17, 16, 1
	v_add_nc_u32_e32 v3, v0, v3
	v_cmp_o_f32_e32 vcc_lo, v17, v17
	s_delay_alu instid0(VALU_DEP_3) | instskip(SKIP_1) | instid1(VALU_DEP_2)
	v_add3_u32 v5, v17, v4, 0x7fff
	v_mov_b32_e32 v4, 0
	v_lshrrev_b32_e32 v5, 16, v5
	s_delay_alu instid0(VALU_DEP_2) | instskip(NEXT) | instid1(VALU_DEP_2)
	v_lshlrev_b64 v[3:4], 1, v[3:4]
	v_cndmask_b32_e32 v5, 0x7fc0, v5, vcc_lo
	s_delay_alu instid0(VALU_DEP_2) | instskip(NEXT) | instid1(VALU_DEP_3)
	v_add_co_u32 v3, vcc_lo, s8, v3
	v_add_co_ci_u32_e32 v4, vcc_lo, s9, v4, vcc_lo
	global_store_b16 v[3:4], v5, off
.LBB225_18:
	s_or_b32 exec_lo, exec_lo, s0
	v_add_nc_u32_e32 v3, 64, v1
	s_mov_b32 s0, exec_lo
	s_delay_alu instid0(VALU_DEP_1)
	v_cmpx_gt_u32_e64 s6, v3
	s_cbranch_execz .LBB225_20
; %bb.19:
	v_bfe_u32 v4, v11, 16, 1
	v_add_nc_u32_e32 v3, v0, v3
	v_cmp_o_f32_e32 vcc_lo, v11, v11
	s_delay_alu instid0(VALU_DEP_3) | instskip(SKIP_1) | instid1(VALU_DEP_2)
	v_add3_u32 v5, v11, v4, 0x7fff
	v_mov_b32_e32 v4, 0
	v_lshrrev_b32_e32 v5, 16, v5
	s_delay_alu instid0(VALU_DEP_2) | instskip(NEXT) | instid1(VALU_DEP_2)
	v_lshlrev_b64 v[3:4], 1, v[3:4]
	v_cndmask_b32_e32 v5, 0x7fc0, v5, vcc_lo
	s_delay_alu instid0(VALU_DEP_2) | instskip(NEXT) | instid1(VALU_DEP_3)
	v_add_co_u32 v3, vcc_lo, s8, v3
	v_add_co_ci_u32_e32 v4, vcc_lo, s9, v4, vcc_lo
	global_store_b16 v[3:4], v5, off
.LBB225_20:
	s_or_b32 exec_lo, exec_lo, s0
	v_add_nc_u32_e32 v1, 0x60, v1
	s_delay_alu instid0(VALU_DEP_1)
	v_cmp_gt_u32_e32 vcc_lo, s6, v1
	s_and_b32 exec_lo, exec_lo, vcc_lo
	s_cbranch_execz .LBB225_22
; %bb.21:
	v_bfe_u32 v3, v2, 16, 1
	v_dual_mov_b32 v1, 0 :: v_dual_add_nc_u32 v0, v0, v1
	v_cmp_o_f32_e32 vcc_lo, v2, v2
	s_delay_alu instid0(VALU_DEP_3) | instskip(NEXT) | instid1(VALU_DEP_3)
	v_add3_u32 v3, v2, v3, 0x7fff
	v_lshlrev_b64 v[0:1], 1, v[0:1]
	s_delay_alu instid0(VALU_DEP_2) | instskip(NEXT) | instid1(VALU_DEP_1)
	v_lshrrev_b32_e32 v3, 16, v3
	v_cndmask_b32_e32 v2, 0x7fc0, v3, vcc_lo
	s_delay_alu instid0(VALU_DEP_3) | instskip(NEXT) | instid1(VALU_DEP_4)
	v_add_co_u32 v0, vcc_lo, s8, v0
	v_add_co_ci_u32_e32 v1, vcc_lo, s9, v1, vcc_lo
	global_store_b16 v[0:1], v2, off
.LBB225_22:
	s_nop 0
	s_sendmsg sendmsg(MSG_DEALLOC_VGPRS)
	s_endpgm
	.section	.rodata,"a",@progbits
	.p2align	6, 0x0
	.amdhsa_kernel _ZL8moe_q8_0IN3c108BFloat16ELb0EEvPKvS3_PT_PKiS7_S7_iiiiiii
		.amdhsa_group_segment_fixed_size 20160
		.amdhsa_private_segment_fixed_size 0
		.amdhsa_kernarg_size 76
		.amdhsa_user_sgpr_count 14
		.amdhsa_user_sgpr_dispatch_ptr 0
		.amdhsa_user_sgpr_queue_ptr 0
		.amdhsa_user_sgpr_kernarg_segment_ptr 1
		.amdhsa_user_sgpr_dispatch_id 0
		.amdhsa_user_sgpr_private_segment_size 0
		.amdhsa_wavefront_size32 1
		.amdhsa_uses_dynamic_stack 0
		.amdhsa_enable_private_segment 0
		.amdhsa_system_sgpr_workgroup_id_x 1
		.amdhsa_system_sgpr_workgroup_id_y 1
		.amdhsa_system_sgpr_workgroup_id_z 0
		.amdhsa_system_sgpr_workgroup_info 0
		.amdhsa_system_vgpr_workitem_id 1
		.amdhsa_next_free_vgpr 109
		.amdhsa_next_free_sgpr 18
		.amdhsa_reserve_vcc 1
		.amdhsa_float_round_mode_32 0
		.amdhsa_float_round_mode_16_64 0
		.amdhsa_float_denorm_mode_32 3
		.amdhsa_float_denorm_mode_16_64 3
		.amdhsa_dx10_clamp 1
		.amdhsa_ieee_mode 1
		.amdhsa_fp16_overflow 0
		.amdhsa_workgroup_processor_mode 1
		.amdhsa_memory_ordered 1
		.amdhsa_forward_progress 0
		.amdhsa_shared_vgpr_count 0
		.amdhsa_exception_fp_ieee_invalid_op 0
		.amdhsa_exception_fp_denorm_src 0
		.amdhsa_exception_fp_ieee_div_zero 0
		.amdhsa_exception_fp_ieee_overflow 0
		.amdhsa_exception_fp_ieee_underflow 0
		.amdhsa_exception_fp_ieee_inexact 0
		.amdhsa_exception_int_div_zero 0
	.end_amdhsa_kernel
	.section	.text._ZL8moe_q8_0IN3c108BFloat16ELb0EEvPKvS3_PT_PKiS7_S7_iiiiiii,"axG",@progbits,_ZL8moe_q8_0IN3c108BFloat16ELb0EEvPKvS3_PT_PKiS7_S7_iiiiiii,comdat
.Lfunc_end225:
	.size	_ZL8moe_q8_0IN3c108BFloat16ELb0EEvPKvS3_PT_PKiS7_S7_iiiiiii, .Lfunc_end225-_ZL8moe_q8_0IN3c108BFloat16ELb0EEvPKvS3_PT_PKiS7_S7_iiiiiii
                                        ; -- End function
	.section	.AMDGPU.csdata,"",@progbits
; Kernel info:
; codeLenInByte = 3052
; NumSgprs: 20
; NumVgprs: 109
; ScratchSize: 0
; MemoryBound: 0
; FloatMode: 240
; IeeeMode: 1
; LDSByteSize: 20160 bytes/workgroup (compile time only)
; SGPRBlocks: 2
; VGPRBlocks: 13
; NumSGPRsForWavesPerEU: 20
; NumVGPRsForWavesPerEU: 109
; Occupancy: 12
; WaveLimiterHint : 1
; COMPUTE_PGM_RSRC2:SCRATCH_EN: 0
; COMPUTE_PGM_RSRC2:USER_SGPR: 14
; COMPUTE_PGM_RSRC2:TRAP_HANDLER: 0
; COMPUTE_PGM_RSRC2:TGID_X_EN: 1
; COMPUTE_PGM_RSRC2:TGID_Y_EN: 1
; COMPUTE_PGM_RSRC2:TGID_Z_EN: 0
; COMPUTE_PGM_RSRC2:TIDIG_COMP_CNT: 1
	.section	.text._ZL8moe_q8_0IN3c108BFloat16ELb1EEvPKvS3_PT_PKiS7_S7_iiiiiii,"axG",@progbits,_ZL8moe_q8_0IN3c108BFloat16ELb1EEvPKvS3_PT_PKiS7_S7_iiiiiii,comdat
	.globl	_ZL8moe_q8_0IN3c108BFloat16ELb1EEvPKvS3_PT_PKiS7_S7_iiiiiii ; -- Begin function _ZL8moe_q8_0IN3c108BFloat16ELb1EEvPKvS3_PT_PKiS7_S7_iiiiiii
	.p2align	8
	.type	_ZL8moe_q8_0IN3c108BFloat16ELb1EEvPKvS3_PT_PKiS7_S7_iiiiiii,@function
_ZL8moe_q8_0IN3c108BFloat16ELb1EEvPKvS3_PT_PKiS7_S7_iiiiiii: ; @_ZL8moe_q8_0IN3c108BFloat16ELb1EEvPKvS3_PT_PKiS7_S7_iiiiiii
; %bb.0:
	s_load_b128 s[4:7], s[0:1], 0x18
	s_mov_b32 s2, s15
	s_mov_b32 s3, 0
	s_delay_alu instid0(SALU_CYCLE_1)
	s_lshl_b64 s[8:9], s[2:3], 2
	s_waitcnt lgkmcnt(0)
	s_add_u32 s6, s6, s8
	s_addc_u32 s7, s7, s9
	s_load_b32 s15, s[6:7], 0x0
	s_waitcnt lgkmcnt(0)
	s_cmpk_gt_u32 s15, 0xff
	s_cbranch_scc1 .LBB226_22
; %bb.1:
	s_load_b64 s[6:7], s[0:1], 0x28
	s_lshl_b32 s2, s2, 3
	s_waitcnt lgkmcnt(0)
	s_load_b32 s3, s[6:7], 0x0
	s_waitcnt lgkmcnt(0)
	s_cmp_gt_u32 s2, s3
	s_cbranch_scc1 .LBB226_22
; %bb.2:
	v_bfe_u32 v53, v0, 10, 10
	s_delay_alu instid0(VALU_DEP_1) | instskip(NEXT) | instid1(VALU_DEP_1)
	v_dual_mov_b32 v8, 0 :: v_dual_add_nc_u32 v7, s2, v53
	v_dual_mov_b32 v21, v8 :: v_dual_and_b32 v20, 0x3ff, v0
	v_mov_b32_e32 v34, v8
	v_mov_b32_e32 v40, v8
	s_delay_alu instid0(VALU_DEP_4) | instskip(NEXT) | instid1(VALU_DEP_1)
	v_lshlrev_b64 v[1:2], 2, v[7:8]
	v_add_co_u32 v1, vcc_lo, s4, v1
	s_delay_alu instid0(VALU_DEP_2)
	v_add_co_ci_u32_e32 v2, vcc_lo, s5, v2, vcc_lo
	global_load_b32 v19, v[1:2], off
	s_clause 0x1
	s_load_b256 s[4:11], s[0:1], 0x30
	s_load_b64 s[12:13], s[0:1], 0x10
	s_waitcnt lgkmcnt(0)
	s_lshl_b32 s11, s14, 7
	s_mov_b32 s14, 0
	s_cmp_lt_i32 s5, 32
	s_cbranch_scc1 .LBB226_13
; %bb.3:
	s_load_b128 s[0:3], s[0:1], 0x0
	s_ashr_i32 s16, s5, 31
	s_mul_i32 s15, s15, s4
	s_lshr_b32 s4, s16, 27
	s_ashr_i32 s17, s8, 31
	s_add_i32 s4, s5, s4
	s_lshr_b32 s16, s17, 27
	s_ashr_i32 s4, s4, 5
	s_add_i32 s8, s8, s16
	s_mul_i32 s16, s4, s11
	s_ashr_i32 s17, s15, 31
	s_ashr_i32 s8, s8, 5
	s_mul_hi_i32 s18, s16, 34
	s_mul_i32 s16, s16, 34
	v_dual_mov_b32 v21, 0 :: v_dual_lshlrev_b32 v18, 2, v20
	s_waitcnt vmcnt(0)
	v_sub_nc_u32_e32 v41, 0, v19
	v_add_nc_u32_e32 v1, 16, v53
	v_add_nc_u32_e32 v3, 24, v53
	;; [unrolled: 1-line block ×3, first 2 shown]
	s_waitcnt lgkmcnt(0)
	s_add_u32 s0, s0, s15
	s_addc_u32 s1, s1, s17
	s_add_u32 s15, s0, s16
	s_addc_u32 s16, s1, s18
	s_abs_i32 s1, s10
	s_not_b32 s0, s11
	v_cvt_f32_u32_e32 v13, s1
	s_add_i32 s0, s0, s6
	s_sub_i32 s6, 0, s1
	v_max_i32_e32 v44, v19, v41
	v_min_i32_e32 v2, s0, v53
	v_rcp_iflag_f32_e32 v13, v13
	v_and_b32_e32 v23, 28, v18
	v_min_i32_e32 v5, s0, v1
	v_min_i32_e32 v6, s0, v3
	v_mul_lo_u32 v24, v2, s4
	v_add_nc_u32_e32 v14, 0x58, v53
	v_min_i32_e32 v15, s0, v12
	v_mul_lo_u32 v26, v5, s4
	v_mul_lo_u32 v27, v6, s4
	v_add_nc_u32_e32 v39, 0x70, v53
	v_mul_f32_e32 v16, 0x4f7ffffe, v13
	v_mul_lo_u32 v35, v15, s4
	v_add_nc_u32_e32 v42, 0x78, v53
	v_and_b32_e32 v41, 3, v20
	v_lshlrev_b32_e32 v54, 7, v53
	v_cvt_u32_f32_e32 v16, v16
	v_add_nc_u32_e32 v51, 32, v20
	v_lshrrev_b32_e32 v22, 3, v20
	v_lshlrev_b32_e32 v47, 2, v41
	v_lshlrev_b32_e32 v52, 4, v20
	v_mul_lo_u32 v34, s6, v16
	v_lshrrev_b32_e32 v51, 1, v51
	v_lshlrev_b32_e32 v58, 2, v22
	s_delay_alu instid0(VALU_DEP_2) | instskip(NEXT) | instid1(VALU_DEP_4)
	v_and_b32_e32 v51, 0xfc, v51
	v_mul_hi_u32 v34, v16, v34
	s_delay_alu instid0(VALU_DEP_2) | instskip(NEXT) | instid1(VALU_DEP_2)
	v_add3_u32 v51, v52, v51, 0x4400
	v_add_nc_u32_e32 v16, v16, v34
	v_min_i32_e32 v34, s0, v42
	s_delay_alu instid0(VALU_DEP_2) | instskip(SKIP_1) | instid1(VALU_DEP_1)
	v_mul_hi_u32 v45, v44, v16
	v_add_nc_u32_e32 v0, 8, v53
	v_min_i32_e32 v4, s0, v0
	v_mad_u64_u32 v[0:1], null, 0x84, v2, v[18:19]
	s_delay_alu instid0(VALU_DEP_4) | instskip(NEXT) | instid1(VALU_DEP_3)
	v_mul_lo_u32 v48, v45, s1
	v_mul_lo_u32 v25, v4, s4
	v_mad_u64_u32 v[1:2], null, 0x84, v4, v[18:19]
	v_add_nc_u32_e32 v4, 32, v53
	v_mad_u64_u32 v[2:3], null, 0x84, v5, v[18:19]
	v_add_nc_u32_e32 v5, 40, v53
	s_delay_alu instid0(VALU_DEP_3) | instskip(SKIP_2) | instid1(VALU_DEP_4)
	v_min_i32_e32 v7, s0, v4
	v_mad_u64_u32 v[3:4], null, 0x84, v6, v[18:19]
	v_add_nc_u32_e32 v6, 48, v53
	v_min_i32_e32 v8, s0, v5
	s_delay_alu instid0(VALU_DEP_4)
	v_mul_lo_u32 v28, v7, s4
	v_mad_u64_u32 v[4:5], null, 0x84, v7, v[18:19]
	v_add_nc_u32_e32 v7, 56, v53
	v_min_i32_e32 v9, s0, v6
	v_mul_lo_u32 v29, v8, s4
	v_mad_u64_u32 v[5:6], null, 0x84, v8, v[18:19]
	v_add_nc_u32_e32 v8, 64, v53
	v_min_i32_e32 v10, s0, v7
	;; [unrolled: 4-line block ×3, first 2 shown]
	v_mad_u64_u32 v[7:8], null, 0x84, v10, v[18:19]
	v_mul_lo_u32 v31, v10, s4
	s_delay_alu instid0(VALU_DEP_4) | instskip(NEXT) | instid1(VALU_DEP_4)
	v_min_i32_e32 v8, s0, v9
	v_mad_u64_u32 v[9:10], null, 0x84, v11, v[18:19]
	v_mul_lo_u32 v32, v11, s4
	s_delay_alu instid0(VALU_DEP_3) | instskip(SKIP_4) | instid1(VALU_DEP_3)
	v_mul_lo_u32 v33, v8, s4
	v_mad_u64_u32 v[10:11], null, 0x84, v8, v[18:19]
	v_min_i32_e32 v8, s0, v14
	v_add_nc_u32_e32 v14, 0x60, v53
	v_mad_u64_u32 v[11:12], null, 0x84, v15, v[18:19]
	v_mul_lo_u32 v36, v8, s4
	v_mad_u64_u32 v[12:13], null, 0x84, v8, v[18:19]
	v_lshrrev_b32_e32 v8, 2, v20
	v_min_i32_e32 v15, s0, v14
	v_add_nc_u32_e32 v14, 0x68, v53
	s_delay_alu instid0(VALU_DEP_3) | instskip(NEXT) | instid1(VALU_DEP_3)
	v_lshl_add_u32 v8, v53, 3, v8
	v_mul_lo_u32 v37, v15, s4
	s_delay_alu instid0(VALU_DEP_3) | instskip(SKIP_1) | instid1(VALU_DEP_4)
	v_min_i32_e32 v17, s0, v14
	v_mad_u64_u32 v[13:14], null, 0x84, v15, v[18:19]
	v_min_i32_e32 v40, s0, v8
	v_add_nc_u32_e32 v8, 64, v8
	s_delay_alu instid0(VALU_DEP_4) | instskip(SKIP_1) | instid1(VALU_DEP_4)
	v_mad_u64_u32 v[14:15], null, 0x84, v17, v[18:19]
	v_mul_lo_u32 v38, v17, s4
	v_ashrrev_i32_e32 v15, 31, v40
	s_delay_alu instid0(VALU_DEP_4) | instskip(SKIP_1) | instid1(VALU_DEP_3)
	v_min_i32_e32 v8, s0, v8
	v_min_i32_e32 v17, s0, v39
	v_lshrrev_b32_e32 v15, 29, v15
	s_delay_alu instid0(VALU_DEP_3) | instskip(NEXT) | instid1(VALU_DEP_3)
	v_ashrrev_i32_e32 v43, 31, v8
	v_mul_lo_u32 v39, v17, s4
	s_delay_alu instid0(VALU_DEP_3) | instskip(NEXT) | instid1(VALU_DEP_3)
	v_add_nc_u32_e32 v15, v40, v15
	v_lshrrev_b32_e32 v42, 29, v43
	s_delay_alu instid0(VALU_DEP_2) | instskip(SKIP_1) | instid1(VALU_DEP_3)
	v_ashrrev_i32_e32 v43, 3, v15
	v_mad_u64_u32 v[15:16], null, 0x84, v17, v[18:19]
	v_add_nc_u32_e32 v16, v8, v42
	v_mul_lo_u32 v42, v34, s4
	s_delay_alu instid0(VALU_DEP_4)
	v_lshlrev_b32_e32 v46, 2, v43
	v_mul_lo_u32 v43, v40, s4
	v_lshlrev_b32_e32 v40, 4, v40
	v_ashrrev_i32_e32 v49, 3, v16
	v_mad_u64_u32 v[16:17], null, 0x84, v34, v[18:19]
	v_sub_nc_u32_e32 v18, v44, v48
	v_add3_u32 v34, v46, v47, 0x4200
	s_delay_alu instid0(VALU_DEP_4)
	v_lshlrev_b32_e32 v17, 2, v49
	v_add_nc_u32_e32 v46, 1, v45
	v_lshl_add_u32 v49, v53, 2, v20
	v_cmp_le_u32_e32 vcc_lo, s1, v18
	v_mul_lo_u32 v44, v8, s4
	v_add3_u32 v56, v17, v47, 0x4200
	v_subrev_nc_u32_e32 v47, s1, v18
	v_and_b32_e32 v17, 31, v20
	v_cndmask_b32_e32 v45, v45, v46, vcc_lo
	v_xor_b32_e32 v46, s10, v19
	v_lshlrev_b32_e32 v8, 4, v8
	v_cndmask_b32_e32 v18, v18, v47, vcc_lo
	v_lshl_or_b32 v48, v17, 2, v54
	v_add_nc_u32_e32 v47, 1, v45
	v_ashrrev_i32_e32 v50, 31, v46
	v_add_co_u32 v17, s0, s2, v23
	v_cmp_le_u32_e32 vcc_lo, s1, v18
	v_add_co_ci_u32_e64 v18, null, s3, 0, s0
	v_lshl_add_u32 v53, v53, 4, 0x4e40
	v_add_nc_u32_e32 v54, 0x4a40, v54
	v_dual_cndmask_b32 v46, v45, v47 :: v_dual_add_nc_u32 v45, 0x4a40, v48
	v_add_nc_u32_e32 v48, 0x60, v20
	v_cmp_gt_u32_e32 vcc_lo, 4, v20
	v_add_nc_u32_e32 v56, v56, v8
	v_mov_b32_e32 v8, 0
	v_xor_b32_e32 v47, v46, v50
	v_lshl_add_u32 v46, v49, 2, 0x4e40
	v_add_nc_u32_e32 v49, 64, v20
	v_lshrrev_b32_e32 v48, 1, v48
	s_delay_alu instid0(VALU_DEP_4) | instskip(SKIP_1) | instid1(VALU_DEP_4)
	v_sub_nc_u32_e32 v50, v47, v50
	v_mul_u32_u24_e32 v47, 0x84, v20
	v_lshrrev_b32_e32 v49, 1, v49
	s_delay_alu instid0(VALU_DEP_4) | instskip(NEXT) | instid1(VALU_DEP_4)
	v_and_b32_e32 v55, 0xfc, v48
	v_mul_lo_u32 v48, v50, s8
	v_cmp_gt_i32_e64 s0, s7, v50
	s_delay_alu instid0(VALU_DEP_4) | instskip(NEXT) | instid1(VALU_DEP_4)
	v_and_b32_e32 v57, 0xfc, v49
	v_add3_u32 v49, v52, v55, 0x4800
	v_dual_mov_b32 v40, 0 :: v_dual_add_nc_u32 v55, v34, v40
	v_mov_b32_e32 v34, 0
	s_delay_alu instid0(VALU_DEP_4)
	v_add3_u32 v50, v52, v57, 0x4600
	v_add3_u32 v52, v52, v58, 0x4200
	s_branch .LBB226_5
.LBB226_4:                              ;   in Loop: Header=BB226_5 Depth=1
	s_add_i32 s14, s14, 4
	s_delay_alu instid0(SALU_CYCLE_1)
	s_cmp_ge_i32 s14, s4
	s_cbranch_scc1 .LBB226_13
.LBB226_5:                              ; =>This Loop Header: Depth=1
                                        ;     Child Loop BB226_11 Depth 2
	s_mul_i32 s1, s14, 34
	s_mul_hi_u32 s6, s14, 34
	s_add_u32 s18, s15, s1
	s_addc_u32 s19, s16, s6
	s_delay_alu instid0(SALU_CYCLE_1) | instskip(SKIP_1) | instid1(VALU_DEP_2)
	v_mad_u64_u32 v[57:58], null, v22, 34, s[18:19]
	v_mad_u64_u32 v[69:70], null, v41, 34, s[18:19]
	v_add_co_u32 v57, s1, v57, v23
	s_delay_alu instid0(VALU_DEP_1) | instskip(NEXT) | instid1(VALU_DEP_3)
	v_add_co_ci_u32_e64 v58, s1, 0, v58, s1
	v_mad_i64_i32 v[77:78], null, v43, 34, v[69:70]
	s_delay_alu instid0(VALU_DEP_3) | instskip(NEXT) | instid1(VALU_DEP_1)
	v_add_co_u32 v57, s1, v57, 2
	v_add_co_ci_u32_e64 v58, s1, 0, v58, s1
	s_lshl_b32 s1, s14, 5
	s_delay_alu instid0(SALU_CYCLE_1) | instskip(NEXT) | instid1(VALU_DEP_1)
	s_cmp_lt_i32 s1, s5
	v_mad_i64_i32 v[59:60], null, v24, 34, v[57:58]
	v_mad_i64_i32 v[61:62], null, v25, 34, v[57:58]
	;; [unrolled: 1-line block ×8, first 2 shown]
	s_clause 0x7
	global_load_b32 v79, v[59:60], off
	global_load_b32 v80, v[61:62], off
	;; [unrolled: 1-line block ×8, first 2 shown]
	v_mad_i64_i32 v[59:60], null, v44, 34, v[69:70]
	v_mad_i64_i32 v[61:62], null, v32, 34, v[57:58]
	;; [unrolled: 1-line block ×4, first 2 shown]
	s_clause 0x1
	global_load_u16 v76, v[77:78], off
	global_load_u16 v77, v[59:60], off
	v_mad_i64_i32 v[59:60], null, v36, 34, v[57:58]
	v_mad_i64_i32 v[67:68], null, v37, 34, v[57:58]
	;; [unrolled: 1-line block ×5, first 2 shown]
	s_clause 0x7
	global_load_b32 v57, v[61:62], off
	global_load_b32 v58, v[63:64], off
	;; [unrolled: 1-line block ×8, first 2 shown]
	s_waitcnt vmcnt(9)
	v_cvt_f32_f16_e32 v65, v76
	s_waitcnt vmcnt(8)
	v_cvt_f32_f16_e32 v66, v77
	ds_store_b32 v0, v79
	ds_store_b32 v55, v65
	;; [unrolled: 1-line block ×9, first 2 shown]
	s_waitcnt vmcnt(7)
	ds_store_b32 v9, v57
	s_waitcnt vmcnt(6)
	ds_store_b32 v10, v58
	;; [unrolled: 2-line block ×8, first 2 shown]
	ds_store_b32 v56, v66
	s_cbranch_scc0 .LBB226_4
; %bb.6:                                ;   in Loop: Header=BB226_5 Depth=1
	v_add_nc_u32_e32 v57, s14, v22
	s_delay_alu instid0(VALU_DEP_1) | instskip(NEXT) | instid1(VALU_DEP_1)
	v_cmp_gt_i32_e64 s1, s8, v57
	s_and_b32 s6, s0, s1
	s_delay_alu instid0(SALU_CYCLE_1)
	s_and_saveexec_b32 s1, s6
	s_cbranch_execz .LBB226_8
; %bb.7:                                ;   in Loop: Header=BB226_5 Depth=1
	v_add_nc_u32_e32 v59, v48, v57
	s_delay_alu instid0(VALU_DEP_1)
	v_mad_i64_i32 v[57:58], null, v59, 36, v[17:18]
	global_load_b32 v57, v[57:58], off offset:4
	s_waitcnt vmcnt(0)
	ds_store_b32 v45, v57
.LBB226_8:                              ;   in Loop: Header=BB226_5 Depth=1
	s_or_b32 exec_lo, exec_lo, s1
	v_or_b32_e32 v57, s14, v20
	s_delay_alu instid0(VALU_DEP_1) | instskip(NEXT) | instid1(VALU_DEP_1)
	v_cmp_gt_i32_e64 s1, s8, v57
	s_and_b32 s1, s0, s1
	s_delay_alu instid0(SALU_CYCLE_1) | instskip(NEXT) | instid1(SALU_CYCLE_1)
	s_and_b32 s6, vcc_lo, s1
	s_and_saveexec_b32 s1, s6
	s_cbranch_execz .LBB226_10
; %bb.9:                                ;   in Loop: Header=BB226_5 Depth=1
	v_add_nc_u32_e32 v59, v48, v57
	s_delay_alu instid0(VALU_DEP_1)
	v_mad_i64_i32 v[57:58], null, v59, 36, s[2:3]
	global_load_b32 v57, v[57:58], off
	s_waitcnt vmcnt(0)
	v_cvt_f32_f16_e32 v57, v57
	ds_store_b32 v46, v57
.LBB226_10:                             ;   in Loop: Header=BB226_5 Depth=1
	s_or_b32 exec_lo, exec_lo, s1
	v_dual_mov_b32 v57, v54 :: v_dual_mov_b32 v58, v53
	v_dual_mov_b32 v59, v52 :: v_dual_mov_b32 v60, v51
	;; [unrolled: 1-line block ×3, first 2 shown]
	v_mov_b32_e32 v63, v47
	s_mov_b32 s1, -8
	s_waitcnt lgkmcnt(0)
	s_barrier
	buffer_gl0_inv
.LBB226_11:                             ;   Parent Loop BB226_5 Depth=1
                                        ; =>  This Inner Loop Header: Depth=2
	ds_load_b128 v[64:67], v57
	ds_load_b128 v[68:71], v57 offset:16
	ds_load_2addr_b32 v[72:73], v63 offset0:2 offset1:3
	ds_load_2addr_b32 v[74:75], v63 offset0:4 offset1:5
	;; [unrolled: 1-line block ×3, first 2 shown]
	ds_load_b32 v104, v58
	ds_load_b32 v105, v59
	ds_load_b32 v106, v60
	ds_load_b32 v107, v61
	v_add_nc_u32_e32 v80, 0x1080, v63
	v_add_nc_u32_e32 v82, 0x2100, v63
	;; [unrolled: 1-line block ×3, first 2 shown]
	ds_load_2addr_b32 v[78:79], v63 offset1:1
	ds_load_2addr_b32 v[80:81], v80 offset1:1
	;; [unrolled: 1-line block ×4, first 2 shown]
	ds_load_b32 v108, v62
	v_add_nc_u32_e32 v86, 0x1088, v63
	v_add_nc_u32_e32 v88, 0x2108, v63
	;; [unrolled: 1-line block ×12, first 2 shown]
	s_add_i32 s1, s1, 8
	s_delay_alu instid0(SALU_CYCLE_1)
	s_cmp_lt_u32 s1, 24
	s_waitcnt lgkmcnt(4)
	v_dot4_i32_iu8 v78, v78, v64, 0 neg_lo:[1,1,0]
	s_waitcnt lgkmcnt(3)
	v_dot4_i32_iu8 v80, v80, v64, 0 neg_lo:[1,1,0]
	;; [unrolled: 2-line block ×4, first 2 shown]
	v_dot4_i32_iu8 v78, v79, v65, v78 neg_lo:[1,1,0]
	v_dot4_i32_iu8 v79, v81, v65, v80 neg_lo:[1,1,0]
	;; [unrolled: 1-line block ×3, first 2 shown]
	s_delay_alu instid0(VALU_DEP_4) | instskip(NEXT) | instid1(VALU_DEP_4)
	v_dot4_i32_iu8 v64, v85, v65, v64 neg_lo:[1,1,0]
	v_dot4_i32_iu8 v65, v72, v66, v78 neg_lo:[1,1,0]
	s_delay_alu instid0(VALU_DEP_1) | instskip(NEXT) | instid1(VALU_DEP_1)
	v_dot4_i32_iu8 v65, v73, v67, v65 neg_lo:[1,1,0]
	v_dot4_i32_iu8 v65, v74, v68, v65 neg_lo:[1,1,0]
	s_delay_alu instid0(VALU_DEP_1) | instskip(NEXT) | instid1(VALU_DEP_1)
	;; [unrolled: 3-line block ×3, first 2 shown]
	v_dot4_i32_iu8 v65, v77, v71, v65 neg_lo:[1,1,0]
	v_cvt_f32_i32_e32 v65, v65
	v_add_nc_u32_e32 v92, 0x1090, v63
	ds_load_2addr_b32 v[86:87], v86 offset1:1
	ds_load_2addr_b32 v[88:89], v88 offset1:1
	ds_load_2addr_b32 v[90:91], v90 offset1:1
	ds_load_2addr_b32 v[92:93], v92 offset1:1
	ds_load_2addr_b32 v[94:95], v94 offset1:1
	ds_load_2addr_b32 v[96:97], v96 offset1:1
	ds_load_2addr_b32 v[98:99], v98 offset1:1
	ds_load_2addr_b32 v[100:101], v100 offset1:1
	ds_load_2addr_b32 v[102:103], v102 offset1:1
	v_add_nc_u32_e32 v63, 32, v63
	s_waitcnt lgkmcnt(8)
	v_dot4_i32_iu8 v72, v86, v66, v79 neg_lo:[1,1,0]
	s_waitcnt lgkmcnt(7)
	v_dot4_i32_iu8 v78, v88, v66, v80 neg_lo:[1,1,0]
	s_waitcnt lgkmcnt(6)
	v_dot4_i32_iu8 v64, v90, v66, v64 neg_lo:[1,1,0]
	v_dot4_i32_iu8 v66, v87, v67, v72 neg_lo:[1,1,0]
	s_delay_alu instid0(VALU_DEP_3) | instskip(NEXT) | instid1(VALU_DEP_3)
	v_dot4_i32_iu8 v72, v89, v67, v78 neg_lo:[1,1,0]
	v_dot4_i32_iu8 v64, v91, v67, v64 neg_lo:[1,1,0]
	s_waitcnt lgkmcnt(5)
	s_delay_alu instid0(VALU_DEP_3)
	v_dot4_i32_iu8 v66, v92, v68, v66 neg_lo:[1,1,0]
	s_waitcnt lgkmcnt(3)
	v_dot4_i32_iu8 v67, v96, v68, v72 neg_lo:[1,1,0]
	s_waitcnt lgkmcnt(1)
	v_dot4_i32_iu8 v64, v100, v68, v64 neg_lo:[1,1,0]
	v_mul_f32_e32 v68, v104, v105
	v_dot4_i32_iu8 v66, v93, v69, v66 neg_lo:[1,1,0]
	v_dot4_i32_iu8 v67, v97, v69, v67 neg_lo:[1,1,0]
	s_delay_alu instid0(VALU_DEP_4)
	v_dot4_i32_iu8 v64, v101, v69, v64 neg_lo:[1,1,0]
	v_mul_f32_e32 v69, v104, v106
	v_fmac_f32_e32 v21, v68, v65
	v_dot4_i32_iu8 v66, v94, v70, v66 neg_lo:[1,1,0]
	v_dot4_i32_iu8 v67, v98, v70, v67 neg_lo:[1,1,0]
	s_waitcnt lgkmcnt(0)
	v_dot4_i32_iu8 v64, v102, v70, v64 neg_lo:[1,1,0]
	v_mul_f32_e32 v70, v104, v107
	v_dot4_i32_iu8 v66, v95, v71, v66 neg_lo:[1,1,0]
	v_dot4_i32_iu8 v67, v99, v71, v67 neg_lo:[1,1,0]
	s_delay_alu instid0(VALU_DEP_4) | instskip(SKIP_1) | instid1(VALU_DEP_4)
	v_dot4_i32_iu8 v64, v103, v71, v64 neg_lo:[1,1,0]
	v_mul_f32_e32 v71, v104, v108
	v_cvt_f32_i32_e32 v66, v66
	s_delay_alu instid0(VALU_DEP_4) | instskip(NEXT) | instid1(VALU_DEP_4)
	v_cvt_f32_i32_e32 v67, v67
	v_cvt_f32_i32_e32 v64, v64
	v_add_nc_u32_e32 v59, 4, v59
	s_delay_alu instid0(VALU_DEP_4) | instskip(NEXT) | instid1(VALU_DEP_4)
	v_dual_fmac_f32 v40, v69, v66 :: v_dual_add_nc_u32 v57, 32, v57
	v_fmac_f32_e32 v34, v70, v67
	s_delay_alu instid0(VALU_DEP_4)
	v_fmac_f32_e32 v8, v71, v64
	s_cbranch_scc1 .LBB226_11
; %bb.12:                               ;   in Loop: Header=BB226_5 Depth=1
	s_barrier
	buffer_gl0_inv
	s_branch .LBB226_4
.LBB226_13:
	s_mul_i32 s0, s10, s7
	s_waitcnt vmcnt(0)
	v_cmp_gt_i32_e32 vcc_lo, s0, v19
	s_and_saveexec_b32 s0, vcc_lo
	s_cbranch_execz .LBB226_22
; %bb.14:
	v_mul_lo_u32 v0, v19, s9
	v_add_nc_u32_e32 v1, s11, v20
	s_mov_b32 s0, exec_lo
	s_delay_alu instid0(VALU_DEP_1)
	v_cmpx_gt_u32_e64 s9, v1
	s_cbranch_execz .LBB226_16
; %bb.15:
	v_bfe_u32 v3, v21, 16, 1
	s_delay_alu instid0(VALU_DEP_4) | instskip(SKIP_1) | instid1(VALU_DEP_3)
	v_add_nc_u32_e32 v2, v0, v1
	v_cmp_o_f32_e32 vcc_lo, v21, v21
	v_add3_u32 v4, v21, v3, 0x7fff
	v_mov_b32_e32 v3, 0
	s_delay_alu instid0(VALU_DEP_2) | instskip(NEXT) | instid1(VALU_DEP_2)
	v_lshrrev_b32_e32 v4, 16, v4
	v_lshlrev_b64 v[2:3], 1, v[2:3]
	s_delay_alu instid0(VALU_DEP_2) | instskip(NEXT) | instid1(VALU_DEP_2)
	v_cndmask_b32_e32 v4, 0x7fc0, v4, vcc_lo
	v_add_co_u32 v2, vcc_lo, s12, v2
	s_delay_alu instid0(VALU_DEP_3)
	v_add_co_ci_u32_e32 v3, vcc_lo, s13, v3, vcc_lo
	global_store_b16 v[2:3], v4, off
.LBB226_16:
	s_or_b32 exec_lo, exec_lo, s0
	v_add_nc_u32_e32 v2, 32, v1
	s_mov_b32 s0, exec_lo
	s_delay_alu instid0(VALU_DEP_1)
	v_cmpx_gt_u32_e64 s9, v2
	s_cbranch_execz .LBB226_18
; %bb.17:
	v_bfe_u32 v3, v40, 16, 1
	v_add_nc_u32_e32 v2, v0, v2
	v_cmp_o_f32_e32 vcc_lo, v40, v40
	s_delay_alu instid0(VALU_DEP_3) | instskip(SKIP_1) | instid1(VALU_DEP_2)
	v_add3_u32 v4, v40, v3, 0x7fff
	v_mov_b32_e32 v3, 0
	v_lshrrev_b32_e32 v4, 16, v4
	s_delay_alu instid0(VALU_DEP_2) | instskip(NEXT) | instid1(VALU_DEP_2)
	v_lshlrev_b64 v[2:3], 1, v[2:3]
	v_cndmask_b32_e32 v4, 0x7fc0, v4, vcc_lo
	s_delay_alu instid0(VALU_DEP_2) | instskip(NEXT) | instid1(VALU_DEP_3)
	v_add_co_u32 v2, vcc_lo, s12, v2
	v_add_co_ci_u32_e32 v3, vcc_lo, s13, v3, vcc_lo
	global_store_b16 v[2:3], v4, off
.LBB226_18:
	s_or_b32 exec_lo, exec_lo, s0
	v_add_nc_u32_e32 v2, 64, v1
	s_mov_b32 s0, exec_lo
	s_delay_alu instid0(VALU_DEP_1)
	v_cmpx_gt_u32_e64 s9, v2
	s_cbranch_execz .LBB226_20
; %bb.19:
	v_bfe_u32 v3, v34, 16, 1
	v_add_nc_u32_e32 v2, v0, v2
	v_cmp_o_f32_e32 vcc_lo, v34, v34
	s_delay_alu instid0(VALU_DEP_3) | instskip(SKIP_1) | instid1(VALU_DEP_2)
	v_add3_u32 v4, v34, v3, 0x7fff
	v_mov_b32_e32 v3, 0
	v_lshrrev_b32_e32 v4, 16, v4
	s_delay_alu instid0(VALU_DEP_2) | instskip(NEXT) | instid1(VALU_DEP_2)
	v_lshlrev_b64 v[2:3], 1, v[2:3]
	v_cndmask_b32_e32 v4, 0x7fc0, v4, vcc_lo
	s_delay_alu instid0(VALU_DEP_2) | instskip(NEXT) | instid1(VALU_DEP_3)
	v_add_co_u32 v2, vcc_lo, s12, v2
	v_add_co_ci_u32_e32 v3, vcc_lo, s13, v3, vcc_lo
	global_store_b16 v[2:3], v4, off
.LBB226_20:
	s_or_b32 exec_lo, exec_lo, s0
	v_add_nc_u32_e32 v1, 0x60, v1
	s_delay_alu instid0(VALU_DEP_1)
	v_cmp_gt_u32_e32 vcc_lo, s9, v1
	s_and_b32 exec_lo, exec_lo, vcc_lo
	s_cbranch_execz .LBB226_22
; %bb.21:
	v_bfe_u32 v2, v8, 16, 1
	v_dual_mov_b32 v1, 0 :: v_dual_add_nc_u32 v0, v0, v1
	v_cmp_o_f32_e32 vcc_lo, v8, v8
	s_delay_alu instid0(VALU_DEP_3) | instskip(NEXT) | instid1(VALU_DEP_3)
	v_add3_u32 v2, v8, v2, 0x7fff
	v_lshlrev_b64 v[0:1], 1, v[0:1]
	s_delay_alu instid0(VALU_DEP_2) | instskip(NEXT) | instid1(VALU_DEP_1)
	v_lshrrev_b32_e32 v2, 16, v2
	v_cndmask_b32_e32 v2, 0x7fc0, v2, vcc_lo
	s_delay_alu instid0(VALU_DEP_3) | instskip(NEXT) | instid1(VALU_DEP_4)
	v_add_co_u32 v0, vcc_lo, s12, v0
	v_add_co_ci_u32_e32 v1, vcc_lo, s13, v1, vcc_lo
	global_store_b16 v[0:1], v2, off
.LBB226_22:
	s_nop 0
	s_sendmsg sendmsg(MSG_DEALLOC_VGPRS)
	s_endpgm
	.section	.rodata,"a",@progbits
	.p2align	6, 0x0
	.amdhsa_kernel _ZL8moe_q8_0IN3c108BFloat16ELb1EEvPKvS3_PT_PKiS7_S7_iiiiiii
		.amdhsa_group_segment_fixed_size 20160
		.amdhsa_private_segment_fixed_size 0
		.amdhsa_kernarg_size 76
		.amdhsa_user_sgpr_count 14
		.amdhsa_user_sgpr_dispatch_ptr 0
		.amdhsa_user_sgpr_queue_ptr 0
		.amdhsa_user_sgpr_kernarg_segment_ptr 1
		.amdhsa_user_sgpr_dispatch_id 0
		.amdhsa_user_sgpr_private_segment_size 0
		.amdhsa_wavefront_size32 1
		.amdhsa_uses_dynamic_stack 0
		.amdhsa_enable_private_segment 0
		.amdhsa_system_sgpr_workgroup_id_x 1
		.amdhsa_system_sgpr_workgroup_id_y 1
		.amdhsa_system_sgpr_workgroup_id_z 0
		.amdhsa_system_sgpr_workgroup_info 0
		.amdhsa_system_vgpr_workitem_id 1
		.amdhsa_next_free_vgpr 109
		.amdhsa_next_free_sgpr 20
		.amdhsa_reserve_vcc 1
		.amdhsa_float_round_mode_32 0
		.amdhsa_float_round_mode_16_64 0
		.amdhsa_float_denorm_mode_32 3
		.amdhsa_float_denorm_mode_16_64 3
		.amdhsa_dx10_clamp 1
		.amdhsa_ieee_mode 1
		.amdhsa_fp16_overflow 0
		.amdhsa_workgroup_processor_mode 1
		.amdhsa_memory_ordered 1
		.amdhsa_forward_progress 0
		.amdhsa_shared_vgpr_count 0
		.amdhsa_exception_fp_ieee_invalid_op 0
		.amdhsa_exception_fp_denorm_src 0
		.amdhsa_exception_fp_ieee_div_zero 0
		.amdhsa_exception_fp_ieee_overflow 0
		.amdhsa_exception_fp_ieee_underflow 0
		.amdhsa_exception_fp_ieee_inexact 0
		.amdhsa_exception_int_div_zero 0
	.end_amdhsa_kernel
	.section	.text._ZL8moe_q8_0IN3c108BFloat16ELb1EEvPKvS3_PT_PKiS7_S7_iiiiiii,"axG",@progbits,_ZL8moe_q8_0IN3c108BFloat16ELb1EEvPKvS3_PT_PKiS7_S7_iiiiiii,comdat
.Lfunc_end226:
	.size	_ZL8moe_q8_0IN3c108BFloat16ELb1EEvPKvS3_PT_PKiS7_S7_iiiiiii, .Lfunc_end226-_ZL8moe_q8_0IN3c108BFloat16ELb1EEvPKvS3_PT_PKiS7_S7_iiiiiii
                                        ; -- End function
	.section	.AMDGPU.csdata,"",@progbits
; Kernel info:
; codeLenInByte = 3376
; NumSgprs: 22
; NumVgprs: 109
; ScratchSize: 0
; MemoryBound: 0
; FloatMode: 240
; IeeeMode: 1
; LDSByteSize: 20160 bytes/workgroup (compile time only)
; SGPRBlocks: 2
; VGPRBlocks: 13
; NumSGPRsForWavesPerEU: 22
; NumVGPRsForWavesPerEU: 109
; Occupancy: 12
; WaveLimiterHint : 1
; COMPUTE_PGM_RSRC2:SCRATCH_EN: 0
; COMPUTE_PGM_RSRC2:USER_SGPR: 14
; COMPUTE_PGM_RSRC2:TRAP_HANDLER: 0
; COMPUTE_PGM_RSRC2:TGID_X_EN: 1
; COMPUTE_PGM_RSRC2:TGID_Y_EN: 1
; COMPUTE_PGM_RSRC2:TGID_Z_EN: 0
; COMPUTE_PGM_RSRC2:TIDIG_COMP_CNT: 1
	.section	.text._ZL8moe_q2_KIN3c108BFloat16ELb0EEvPKvS3_PT_PKiS7_S7_iiiiiii,"axG",@progbits,_ZL8moe_q2_KIN3c108BFloat16ELb0EEvPKvS3_PT_PKiS7_S7_iiiiiii,comdat
	.globl	_ZL8moe_q2_KIN3c108BFloat16ELb0EEvPKvS3_PT_PKiS7_S7_iiiiiii ; -- Begin function _ZL8moe_q2_KIN3c108BFloat16ELb0EEvPKvS3_PT_PKiS7_S7_iiiiiii
	.p2align	8
	.type	_ZL8moe_q2_KIN3c108BFloat16ELb0EEvPKvS3_PT_PKiS7_S7_iiiiiii,@function
_ZL8moe_q2_KIN3c108BFloat16ELb0EEvPKvS3_PT_PKiS7_S7_iiiiiii: ; @_ZL8moe_q2_KIN3c108BFloat16ELb0EEvPKvS3_PT_PKiS7_S7_iiiiiii
; %bb.0:
	s_load_b128 s[4:7], s[0:1], 0x18
	s_mov_b32 s2, s15
	s_mov_b32 s3, 0
	s_delay_alu instid0(SALU_CYCLE_1)
	s_lshl_b64 s[8:9], s[2:3], 2
	s_waitcnt lgkmcnt(0)
	s_add_u32 s6, s6, s8
	s_addc_u32 s7, s7, s9
	s_load_b32 s12, s[6:7], 0x0
	s_waitcnt lgkmcnt(0)
	s_cmpk_gt_u32 s12, 0xff
	s_cbranch_scc1 .LBB227_51
; %bb.1:
	s_load_b64 s[6:7], s[0:1], 0x28
	s_lshl_b32 s2, s2, 3
	s_waitcnt lgkmcnt(0)
	s_load_b32 s3, s[6:7], 0x0
	s_waitcnt lgkmcnt(0)
	s_cmp_gt_u32 s2, s3
	s_cbranch_scc1 .LBB227_51
; %bb.2:
	v_bfe_u32 v1, v0, 10, 10
	v_mov_b32_e32 v8, 0
	s_lshl_b32 s18, s14, 7
	s_mov_b32 s19, 0
	s_delay_alu instid0(VALU_DEP_2) | instskip(NEXT) | instid1(VALU_DEP_2)
	v_add_nc_u32_e32 v7, s2, v1
	v_dual_mov_b32 v55, v8 :: v_dual_and_b32 v156, 0x3ff, v0
	v_mov_b32_e32 v61, v8
	v_mov_b32_e32 v13, v8
	s_delay_alu instid0(VALU_DEP_4) | instskip(NEXT) | instid1(VALU_DEP_1)
	v_lshlrev_b64 v[2:3], 2, v[7:8]
	v_add_co_u32 v2, vcc_lo, s4, v2
	s_delay_alu instid0(VALU_DEP_2)
	v_add_co_ci_u32_e32 v3, vcc_lo, s5, v3, vcc_lo
	global_load_b32 v11, v[2:3], off
	s_clause 0x2
	s_load_b64 s[10:11], s[0:1], 0x30
	s_load_b64 s[8:9], s[0:1], 0x10
	s_load_b128 s[4:7], s[0:1], 0x3c
	s_waitcnt lgkmcnt(0)
	s_cmpk_lt_i32 s11, 0x100
	s_cbranch_scc1 .LBB227_42
; %bb.3:
	s_load_b128 s[0:3], s[0:1], 0x0
	s_ashr_i32 s14, s11, 31
	s_mul_i32 s16, s12, s10
	s_lshr_b32 s10, s14, 24
	s_ashr_i32 s15, s5, 31
	s_add_i32 s10, s11, s10
	s_lshr_b32 s14, s15, 27
	s_ashr_i32 s10, s10, 8
	s_add_i32 s5, s5, s14
	s_mul_i32 s14, s10, s18
	s_ashr_i32 s15, s16, 31
	s_ashr_i32 s5, s5, 5
	s_mul_hi_i32 s17, s14, 0x54
	s_mulk_i32 s14, 0x54
	v_lshlrev_b32_e32 v2, 4, v1
	v_lshrrev_b32_e32 v3, 1, v156
	v_and_b32_e32 v17, 1, v156
	v_lshlrev_b32_e32 v4, 2, v1
	v_lshrrev_b32_e32 v8, 3, v156
	v_and_b32_e32 v5, 7, v156
	s_waitcnt lgkmcnt(0)
	s_add_u32 s0, s0, s16
	s_addc_u32 s1, s1, s15
	s_add_u32 s20, s0, s14
	s_addc_u32 s21, s1, s17
	s_abs_i32 s14, s7
	s_lshl_b32 s0, s10, 3
	v_cvt_f32_u32_e32 v9, s14
	v_mad_i32_i24 v90, s10, v1, s0
	v_add_nc_u32_e32 v3, v3, v2
	v_lshlrev_b32_e32 v7, 2, v17
	v_add_nc_u32_e32 v8, v8, v4
	v_rcp_iflag_f32_e32 v9, v9
	v_add_nc_u32_e32 v20, s0, v90
	v_and_b32_e32 v10, 0x7f, v3
	v_lshrrev_b32_e32 v3, 2, v3
	s_sub_i32 s15, 0, s14
	v_mul_i32_i24_e32 v12, s10, v8
	v_add_nc_u32_e32 v58, 64, v8
	v_mul_i32_i24_e32 v21, s10, v10
	v_lshl_or_b32 v7, v10, 3, v7
	v_and_b32_e32 v3, 28, v3
	v_dual_mul_f32 v9, 0x4f7ffffe, v9 :: v_dual_add_nc_u32 v22, s0, v20
	scratch_store_b32 off, v12, off         ; 4-byte Folded Spill
	s_waitcnt vmcnt(0)
	scratch_store_b32 off, v11, off offset:92 ; 4-byte Folded Spill
	v_add3_u32 v36, v7, v3, 0x5280
	v_cvt_u32_f32_e32 v9, v9
	v_add_nc_u32_e32 v25, s0, v22
	v_dual_mov_b32 v13, 0 :: v_dual_lshlrev_b32 v0, 2, v156
	v_and_b32_e32 v52, 0x1ffc, v8
	s_delay_alu instid0(VALU_DEP_4) | instskip(NEXT) | instid1(VALU_DEP_4)
	v_mul_lo_u32 v10, s15, v9
	v_add_nc_u32_e32 v30, s0, v25
	s_lshl_b32 s15, s10, 5
	v_lshlrev_b32_e32 v55, 5, v8
	v_add_nc_u32_e32 v57, 32, v8
	v_mad_i32_i24 v33, s10, v8, s15
	v_add_nc_u32_e32 v35, s0, v30
	v_add_nc_u32_e32 v8, 0x60, v8
	v_mul_hi_u32 v3, v9, v10
	v_sub_nc_u32_e32 v6, 0, v11
	v_cmp_lt_u32_e32 vcc_lo, 3, v5
	v_add_nc_u32_e32 v38, s0, v35
	v_lshlrev_b32_e32 v5, 2, v5
	v_and_b32_e32 v10, 0x3ffc, v58
	v_and_b32_e32 v40, 60, v0
	v_mad_u32_u24 v31, 0x84, v1, v0
	v_add_nc_u32_e32 v42, s0, v38
	v_and_b32_e32 v43, 12, v0
	v_and_b32_e32 v56, 0x3ffc, v57
	v_add_nc_u32_e32 v3, v9, v3
	v_and_b32_e32 v9, 0x3ffc, v8
	v_add_nc_u32_e32 v46, s0, v42
	v_and_b32_e32 v0, 28, v0
	v_max_i32_e32 v6, v11, v6
	v_mul_i32_i24_e32 v44, s10, v1
	v_add3_u32 v92, v10, v5, 0x4200
	v_add_nc_u32_e32 v48, s0, v46
	v_and_b32_e32 v10, 31, v156
	v_lshlrev_b32_e32 v1, 7, v1
	v_add3_u32 v61, v52, v5, 0x4200
	v_add3_u32 v7, v56, v5, 0x4200
	v_add_nc_u32_e32 v51, s0, v48
	v_add3_u32 v5, v9, v5, 0x4200
	v_mul_hi_u32 v3, v6, v3
	v_lshl_or_b32 v59, v10, 2, v1
	v_xor_b32_e32 v63, s7, v11
	v_add_nc_u32_e32 v12, s0, v51
	v_add_nc_u32_e32 v78, 32, v156
	v_add_nc_u32_e32 v75, 0x60, v156
	v_lshrrev_b32_e32 v15, 4, v156
	v_ashrrev_i32_e32 v65, 31, v63
	v_add_nc_u32_e32 v29, s0, v12
	v_mul_lo_u32 v62, v3, s14
	v_lshrrev_b32_e32 v66, 2, v78
	v_lshrrev_b32_e32 v67, 2, v75
	v_add_nc_u32_e32 v77, 64, v156
	v_add_nc_u32_e32 v32, s0, v29
	v_lshlrev_b32_e32 v64, 2, v15
	v_and_b32_e32 v66, 0x7c, v66
	v_lshlrev_b32_e32 v91, 5, v57
	v_add_nc_u32_e32 v34, s15, v33
	v_add_nc_u32_e32 v37, s0, v32
	v_add_co_u32 v9, s0, s2, v0
	s_delay_alu instid0(VALU_DEP_1)
	v_add_co_ci_u32_e64 v10, null, s3, 0, s0
	v_add_nc_u32_e32 v0, 0x56a0, v59
	v_lshlrev_b32_e32 v93, 5, v58
	v_lshlrev_b32_e32 v8, 5, v8
	scratch_store_b64 off, v[9:10], off offset:60 ; 8-byte Folded Spill
	v_add_nc_u32_e32 v10, v61, v55
	scratch_store_b32 off, v0, off offset:68 ; 4-byte Folded Spill
	v_mov_b32_e32 v55, 0
	v_or_b32_e32 v4, v4, v156
	v_dual_mov_b32 v61, 0 :: v_dual_lshlrev_b32 v68, 3, v77
	v_lshlrev_b32_e32 v76, 5, v156
	v_and_b32_e32 v79, 0xfc, v156
	s_delay_alu instid0(VALU_DEP_4)
	v_lshl_add_u32 v0, v4, 2, 0x5aa0
	v_lshlrev_b32_e32 v4, 3, v156
	s_movk_i32 s12, 0x1080
	s_movk_i32 s13, 0x2100
	;; [unrolled: 1-line block ×3, first 2 shown]
	scratch_store_b32 off, v0, off offset:76 ; 4-byte Folded Spill
	v_sub_nc_u32_e32 v0, v6, v62
	v_add_nc_u32_e32 v6, 1, v3
	v_add3_u32 v63, v64, v4, 0x5280
	v_lshrrev_b32_e32 v4, 2, v77
	v_mad_u32_u24 v64, 0x84, v156, s12
	v_subrev_nc_u32_e32 v62, s14, v0
	v_cmp_le_u32_e64 s0, s14, v0
	s_add_u32 s12, s2, 0x90
	v_and_b32_e32 v4, 0x7c, v4
	v_cndmask_b32_e64 v41, 0, 1, vcc_lo
	v_add_nc_u32_e32 v45, 0x420, v31
	v_cndmask_b32_e64 v3, v3, v6, s0
	v_cndmask_b32_e64 v0, v0, v62, s0
	v_lshlrev_b32_e32 v6, 3, v78
	v_add_nc_u32_e32 v47, 0x840, v31
	v_add_nc_u32_e32 v50, 0xc60, v31
	;; [unrolled: 1-line block ×3, first 2 shown]
	v_cmp_le_u32_e64 s0, s14, v0
	v_add_nc_u32_e32 v53, 0x1080, v31
	v_add_nc_u32_e32 v18, 0x14a0, v31
	;; [unrolled: 1-line block ×4, first 2 shown]
	v_cndmask_b32_e64 v0, v3, v62, s0
	v_lshlrev_b32_e32 v3, 3, v75
	v_add_nc_u32_e32 v23, 0x2100, v31
	v_add_nc_u32_e32 v24, 0x2520, v31
	;; [unrolled: 1-line block ×3, first 2 shown]
	v_xor_b32_e32 v0, v0, v65
	v_add_nc_u32_e32 v16, 0x2d60, v31
	v_add_nc_u32_e32 v49, 0x3180, v31
	;; [unrolled: 1-line block ×4, first 2 shown]
	v_sub_nc_u32_e32 v0, v0, v65
	v_add3_u32 v65, v6, v66, 0x5280
	v_and_b32_e32 v6, 0x7c, v67
	v_mad_u32_u24 v66, 0x84, v156, s13
	s_addc_u32 s13, s3, 0
	v_mul_lo_u32 v9, v0, s5
	v_cmp_gt_i32_e64 s0, s4, v0
	v_add3_u32 v70, v3, v6, 0x5280
	v_lshrrev_b32_e32 v3, 3, v78
	v_and_b32_e32 v78, 0x1fc, v78
	v_add_nc_u32_e32 v28, 0x3de0, v31
	v_add_nc_u32_e32 v39, s15, v34
	v_cmp_gt_u32_e32 vcc_lo, 4, v156
	v_ashrrev_i32_e32 v0, 31, v9
	v_mul_u32_u24_e32 v62, 0x84, v156
	v_add3_u32 v68, v68, v4, 0x5280
	v_mad_u32_u24 v69, 0x84, v156, s1
	s_add_u32 s14, s2, 0x120
	scratch_store_b32 off, v0, off offset:84 ; 4-byte Folded Spill
	v_add_nc_u32_e32 v0, 0x56a0, v1
	scratch_store_b32 off, v9, off offset:12 ; 4-byte Folded Spill
	v_add_nc_u32_e32 v84, 0x4608, v78
	v_add_nc_u32_e32 v85, 0x4208, v79
	;; [unrolled: 1-line block ×3, first 2 shown]
	scratch_store_b32 off, v0, off offset:4 ; 4-byte Folded Spill
	v_add_nc_u32_e32 v0, 0x5aa0, v2
	scratch_store_b32 off, v3, off offset:72 ; 4-byte Folded Spill
	v_lshrrev_b32_e32 v3, 3, v77
	v_and_b32_e32 v77, 0x1fc, v77
	v_add_nc_u32_e32 v89, v76, v79
	scratch_store_b32 off, v0, off offset:8 ; 4-byte Folded Spill
	v_add_nc_u32_e32 v11, v7, v91
	scratch_store_b32 off, v3, off offset:80 ; 4-byte Folded Spill
	v_lshrrev_b32_e32 v3, 3, v75
	v_and_b32_e32 v75, 0x1fc, v75
	v_add_nc_u32_e32 v83, 0x4a08, v77
	v_add_nc_u32_e32 v87, v76, v77
	;; [unrolled: 1-line block ×6, first 2 shown]
	v_mov_b32_e32 v8, 0
	s_addc_u32 s15, s3, 0
	s_add_u32 s16, s2, 0x1b0
	s_addc_u32 s17, s3, 0
	s_clause 0xb
	scratch_store_b32 off, v3, off offset:88
	scratch_store_b32 off, v31, off offset:16
	;; [unrolled: 1-line block ×12, first 2 shown]
	s_branch .LBB227_7
.LBB227_4:                              ;   in Loop: Header=BB227_7 Depth=1
	v_dual_mov_b32 v18, v56 :: v_dual_mov_b32 v19, v58
	v_dual_mov_b32 v23, v91 :: v_dual_mov_b32 v24, v92
	;; [unrolled: 1-line block ×3, first 2 shown]
	v_mov_b32_e32 v28, v57
.LBB227_5:                              ;   in Loop: Header=BB227_7 Depth=1
	v_mov_b32_e32 v29, v10
	s_clause 0xa
	scratch_load_b32 v31, off, off offset:16
	scratch_load_b32 v32, off, off offset:20
	;; [unrolled: 1-line block ×11, first 2 shown]
.LBB227_6:                              ;   in Loop: Header=BB227_7 Depth=1
	s_add_i32 s19, s19, 2
	s_delay_alu instid0(SALU_CYCLE_1)
	s_cmp_ge_i32 s19, s10
	s_cbranch_scc1 .LBB227_41
.LBB227_7:                              ; =>This Loop Header: Depth=1
                                        ;     Child Loop BB227_14 Depth 2
                                        ;     Child Loop BB227_22 Depth 2
	;; [unrolled: 1-line block ×4, first 2 shown]
	s_mul_i32 s1, s19, 0x54
	s_mul_hi_u32 s23, s19, 0x54
	s_add_u32 s22, s20, s1
	s_addc_u32 s23, s21, s23
	s_delay_alu instid0(SALU_CYCLE_1) | instskip(SKIP_1) | instid1(VALU_DEP_2)
	v_mad_u64_u32 v[0:1], null, 0x54, v15, s[22:23]
	v_mad_u64_u32 v[104:105], null, 0x54, v21, s[22:23]
	v_add_co_u32 v0, s1, v0, v40
	s_delay_alu instid0(VALU_DEP_1) | instskip(NEXT) | instid1(VALU_DEP_2)
	v_add_co_ci_u32_e64 v1, s1, 0, v1, s1
	v_add_co_u32 v0, s1, v0, 16
	s_delay_alu instid0(VALU_DEP_1) | instskip(NEXT) | instid1(VALU_DEP_1)
	v_add_co_ci_u32_e64 v1, s1, 0, v1, s1
	v_mad_u64_u32 v[2:3], null, 0x54, v44, v[0:1]
	v_mad_u64_u32 v[4:5], null, 0x54, v90, v[0:1]
	v_mad_u64_u32 v[6:7], null, 0x54, v20, v[0:1]
	v_mad_u64_u32 v[94:95], null, 0x54, v22, v[0:1]
	v_mad_u64_u32 v[96:97], null, 0x54, v25, v[0:1]
	v_mad_u64_u32 v[98:99], null, 0x54, v30, v[0:1]
	v_mad_u64_u32 v[100:101], null, 0x54, v35, v[0:1]
	v_mad_u64_u32 v[102:103], null, 0x54, v38, v[0:1]
	s_clause 0x7
	global_load_b32 v114, v[2:3], off
	global_load_b32 v115, v[4:5], off
	;; [unrolled: 1-line block ×8, first 2 shown]
	scratch_load_b32 v9, off, off           ; 4-byte Folded Reload
	v_mad_u64_u32 v[98:99], null, 0x54, v41, s[22:23]
	v_mad_u64_u32 v[2:3], null, 0x54, v42, v[0:1]
	v_mad_u64_u32 v[4:5], null, 0x54, v46, v[0:1]
	v_mad_u64_u32 v[6:7], null, 0x54, v48, v[0:1]
	s_delay_alu instid0(VALU_DEP_4)
	v_add_co_u32 v98, s1, v98, v43
	v_mad_u64_u32 v[94:95], null, 0x54, v51, v[0:1]
	v_add_co_ci_u32_e64 v99, s1, 0, v99, s1
	v_mad_u64_u32 v[96:97], null, 0x54, v12, v[0:1]
	v_mad_u64_u32 v[100:101], null, 0x54, v29, v[0:1]
	s_waitcnt vmcnt(18)
	v_mad_u64_u32 v[102:103], null, 0x54, v32, v[0:1]
	s_waitcnt vmcnt(14)
	v_mad_u64_u32 v[106:107], null, 0x54, v37, v[0:1]
	v_mad_u64_u32 v[0:1], null, 0x54, v17, v[104:105]
	;; [unrolled: 1-line block ×4, first 2 shown]
	s_waitcnt vmcnt(13)
	v_mad_u64_u32 v[112:113], null, 0x54, v39, v[98:99]
	s_lshl_b32 s23, s19, 8
	s_delay_alu instid0(SALU_CYCLE_1)
	s_cmp_lt_i32 s23, s11
	s_waitcnt vmcnt(0)
	v_mad_u64_u32 v[104:105], null, 0x54, v9, v[98:99]
	s_clause 0xc
	global_load_b32 v2, v[2:3], off
	global_load_b32 v3, v[4:5], off
	;; [unrolled: 1-line block ×8, first 2 shown]
	global_load_b32 v0, v[0:1], off offset:80
	global_load_b32 v1, v[104:105], off
	global_load_b32 v96, v[108:109], off
	;; [unrolled: 1-line block ×4, first 2 shown]
	ds_store_b32 v31, v114
	ds_store_b32 v45, v115
	;; [unrolled: 1-line block ×8, first 2 shown]
	s_waitcnt vmcnt(12)
	ds_store_b32 v23, v2
	s_waitcnt vmcnt(11)
	ds_store_b32 v24, v3
	;; [unrolled: 2-line block ×13, first 2 shown]
	s_cbranch_scc0 .LBB227_6
; %bb.8:                                ;   in Loop: Header=BB227_7 Depth=1
	v_lshrrev_b32_e32 v0, 3, v156
	s_lshl_b32 s22, s19, 3
	s_delay_alu instid0(VALU_DEP_1) | instid1(SALU_CYCLE_1)
	v_add_nc_u32_e32 v0, s22, v0
	s_delay_alu instid0(VALU_DEP_1) | instskip(NEXT) | instid1(VALU_DEP_1)
	v_cmp_gt_i32_e64 s1, s5, v0
	s_and_b32 s24, s0, s1
	s_delay_alu instid0(SALU_CYCLE_1)
	s_and_saveexec_b32 s1, s24
	s_cbranch_execz .LBB227_10
; %bb.9:                                ;   in Loop: Header=BB227_7 Depth=1
	s_clause 0x1
	scratch_load_b32 v1, off, off offset:12
	scratch_load_b64 v[3:4], off, off offset:60
	s_waitcnt vmcnt(1)
	v_add_nc_u32_e32 v2, v1, v0
	s_waitcnt vmcnt(0)
	s_delay_alu instid0(VALU_DEP_1)
	v_mad_i64_i32 v[0:1], null, v2, 36, v[3:4]
	global_load_b32 v0, v[0:1], off offset:4
	scratch_load_b32 v1, off, off offset:68 ; 4-byte Folded Reload
	s_waitcnt vmcnt(0)
	ds_store_b32 v1, v0
.LBB227_10:                             ;   in Loop: Header=BB227_7 Depth=1
	s_or_b32 exec_lo, exec_lo, s1
	v_dual_mov_b32 v10, v29 :: v_dual_mov_b32 v57, v28
	v_dual_mov_b32 v52, v27 :: v_dual_mov_b32 v93, v26
	v_dual_mov_b32 v92, v24 :: v_dual_mov_b32 v91, v23
	v_mov_b32_e32 v58, v19
	v_mov_b32_e32 v56, v18
	s_and_saveexec_b32 s24, vcc_lo
	s_cbranch_execz .LBB227_13
; %bb.11:                               ;   in Loop: Header=BB227_7 Depth=1
	v_or_b32_e32 v0, s22, v156
	s_delay_alu instid0(VALU_DEP_1) | instskip(NEXT) | instid1(VALU_DEP_1)
	v_cmp_gt_i32_e64 s1, s5, v0
	s_and_b32 s1, s0, s1
	s_delay_alu instid0(SALU_CYCLE_1)
	s_and_b32 exec_lo, exec_lo, s1
	s_cbranch_execz .LBB227_13
; %bb.12:                               ;   in Loop: Header=BB227_7 Depth=1
	scratch_load_b32 v1, off, off offset:12 ; 4-byte Folded Reload
	s_waitcnt vmcnt(0)
	v_add_nc_u32_e32 v2, v1, v0
	s_delay_alu instid0(VALU_DEP_1)
	v_mad_i64_i32 v[0:1], null, v2, 36, s[2:3]
	global_load_b32 v0, v[0:1], off
	scratch_load_b32 v1, off, off offset:76 ; 4-byte Folded Reload
	s_waitcnt vmcnt(1)
	v_cvt_f32_f16_e32 v0, v0
	s_waitcnt vmcnt(0)
	ds_store_b32 v1, v0
.LBB227_13:                             ;   in Loop: Header=BB227_7 Depth=1
	s_or_b32 exec_lo, exec_lo, s24
	s_waitcnt lgkmcnt(0)
	s_waitcnt_vscnt null, 0x0
	s_clause 0x1
	scratch_load_b32 v94, off, off offset:8
	scratch_load_b32 v95, off, off offset:4
	v_mov_b32_e32 v9, v156
	s_mov_b32 s1, 0
	s_mov_b32 s25, -2
	s_waitcnt vmcnt(0)
	s_barrier
	buffer_gl0_inv
.LBB227_14:                             ;   Parent Loop BB227_7 Depth=1
                                        ; =>  This Inner Loop Header: Depth=2
	ds_load_b32 v96, v94
	ds_load_b128 v[4:7], v95
	ds_load_b128 v[0:3], v95 offset:16
	s_and_b32 s26, s1, -16
	s_add_i32 s24, s25, 2
	v_add_nc_u32_e32 v97, s26, v76
	s_and_b32 s26, s24, 0x3ffffff8
	s_lshr_b32 s27, s24, 2
	s_lshl_b32 s26, s26, 2
	s_and_b32 s27, s27, 0x3ffffffc
	v_add_nc_u32_e32 v98, s26, v62
	v_add_nc_u32_e32 v100, s27, v63
	;; [unrolled: 1-line block ×8, first 2 shown]
	v_add3_u32 v106, v79, s25, v97
	v_add3_u32 v107, v78, s25, v97
	;; [unrolled: 1-line block ×4, first 2 shown]
	ds_load_2addr_b32 v[133:134], v98 offset1:1
	ds_load_2addr_b32 v[135:136], v98 offset0:2 offset1:3
	ds_load_2addr_b32 v[137:138], v98 offset0:4 offset1:5
	ds_load_2addr_b32 v[139:140], v98 offset0:6 offset1:7
	ds_load_2addr_b32 v[141:142], v101 offset0:2 offset1:3
	ds_load_2addr_b32 v[143:144], v101 offset0:4 offset1:5
	ds_load_2addr_b32 v[145:146], v101 offset0:6 offset1:7
	ds_load_b32 v97, v99
	ds_load_2addr_b32 v[147:148], v102 offset1:1
	ds_load_2addr_b32 v[149:150], v102 offset0:2 offset1:3
	ds_load_2addr_b32 v[151:152], v102 offset0:4 offset1:5
	;; [unrolled: 1-line block ×3, first 2 shown]
	ds_load_b32 v98, v103
	ds_load_2addr_b32 v[155:156], v104 offset1:1
	ds_load_2addr_b32 v[157:158], v104 offset0:2 offset1:3
	ds_load_2addr_b32 v[159:160], v104 offset0:4 offset1:5
	;; [unrolled: 1-line block ×3, first 2 shown]
	ds_load_b32 v99, v105
	ds_load_2addr_b32 v[163:164], v101 offset1:1
	ds_load_b32 v100, v100
	ds_load_u16 v165, v106 offset:16898
	ds_load_u16 v166, v107 offset:17922
	;; [unrolled: 1-line block ×4, first 2 shown]
	s_waitcnt lgkmcnt(25)
	v_bfe_i32 v129, v4, 0, 8
	v_bfe_i32 v126, v4, 8, 8
	;; [unrolled: 1-line block ×3, first 2 shown]
	v_ashrrev_i32_e32 v123, 24, v4
	v_bfe_i32 v4, v5, 0, 8
	v_bfe_i32 v121, v5, 8, 8
	;; [unrolled: 1-line block ×3, first 2 shown]
	v_ashrrev_i32_e32 v119, 24, v5
	s_waitcnt lgkmcnt(24)
	v_bfe_i32 v131, v0, 0, 8
	v_bfe_i32 v128, v0, 8, 8
	v_ashrrev_i32_e32 v125, 24, v0
	v_bfe_i32 v5, v1, 0, 8
	v_bfe_i32 v112, v1, 8, 8
	v_ashrrev_i32_e32 v109, 24, v1
	v_bfe_i32 v127, v6, 0, 8
	v_bfe_i32 v118, v6, 8, 8
	v_bfe_i32 v117, v6, 16, 8
	v_ashrrev_i32_e32 v116, 24, v6
	v_bfe_i32 v115, v7, 0, 8
	;; [unrolled: 4-line block ×4, first 2 shown]
	v_bfe_i32 v104, v3, 8, 8
	v_bfe_i32 v103, v3, 16, 8
	v_ashrrev_i32_e32 v102, 24, v3
	v_add_nc_u32_e32 v0, v109, v125
	v_add_nc_u32_e32 v3, v112, v128
	;; [unrolled: 1-line block ×7, first 2 shown]
	v_bfe_i32 v107, v2, 16, 8
	v_add3_u32 v2, v0, v106, v102
	v_add3_u32 v0, v3, v108, v104
	;; [unrolled: 1-line block ×7, first 2 shown]
	s_waitcnt lgkmcnt(23)
	v_ashrrev_i32_e32 v169, s24, v133
	v_ashrrev_i32_e32 v170, s24, v134
	s_waitcnt lgkmcnt(21)
	v_ashrrev_i32_e32 v137, s24, v137
	s_waitcnt lgkmcnt(20)
	;; [unrolled: 2-line block ×3, first 2 shown]
	v_ashrrev_i32_e32 v140, s24, v163
	v_ashrrev_i32_e32 v147, s24, v147
	;; [unrolled: 1-line block ×3, first 2 shown]
	v_bfe_i32 v110, v1, 16, 8
	v_ashrrev_i32_e32 v135, s24, v135
	v_ashrrev_i32_e32 v136, s24, v136
	;; [unrolled: 1-line block ×25, first 2 shown]
	s_waitcnt lgkmcnt(3)
	v_lshrrev_b16 v173, 8, v165
	v_bfe_u32 v174, v165, 4, 4
	s_waitcnt lgkmcnt(2)
	v_lshrrev_b16 v175, 8, v166
	v_bfe_u32 v176, v166, 4, 4
	;; [unrolled: 3-line block ×4, first 2 shown]
	v_and_b32_e32 v181, 3, v169
	v_and_b32_e32 v193, 3, v137
	v_and_b32_e32 v205, 3, v140
	v_and_b32_e32 v208, 3, v147
	v_and_b32_e32 v209, 3, v155
	v_add_nc_u32_e32 v1, v110, v124
	v_bfe_u32 v182, v169, 8, 2
	v_bfe_u32 v183, v169, 16, 2
	v_bfe_u32 v169, v169, 24, 2
	v_and_b32_e32 v184, 3, v170
	v_bfe_u32 v185, v170, 8, 2
	v_bfe_u32 v186, v170, 16, 2
	v_bfe_u32 v170, v170, 24, 2
	v_and_b32_e32 v187, 3, v135
	;; [unrolled: 4-line block ×3, first 2 shown]
	v_bfe_u32 v191, v136, 8, 2
	v_bfe_u32 v192, v136, 16, 2
	;; [unrolled: 1-line block ×6, first 2 shown]
	v_and_b32_e32 v196, 3, v138
	v_bfe_u32 v197, v138, 8, 2
	v_bfe_u32 v198, v138, 16, 2
	v_bfe_u32 v138, v138, 24, 2
	v_and_b32_e32 v199, 3, v139
	v_bfe_u32 v200, v139, 8, 2
	v_bfe_u32 v201, v139, 16, 2
	v_bfe_u32 v139, v139, 24, 2
	;; [unrolled: 4-line block ×3, first 2 shown]
	v_bfe_u32 v207, v140, 16, 2
	v_bfe_u32 v140, v140, 24, 2
	v_and_b32_e32 v210, 3, v163
	v_and_b32_e32 v211, 3, v148
	;; [unrolled: 1-line block ×9, first 2 shown]
	v_bfe_u32 v219, v163, 8, 2
	v_bfe_u32 v220, v163, 16, 2
	;; [unrolled: 1-line block ×3, first 2 shown]
	v_and_b32_e32 v221, 3, v141
	v_bfe_u32 v222, v141, 8, 2
	v_bfe_u32 v223, v141, 16, 2
	;; [unrolled: 1-line block ×3, first 2 shown]
	v_and_b32_e32 v224, 3, v142
	v_bfe_u32 v225, v143, 8, 2
	v_and_b32_e32 v226, 3, v145
	v_bfe_u32 v227, v147, 8, 2
	;; [unrolled: 2-line block ×6, first 2 shown]
	v_bfe_u32 v236, v142, 16, 2
	v_bfe_u32 v142, v142, 24, 2
	;; [unrolled: 1-line block ×10, first 2 shown]
	v_and_b32_e32 v242, 3, v146
	v_bfe_u32 v243, v146, 8, 2
	v_bfe_u32 v244, v147, 16, 2
	v_bfe_u32 v147, v147, 24, 2
	v_bfe_u32 v245, v146, 16, 2
	v_bfe_u32 v246, v151, 16, 2
	v_bfe_u32 v151, v151, 24, 2
	v_bfe_u32 v247, v148, 8, 2
	v_bfe_u32 v248, v155, 16, 2
	v_bfe_u32 v249, v148, 16, 2
	v_bfe_u32 v148, v148, 24, 2
	v_bfe_u32 v155, v155, 24, 2
	v_bfe_u32 v250, v149, 8, 2
	v_bfe_u32 v251, v149, 16, 2
	v_bfe_u32 v149, v149, 24, 2
	v_bfe_u32 v252, v159, 16, 2
	v_and_b32_e32 v253, 3, v150
	v_bfe_u32 v159, v159, 24, 2
	v_bfe_u32 v254, v150, 8, 2
	;; [unrolled: 1-line block ×14, first 2 shown]
	v_and_b32_e32 v18, 3, v158
	v_bfe_u32 v67, v153, 16, 2
	v_bfe_u32 v80, v158, 8, 2
	v_bfe_u32 v153, v153, 24, 2
	v_bfe_u32 v81, v158, 16, 2
	v_bfe_u32 v158, v158, 24, 2
	v_bfe_u32 v19, v160, 8, 2
	v_and_b32_e32 v23, 3, v154
	v_bfe_u32 v24, v160, 16, 2
	v_bfe_u32 v160, v160, 24, 2
	v_bfe_u32 v26, v161, 8, 2
	v_bfe_u32 v27, v154, 8, 2
	v_bfe_u32 v28, v161, 16, 2
	v_bfe_u32 v161, v161, 24, 2
	v_and_b32_e32 v29, 3, v162
	v_bfe_u32 v31, v162, 8, 2
	v_bfe_u32 v32, v154, 16, 2
	v_bfe_u32 v33, v162, 16, 2
	v_bfe_u32 v134, v134, 24, 2
	v_bfe_u32 v146, v146, 24, 2
	v_bfe_u32 v154, v154, 24, 2
	v_bfe_u32 v162, v162, 24, 2
	v_mul_lo_u32 v34, 0x1010101, v174
	v_and_b32_e32 v173, 0xffff, v173
	v_mul_lo_u32 v36, 0x1010101, v176
	v_and_b32_e32 v175, 0xffff, v175
	;; [unrolled: 2-line block ×3, first 2 shown]
	v_and_b32_e32 v179, 0xffff, v179
	v_mul_lo_u32 v39, 0x1010101, v180
	v_mul_i32_i24_e32 v174, v174, v132
	v_mul_i32_i24_e32 v176, v176, v132
	;; [unrolled: 1-line block ×9, first 2 shown]
	v_add3_u32 v1, v1, v107, v103
	v_mul_i32_i24_e32 v208, v213, v131
	v_mul_i32_i24_e32 v209, v214, v131
	;; [unrolled: 1-line block ×91, first 2 shown]
	v_lshrrev_b32_e32 v154, 4, v173
	v_lshrrev_b32_e32 v162, 4, v175
	;; [unrolled: 1-line block ×4, first 2 shown]
	v_mul_i32_i24_e32 v182, v182, v126
	v_mul_i32_i24_e32 v187, v187, v127
	;; [unrolled: 1-line block ×16, first 2 shown]
	v_lshrrev_b32_e32 v204, 24, v34
	v_bfe_i32 v224, v34, 16, 8
	v_lshrrev_b32_e32 v231, 24, v36
	v_bfe_i32 v232, v36, 16, 8
	;; [unrolled: 2-line block ×4, first 2 shown]
	v_bfe_i32 v34, v34, 8, 8
	v_bfe_i32 v36, v36, 8, 8
	;; [unrolled: 1-line block ×4, first 2 shown]
	v_mad_i32_i24 v180, v184, v4, v180
	v_mad_i32_i24 v181, v210, v4, v181
	;; [unrolled: 1-line block ×12, first 2 shown]
	v_mul_lo_u32 v132, 0x1010101, v154
	v_mul_lo_u32 v154, 0x1010101, v162
	;; [unrolled: 1-line block ×4, first 2 shown]
	v_mul_i32_i24_e32 v183, v183, v122
	v_mul_i32_i24_e32 v195, v195, v124
	;; [unrolled: 1-line block ×15, first 2 shown]
	v_add3_u32 v39, v180, v187, v182
	v_add3_u32 v129, v129, v199, v194
	;; [unrolled: 1-line block ×3, first 2 shown]
	v_mul_i32_i24_e32 v228, v237, v124
	v_mul_i32_i24_e32 v229, v244, v122
	;; [unrolled: 1-line block ×4, first 2 shown]
	v_add3_u32 v181, v193, v215, v214
	v_add3_u32 v182, v184, v225, v221
	;; [unrolled: 1-line block ×9, first 2 shown]
	v_lshrrev_b32_e32 v101, 24, v132
	v_lshrrev_b32_e32 v131, 24, v154
	;; [unrolled: 1-line block ×4, first 2 shown]
	v_add3_u32 v39, v39, v183, v169
	v_add3_u32 v129, v129, v195, v137
	;; [unrolled: 1-line block ×3, first 2 shown]
	v_mul_i32_i24_e32 v124, v252, v124
	v_bfe_i32 v7, v132, 16, 8
	v_bfe_i32 v130, v154, 16, 8
	;; [unrolled: 1-line block ×8, first 2 shown]
	v_add3_u32 v140, v181, v228, v143
	v_add3_u32 v143, v182, v229, v147
	v_add3_u32 v147, v184, v230, v151
	v_add3_u32 v4, v4, v122, v123
	v_mul_i32_i24_e32 v101, v2, v101
	v_mul_i32_i24_e32 v122, v2, v131
	;; [unrolled: 1-line block ×4, first 2 shown]
	v_add3_u32 v39, v39, v149, v155
	v_add3_u32 v129, v129, v153, v150
	;; [unrolled: 1-line block ×4, first 2 shown]
	v_mul_i32_i24_e32 v7, v1, v7
	v_mul_i32_i24_e32 v124, v1, v130
	;; [unrolled: 1-line block ×8, first 2 shown]
	v_add3_u32 v140, v140, v161, v158
	v_add3_u32 v143, v143, v190, v185
	;; [unrolled: 1-line block ×24, first 2 shown]
	v_cvt_f32_i32_e32 v23, v0
	v_add3_u32 v0, v1, v117, v115
	v_add3_u32 v1, v2, v107, v105
	;; [unrolled: 1-line block ×4, first 2 shown]
	v_and_b32_e32 v165, 15, v165
	v_and_b32_e32 v166, 15, v166
	v_add3_u32 v3, v6, v139, v200
	v_add3_u32 v6, v24, v141, v222
	;; [unrolled: 1-line block ×7, first 2 shown]
	v_mul_lo_u32 v0, v0, v165
	v_and_b32_e32 v167, 15, v167
	v_mul_lo_u32 v1, v1, v166
	v_and_b32_e32 v168, 15, v168
	v_add3_u32 v26, v3, v201, v134
	v_add3_u32 v2, v6, v223, v142
	;; [unrolled: 1-line block ×3, first 2 shown]
	v_and_b32_e32 v173, 15, v173
	v_add3_u32 v5, v5, v106, v31
	v_add3_u32 v11, v11, v145, v27
	v_mul_lo_u32 v2, v2, v167
	v_mul_lo_u32 v3, v3, v168
	v_and_b32_e32 v175, 15, v175
	v_add3_u32 v27, v5, v33, v102
	v_mad_u64_u32 v[4:5], null, v24, v173, v[0:1]
	v_and_b32_e32 v177, 15, v177
	v_add3_u32 v11, v11, v32, v146
	v_and_b32_e32 v179, 15, v179
	v_lshrrev_b32_e32 v133, 16, v100
	v_lshrrev_b32_e32 v164, 16, v97
	;; [unrolled: 1-line block ×4, first 2 shown]
	v_add3_u32 v7, v18, v7, v130
	v_add3_u32 v18, v19, v124, v131
	;; [unrolled: 1-line block ×3, first 2 shown]
	v_mad_u64_u32 v[5:6], null, v26, v175, v[1:2]
	v_mad_u64_u32 v[0:1], null, v11, v177, v[2:3]
	;; [unrolled: 1-line block ×3, first 2 shown]
	v_cvt_f32_f16_e64 v133, v133
	v_cvt_f32_f16_e64 v164, v164
	;; [unrolled: 1-line block ×4, first 2 shown]
	v_cvt_f32_i32_e32 v7, v7
	v_cvt_f32_i32_e32 v18, v18
	;; [unrolled: 1-line block ×5, first 2 shown]
	s_delay_alu instid0(VALU_DEP_4) | instskip(NEXT) | instid1(VALU_DEP_4)
	v_dual_mul_f32 v2, v133, v7 :: v_dual_mul_f32 v3, v164, v18
	v_mul_f32_e32 v6, v171, v19
	v_mul_f32_e32 v7, v172, v23
	v_cvt_f32_i32_e32 v0, v0
	v_cvt_f32_i32_e32 v1, v1
	v_fma_mix_f32 v2, v100, v4, -v2 op_sel_hi:[1,0,0]
	v_fma_mix_f32 v3, v97, v5, -v3 op_sel_hi:[1,0,0]
	v_add_nc_u32_e32 v95, 32, v95
	v_fma_mix_f32 v0, v98, v0, -v6 op_sel_hi:[1,0,0]
	v_fma_mix_f32 v1, v99, v1, -v7 op_sel_hi:[1,0,0]
	v_add_nc_u32_e32 v94, 4, v94
	v_fmac_f32_e32 v13, v96, v2
	v_fmac_f32_e32 v61, v96, v3
	;; [unrolled: 1-line block ×4, first 2 shown]
	s_add_i32 s1, s1, 2
	s_cmp_lt_u32 s24, 6
	s_mov_b32 s25, s24
	s_cbranch_scc1 .LBB227_14
; %bb.15:                               ;   in Loop: Header=BB227_7 Depth=1
	s_or_b32 s1, s23, 0x80
	s_delay_alu instid0(SALU_CYCLE_1)
	s_cmp_ge_i32 s1, s11
	s_barrier
	buffer_gl0_inv
	s_cbranch_scc1 .LBB227_40
; %bb.16:                               ;   in Loop: Header=BB227_7 Depth=1
	scratch_load_b32 v0, off, off offset:72 ; 4-byte Folded Reload
	s_waitcnt vmcnt(0)
	v_add_nc_u32_e32 v0, s22, v0
	s_delay_alu instid0(VALU_DEP_1) | instskip(NEXT) | instid1(VALU_DEP_1)
	v_cmp_gt_i32_e64 s1, s5, v0
	s_and_b32 s24, s0, s1
	s_mov_b32 s1, exec_lo
	v_mov_b32_e32 v156, v9
	s_and_b32 s24, s1, s24
	s_delay_alu instid0(SALU_CYCLE_1)
	s_mov_b32 exec_lo, s24
	s_cbranch_execz .LBB227_18
; %bb.17:                               ;   in Loop: Header=BB227_7 Depth=1
	s_clause 0x1
	scratch_load_b32 v1, off, off offset:12
	scratch_load_b64 v[3:4], off, off offset:60
	s_waitcnt vmcnt(1)
	v_add_nc_u32_e32 v2, v1, v0
	s_waitcnt vmcnt(0)
	s_delay_alu instid0(VALU_DEP_1)
	v_mad_i64_i32 v[0:1], null, v2, 36, v[3:4]
	global_load_b32 v0, v[0:1], off offset:4
	scratch_load_b32 v1, off, off offset:68 ; 4-byte Folded Reload
	s_waitcnt vmcnt(0)
	ds_store_b32 v1, v0
.LBB227_18:                             ;   in Loop: Header=BB227_7 Depth=1
	s_or_b32 exec_lo, exec_lo, s1
	s_and_saveexec_b32 s24, vcc_lo
	s_cbranch_execz .LBB227_21
; %bb.19:                               ;   in Loop: Header=BB227_7 Depth=1
	v_or_b32_e32 v0, s22, v156
	s_delay_alu instid0(VALU_DEP_1) | instskip(NEXT) | instid1(VALU_DEP_1)
	v_or_b32_e32 v1, 4, v0
	v_cmp_gt_i32_e64 s1, s5, v1
	s_delay_alu instid0(VALU_DEP_1) | instskip(NEXT) | instid1(SALU_CYCLE_1)
	s_and_b32 s1, s0, s1
	s_and_b32 exec_lo, exec_lo, s1
	s_cbranch_execz .LBB227_21
; %bb.20:                               ;   in Loop: Header=BB227_7 Depth=1
	scratch_load_b32 v2, off, off offset:12 ; 4-byte Folded Reload
	v_ashrrev_i32_e32 v1, 31, v0
	s_waitcnt vmcnt(0)
	v_add_co_u32 v2, s1, v2, v0
	scratch_load_b32 v0, off, off offset:84 ; 4-byte Folded Reload
	s_waitcnt vmcnt(0)
	v_add_co_ci_u32_e64 v3, s1, v0, v1, s1
	v_mad_u64_u32 v[0:1], null, v2, 36, s[12:13]
	s_delay_alu instid0(VALU_DEP_1)
	v_mad_i32_i24 v1, v3, 36, v1
	global_load_b32 v0, v[0:1], off
	scratch_load_b32 v1, off, off offset:76 ; 4-byte Folded Reload
	s_waitcnt vmcnt(1)
	v_cvt_f32_f16_e32 v0, v0
	s_waitcnt vmcnt(0)
	ds_store_b32 v1, v0
.LBB227_21:                             ;   in Loop: Header=BB227_7 Depth=1
	s_or_b32 exec_lo, exec_lo, s24
	s_waitcnt lgkmcnt(0)
	s_clause 0x1
	scratch_load_b32 v4, off, off offset:4
	scratch_load_b32 v5, off, off offset:8
	s_mov_b32 s1, 8
	s_mov_b32 s24, 0
	s_waitcnt vmcnt(0)
	s_barrier
	buffer_gl0_inv
.LBB227_22:                             ;   Parent Loop BB227_7 Depth=1
                                        ; =>  This Inner Loop Header: Depth=2
	ds_load_b128 v[0:3], v4
	ds_load_b128 v[122:125], v4 offset:16
	s_add_i32 s25, s24, 8
	s_and_b32 s28, s1, -16
	s_and_b32 s26, s25, 0x3ffffff8
	s_lshr_b32 s27, s25, 2
	s_lshl_b32 s26, s26, 2
	s_and_b32 s27, s27, 0x3ffffffc
	v_add_nc_u32_e32 v4, 32, v4
	v_add_nc_u32_e32 v28, s27, v65
	s_add_i32 s1, s1, 2
	s_waitcnt lgkmcnt(1)
	v_bfe_i32 v120, v2, 0, 8
	v_bfe_i32 v101, v2, 8, 8
	;; [unrolled: 1-line block ×3, first 2 shown]
	v_ashrrev_i32_e32 v96, 24, v2
	v_add_nc_u32_e32 v2, s26, v62
	v_bfe_i32 v118, v0, 0, 8
	v_bfe_i32 v111, v0, 8, 8
	v_bfe_i32 v117, v0, 16, 8
	v_ashrrev_i32_e32 v116, 24, v0
	v_bfe_i32 v119, v1, 0, 8
	v_bfe_i32 v112, v1, 8, 8
	v_bfe_i32 v105, v1, 16, 8
	v_ashrrev_i32_e32 v104, 24, v1
	;; [unrolled: 4-line block ×3, first 2 shown]
	s_waitcnt lgkmcnt(0)
	v_bfe_i32 v121, v122, 0, 8
	v_bfe_i32 v106, v122, 8, 8
	v_bfe_i32 v107, v122, 16, 8
	v_ashrrev_i32_e32 v113, 24, v122
	v_bfe_i32 v122, v123, 0, 8
	v_bfe_i32 v108, v123, 8, 8
	v_bfe_i32 v109, v123, 16, 8
	v_ashrrev_i32_e32 v110, 24, v123
	v_bfe_i32 v123, v124, 0, 8
	v_bfe_i32 v103, v124, 8, 8
	v_bfe_i32 v102, v124, 16, 8
	v_ashrrev_i32_e32 v98, 24, v124
	v_bfe_i32 v115, v125, 0, 8
	v_bfe_i32 v99, v125, 8, 8
	v_bfe_i32 v95, v125, 16, 8
	v_ashrrev_i32_e32 v94, 24, v125
	ds_load_2addr_b32 v[124:125], v2 offset1:1
	ds_load_2addr_b32 v[0:1], v2 offset0:2 offset1:3
	ds_load_2addr_b32 v[129:130], v2 offset0:4 offset1:5
	;; [unrolled: 1-line block ×3, first 2 shown]
	s_waitcnt lgkmcnt(3)
	v_ashrrev_i32_e32 v126, s24, v124
	v_ashrrev_i32_e32 v124, s24, v125
	s_waitcnt lgkmcnt(2)
	v_ashrrev_i32_e32 v0, s24, v0
	s_waitcnt lgkmcnt(1)
	v_ashrrev_i32_e32 v127, s24, v129
	v_ashrrev_i32_e32 v125, s24, v130
	v_and_b32_e32 v11, 3, v126
	v_and_b32_e32 v18, 3, v124
	;; [unrolled: 1-line block ×3, first 2 shown]
	s_waitcnt lgkmcnt(0)
	v_ashrrev_i32_e32 v2, s24, v2
	v_ashrrev_i32_e32 v1, s24, v1
	v_mul_i32_i24_e32 v11, v11, v118
	v_ashrrev_i32_e32 v3, s24, v3
	v_mul_i32_i24_e32 v19, v19, v120
	s_delay_alu instid0(VALU_DEP_3) | instskip(SKIP_1) | instid1(VALU_DEP_1)
	v_mad_i32_i24 v11, v18, v119, v11
	v_bfe_u32 v18, v126, 8, 2
	v_mul_i32_i24_e32 v18, v18, v111
	s_delay_alu instid0(VALU_DEP_1) | instskip(SKIP_3) | instid1(VALU_DEP_3)
	v_add3_u32 v128, v11, v19, v18
	v_and_b32_e32 v11, 3, v127
	v_and_b32_e32 v18, 3, v125
	;; [unrolled: 1-line block ×3, first 2 shown]
	v_mul_i32_i24_e32 v11, v11, v121
	s_delay_alu instid0(VALU_DEP_2) | instskip(NEXT) | instid1(VALU_DEP_2)
	v_mul_i32_i24_e32 v19, v19, v123
	v_mad_i32_i24 v11, v18, v122, v11
	v_bfe_u32 v18, v127, 8, 2
	s_delay_alu instid0(VALU_DEP_1) | instskip(NEXT) | instid1(VALU_DEP_1)
	v_mul_i32_i24_e32 v18, v18, v106
	v_add3_u32 v129, v11, v19, v18
	v_add_nc_u32_e32 v11, s26, v64
	v_add_nc_u32_e32 v18, s27, v63
	ds_load_2addr_b32 v[131:132], v11 offset0:2 offset1:3
	ds_load_b32 v130, v18
	ds_load_2addr_b32 v[133:134], v11 offset1:1
	s_waitcnt lgkmcnt(2)
	v_ashrrev_i32_e32 v26, s24, v131
	s_waitcnt lgkmcnt(0)
	v_ashrrev_i32_e32 v18, s24, v133
	v_ashrrev_i32_e32 v19, s24, v134
	s_delay_alu instid0(VALU_DEP_3) | instskip(NEXT) | instid1(VALU_DEP_3)
	v_and_b32_e32 v27, 3, v26
	v_and_b32_e32 v23, 3, v18
	s_delay_alu instid0(VALU_DEP_3) | instskip(NEXT) | instid1(VALU_DEP_3)
	v_and_b32_e32 v24, 3, v19
	v_mul_i32_i24_e32 v27, v27, v120
	s_delay_alu instid0(VALU_DEP_3) | instskip(NEXT) | instid1(VALU_DEP_1)
	v_mul_i32_i24_e32 v23, v23, v118
	v_mad_i32_i24 v23, v24, v119, v23
	v_bfe_u32 v24, v18, 8, 2
	s_delay_alu instid0(VALU_DEP_1) | instskip(NEXT) | instid1(VALU_DEP_1)
	v_mul_i32_i24_e32 v24, v24, v111
	v_add3_u32 v23, v23, v27, v24
	v_add_nc_u32_e32 v24, s24, v76
	s_delay_alu instid0(VALU_DEP_1)
	v_add3_u32 v27, v84, s28, v24
	ds_load_u16 v27, v27
	ds_load_b32 v28, v28
	ds_load_2addr_b32 v[133:134], v11 offset0:4 offset1:5
	ds_load_2addr_b32 v[135:136], v11 offset0:6 offset1:7
	s_waitcnt lgkmcnt(1)
	v_ashrrev_i32_e32 v11, s24, v133
	v_ashrrev_i32_e32 v29, s24, v134
	s_waitcnt lgkmcnt(0)
	v_ashrrev_i32_e32 v33, s24, v135
	s_delay_alu instid0(VALU_DEP_3) | instskip(NEXT) | instid1(VALU_DEP_3)
	v_and_b32_e32 v31, 3, v11
	v_and_b32_e32 v32, 3, v29
	s_delay_alu instid0(VALU_DEP_3) | instskip(NEXT) | instid1(VALU_DEP_3)
	v_and_b32_e32 v34, 3, v33
	v_mul_i32_i24_e32 v31, v31, v121
	s_delay_alu instid0(VALU_DEP_2) | instskip(NEXT) | instid1(VALU_DEP_2)
	v_mul_i32_i24_e32 v34, v34, v123
	v_mad_i32_i24 v31, v32, v122, v31
	v_bfe_u32 v32, v11, 8, 2
	s_delay_alu instid0(VALU_DEP_1) | instskip(NEXT) | instid1(VALU_DEP_1)
	v_mul_i32_i24_e32 v32, v32, v106
	v_add3_u32 v31, v31, v34, v32
	v_add_nc_u32_e32 v32, s26, v66
	ds_load_2addr_b32 v[133:134], v32 offset1:1
	ds_load_2addr_b32 v[137:138], v32 offset0:2 offset1:3
	ds_load_2addr_b32 v[139:140], v32 offset0:4 offset1:5
	;; [unrolled: 1-line block ×3, first 2 shown]
	s_waitcnt lgkmcnt(3)
	v_ashrrev_i32_e32 v32, s24, v133
	v_ashrrev_i32_e32 v34, s24, v134
	s_waitcnt lgkmcnt(2)
	v_ashrrev_i32_e32 v39, s24, v137
	s_waitcnt lgkmcnt(0)
	v_ashrrev_i32_e32 v71, s24, v141
	v_and_b32_e32 v36, 3, v32
	v_and_b32_e32 v37, 3, v34
	;; [unrolled: 1-line block ×3, first 2 shown]
	s_delay_alu instid0(VALU_DEP_4) | instskip(NEXT) | instid1(VALU_DEP_4)
	v_and_b32_e32 v72, 3, v71
	v_mul_i32_i24_e32 v36, v36, v118
	s_delay_alu instid0(VALU_DEP_3) | instskip(NEXT) | instid1(VALU_DEP_3)
	v_mul_i32_i24_e32 v59, v59, v120
	v_mul_i32_i24_e32 v72, v72, v123
	s_delay_alu instid0(VALU_DEP_3) | instskip(SKIP_1) | instid1(VALU_DEP_1)
	v_mad_i32_i24 v36, v37, v119, v36
	v_bfe_u32 v37, v32, 8, 2
	v_mul_i32_i24_e32 v37, v37, v111
	s_delay_alu instid0(VALU_DEP_1) | instskip(SKIP_2) | instid1(VALU_DEP_2)
	v_add3_u32 v36, v36, v59, v37
	v_ashrrev_i32_e32 v37, s24, v139
	v_ashrrev_i32_e32 v59, s24, v140
	v_and_b32_e32 v60, 3, v37
	s_delay_alu instid0(VALU_DEP_2) | instskip(NEXT) | instid1(VALU_DEP_2)
	v_and_b32_e32 v67, 3, v59
	v_mul_i32_i24_e32 v60, v60, v121
	s_delay_alu instid0(VALU_DEP_1) | instskip(SKIP_1) | instid1(VALU_DEP_1)
	v_mad_i32_i24 v60, v67, v122, v60
	v_bfe_u32 v67, v37, 8, 2
	v_mul_i32_i24_e32 v67, v67, v106
	s_delay_alu instid0(VALU_DEP_1)
	v_add3_u32 v60, v60, v72, v67
	v_add_nc_u32_e32 v67, s26, v69
	v_add_nc_u32_e32 v72, s27, v68
	ds_load_2addr_b32 v[133:134], v67 offset0:2 offset1:3
	ds_load_b32 v72, v72
	ds_load_2addr_b32 v[139:140], v67 offset1:1
	s_waitcnt lgkmcnt(2)
	v_ashrrev_i32_e32 v131, s24, v133
	s_waitcnt lgkmcnt(0)
	v_ashrrev_i32_e32 v73, s24, v139
	v_ashrrev_i32_e32 v74, s24, v140
	s_delay_alu instid0(VALU_DEP_3) | instskip(NEXT) | instid1(VALU_DEP_3)
	v_and_b32_e32 v133, 3, v131
	v_and_b32_e32 v80, 3, v73
	s_delay_alu instid0(VALU_DEP_3) | instskip(NEXT) | instid1(VALU_DEP_3)
	v_and_b32_e32 v81, 3, v74
	v_mul_i32_i24_e32 v133, v133, v120
	s_delay_alu instid0(VALU_DEP_3) | instskip(SKIP_1) | instid1(VALU_DEP_2)
	v_mul_i32_i24_e32 v80, v80, v118
	v_add_nc_u32_e32 v118, v119, v118
	v_mad_i32_i24 v80, v81, v119, v80
	v_bfe_u32 v81, v73, 8, 2
	s_delay_alu instid0(VALU_DEP_3) | instskip(SKIP_1) | instid1(VALU_DEP_3)
	v_add3_u32 v118, v118, v120, v114
	v_add3_u32 v120, v85, s28, v24
	v_mul_i32_i24_e32 v81, v81, v111
	v_add_nc_u32_e32 v111, v112, v111
	s_delay_alu instid0(VALU_DEP_2)
	v_add3_u32 v80, v80, v133, v81
	v_add3_u32 v81, v82, s28, v24
	v_add_nc_u32_e32 v133, s27, v70
	v_add3_u32 v24, v83, s28, v24
	v_add3_u32 v111, v111, v101, v97
	ds_load_u16 v81, v81
	ds_load_b32 v133, v133
	ds_load_2addr_b32 v[139:140], v67 offset0:4 offset1:5
	ds_load_2addr_b32 v[143:144], v67 offset0:6 offset1:7
	ds_load_u16 v120, v120
	ds_load_u16 v24, v24
	s_waitcnt lgkmcnt(3)
	v_ashrrev_i32_e32 v67, s24, v139
	v_ashrrev_i32_e32 v135, s24, v140
	s_waitcnt lgkmcnt(2)
	v_ashrrev_i32_e32 v140, s24, v143
	s_delay_alu instid0(VALU_DEP_3) | instskip(NEXT) | instid1(VALU_DEP_3)
	v_and_b32_e32 v137, 3, v67
	v_and_b32_e32 v139, 3, v135
	s_delay_alu instid0(VALU_DEP_3) | instskip(NEXT) | instid1(VALU_DEP_3)
	v_and_b32_e32 v141, 3, v140
	v_mul_i32_i24_e32 v137, v137, v121
	v_add_nc_u32_e32 v121, v122, v121
	s_delay_alu instid0(VALU_DEP_3) | instskip(NEXT) | instid1(VALU_DEP_3)
	v_mul_i32_i24_e32 v141, v141, v123
	v_mad_i32_i24 v137, v139, v122, v137
	v_bfe_u32 v139, v67, 8, 2
	s_delay_alu instid0(VALU_DEP_4)
	v_add3_u32 v119, v121, v123, v115
	s_waitcnt lgkmcnt(1)
	v_lshrrev_b16 v123, 8, v120
	v_add_nc_u32_e32 v121, v104, v116
	v_add_nc_u32_e32 v122, v105, v117
	v_mul_i32_i24_e32 v139, v139, v106
	s_delay_alu instid0(VALU_DEP_4) | instskip(NEXT) | instid1(VALU_DEP_4)
	v_and_b32_e32 v123, 0xffff, v123
	v_add3_u32 v121, v121, v96, v6
	s_delay_alu instid0(VALU_DEP_4) | instskip(NEXT) | instid1(VALU_DEP_4)
	v_add3_u32 v122, v122, v100, v7
	v_add3_u32 v137, v137, v141, v139
	v_bfe_u32 v139, v120, 4, 4
	v_lshrrev_b32_e32 v143, 4, v123
	s_delay_alu instid0(VALU_DEP_2) | instskip(SKIP_1) | instid1(VALU_DEP_1)
	v_mul_lo_u32 v141, 0x1010101, v139
	v_mul_i32_i24_e32 v139, v139, v118
	v_mad_i32_i24 v139, v143, v119, v139
	s_delay_alu instid0(VALU_DEP_3) | instskip(SKIP_1) | instid1(VALU_DEP_2)
	v_lshrrev_b32_e32 v145, 24, v141
	v_bfe_i32 v146, v141, 16, 8
	v_mul_i32_i24_e32 v145, v121, v145
	s_delay_alu instid0(VALU_DEP_2) | instskip(NEXT) | instid1(VALU_DEP_1)
	v_mul_i32_i24_e32 v146, v122, v146
	v_add3_u32 v139, v139, v145, v146
	s_waitcnt lgkmcnt(0)
	v_bfe_u32 v146, v24, 4, 4
	v_lshrrev_b16 v145, 8, v24
	s_delay_alu instid0(VALU_DEP_2) | instskip(NEXT) | instid1(VALU_DEP_2)
	v_mul_lo_u32 v147, 0x1010101, v146
	v_and_b32_e32 v145, 0xffff, v145
	v_mul_i32_i24_e32 v146, v146, v118
	s_delay_alu instid0(VALU_DEP_2) | instskip(NEXT) | instid1(VALU_DEP_4)
	v_lshrrev_b32_e32 v148, 4, v145
	v_lshrrev_b32_e32 v149, 24, v147
	v_bfe_i32 v150, v147, 16, 8
	s_delay_alu instid0(VALU_DEP_3) | instskip(NEXT) | instid1(VALU_DEP_3)
	v_mad_i32_i24 v146, v148, v119, v146
	v_mul_i32_i24_e32 v149, v121, v149
	s_delay_alu instid0(VALU_DEP_3) | instskip(NEXT) | instid1(VALU_DEP_1)
	v_mul_i32_i24_e32 v150, v122, v150
	v_add3_u32 v146, v146, v149, v150
	v_bfe_u32 v150, v27, 4, 4
	v_lshrrev_b16 v149, 8, v27
	s_delay_alu instid0(VALU_DEP_2) | instskip(NEXT) | instid1(VALU_DEP_2)
	v_mul_lo_u32 v151, 0x1010101, v150
	v_and_b32_e32 v149, 0xffff, v149
	v_mul_i32_i24_e32 v150, v150, v118
	s_delay_alu instid0(VALU_DEP_2) | instskip(NEXT) | instid1(VALU_DEP_4)
	v_lshrrev_b32_e32 v152, 4, v149
	v_lshrrev_b32_e32 v153, 24, v151
	v_bfe_i32 v154, v151, 16, 8
	s_delay_alu instid0(VALU_DEP_3) | instskip(NEXT) | instid1(VALU_DEP_3)
	v_mad_i32_i24 v150, v152, v119, v150
	v_mul_i32_i24_e32 v153, v121, v153
	s_delay_alu instid0(VALU_DEP_3) | instskip(NEXT) | instid1(VALU_DEP_1)
	v_mul_i32_i24_e32 v154, v122, v154
	v_add3_u32 v150, v150, v153, v154
	v_lshrrev_b16 v153, 8, v81
	v_bfe_u32 v154, v81, 4, 4
	s_delay_alu instid0(VALU_DEP_2) | instskip(NEXT) | instid1(VALU_DEP_2)
	v_and_b32_e32 v153, 0xffff, v153
	v_mul_i32_i24_e32 v118, v154, v118
	s_delay_alu instid0(VALU_DEP_2) | instskip(NEXT) | instid1(VALU_DEP_1)
	v_lshrrev_b32_e32 v155, 4, v153
	v_mad_i32_i24 v118, v155, v119, v118
	v_mul_lo_u32 v119, 0x1010101, v154
	s_delay_alu instid0(VALU_DEP_1) | instskip(NEXT) | instid1(VALU_DEP_1)
	v_lshrrev_b32_e32 v154, 24, v119
	v_mul_i32_i24_e32 v121, v121, v154
	v_bfe_i32 v154, v119, 16, 8
	v_bfe_i32 v119, v119, 8, 8
	s_delay_alu instid0(VALU_DEP_2) | instskip(NEXT) | instid1(VALU_DEP_1)
	v_mul_i32_i24_e32 v122, v122, v154
	v_add3_u32 v118, v118, v121, v122
	v_bfe_u32 v121, v126, 16, 2
	v_bfe_u32 v122, v126, 24, 2
	;; [unrolled: 1-line block ×3, first 2 shown]
	s_delay_alu instid0(VALU_DEP_3) | instskip(NEXT) | instid1(VALU_DEP_3)
	v_mul_i32_i24_e32 v121, v121, v117
	v_mul_i32_i24_e32 v122, v122, v116
	s_delay_alu instid0(VALU_DEP_3) | instskip(NEXT) | instid1(VALU_DEP_2)
	v_mul_i32_i24_e32 v126, v126, v113
	v_add3_u32 v121, v128, v121, v122
	v_bfe_u32 v122, v127, 16, 2
	v_mul_lo_u32 v127, 0x1010101, v152
	s_delay_alu instid0(VALU_DEP_2) | instskip(NEXT) | instid1(VALU_DEP_2)
	v_mul_i32_i24_e32 v122, v122, v107
	v_lshrrev_b32_e32 v128, 24, v127
	s_delay_alu instid0(VALU_DEP_2) | instskip(SKIP_2) | instid1(VALU_DEP_2)
	v_add3_u32 v122, v129, v122, v126
	v_bfe_u32 v126, v18, 16, 2
	v_bfe_u32 v18, v18, 24, 2
	v_mul_i32_i24_e32 v126, v126, v117
	s_delay_alu instid0(VALU_DEP_2) | instskip(NEXT) | instid1(VALU_DEP_1)
	v_mul_i32_i24_e32 v18, v18, v116
	v_add3_u32 v18, v23, v126, v18
	v_bfe_u32 v23, v11, 16, 2
	v_bfe_u32 v11, v11, 24, 2
	s_delay_alu instid0(VALU_DEP_2) | instskip(NEXT) | instid1(VALU_DEP_2)
	v_mul_i32_i24_e32 v23, v23, v107
	v_mul_i32_i24_e32 v11, v11, v113
	s_delay_alu instid0(VALU_DEP_1) | instskip(SKIP_3) | instid1(VALU_DEP_3)
	v_add3_u32 v11, v31, v23, v11
	v_bfe_u32 v23, v32, 16, 2
	v_bfe_u32 v31, v32, 24, 2
	;; [unrolled: 1-line block ×3, first 2 shown]
	v_mul_i32_i24_e32 v23, v23, v117
	s_delay_alu instid0(VALU_DEP_3) | instskip(NEXT) | instid1(VALU_DEP_3)
	v_mul_i32_i24_e32 v31, v31, v116
	v_mul_i32_i24_e32 v32, v32, v113
	s_delay_alu instid0(VALU_DEP_2) | instskip(SKIP_3) | instid1(VALU_DEP_3)
	v_add3_u32 v23, v36, v23, v31
	v_bfe_u32 v31, v37, 16, 2
	v_bfe_u32 v36, v73, 24, 2
	;; [unrolled: 1-line block ×3, first 2 shown]
	v_mul_i32_i24_e32 v31, v31, v107
	s_delay_alu instid0(VALU_DEP_3) | instskip(NEXT) | instid1(VALU_DEP_3)
	v_mul_i32_i24_e32 v36, v36, v116
	v_mul_i32_i24_e32 v37, v37, v113
	s_delay_alu instid0(VALU_DEP_3) | instskip(SKIP_3) | instid1(VALU_DEP_3)
	v_add3_u32 v31, v60, v31, v32
	v_bfe_u32 v32, v73, 16, 2
	v_and_b32_e32 v60, 3, v1
	v_bfe_u32 v73, v19, 8, 2
	v_mul_i32_i24_e32 v32, v32, v117
	s_delay_alu instid0(VALU_DEP_3) | instskip(NEXT) | instid1(VALU_DEP_3)
	v_mul_i32_i24_e32 v60, v60, v114
	v_mul_i32_i24_e32 v73, v73, v112
	s_delay_alu instid0(VALU_DEP_3) | instskip(SKIP_2) | instid1(VALU_DEP_2)
	v_add3_u32 v32, v80, v32, v36
	v_bfe_u32 v36, v67, 16, 2
	v_and_b32_e32 v67, 3, v3
	v_mul_i32_i24_e32 v36, v36, v107
	s_delay_alu instid0(VALU_DEP_2) | instskip(NEXT) | instid1(VALU_DEP_2)
	v_mul_i32_i24_e32 v67, v67, v115
	v_add3_u32 v36, v137, v36, v37
	v_bfe_u32 v37, v124, 8, 2
	s_delay_alu instid0(VALU_DEP_1) | instskip(NEXT) | instid1(VALU_DEP_1)
	v_mul_i32_i24_e32 v37, v37, v112
	v_add3_u32 v37, v121, v60, v37
	v_bfe_u32 v60, v125, 8, 2
	s_delay_alu instid0(VALU_DEP_1) | instskip(NEXT) | instid1(VALU_DEP_1)
	v_mul_i32_i24_e32 v60, v60, v108
	v_add3_u32 v60, v122, v67, v60
	v_ashrrev_i32_e32 v67, s24, v132
	v_mul_lo_u32 v122, 0x1010101, v148
	s_delay_alu instid0(VALU_DEP_2) | instskip(NEXT) | instid1(VALU_DEP_2)
	v_and_b32_e32 v80, 3, v67
	v_lshrrev_b32_e32 v126, 24, v122
	s_delay_alu instid0(VALU_DEP_2) | instskip(NEXT) | instid1(VALU_DEP_1)
	v_mul_i32_i24_e32 v80, v80, v114
	v_add3_u32 v18, v18, v80, v73
	v_ashrrev_i32_e32 v73, s24, v136
	v_bfe_u32 v80, v29, 8, 2
	s_delay_alu instid0(VALU_DEP_2) | instskip(NEXT) | instid1(VALU_DEP_2)
	v_and_b32_e32 v116, 3, v73
	v_mul_i32_i24_e32 v80, v80, v108
	s_delay_alu instid0(VALU_DEP_2) | instskip(NEXT) | instid1(VALU_DEP_1)
	v_mul_i32_i24_e32 v116, v116, v115
	v_add3_u32 v11, v11, v116, v80
	v_ashrrev_i32_e32 v80, s24, v138
	v_bfe_u32 v116, v34, 8, 2
	s_delay_alu instid0(VALU_DEP_2) | instskip(NEXT) | instid1(VALU_DEP_2)
	v_and_b32_e32 v117, 3, v80
	v_mul_i32_i24_e32 v116, v116, v112
	;; [unrolled: 8-line block ×3, first 2 shown]
	s_delay_alu instid0(VALU_DEP_2) | instskip(NEXT) | instid1(VALU_DEP_1)
	v_mul_i32_i24_e32 v121, v121, v115
	v_add3_u32 v31, v31, v121, v117
	v_ashrrev_i32_e32 v117, s24, v134
	s_delay_alu instid0(VALU_DEP_1) | instskip(NEXT) | instid1(VALU_DEP_1)
	v_and_b32_e32 v121, 3, v117
	v_mul_i32_i24_e32 v114, v121, v114
	v_bfe_u32 v121, v74, 8, 2
	s_delay_alu instid0(VALU_DEP_1) | instskip(SKIP_2) | instid1(VALU_DEP_3)
	v_mul_i32_i24_e32 v121, v121, v112
	v_add_nc_u32_e32 v112, v110, v113
	v_bfe_i32 v113, v141, 8, 8
	v_add3_u32 v32, v32, v114, v121
	v_ashrrev_i32_e32 v114, s24, v144
	s_delay_alu instid0(VALU_DEP_4) | instskip(NEXT) | instid1(VALU_DEP_4)
	v_add3_u32 v112, v112, v98, v94
	v_mul_i32_i24_e32 v113, v111, v113
	s_add_i32 s24, s24, 2
	s_cmp_lt_u32 s25, 14
	v_and_b32_e32 v121, 3, v114
	v_mul_i32_i24_e32 v126, v112, v126
	v_mul_i32_i24_e32 v128, v112, v128
	s_delay_alu instid0(VALU_DEP_3) | instskip(SKIP_1) | instid1(VALU_DEP_1)
	v_mul_i32_i24_e32 v115, v121, v115
	v_bfe_u32 v121, v135, 8, 2
	v_mul_i32_i24_e32 v121, v121, v108
	s_delay_alu instid0(VALU_DEP_1) | instskip(SKIP_1) | instid1(VALU_DEP_1)
	v_add3_u32 v36, v36, v115, v121
	v_mul_lo_u32 v115, 0x1010101, v143
	v_lshrrev_b32_e32 v121, 24, v115
	s_delay_alu instid0(VALU_DEP_1) | instskip(NEXT) | instid1(VALU_DEP_1)
	v_mul_i32_i24_e32 v121, v112, v121
	v_add3_u32 v113, v139, v113, v121
	v_bfe_i32 v121, v147, 8, 8
	s_delay_alu instid0(VALU_DEP_1) | instskip(NEXT) | instid1(VALU_DEP_1)
	v_mul_i32_i24_e32 v121, v111, v121
	v_add3_u32 v121, v146, v121, v126
	v_bfe_i32 v126, v151, 8, 8
	s_delay_alu instid0(VALU_DEP_1) | instskip(SKIP_2) | instid1(VALU_DEP_3)
	v_mul_i32_i24_e32 v126, v111, v126
	v_mul_i32_i24_e32 v111, v111, v119
	v_mul_lo_u32 v119, 0x1010101, v155
	v_add3_u32 v126, v150, v126, v128
	s_delay_alu instid0(VALU_DEP_2) | instskip(NEXT) | instid1(VALU_DEP_1)
	v_lshrrev_b32_e32 v128, 24, v119
	v_mul_i32_i24_e32 v112, v112, v128
	s_delay_alu instid0(VALU_DEP_1) | instskip(SKIP_2) | instid1(VALU_DEP_2)
	v_add3_u32 v111, v118, v111, v112
	v_bfe_u32 v112, v124, 16, 2
	v_bfe_u32 v118, v124, 24, 2
	v_mul_i32_i24_e32 v112, v112, v105
	s_delay_alu instid0(VALU_DEP_2) | instskip(NEXT) | instid1(VALU_DEP_1)
	v_mul_i32_i24_e32 v118, v118, v104
	v_add3_u32 v37, v37, v112, v118
	v_bfe_u32 v112, v125, 16, 2
	v_bfe_u32 v118, v125, 24, 2
	s_delay_alu instid0(VALU_DEP_2) | instskip(NEXT) | instid1(VALU_DEP_2)
	v_mul_i32_i24_e32 v112, v112, v109
	v_mul_i32_i24_e32 v118, v118, v110
	s_delay_alu instid0(VALU_DEP_1) | instskip(SKIP_2) | instid1(VALU_DEP_2)
	v_add3_u32 v60, v60, v112, v118
	v_bfe_u32 v112, v19, 16, 2
	v_bfe_u32 v19, v19, 24, 2
	v_mul_i32_i24_e32 v112, v112, v105
	s_delay_alu instid0(VALU_DEP_2) | instskip(NEXT) | instid1(VALU_DEP_1)
	v_mul_i32_i24_e32 v19, v19, v104
	v_add3_u32 v18, v18, v112, v19
	v_bfe_u32 v19, v29, 16, 2
	v_bfe_u32 v29, v29, 24, 2
	s_delay_alu instid0(VALU_DEP_2) | instskip(NEXT) | instid1(VALU_DEP_2)
	v_mul_i32_i24_e32 v19, v19, v109
	v_mul_i32_i24_e32 v29, v29, v110
	s_delay_alu instid0(VALU_DEP_1) | instskip(SKIP_3) | instid1(VALU_DEP_3)
	v_add3_u32 v11, v11, v19, v29
	v_bfe_u32 v19, v34, 16, 2
	v_bfe_u32 v29, v34, 24, 2
	v_add_nc_u32_e32 v34, v108, v106
	v_mul_i32_i24_e32 v19, v19, v105
	s_delay_alu instid0(VALU_DEP_3) | instskip(NEXT) | instid1(VALU_DEP_3)
	v_mul_i32_i24_e32 v29, v29, v104
	v_add3_u32 v34, v34, v103, v99
	s_delay_alu instid0(VALU_DEP_2) | instskip(SKIP_3) | instid1(VALU_DEP_3)
	v_add3_u32 v19, v23, v19, v29
	v_bfe_u32 v23, v59, 16, 2
	v_bfe_u32 v29, v59, 24, 2
	v_bfe_i32 v59, v115, 8, 8
	v_mul_i32_i24_e32 v23, v23, v109
	s_delay_alu instid0(VALU_DEP_3) | instskip(NEXT) | instid1(VALU_DEP_3)
	v_mul_i32_i24_e32 v29, v29, v110
	v_mul_i32_i24_e32 v59, v34, v59
	s_delay_alu instid0(VALU_DEP_2) | instskip(SKIP_3) | instid1(VALU_DEP_3)
	v_add3_u32 v23, v31, v23, v29
	v_bfe_u32 v29, v74, 16, 2
	v_bfe_u32 v31, v74, 24, 2
	v_bfe_i32 v74, v122, 8, 8
	v_mul_i32_i24_e32 v29, v29, v105
	s_delay_alu instid0(VALU_DEP_3) | instskip(NEXT) | instid1(VALU_DEP_3)
	v_mul_i32_i24_e32 v31, v31, v104
	v_mul_i32_i24_e32 v74, v34, v74
	v_bfe_i32 v104, v127, 8, 8
	s_delay_alu instid0(VALU_DEP_3) | instskip(SKIP_2) | instid1(VALU_DEP_4)
	v_add3_u32 v29, v32, v29, v31
	v_bfe_u32 v31, v135, 24, 2
	v_bfe_u32 v32, v135, 16, 2
	v_mul_i32_i24_e32 v104, v34, v104
	s_delay_alu instid0(VALU_DEP_3) | instskip(NEXT) | instid1(VALU_DEP_3)
	v_mul_i32_i24_e32 v31, v31, v110
	v_mul_i32_i24_e32 v32, v32, v109
	s_delay_alu instid0(VALU_DEP_1) | instskip(SKIP_2) | instid1(VALU_DEP_2)
	v_add3_u32 v31, v36, v32, v31
	v_add_nc_u32_e32 v32, v109, v107
	v_bfe_i32 v36, v115, 16, 8
	v_add3_u32 v32, v32, v102, v95
	s_delay_alu instid0(VALU_DEP_1) | instskip(NEXT) | instid1(VALU_DEP_1)
	v_mul_i32_i24_e32 v36, v32, v36
	v_add3_u32 v36, v113, v36, v59
	v_bfe_i32 v59, v122, 16, 8
	s_delay_alu instid0(VALU_DEP_1) | instskip(NEXT) | instid1(VALU_DEP_1)
	v_mul_i32_i24_e32 v59, v32, v59
	v_add3_u32 v59, v121, v59, v74
	v_bfe_i32 v74, v127, 16, 8
	;; [unrolled: 4-line block ×3, first 2 shown]
	s_delay_alu instid0(VALU_DEP_1) | instskip(SKIP_1) | instid1(VALU_DEP_1)
	v_mul_i32_i24_e32 v32, v32, v104
	v_bfe_i32 v104, v119, 8, 8
	v_mul_i32_i24_e32 v34, v34, v104
	v_bfe_u32 v104, v0, 16, 2
	s_delay_alu instid0(VALU_DEP_2) | instskip(SKIP_1) | instid1(VALU_DEP_3)
	v_add3_u32 v32, v111, v32, v34
	v_bfe_u32 v34, v0, 8, 2
	v_mul_i32_i24_e32 v104, v104, v100
	v_bfe_u32 v0, v0, 24, 2
	s_delay_alu instid0(VALU_DEP_3) | instskip(NEXT) | instid1(VALU_DEP_2)
	v_mul_i32_i24_e32 v34, v34, v101
	v_mul_i32_i24_e32 v0, v0, v96
	s_delay_alu instid0(VALU_DEP_2) | instskip(SKIP_3) | instid1(VALU_DEP_3)
	v_add3_u32 v34, v37, v34, v104
	v_bfe_u32 v37, v2, 8, 2
	v_bfe_u32 v104, v2, 16, 2
	;; [unrolled: 1-line block ×3, first 2 shown]
	v_mul_i32_i24_e32 v37, v37, v103
	s_delay_alu instid0(VALU_DEP_3) | instskip(NEXT) | instid1(VALU_DEP_3)
	v_mul_i32_i24_e32 v104, v104, v102
	v_mul_i32_i24_e32 v2, v2, v98
	s_delay_alu instid0(VALU_DEP_2) | instskip(SKIP_3) | instid1(VALU_DEP_3)
	v_add3_u32 v37, v60, v37, v104
	v_bfe_u32 v60, v26, 8, 2
	v_bfe_u32 v104, v26, 16, 2
	;; [unrolled: 1-line block ×3, first 2 shown]
	v_mul_i32_i24_e32 v60, v60, v101
	s_delay_alu instid0(VALU_DEP_3) | instskip(NEXT) | instid1(VALU_DEP_3)
	v_mul_i32_i24_e32 v104, v104, v100
	v_mul_i32_i24_e32 v26, v26, v96
	s_delay_alu instid0(VALU_DEP_2) | instskip(SKIP_2) | instid1(VALU_DEP_2)
	v_add3_u32 v18, v18, v60, v104
	v_bfe_u32 v60, v33, 8, 2
	v_bfe_u32 v104, v33, 16, 2
	v_mul_i32_i24_e32 v60, v60, v103
	s_delay_alu instid0(VALU_DEP_2) | instskip(NEXT) | instid1(VALU_DEP_1)
	v_mul_i32_i24_e32 v104, v104, v102
	v_add3_u32 v11, v11, v60, v104
	v_bfe_u32 v60, v39, 8, 2
	v_bfe_u32 v104, v39, 16, 2
	s_delay_alu instid0(VALU_DEP_2) | instskip(NEXT) | instid1(VALU_DEP_2)
	v_mul_i32_i24_e32 v60, v60, v101
	v_mul_i32_i24_e32 v104, v104, v100
	s_delay_alu instid0(VALU_DEP_1) | instskip(SKIP_2) | instid1(VALU_DEP_2)
	v_add3_u32 v19, v19, v60, v104
	v_bfe_u32 v60, v71, 8, 2
	v_bfe_u32 v104, v71, 16, 2
	v_mul_i32_i24_e32 v60, v60, v103
	s_delay_alu instid0(VALU_DEP_2) | instskip(NEXT) | instid1(VALU_DEP_1)
	v_mul_i32_i24_e32 v104, v104, v102
	v_add3_u32 v23, v23, v60, v104
	v_bfe_u32 v60, v131, 8, 2
	s_delay_alu instid0(VALU_DEP_1) | instskip(SKIP_1) | instid1(VALU_DEP_1)
	v_mul_i32_i24_e32 v60, v60, v101
	v_bfe_u32 v101, v131, 16, 2
	v_mul_i32_i24_e32 v100, v101, v100
	s_delay_alu instid0(VALU_DEP_1) | instskip(SKIP_2) | instid1(VALU_DEP_2)
	v_add3_u32 v29, v29, v60, v100
	v_bfe_u32 v60, v140, 8, 2
	v_bfe_u32 v100, v140, 16, 2
	v_mul_i32_i24_e32 v60, v60, v103
	s_delay_alu instid0(VALU_DEP_2) | instskip(NEXT) | instid1(VALU_DEP_1)
	v_mul_i32_i24_e32 v100, v100, v102
	v_add3_u32 v31, v31, v60, v100
	v_bfe_u32 v60, v1, 8, 2
	s_delay_alu instid0(VALU_DEP_1) | instskip(NEXT) | instid1(VALU_DEP_1)
	v_mul_i32_i24_e32 v60, v60, v97
	v_add3_u32 v0, v34, v0, v60
	v_bfe_u32 v34, v3, 8, 2
	s_delay_alu instid0(VALU_DEP_1) | instskip(NEXT) | instid1(VALU_DEP_1)
	;; [unrolled: 4-line block ×3, first 2 shown]
	v_mul_i32_i24_e32 v34, v34, v97
	v_add3_u32 v18, v18, v26, v34
	v_bfe_u32 v26, v33, 24, 2
	v_bfe_u32 v33, v73, 8, 2
	s_delay_alu instid0(VALU_DEP_2) | instskip(NEXT) | instid1(VALU_DEP_2)
	v_mul_i32_i24_e32 v26, v26, v98
	v_mul_i32_i24_e32 v33, v33, v99
	s_delay_alu instid0(VALU_DEP_1) | instskip(SKIP_2) | instid1(VALU_DEP_2)
	v_add3_u32 v11, v11, v26, v33
	v_bfe_u32 v26, v39, 24, 2
	v_bfe_u32 v33, v80, 8, 2
	v_mul_i32_i24_e32 v26, v26, v96
	s_delay_alu instid0(VALU_DEP_2) | instskip(NEXT) | instid1(VALU_DEP_1)
	v_mul_i32_i24_e32 v33, v33, v97
	v_add3_u32 v19, v19, v26, v33
	v_bfe_u32 v26, v71, 24, 2
	v_bfe_u32 v33, v116, 8, 2
	s_delay_alu instid0(VALU_DEP_2) | instskip(NEXT) | instid1(VALU_DEP_2)
	v_mul_i32_i24_e32 v26, v26, v98
	v_mul_i32_i24_e32 v33, v33, v99
	s_delay_alu instid0(VALU_DEP_1) | instskip(SKIP_2) | instid1(VALU_DEP_2)
	v_add3_u32 v23, v23, v26, v33
	v_bfe_u32 v26, v131, 24, 2
	v_bfe_u32 v33, v117, 8, 2
	v_mul_i32_i24_e32 v26, v26, v96
	s_delay_alu instid0(VALU_DEP_2) | instskip(NEXT) | instid1(VALU_DEP_1)
	;; [unrolled: 13-line block ×3, first 2 shown]
	v_mul_i32_i24_e32 v1, v1, v6
	v_add3_u32 v0, v0, v31, v1
	v_bfe_u32 v1, v3, 16, 2
	v_bfe_u32 v3, v3, 24, 2
	ds_load_b32 v31, v5
	v_add_nc_u32_e32 v5, 4, v5
	v_mul_i32_i24_e32 v1, v1, v95
	v_mul_i32_i24_e32 v3, v3, v94
	s_delay_alu instid0(VALU_DEP_1) | instskip(SKIP_2) | instid1(VALU_DEP_2)
	v_add3_u32 v3, v2, v1, v3
	v_bfe_u32 v1, v67, 16, 2
	v_bfe_u32 v2, v67, 24, 2
	v_mul_i32_i24_e32 v1, v1, v7
	s_delay_alu instid0(VALU_DEP_2) | instskip(NEXT) | instid1(VALU_DEP_1)
	v_mul_i32_i24_e32 v2, v2, v6
	v_add3_u32 v18, v18, v1, v2
	v_bfe_u32 v1, v73, 16, 2
	v_bfe_u32 v2, v73, 24, 2
	s_delay_alu instid0(VALU_DEP_2) | instskip(NEXT) | instid1(VALU_DEP_2)
	v_mul_i32_i24_e32 v1, v1, v95
	v_mul_i32_i24_e32 v2, v2, v94
	s_delay_alu instid0(VALU_DEP_1) | instskip(SKIP_2) | instid1(VALU_DEP_2)
	v_add3_u32 v11, v11, v1, v2
	v_bfe_u32 v1, v80, 16, 2
	v_bfe_u32 v2, v80, 24, 2
	v_mul_i32_i24_e32 v1, v1, v7
	s_delay_alu instid0(VALU_DEP_2) | instskip(NEXT) | instid1(VALU_DEP_1)
	v_mul_i32_i24_e32 v2, v2, v6
	v_add3_u32 v19, v19, v1, v2
	v_bfe_u32 v1, v116, 16, 2
	v_bfe_u32 v2, v116, 24, 2
	s_delay_alu instid0(VALU_DEP_2) | instskip(NEXT) | instid1(VALU_DEP_2)
	v_mul_i32_i24_e32 v1, v1, v95
	v_mul_i32_i24_e32 v2, v2, v94
	s_delay_alu instid0(VALU_DEP_1) | instskip(SKIP_2) | instid1(VALU_DEP_2)
	v_add3_u32 v23, v23, v1, v2
	v_bfe_u32 v1, v117, 16, 2
	v_bfe_u32 v2, v117, 24, 2
	v_mul_i32_i24_e32 v1, v1, v7
	s_delay_alu instid0(VALU_DEP_2) | instskip(SKIP_2) | instid1(VALU_DEP_3)
	v_mul_i32_i24_e32 v2, v2, v6
	v_and_b32_e32 v6, 15, v123
	v_and_b32_e32 v7, 15, v149
	v_add3_u32 v26, v26, v1, v2
	v_bfe_u32 v1, v114, 16, 2
	v_bfe_u32 v2, v114, 24, 2
	s_delay_alu instid0(VALU_DEP_2) | instskip(NEXT) | instid1(VALU_DEP_2)
	v_mul_i32_i24_e32 v1, v1, v95
	v_mul_i32_i24_e32 v2, v2, v94
	s_delay_alu instid0(VALU_DEP_1) | instskip(SKIP_1) | instid1(VALU_DEP_1)
	v_add3_u32 v29, v29, v1, v2
	v_and_b32_e32 v1, 15, v120
	v_mul_lo_u32 v0, v0, v1
	s_delay_alu instid0(VALU_DEP_1) | instskip(SKIP_4) | instid1(VALU_DEP_4)
	v_mad_u64_u32 v[1:2], null, v3, v6, v[0:1]
	v_and_b32_e32 v0, 15, v27
	v_and_b32_e32 v6, 15, v24
	;; [unrolled: 1-line block ×3, first 2 shown]
	v_lshrrev_b32_e32 v27, 16, v130
	v_mul_lo_u32 v0, v18, v0
	v_and_b32_e32 v18, 15, v145
	s_delay_alu instid0(VALU_DEP_2)
	v_mad_u64_u32 v[2:3], null, v11, v7, v[0:1]
	v_mul_lo_u32 v0, v19, v6
	v_and_b32_e32 v19, 15, v153
	v_lshrrev_b32_e32 v3, 16, v28
	v_lshrrev_b32_e32 v11, 16, v72
	v_cvt_f32_i32_e32 v2, v2
	s_delay_alu instid0(VALU_DEP_3)
	v_cvt_f32_f16_e32 v3, v3
	v_mad_u64_u32 v[6:7], null, v23, v18, v[0:1]
	v_mul_lo_u32 v0, v26, v24
	v_lshrrev_b32_e32 v7, 16, v133
	v_cvt_f32_f16_e32 v18, v27
	v_cvt_f32_f16_e32 v11, v11
	v_cvt_f32_i32_e32 v23, v36
	v_cvt_f32_i32_e32 v24, v59
	v_cvt_f32_f16_e32 v7, v7
	v_cvt_f32_i32_e32 v26, v74
	v_mad_u64_u32 v[94:95], null, v29, v19, v[0:1]
	v_cvt_f32_i32_e32 v27, v32
	v_dual_mul_f32 v0, v18, v23 :: v_dual_mul_f32 v11, v11, v24
	s_delay_alu instid0(VALU_DEP_4) | instskip(SKIP_1) | instid1(VALU_DEP_4)
	v_mul_f32_e32 v3, v3, v26
	v_cvt_f32_i32_e32 v1, v1
	v_mul_f32_e32 v7, v7, v27
	v_cvt_f32_i32_e32 v6, v6
	v_cvt_f32_i32_e32 v18, v94
	s_delay_alu instid0(VALU_DEP_4) | instskip(SKIP_1) | instid1(VALU_DEP_4)
	v_fma_mix_f32 v0, v130, v1, -v0 op_sel_hi:[1,0,0]
	v_fma_mix_f32 v1, v28, v2, -v3 op_sel_hi:[1,0,0]
	;; [unrolled: 1-line block ×3, first 2 shown]
	s_delay_alu instid0(VALU_DEP_4)
	v_fma_mix_f32 v3, v133, v18, -v7 op_sel_hi:[1,0,0]
	s_waitcnt lgkmcnt(0)
	v_fmac_f32_e32 v13, v31, v0
	v_fmac_f32_e32 v61, v31, v1
	v_fmac_f32_e32 v55, v31, v2
	v_fmac_f32_e32 v8, v31, v3
	s_cbranch_scc1 .LBB227_22
; %bb.23:                               ;   in Loop: Header=BB227_7 Depth=1
	s_or_b32 s1, s23, 0x100
	s_delay_alu instid0(SALU_CYCLE_1)
	s_cmp_ge_i32 s1, s11
	s_barrier
	buffer_gl0_inv
	s_cbranch_scc1 .LBB227_4
; %bb.24:                               ;   in Loop: Header=BB227_7 Depth=1
	scratch_load_b32 v0, off, off offset:80 ; 4-byte Folded Reload
	s_waitcnt vmcnt(0)
	v_add_nc_u32_e32 v0, s22, v0
	s_delay_alu instid0(VALU_DEP_1) | instskip(NEXT) | instid1(VALU_DEP_1)
	v_cmp_gt_i32_e64 s1, s5, v0
	s_and_b32 s24, s0, s1
	s_delay_alu instid0(SALU_CYCLE_1)
	s_and_saveexec_b32 s1, s24
	s_cbranch_execz .LBB227_26
; %bb.25:                               ;   in Loop: Header=BB227_7 Depth=1
	s_clause 0x1
	scratch_load_b32 v1, off, off offset:12
	scratch_load_b64 v[3:4], off, off offset:60
	s_waitcnt vmcnt(1)
	v_add_nc_u32_e32 v2, v1, v0
	s_waitcnt vmcnt(0)
	s_delay_alu instid0(VALU_DEP_1)
	v_mad_i64_i32 v[0:1], null, v2, 36, v[3:4]
	global_load_b32 v0, v[0:1], off offset:4
	scratch_load_b32 v1, off, off offset:68 ; 4-byte Folded Reload
	s_waitcnt vmcnt(0)
	ds_store_b32 v1, v0
.LBB227_26:                             ;   in Loop: Header=BB227_7 Depth=1
	s_or_b32 exec_lo, exec_lo, s1
	s_and_saveexec_b32 s24, vcc_lo
	s_cbranch_execz .LBB227_29
; %bb.27:                               ;   in Loop: Header=BB227_7 Depth=1
	v_or_b32_e32 v0, s22, v156
	s_delay_alu instid0(VALU_DEP_1) | instskip(NEXT) | instid1(VALU_DEP_1)
	v_or_b32_e32 v1, 8, v0
	v_cmp_gt_i32_e64 s1, s5, v1
	s_delay_alu instid0(VALU_DEP_1) | instskip(NEXT) | instid1(SALU_CYCLE_1)
	s_and_b32 s1, s0, s1
	s_and_b32 exec_lo, exec_lo, s1
	s_cbranch_execz .LBB227_29
; %bb.28:                               ;   in Loop: Header=BB227_7 Depth=1
	scratch_load_b32 v2, off, off offset:12 ; 4-byte Folded Reload
	v_ashrrev_i32_e32 v1, 31, v0
	s_waitcnt vmcnt(0)
	v_add_co_u32 v2, s1, v2, v0
	scratch_load_b32 v0, off, off offset:84 ; 4-byte Folded Reload
	s_waitcnt vmcnt(0)
	v_add_co_ci_u32_e64 v3, s1, v0, v1, s1
	v_mad_u64_u32 v[0:1], null, v2, 36, s[14:15]
	s_delay_alu instid0(VALU_DEP_1)
	v_mad_i32_i24 v1, v3, 36, v1
	global_load_b32 v0, v[0:1], off
	scratch_load_b32 v1, off, off offset:76 ; 4-byte Folded Reload
	s_waitcnt vmcnt(1)
	v_cvt_f32_f16_e32 v0, v0
	s_waitcnt vmcnt(0)
	ds_store_b32 v1, v0
.LBB227_29:                             ;   in Loop: Header=BB227_7 Depth=1
	s_or_b32 exec_lo, exec_lo, s24
	s_waitcnt lgkmcnt(0)
	s_clause 0x1
	scratch_load_b32 v4, off, off offset:4
	scratch_load_b32 v5, off, off offset:8
	s_mov_b32 s1, 16
	s_mov_b32 s24, 14
	s_waitcnt vmcnt(0)
	s_barrier
	buffer_gl0_inv
.LBB227_30:                             ;   Parent Loop BB227_7 Depth=1
                                        ; =>  This Inner Loop Header: Depth=2
	ds_load_b128 v[0:3], v4
	ds_load_b128 v[122:125], v4 offset:16
	s_add_i32 s25, s24, 2
	s_add_i32 s26, s24, -14
	s_and_b32 s27, s25, 0x3ffffff8
	s_lshr_b32 s28, s25, 2
	s_lshl_b32 s27, s27, 2
	s_and_b32 s28, s28, 0x3ffffffc
	s_and_b32 s29, s1, -16
	s_add_i32 s1, s1, 2
	s_add_i32 s24, s24, s29
	s_cmp_lt_u32 s25, 22
	s_waitcnt lgkmcnt(1)
	v_bfe_i32 v120, v2, 0, 8
	v_bfe_i32 v101, v2, 8, 8
	;; [unrolled: 1-line block ×3, first 2 shown]
	v_ashrrev_i32_e32 v96, 24, v2
	v_add_nc_u32_e32 v2, s27, v62
	v_bfe_i32 v118, v0, 0, 8
	v_bfe_i32 v111, v0, 8, 8
	v_bfe_i32 v117, v0, 16, 8
	v_ashrrev_i32_e32 v116, 24, v0
	v_bfe_i32 v119, v1, 0, 8
	v_bfe_i32 v112, v1, 8, 8
	v_bfe_i32 v105, v1, 16, 8
	v_ashrrev_i32_e32 v104, 24, v1
	;; [unrolled: 4-line block ×3, first 2 shown]
	s_waitcnt lgkmcnt(0)
	v_bfe_i32 v121, v122, 0, 8
	v_bfe_i32 v106, v122, 8, 8
	v_bfe_i32 v107, v122, 16, 8
	v_ashrrev_i32_e32 v113, 24, v122
	v_bfe_i32 v122, v123, 0, 8
	v_bfe_i32 v108, v123, 8, 8
	v_bfe_i32 v109, v123, 16, 8
	v_ashrrev_i32_e32 v110, 24, v123
	;; [unrolled: 4-line block ×4, first 2 shown]
	ds_load_2addr_b32 v[124:125], v2 offset1:1
	ds_load_2addr_b32 v[0:1], v2 offset0:2 offset1:3
	ds_load_2addr_b32 v[129:130], v2 offset0:4 offset1:5
	;; [unrolled: 1-line block ×3, first 2 shown]
	s_waitcnt lgkmcnt(3)
	v_ashrrev_i32_e32 v126, s26, v124
	v_ashrrev_i32_e32 v124, s26, v125
	s_waitcnt lgkmcnt(2)
	v_ashrrev_i32_e32 v0, s26, v0
	s_waitcnt lgkmcnt(1)
	v_ashrrev_i32_e32 v127, s26, v129
	v_ashrrev_i32_e32 v125, s26, v130
	v_and_b32_e32 v11, 3, v126
	v_and_b32_e32 v18, 3, v124
	;; [unrolled: 1-line block ×3, first 2 shown]
	s_waitcnt lgkmcnt(0)
	v_ashrrev_i32_e32 v2, s26, v2
	v_ashrrev_i32_e32 v1, s26, v1
	v_mul_i32_i24_e32 v11, v11, v118
	v_ashrrev_i32_e32 v3, s26, v3
	v_mul_i32_i24_e32 v19, v19, v120
	s_delay_alu instid0(VALU_DEP_3) | instskip(SKIP_1) | instid1(VALU_DEP_1)
	v_mad_i32_i24 v11, v18, v119, v11
	v_bfe_u32 v18, v126, 8, 2
	v_mul_i32_i24_e32 v18, v18, v111
	s_delay_alu instid0(VALU_DEP_1) | instskip(SKIP_3) | instid1(VALU_DEP_3)
	v_add3_u32 v128, v11, v19, v18
	v_and_b32_e32 v11, 3, v127
	v_and_b32_e32 v18, 3, v125
	;; [unrolled: 1-line block ×3, first 2 shown]
	v_mul_i32_i24_e32 v11, v11, v121
	s_delay_alu instid0(VALU_DEP_2) | instskip(NEXT) | instid1(VALU_DEP_2)
	v_mul_i32_i24_e32 v19, v19, v123
	v_mad_i32_i24 v11, v18, v122, v11
	v_bfe_u32 v18, v127, 8, 2
	s_delay_alu instid0(VALU_DEP_1) | instskip(NEXT) | instid1(VALU_DEP_1)
	v_mul_i32_i24_e32 v18, v18, v106
	v_add3_u32 v129, v11, v19, v18
	v_add_nc_u32_e32 v11, s27, v64
	v_add_nc_u32_e32 v18, s28, v63
	ds_load_2addr_b32 v[131:132], v11 offset0:2 offset1:3
	ds_load_b32 v130, v18
	ds_load_2addr_b32 v[133:134], v11 offset1:1
	s_waitcnt lgkmcnt(2)
	v_ashrrev_i32_e32 v26, s26, v131
	s_waitcnt lgkmcnt(0)
	v_ashrrev_i32_e32 v18, s26, v133
	v_ashrrev_i32_e32 v19, s26, v134
	s_delay_alu instid0(VALU_DEP_3) | instskip(NEXT) | instid1(VALU_DEP_3)
	v_and_b32_e32 v27, 3, v26
	v_and_b32_e32 v23, 3, v18
	s_delay_alu instid0(VALU_DEP_3) | instskip(NEXT) | instid1(VALU_DEP_3)
	v_and_b32_e32 v24, 3, v19
	v_mul_i32_i24_e32 v27, v27, v120
	s_delay_alu instid0(VALU_DEP_3) | instskip(NEXT) | instid1(VALU_DEP_1)
	v_mul_i32_i24_e32 v23, v23, v118
	v_mad_i32_i24 v23, v24, v119, v23
	v_bfe_u32 v24, v18, 8, 2
	s_delay_alu instid0(VALU_DEP_1) | instskip(NEXT) | instid1(VALU_DEP_1)
	v_mul_i32_i24_e32 v24, v24, v111
	v_add3_u32 v23, v23, v27, v24
	v_add_nc_u32_e32 v24, s24, v88
	v_add_nc_u32_e32 v27, s28, v65
	ds_load_u16 v24, v24 offset:17906
	ds_load_b32 v27, v27
	ds_load_2addr_b32 v[133:134], v11 offset0:4 offset1:5
	ds_load_2addr_b32 v[135:136], v11 offset0:6 offset1:7
	s_waitcnt lgkmcnt(1)
	v_ashrrev_i32_e32 v11, s26, v133
	v_ashrrev_i32_e32 v28, s26, v134
	s_waitcnt lgkmcnt(0)
	v_ashrrev_i32_e32 v32, s26, v135
	s_delay_alu instid0(VALU_DEP_3) | instskip(NEXT) | instid1(VALU_DEP_3)
	v_and_b32_e32 v29, 3, v11
	v_and_b32_e32 v31, 3, v28
	s_delay_alu instid0(VALU_DEP_3) | instskip(NEXT) | instid1(VALU_DEP_3)
	v_and_b32_e32 v33, 3, v32
	v_mul_i32_i24_e32 v29, v29, v121
	s_delay_alu instid0(VALU_DEP_2) | instskip(NEXT) | instid1(VALU_DEP_2)
	v_mul_i32_i24_e32 v33, v33, v123
	v_mad_i32_i24 v29, v31, v122, v29
	v_bfe_u32 v31, v11, 8, 2
	s_delay_alu instid0(VALU_DEP_1) | instskip(NEXT) | instid1(VALU_DEP_1)
	v_mul_i32_i24_e32 v31, v31, v106
	v_add3_u32 v29, v29, v33, v31
	v_add_nc_u32_e32 v31, s27, v66
	ds_load_2addr_b32 v[133:134], v31 offset1:1
	ds_load_2addr_b32 v[137:138], v31 offset0:2 offset1:3
	ds_load_2addr_b32 v[139:140], v31 offset0:4 offset1:5
	;; [unrolled: 1-line block ×3, first 2 shown]
	s_waitcnt lgkmcnt(3)
	v_ashrrev_i32_e32 v31, s26, v133
	v_ashrrev_i32_e32 v33, s26, v134
	s_waitcnt lgkmcnt(2)
	v_ashrrev_i32_e32 v37, s26, v137
	s_waitcnt lgkmcnt(0)
	v_ashrrev_i32_e32 v67, s26, v141
	v_and_b32_e32 v34, 3, v31
	v_and_b32_e32 v36, 3, v33
	;; [unrolled: 1-line block ×3, first 2 shown]
	s_delay_alu instid0(VALU_DEP_4) | instskip(NEXT) | instid1(VALU_DEP_4)
	v_and_b32_e32 v71, 3, v67
	v_mul_i32_i24_e32 v34, v34, v118
	s_delay_alu instid0(VALU_DEP_3) | instskip(NEXT) | instid1(VALU_DEP_3)
	v_mul_i32_i24_e32 v39, v39, v120
	v_mul_i32_i24_e32 v71, v71, v123
	s_delay_alu instid0(VALU_DEP_3) | instskip(SKIP_1) | instid1(VALU_DEP_1)
	v_mad_i32_i24 v34, v36, v119, v34
	v_bfe_u32 v36, v31, 8, 2
	v_mul_i32_i24_e32 v36, v36, v111
	s_delay_alu instid0(VALU_DEP_1) | instskip(SKIP_2) | instid1(VALU_DEP_2)
	v_add3_u32 v34, v34, v39, v36
	v_ashrrev_i32_e32 v36, s26, v139
	v_ashrrev_i32_e32 v39, s26, v140
	v_and_b32_e32 v59, 3, v36
	s_delay_alu instid0(VALU_DEP_2) | instskip(NEXT) | instid1(VALU_DEP_2)
	v_and_b32_e32 v60, 3, v39
	v_mul_i32_i24_e32 v59, v59, v121
	s_delay_alu instid0(VALU_DEP_1) | instskip(SKIP_1) | instid1(VALU_DEP_1)
	v_mad_i32_i24 v59, v60, v122, v59
	v_bfe_u32 v60, v36, 8, 2
	v_mul_i32_i24_e32 v60, v60, v106
	s_delay_alu instid0(VALU_DEP_1)
	v_add3_u32 v59, v59, v71, v60
	v_add_nc_u32_e32 v60, s27, v69
	v_add_nc_u32_e32 v71, s28, v68
	ds_load_2addr_b32 v[133:134], v60 offset0:2 offset1:3
	ds_load_b32 v71, v71
	ds_load_2addr_b32 v[139:140], v60 offset1:1
	s_waitcnt lgkmcnt(2)
	v_ashrrev_i32_e32 v81, s26, v133
	s_waitcnt lgkmcnt(0)
	v_ashrrev_i32_e32 v72, s26, v139
	v_ashrrev_i32_e32 v73, s26, v140
	s_delay_alu instid0(VALU_DEP_3) | instskip(NEXT) | instid1(VALU_DEP_3)
	v_and_b32_e32 v131, 3, v81
	v_and_b32_e32 v74, 3, v72
	s_delay_alu instid0(VALU_DEP_3) | instskip(NEXT) | instid1(VALU_DEP_3)
	v_and_b32_e32 v80, 3, v73
	v_mul_i32_i24_e32 v131, v131, v120
	s_delay_alu instid0(VALU_DEP_3) | instskip(SKIP_1) | instid1(VALU_DEP_2)
	v_mul_i32_i24_e32 v74, v74, v118
	v_add_nc_u32_e32 v118, v119, v118
	v_mad_i32_i24 v74, v80, v119, v74
	v_bfe_u32 v80, v72, 8, 2
	s_delay_alu instid0(VALU_DEP_3) | instskip(SKIP_1) | instid1(VALU_DEP_3)
	v_add3_u32 v118, v118, v120, v114
	v_add_nc_u32_e32 v120, s24, v89
	v_mul_i32_i24_e32 v80, v80, v111
	v_add_nc_u32_e32 v111, v112, v111
	s_delay_alu instid0(VALU_DEP_2) | instskip(SKIP_2) | instid1(VALU_DEP_4)
	v_add3_u32 v74, v74, v131, v80
	v_add_nc_u32_e32 v80, s24, v86
	v_add_nc_u32_e32 v131, s28, v70
	v_add3_u32 v111, v111, v101, v97
	ds_load_u16 v80, v80 offset:19954
	ds_load_b32 v131, v131
	ds_load_2addr_b32 v[139:140], v60 offset0:4 offset1:5
	ds_load_2addr_b32 v[143:144], v60 offset0:6 offset1:7
	ds_load_u16 v120, v120 offset:16882
	s_waitcnt lgkmcnt(2)
	v_ashrrev_i32_e32 v60, s26, v139
	v_ashrrev_i32_e32 v133, s26, v140
	s_waitcnt lgkmcnt(1)
	v_ashrrev_i32_e32 v139, s26, v143
	s_delay_alu instid0(VALU_DEP_3) | instskip(NEXT) | instid1(VALU_DEP_3)
	v_and_b32_e32 v135, 3, v60
	v_and_b32_e32 v137, 3, v133
	s_delay_alu instid0(VALU_DEP_3) | instskip(NEXT) | instid1(VALU_DEP_3)
	v_and_b32_e32 v140, 3, v139
	v_mul_i32_i24_e32 v135, v135, v121
	v_add_nc_u32_e32 v121, v122, v121
	s_delay_alu instid0(VALU_DEP_3) | instskip(NEXT) | instid1(VALU_DEP_3)
	v_mul_i32_i24_e32 v140, v140, v123
	v_mad_i32_i24 v135, v137, v122, v135
	v_bfe_u32 v137, v60, 8, 2
	s_delay_alu instid0(VALU_DEP_4)
	v_add3_u32 v119, v121, v123, v115
	s_waitcnt lgkmcnt(0)
	v_lshrrev_b16 v123, 8, v120
	v_add_nc_u32_e32 v121, v104, v116
	v_add_nc_u32_e32 v122, v105, v117
	v_mul_i32_i24_e32 v137, v137, v106
	s_delay_alu instid0(VALU_DEP_4) | instskip(NEXT) | instid1(VALU_DEP_4)
	v_and_b32_e32 v123, 0xffff, v123
	v_add3_u32 v121, v121, v96, v6
	s_delay_alu instid0(VALU_DEP_4) | instskip(NEXT) | instid1(VALU_DEP_4)
	v_add3_u32 v122, v122, v100, v7
	v_add3_u32 v135, v135, v140, v137
	v_bfe_u32 v137, v120, 4, 4
	v_lshrrev_b32_e32 v141, 4, v123
	s_delay_alu instid0(VALU_DEP_2) | instskip(SKIP_1) | instid1(VALU_DEP_1)
	v_mul_lo_u32 v140, 0x1010101, v137
	v_mul_i32_i24_e32 v137, v137, v118
	v_mad_i32_i24 v137, v141, v119, v137
	s_delay_alu instid0(VALU_DEP_3) | instskip(SKIP_1) | instid1(VALU_DEP_2)
	v_lshrrev_b32_e32 v143, 24, v140
	v_bfe_i32 v145, v140, 16, 8
	v_mul_i32_i24_e32 v143, v121, v143
	s_delay_alu instid0(VALU_DEP_2) | instskip(NEXT) | instid1(VALU_DEP_1)
	v_mul_i32_i24_e32 v145, v122, v145
	v_add3_u32 v137, v137, v143, v145
	v_add_nc_u32_e32 v143, s24, v87
	s_mov_b32 s24, s25
	ds_load_u16 v143, v143 offset:18930
	s_waitcnt lgkmcnt(0)
	v_bfe_u32 v146, v143, 4, 4
	v_lshrrev_b16 v145, 8, v143
	s_delay_alu instid0(VALU_DEP_2) | instskip(NEXT) | instid1(VALU_DEP_2)
	v_mul_lo_u32 v147, 0x1010101, v146
	v_and_b32_e32 v145, 0xffff, v145
	v_mul_i32_i24_e32 v146, v146, v118
	s_delay_alu instid0(VALU_DEP_2) | instskip(NEXT) | instid1(VALU_DEP_4)
	v_lshrrev_b32_e32 v148, 4, v145
	v_lshrrev_b32_e32 v149, 24, v147
	v_bfe_i32 v150, v147, 16, 8
	s_delay_alu instid0(VALU_DEP_3) | instskip(NEXT) | instid1(VALU_DEP_3)
	v_mad_i32_i24 v146, v148, v119, v146
	v_mul_i32_i24_e32 v149, v121, v149
	s_delay_alu instid0(VALU_DEP_3) | instskip(NEXT) | instid1(VALU_DEP_1)
	v_mul_i32_i24_e32 v150, v122, v150
	v_add3_u32 v146, v146, v149, v150
	v_bfe_u32 v150, v24, 4, 4
	v_lshrrev_b16 v149, 8, v24
	v_and_b32_e32 v24, 15, v24
	s_delay_alu instid0(VALU_DEP_3) | instskip(NEXT) | instid1(VALU_DEP_3)
	v_mul_lo_u32 v151, 0x1010101, v150
	v_and_b32_e32 v149, 0xffff, v149
	v_mul_i32_i24_e32 v150, v150, v118
	s_delay_alu instid0(VALU_DEP_2) | instskip(NEXT) | instid1(VALU_DEP_4)
	v_lshrrev_b32_e32 v152, 4, v149
	v_lshrrev_b32_e32 v153, 24, v151
	v_bfe_i32 v154, v151, 16, 8
	s_delay_alu instid0(VALU_DEP_3) | instskip(NEXT) | instid1(VALU_DEP_3)
	v_mad_i32_i24 v150, v152, v119, v150
	v_mul_i32_i24_e32 v153, v121, v153
	s_delay_alu instid0(VALU_DEP_3) | instskip(NEXT) | instid1(VALU_DEP_1)
	v_mul_i32_i24_e32 v154, v122, v154
	v_add3_u32 v150, v150, v153, v154
	v_lshrrev_b16 v153, 8, v80
	v_bfe_u32 v154, v80, 4, 4
	s_delay_alu instid0(VALU_DEP_2) | instskip(NEXT) | instid1(VALU_DEP_2)
	v_and_b32_e32 v153, 0xffff, v153
	v_mul_i32_i24_e32 v118, v154, v118
	s_delay_alu instid0(VALU_DEP_2) | instskip(NEXT) | instid1(VALU_DEP_1)
	v_lshrrev_b32_e32 v155, 4, v153
	v_mad_i32_i24 v118, v155, v119, v118
	v_mul_lo_u32 v119, 0x1010101, v154
	s_delay_alu instid0(VALU_DEP_1) | instskip(NEXT) | instid1(VALU_DEP_1)
	v_lshrrev_b32_e32 v154, 24, v119
	v_mul_i32_i24_e32 v121, v121, v154
	v_bfe_i32 v154, v119, 16, 8
	v_bfe_i32 v119, v119, 8, 8
	s_delay_alu instid0(VALU_DEP_2) | instskip(NEXT) | instid1(VALU_DEP_1)
	v_mul_i32_i24_e32 v122, v122, v154
	v_add3_u32 v118, v118, v121, v122
	v_bfe_u32 v121, v126, 16, 2
	v_bfe_u32 v122, v126, 24, 2
	;; [unrolled: 1-line block ×3, first 2 shown]
	s_delay_alu instid0(VALU_DEP_3) | instskip(NEXT) | instid1(VALU_DEP_3)
	v_mul_i32_i24_e32 v121, v121, v117
	v_mul_i32_i24_e32 v122, v122, v116
	s_delay_alu instid0(VALU_DEP_3) | instskip(NEXT) | instid1(VALU_DEP_2)
	v_mul_i32_i24_e32 v126, v126, v113
	v_add3_u32 v121, v128, v121, v122
	v_bfe_u32 v122, v127, 16, 2
	v_mul_lo_u32 v127, 0x1010101, v152
	s_delay_alu instid0(VALU_DEP_2) | instskip(NEXT) | instid1(VALU_DEP_2)
	v_mul_i32_i24_e32 v122, v122, v107
	v_lshrrev_b32_e32 v128, 24, v127
	s_delay_alu instid0(VALU_DEP_2) | instskip(SKIP_2) | instid1(VALU_DEP_2)
	v_add3_u32 v122, v129, v122, v126
	v_bfe_u32 v126, v18, 16, 2
	v_bfe_u32 v18, v18, 24, 2
	v_mul_i32_i24_e32 v126, v126, v117
	s_delay_alu instid0(VALU_DEP_2) | instskip(NEXT) | instid1(VALU_DEP_1)
	v_mul_i32_i24_e32 v18, v18, v116
	v_add3_u32 v18, v23, v126, v18
	v_bfe_u32 v23, v11, 16, 2
	v_bfe_u32 v11, v11, 24, 2
	s_delay_alu instid0(VALU_DEP_2) | instskip(NEXT) | instid1(VALU_DEP_2)
	v_mul_i32_i24_e32 v23, v23, v107
	v_mul_i32_i24_e32 v11, v11, v113
	s_delay_alu instid0(VALU_DEP_1) | instskip(SKIP_3) | instid1(VALU_DEP_3)
	v_add3_u32 v11, v29, v23, v11
	v_bfe_u32 v23, v31, 16, 2
	v_bfe_u32 v29, v31, 24, 2
	v_bfe_u32 v31, v36, 24, 2
	v_mul_i32_i24_e32 v23, v23, v117
	s_delay_alu instid0(VALU_DEP_3) | instskip(NEXT) | instid1(VALU_DEP_3)
	v_mul_i32_i24_e32 v29, v29, v116
	v_mul_i32_i24_e32 v31, v31, v113
	s_delay_alu instid0(VALU_DEP_2) | instskip(SKIP_3) | instid1(VALU_DEP_3)
	v_add3_u32 v23, v34, v23, v29
	v_bfe_u32 v29, v36, 16, 2
	v_bfe_u32 v34, v72, 24, 2
	v_bfe_u32 v36, v60, 24, 2
	v_mul_i32_i24_e32 v29, v29, v107
	s_delay_alu instid0(VALU_DEP_3) | instskip(NEXT) | instid1(VALU_DEP_3)
	v_mul_i32_i24_e32 v34, v34, v116
	v_mul_i32_i24_e32 v36, v36, v113
	s_delay_alu instid0(VALU_DEP_3) | instskip(SKIP_3) | instid1(VALU_DEP_3)
	v_add3_u32 v29, v59, v29, v31
	v_bfe_u32 v31, v72, 16, 2
	v_and_b32_e32 v59, 3, v1
	v_bfe_u32 v72, v19, 8, 2
	v_mul_i32_i24_e32 v31, v31, v117
	s_delay_alu instid0(VALU_DEP_3) | instskip(NEXT) | instid1(VALU_DEP_3)
	v_mul_i32_i24_e32 v59, v59, v114
	v_mul_i32_i24_e32 v72, v72, v112
	s_delay_alu instid0(VALU_DEP_3) | instskip(SKIP_2) | instid1(VALU_DEP_2)
	v_add3_u32 v31, v74, v31, v34
	v_bfe_u32 v34, v60, 16, 2
	v_and_b32_e32 v60, 3, v3
	v_mul_i32_i24_e32 v34, v34, v107
	s_delay_alu instid0(VALU_DEP_2) | instskip(NEXT) | instid1(VALU_DEP_2)
	v_mul_i32_i24_e32 v60, v60, v115
	v_add3_u32 v34, v135, v34, v36
	v_bfe_u32 v36, v124, 8, 2
	s_delay_alu instid0(VALU_DEP_1) | instskip(NEXT) | instid1(VALU_DEP_1)
	v_mul_i32_i24_e32 v36, v36, v112
	v_add3_u32 v36, v121, v59, v36
	v_bfe_u32 v59, v125, 8, 2
	s_delay_alu instid0(VALU_DEP_1) | instskip(NEXT) | instid1(VALU_DEP_1)
	v_mul_i32_i24_e32 v59, v59, v108
	v_add3_u32 v59, v122, v60, v59
	v_ashrrev_i32_e32 v60, s26, v132
	v_mul_lo_u32 v122, 0x1010101, v148
	s_delay_alu instid0(VALU_DEP_2) | instskip(NEXT) | instid1(VALU_DEP_2)
	v_and_b32_e32 v74, 3, v60
	v_lshrrev_b32_e32 v126, 24, v122
	s_delay_alu instid0(VALU_DEP_2) | instskip(NEXT) | instid1(VALU_DEP_1)
	v_mul_i32_i24_e32 v74, v74, v114
	v_add3_u32 v18, v18, v74, v72
	v_ashrrev_i32_e32 v72, s26, v136
	v_bfe_u32 v74, v28, 8, 2
	s_delay_alu instid0(VALU_DEP_2) | instskip(NEXT) | instid1(VALU_DEP_2)
	v_and_b32_e32 v116, 3, v72
	v_mul_i32_i24_e32 v74, v74, v108
	s_delay_alu instid0(VALU_DEP_2) | instskip(NEXT) | instid1(VALU_DEP_1)
	v_mul_i32_i24_e32 v116, v116, v115
	v_add3_u32 v11, v11, v116, v74
	v_ashrrev_i32_e32 v74, s26, v138
	v_bfe_u32 v116, v33, 8, 2
	s_delay_alu instid0(VALU_DEP_2) | instskip(NEXT) | instid1(VALU_DEP_2)
	v_and_b32_e32 v117, 3, v74
	v_mul_i32_i24_e32 v116, v116, v112
	;; [unrolled: 8-line block ×3, first 2 shown]
	s_delay_alu instid0(VALU_DEP_2) | instskip(NEXT) | instid1(VALU_DEP_1)
	v_mul_i32_i24_e32 v121, v121, v115
	v_add3_u32 v29, v29, v121, v117
	v_ashrrev_i32_e32 v117, s26, v134
	s_delay_alu instid0(VALU_DEP_1) | instskip(NEXT) | instid1(VALU_DEP_1)
	v_and_b32_e32 v121, 3, v117
	v_mul_i32_i24_e32 v114, v121, v114
	v_bfe_u32 v121, v73, 8, 2
	s_delay_alu instid0(VALU_DEP_1) | instskip(SKIP_2) | instid1(VALU_DEP_3)
	v_mul_i32_i24_e32 v121, v121, v112
	v_add_nc_u32_e32 v112, v110, v113
	v_bfe_i32 v113, v140, 8, 8
	v_add3_u32 v31, v31, v114, v121
	v_ashrrev_i32_e32 v114, s26, v144
	s_delay_alu instid0(VALU_DEP_4) | instskip(NEXT) | instid1(VALU_DEP_4)
	v_add3_u32 v112, v112, v98, v94
	v_mul_i32_i24_e32 v113, v111, v113
	s_delay_alu instid0(VALU_DEP_3) | instskip(NEXT) | instid1(VALU_DEP_3)
	v_and_b32_e32 v121, 3, v114
	v_mul_i32_i24_e32 v126, v112, v126
	v_mul_i32_i24_e32 v128, v112, v128
	s_delay_alu instid0(VALU_DEP_3) | instskip(SKIP_1) | instid1(VALU_DEP_1)
	v_mul_i32_i24_e32 v115, v121, v115
	v_bfe_u32 v121, v133, 8, 2
	v_mul_i32_i24_e32 v121, v121, v108
	s_delay_alu instid0(VALU_DEP_1) | instskip(SKIP_1) | instid1(VALU_DEP_1)
	v_add3_u32 v34, v34, v115, v121
	v_mul_lo_u32 v115, 0x1010101, v141
	v_lshrrev_b32_e32 v121, 24, v115
	s_delay_alu instid0(VALU_DEP_1) | instskip(NEXT) | instid1(VALU_DEP_1)
	v_mul_i32_i24_e32 v121, v112, v121
	v_add3_u32 v113, v137, v113, v121
	v_bfe_i32 v121, v147, 8, 8
	s_delay_alu instid0(VALU_DEP_1) | instskip(NEXT) | instid1(VALU_DEP_1)
	v_mul_i32_i24_e32 v121, v111, v121
	v_add3_u32 v121, v146, v121, v126
	v_bfe_i32 v126, v151, 8, 8
	s_delay_alu instid0(VALU_DEP_1) | instskip(SKIP_2) | instid1(VALU_DEP_3)
	v_mul_i32_i24_e32 v126, v111, v126
	v_mul_i32_i24_e32 v111, v111, v119
	v_mul_lo_u32 v119, 0x1010101, v155
	v_add3_u32 v126, v150, v126, v128
	s_delay_alu instid0(VALU_DEP_2) | instskip(NEXT) | instid1(VALU_DEP_1)
	v_lshrrev_b32_e32 v128, 24, v119
	v_mul_i32_i24_e32 v112, v112, v128
	s_delay_alu instid0(VALU_DEP_1) | instskip(SKIP_2) | instid1(VALU_DEP_2)
	v_add3_u32 v111, v118, v111, v112
	v_bfe_u32 v112, v124, 16, 2
	v_bfe_u32 v118, v124, 24, 2
	v_mul_i32_i24_e32 v112, v112, v105
	s_delay_alu instid0(VALU_DEP_2) | instskip(NEXT) | instid1(VALU_DEP_1)
	v_mul_i32_i24_e32 v118, v118, v104
	v_add3_u32 v36, v36, v112, v118
	v_bfe_u32 v112, v125, 16, 2
	v_bfe_u32 v118, v125, 24, 2
	s_delay_alu instid0(VALU_DEP_2) | instskip(NEXT) | instid1(VALU_DEP_2)
	v_mul_i32_i24_e32 v112, v112, v109
	v_mul_i32_i24_e32 v118, v118, v110
	s_delay_alu instid0(VALU_DEP_1) | instskip(SKIP_2) | instid1(VALU_DEP_2)
	v_add3_u32 v59, v59, v112, v118
	v_bfe_u32 v112, v19, 16, 2
	v_bfe_u32 v19, v19, 24, 2
	v_mul_i32_i24_e32 v112, v112, v105
	s_delay_alu instid0(VALU_DEP_2) | instskip(NEXT) | instid1(VALU_DEP_1)
	v_mul_i32_i24_e32 v19, v19, v104
	v_add3_u32 v18, v18, v112, v19
	v_bfe_u32 v19, v28, 16, 2
	v_bfe_u32 v28, v28, 24, 2
	s_delay_alu instid0(VALU_DEP_2) | instskip(NEXT) | instid1(VALU_DEP_2)
	v_mul_i32_i24_e32 v19, v19, v109
	v_mul_i32_i24_e32 v28, v28, v110
	s_delay_alu instid0(VALU_DEP_1) | instskip(SKIP_3) | instid1(VALU_DEP_3)
	v_add3_u32 v11, v11, v19, v28
	v_bfe_u32 v19, v33, 16, 2
	v_bfe_u32 v28, v33, 24, 2
	v_add_nc_u32_e32 v33, v108, v106
	v_mul_i32_i24_e32 v19, v19, v105
	s_delay_alu instid0(VALU_DEP_3) | instskip(NEXT) | instid1(VALU_DEP_3)
	v_mul_i32_i24_e32 v28, v28, v104
	v_add3_u32 v33, v33, v103, v99
	s_delay_alu instid0(VALU_DEP_2) | instskip(SKIP_3) | instid1(VALU_DEP_3)
	v_add3_u32 v19, v23, v19, v28
	v_bfe_u32 v23, v39, 16, 2
	v_bfe_u32 v28, v39, 24, 2
	v_bfe_i32 v39, v115, 8, 8
	v_mul_i32_i24_e32 v23, v23, v109
	s_delay_alu instid0(VALU_DEP_3) | instskip(NEXT) | instid1(VALU_DEP_3)
	v_mul_i32_i24_e32 v28, v28, v110
	v_mul_i32_i24_e32 v39, v33, v39
	s_delay_alu instid0(VALU_DEP_2) | instskip(SKIP_3) | instid1(VALU_DEP_3)
	v_add3_u32 v23, v29, v23, v28
	v_bfe_u32 v28, v73, 16, 2
	v_bfe_u32 v29, v73, 24, 2
	v_bfe_i32 v73, v122, 8, 8
	v_mul_i32_i24_e32 v28, v28, v105
	s_delay_alu instid0(VALU_DEP_3) | instskip(NEXT) | instid1(VALU_DEP_3)
	v_mul_i32_i24_e32 v29, v29, v104
	v_mul_i32_i24_e32 v73, v33, v73
	v_bfe_i32 v104, v127, 8, 8
	s_delay_alu instid0(VALU_DEP_3) | instskip(SKIP_2) | instid1(VALU_DEP_4)
	v_add3_u32 v28, v31, v28, v29
	v_bfe_u32 v29, v133, 24, 2
	v_bfe_u32 v31, v133, 16, 2
	v_mul_i32_i24_e32 v104, v33, v104
	s_delay_alu instid0(VALU_DEP_3) | instskip(NEXT) | instid1(VALU_DEP_3)
	v_mul_i32_i24_e32 v29, v29, v110
	v_mul_i32_i24_e32 v31, v31, v109
	s_delay_alu instid0(VALU_DEP_1) | instskip(SKIP_2) | instid1(VALU_DEP_2)
	v_add3_u32 v29, v34, v31, v29
	v_add_nc_u32_e32 v31, v109, v107
	v_bfe_i32 v34, v115, 16, 8
	v_add3_u32 v31, v31, v102, v95
	s_delay_alu instid0(VALU_DEP_1) | instskip(NEXT) | instid1(VALU_DEP_1)
	v_mul_i32_i24_e32 v34, v31, v34
	v_add3_u32 v34, v113, v34, v39
	v_bfe_i32 v39, v122, 16, 8
	s_delay_alu instid0(VALU_DEP_1) | instskip(NEXT) | instid1(VALU_DEP_1)
	v_mul_i32_i24_e32 v39, v31, v39
	v_add3_u32 v39, v121, v39, v73
	v_bfe_i32 v73, v127, 16, 8
	;; [unrolled: 4-line block ×3, first 2 shown]
	s_delay_alu instid0(VALU_DEP_1) | instskip(SKIP_1) | instid1(VALU_DEP_1)
	v_mul_i32_i24_e32 v31, v31, v104
	v_bfe_i32 v104, v119, 8, 8
	v_mul_i32_i24_e32 v33, v33, v104
	v_bfe_u32 v104, v0, 16, 2
	s_delay_alu instid0(VALU_DEP_2) | instskip(SKIP_1) | instid1(VALU_DEP_3)
	v_add3_u32 v31, v111, v31, v33
	v_bfe_u32 v33, v0, 8, 2
	v_mul_i32_i24_e32 v104, v104, v100
	v_bfe_u32 v0, v0, 24, 2
	s_delay_alu instid0(VALU_DEP_4) | instskip(NEXT) | instid1(VALU_DEP_4)
	v_cvt_f32_i32_e32 v31, v31
	v_mul_i32_i24_e32 v33, v33, v101
	s_delay_alu instid0(VALU_DEP_3) | instskip(NEXT) | instid1(VALU_DEP_2)
	v_mul_i32_i24_e32 v0, v0, v96
	v_add3_u32 v33, v36, v33, v104
	v_bfe_u32 v36, v2, 8, 2
	v_bfe_u32 v104, v2, 16, 2
	;; [unrolled: 1-line block ×3, first 2 shown]
	s_delay_alu instid0(VALU_DEP_3) | instskip(NEXT) | instid1(VALU_DEP_3)
	v_mul_i32_i24_e32 v36, v36, v103
	v_mul_i32_i24_e32 v104, v104, v102
	s_delay_alu instid0(VALU_DEP_3) | instskip(NEXT) | instid1(VALU_DEP_2)
	v_mul_i32_i24_e32 v2, v2, v98
	v_add3_u32 v36, v59, v36, v104
	v_bfe_u32 v59, v26, 8, 2
	v_bfe_u32 v104, v26, 16, 2
	;; [unrolled: 1-line block ×3, first 2 shown]
	s_delay_alu instid0(VALU_DEP_3) | instskip(NEXT) | instid1(VALU_DEP_3)
	v_mul_i32_i24_e32 v59, v59, v101
	v_mul_i32_i24_e32 v104, v104, v100
	s_delay_alu instid0(VALU_DEP_3) | instskip(NEXT) | instid1(VALU_DEP_2)
	v_mul_i32_i24_e32 v26, v26, v96
	v_add3_u32 v18, v18, v59, v104
	v_bfe_u32 v59, v32, 8, 2
	v_bfe_u32 v104, v32, 16, 2
	s_delay_alu instid0(VALU_DEP_2) | instskip(NEXT) | instid1(VALU_DEP_2)
	v_mul_i32_i24_e32 v59, v59, v103
	v_mul_i32_i24_e32 v104, v104, v102
	s_delay_alu instid0(VALU_DEP_1) | instskip(SKIP_2) | instid1(VALU_DEP_2)
	v_add3_u32 v11, v11, v59, v104
	v_bfe_u32 v59, v37, 8, 2
	v_bfe_u32 v104, v37, 16, 2
	v_mul_i32_i24_e32 v59, v59, v101
	s_delay_alu instid0(VALU_DEP_2) | instskip(NEXT) | instid1(VALU_DEP_1)
	v_mul_i32_i24_e32 v104, v104, v100
	v_add3_u32 v19, v19, v59, v104
	v_bfe_u32 v59, v67, 8, 2
	v_bfe_u32 v104, v67, 16, 2
	s_delay_alu instid0(VALU_DEP_2) | instskip(NEXT) | instid1(VALU_DEP_2)
	v_mul_i32_i24_e32 v59, v59, v103
	v_mul_i32_i24_e32 v104, v104, v102
	s_delay_alu instid0(VALU_DEP_1) | instskip(SKIP_1) | instid1(VALU_DEP_1)
	v_add3_u32 v23, v23, v59, v104
	v_bfe_u32 v59, v81, 8, 2
	v_mul_i32_i24_e32 v59, v59, v101
	v_bfe_u32 v101, v81, 16, 2
	s_delay_alu instid0(VALU_DEP_1) | instskip(NEXT) | instid1(VALU_DEP_1)
	v_mul_i32_i24_e32 v100, v101, v100
	v_add3_u32 v28, v28, v59, v100
	v_bfe_u32 v59, v139, 8, 2
	v_bfe_u32 v100, v139, 16, 2
	s_delay_alu instid0(VALU_DEP_2) | instskip(NEXT) | instid1(VALU_DEP_2)
	v_mul_i32_i24_e32 v59, v59, v103
	v_mul_i32_i24_e32 v100, v100, v102
	s_delay_alu instid0(VALU_DEP_1) | instskip(SKIP_1) | instid1(VALU_DEP_1)
	v_add3_u32 v29, v29, v59, v100
	v_bfe_u32 v59, v1, 8, 2
	v_mul_i32_i24_e32 v59, v59, v97
	s_delay_alu instid0(VALU_DEP_1) | instskip(SKIP_1) | instid1(VALU_DEP_1)
	v_add3_u32 v0, v33, v0, v59
	v_bfe_u32 v33, v3, 8, 2
	v_mul_i32_i24_e32 v33, v33, v99
	s_delay_alu instid0(VALU_DEP_1) | instskip(SKIP_2) | instid1(VALU_DEP_2)
	v_add3_u32 v2, v36, v2, v33
	v_bfe_u32 v33, v60, 8, 2
	v_and_b32_e32 v36, 15, v153
	v_mul_i32_i24_e32 v33, v33, v97
	s_delay_alu instid0(VALU_DEP_1) | instskip(SKIP_3) | instid1(VALU_DEP_3)
	v_add3_u32 v18, v18, v26, v33
	v_bfe_u32 v26, v32, 24, 2
	v_bfe_u32 v32, v72, 8, 2
	v_and_b32_e32 v33, 15, v149
	v_mul_i32_i24_e32 v26, v26, v98
	s_delay_alu instid0(VALU_DEP_3) | instskip(NEXT) | instid1(VALU_DEP_1)
	v_mul_i32_i24_e32 v32, v32, v99
	v_add3_u32 v11, v11, v26, v32
	v_bfe_u32 v26, v37, 24, 2
	v_bfe_u32 v32, v74, 8, 2
	s_delay_alu instid0(VALU_DEP_2) | instskip(NEXT) | instid1(VALU_DEP_2)
	v_mul_i32_i24_e32 v26, v26, v96
	v_mul_i32_i24_e32 v32, v32, v97
	s_delay_alu instid0(VALU_DEP_1) | instskip(SKIP_2) | instid1(VALU_DEP_2)
	v_add3_u32 v19, v19, v26, v32
	v_bfe_u32 v26, v67, 24, 2
	v_bfe_u32 v32, v116, 8, 2
	v_mul_i32_i24_e32 v26, v26, v98
	s_delay_alu instid0(VALU_DEP_2) | instskip(NEXT) | instid1(VALU_DEP_1)
	v_mul_i32_i24_e32 v32, v32, v99
	v_add3_u32 v23, v23, v26, v32
	v_bfe_u32 v26, v81, 24, 2
	v_bfe_u32 v32, v117, 8, 2
	s_delay_alu instid0(VALU_DEP_2) | instskip(NEXT) | instid1(VALU_DEP_2)
	v_mul_i32_i24_e32 v26, v26, v96
	v_mul_i32_i24_e32 v32, v32, v97
	s_delay_alu instid0(VALU_DEP_1) | instskip(SKIP_2) | instid1(VALU_DEP_2)
	v_add3_u32 v26, v28, v26, v32
	v_bfe_u32 v28, v139, 24, 2
	v_bfe_u32 v32, v114, 8, 2
	v_mul_i32_i24_e32 v28, v28, v98
	s_delay_alu instid0(VALU_DEP_2) | instskip(NEXT) | instid1(VALU_DEP_1)
	v_mul_i32_i24_e32 v32, v32, v99
	v_add3_u32 v28, v29, v28, v32
	v_bfe_u32 v29, v1, 16, 2
	v_bfe_u32 v1, v1, 24, 2
	v_lshrrev_b32_e32 v32, 16, v27
	s_delay_alu instid0(VALU_DEP_3) | instskip(NEXT) | instid1(VALU_DEP_3)
	v_mul_i32_i24_e32 v29, v29, v7
	v_mul_i32_i24_e32 v1, v1, v6
	s_delay_alu instid0(VALU_DEP_1) | instskip(SKIP_3) | instid1(VALU_DEP_3)
	v_add3_u32 v0, v0, v29, v1
	v_bfe_u32 v1, v3, 16, 2
	v_bfe_u32 v3, v3, 24, 2
	v_and_b32_e32 v29, 15, v123
	v_mul_i32_i24_e32 v1, v1, v95
	s_delay_alu instid0(VALU_DEP_3) | instskip(NEXT) | instid1(VALU_DEP_1)
	v_mul_i32_i24_e32 v3, v3, v94
	v_add3_u32 v3, v2, v1, v3
	v_bfe_u32 v1, v60, 16, 2
	v_bfe_u32 v2, v60, 24, 2
	s_delay_alu instid0(VALU_DEP_2) | instskip(NEXT) | instid1(VALU_DEP_2)
	v_mul_i32_i24_e32 v1, v1, v7
	v_mul_i32_i24_e32 v2, v2, v6
	s_delay_alu instid0(VALU_DEP_1) | instskip(SKIP_2) | instid1(VALU_DEP_2)
	v_add3_u32 v18, v18, v1, v2
	v_bfe_u32 v1, v72, 16, 2
	v_bfe_u32 v2, v72, 24, 2
	v_mul_i32_i24_e32 v1, v1, v95
	s_delay_alu instid0(VALU_DEP_2) | instskip(NEXT) | instid1(VALU_DEP_1)
	v_mul_i32_i24_e32 v2, v2, v94
	v_add3_u32 v11, v11, v1, v2
	v_bfe_u32 v1, v74, 16, 2
	v_bfe_u32 v2, v74, 24, 2
	s_delay_alu instid0(VALU_DEP_2) | instskip(NEXT) | instid1(VALU_DEP_2)
	v_mul_i32_i24_e32 v1, v1, v7
	v_mul_i32_i24_e32 v2, v2, v6
	s_delay_alu instid0(VALU_DEP_1) | instskip(SKIP_2) | instid1(VALU_DEP_2)
	v_add3_u32 v19, v19, v1, v2
	v_bfe_u32 v1, v116, 16, 2
	v_bfe_u32 v2, v116, 24, 2
	v_mul_i32_i24_e32 v1, v1, v95
	s_delay_alu instid0(VALU_DEP_2) | instskip(NEXT) | instid1(VALU_DEP_1)
	v_mul_i32_i24_e32 v2, v2, v94
	v_add3_u32 v23, v23, v1, v2
	v_bfe_u32 v1, v117, 16, 2
	v_bfe_u32 v2, v117, 24, 2
	s_delay_alu instid0(VALU_DEP_2) | instskip(NEXT) | instid1(VALU_DEP_2)
	v_mul_i32_i24_e32 v1, v1, v7
	v_mul_i32_i24_e32 v2, v2, v6
	v_and_b32_e32 v7, 15, v143
	s_delay_alu instid0(VALU_DEP_2) | instskip(SKIP_2) | instid1(VALU_DEP_2)
	v_add3_u32 v6, v26, v1, v2
	v_bfe_u32 v1, v114, 16, 2
	v_bfe_u32 v2, v114, 24, 2
	v_mul_i32_i24_e32 v1, v1, v95
	s_delay_alu instid0(VALU_DEP_2) | instskip(NEXT) | instid1(VALU_DEP_1)
	v_mul_i32_i24_e32 v2, v2, v94
	v_add3_u32 v26, v28, v1, v2
	v_and_b32_e32 v1, 15, v120
	ds_load_b32 v28, v5
	v_add_nc_u32_e32 v5, 4, v5
	v_mul_lo_u32 v0, v0, v1
	s_delay_alu instid0(VALU_DEP_1) | instskip(SKIP_3) | instid1(VALU_DEP_2)
	v_mad_u64_u32 v[1:2], null, v3, v29, v[0:1]
	v_mul_lo_u32 v0, v18, v24
	v_lshrrev_b32_e32 v29, 16, v130
	v_cvt_f32_f16_e32 v24, v32
	v_cvt_f32_f16_e32 v18, v29
	s_delay_alu instid0(VALU_DEP_4) | instskip(SKIP_4) | instid1(VALU_DEP_4)
	v_mad_u64_u32 v[2:3], null, v11, v33, v[0:1]
	v_lshrrev_b32_e32 v0, 16, v71
	v_lshrrev_b32_e32 v3, 16, v131
	v_and_b32_e32 v11, 15, v80
	v_and_b32_e32 v33, 15, v145
	v_cvt_f32_f16_e32 v29, v0
	s_delay_alu instid0(VALU_DEP_4)
	v_cvt_f32_f16_e32 v32, v3
	v_mul_lo_u32 v0, v19, v7
	v_mul_lo_u32 v3, v6, v11
	v_cvt_f32_i32_e32 v11, v34
	v_cvt_f32_i32_e32 v19, v39
	;; [unrolled: 1-line block ×4, first 2 shown]
	v_mad_u64_u32 v[6:7], null, v23, v33, v[0:1]
	v_mad_u64_u32 v[94:95], null, v26, v36, v[3:4]
	v_mul_f32_e32 v0, v18, v11
	v_mul_f32_e32 v3, v29, v19
	;; [unrolled: 1-line block ×4, first 2 shown]
	v_cvt_f32_i32_e32 v1, v1
	v_cvt_f32_i32_e32 v6, v6
	;; [unrolled: 1-line block ×3, first 2 shown]
	v_add_nc_u32_e32 v4, 32, v4
	s_delay_alu instid0(VALU_DEP_4)
	v_fma_mix_f32 v0, v130, v1, -v0 op_sel_hi:[1,0,0]
	v_fma_mix_f32 v1, v27, v2, -v7 op_sel_hi:[1,0,0]
	;; [unrolled: 1-line block ×4, first 2 shown]
	s_waitcnt lgkmcnt(0)
	v_fmac_f32_e32 v13, v28, v0
	v_fmac_f32_e32 v61, v28, v1
	v_fmac_f32_e32 v55, v28, v2
	v_fmac_f32_e32 v8, v28, v3
	s_cbranch_scc1 .LBB227_30
; %bb.31:                               ;   in Loop: Header=BB227_7 Depth=1
	s_or_b32 s1, s23, 0x180
	s_delay_alu instid0(SALU_CYCLE_1)
	s_cmp_ge_i32 s1, s11
	s_barrier
	buffer_gl0_inv
	s_cbranch_scc1 .LBB227_4
; %bb.32:                               ;   in Loop: Header=BB227_7 Depth=1
	scratch_load_b32 v0, off, off offset:88 ; 4-byte Folded Reload
	s_waitcnt vmcnt(0)
	v_add_nc_u32_e32 v0, s22, v0
	s_delay_alu instid0(VALU_DEP_1) | instskip(NEXT) | instid1(VALU_DEP_1)
	v_cmp_gt_i32_e64 s1, s5, v0
	s_and_b32 s23, s0, s1
	s_delay_alu instid0(SALU_CYCLE_1)
	s_and_saveexec_b32 s1, s23
	s_cbranch_execz .LBB227_34
; %bb.33:                               ;   in Loop: Header=BB227_7 Depth=1
	s_clause 0x1
	scratch_load_b32 v1, off, off offset:12
	scratch_load_b64 v[3:4], off, off offset:60
	s_waitcnt vmcnt(1)
	v_add_nc_u32_e32 v2, v1, v0
	s_waitcnt vmcnt(0)
	s_delay_alu instid0(VALU_DEP_1)
	v_mad_i64_i32 v[0:1], null, v2, 36, v[3:4]
	global_load_b32 v0, v[0:1], off offset:4
	scratch_load_b32 v1, off, off offset:68 ; 4-byte Folded Reload
	s_waitcnt vmcnt(0)
	ds_store_b32 v1, v0
.LBB227_34:                             ;   in Loop: Header=BB227_7 Depth=1
	s_or_b32 exec_lo, exec_lo, s1
	s_and_saveexec_b32 s23, vcc_lo
	s_cbranch_execz .LBB227_37
; %bb.35:                               ;   in Loop: Header=BB227_7 Depth=1
	v_or_b32_e32 v0, s22, v156
	s_delay_alu instid0(VALU_DEP_1) | instskip(NEXT) | instid1(VALU_DEP_1)
	v_or_b32_e32 v1, 12, v0
	v_cmp_gt_i32_e64 s1, s5, v1
	s_delay_alu instid0(VALU_DEP_1) | instskip(NEXT) | instid1(SALU_CYCLE_1)
	s_and_b32 s1, s0, s1
	s_and_b32 exec_lo, exec_lo, s1
	s_cbranch_execz .LBB227_37
; %bb.36:                               ;   in Loop: Header=BB227_7 Depth=1
	scratch_load_b32 v2, off, off offset:12 ; 4-byte Folded Reload
	v_ashrrev_i32_e32 v1, 31, v0
	s_waitcnt vmcnt(0)
	v_add_co_u32 v2, s1, v2, v0
	scratch_load_b32 v0, off, off offset:84 ; 4-byte Folded Reload
	s_waitcnt vmcnt(0)
	v_add_co_ci_u32_e64 v3, s1, v0, v1, s1
	v_mad_u64_u32 v[0:1], null, v2, 36, s[16:17]
	s_delay_alu instid0(VALU_DEP_1)
	v_mad_i32_i24 v1, v3, 36, v1
	global_load_b32 v0, v[0:1], off
	scratch_load_b32 v1, off, off offset:76 ; 4-byte Folded Reload
	s_waitcnt vmcnt(1)
	v_cvt_f32_f16_e32 v0, v0
	s_waitcnt vmcnt(0)
	ds_store_b32 v1, v0
.LBB227_37:                             ;   in Loop: Header=BB227_7 Depth=1
	s_or_b32 exec_lo, exec_lo, s23
	s_waitcnt lgkmcnt(0)
	s_clause 0x1
	scratch_load_b32 v4, off, off offset:4
	scratch_load_b32 v5, off, off offset:8
	s_mov_b32 s1, 24
	s_mov_b32 s22, 22
	s_waitcnt vmcnt(0)
	s_barrier
	buffer_gl0_inv
.LBB227_38:                             ;   Parent Loop BB227_7 Depth=1
                                        ; =>  This Inner Loop Header: Depth=2
	ds_load_b128 v[0:3], v4
	ds_load_b128 v[122:125], v4 offset:16
	s_add_i32 s23, s22, 2
	s_sub_i32 s24, s22, 22
	s_and_b32 s25, s23, 0x3ffffff8
	s_lshr_b32 s26, s23, 2
	s_lshl_b32 s25, s25, 2
	s_and_b32 s26, s26, 0x3ffffffc
	s_and_b32 s27, s1, -16
	s_add_i32 s1, s1, 2
	s_add_i32 s22, s22, s27
	s_cmp_lt_u32 s23, 30
	s_waitcnt lgkmcnt(1)
	v_bfe_i32 v120, v2, 0, 8
	v_bfe_i32 v101, v2, 8, 8
	;; [unrolled: 1-line block ×3, first 2 shown]
	v_ashrrev_i32_e32 v96, 24, v2
	v_add_nc_u32_e32 v2, s25, v62
	v_bfe_i32 v118, v0, 0, 8
	v_bfe_i32 v111, v0, 8, 8
	v_bfe_i32 v117, v0, 16, 8
	v_ashrrev_i32_e32 v116, 24, v0
	v_bfe_i32 v119, v1, 0, 8
	v_bfe_i32 v112, v1, 8, 8
	v_bfe_i32 v105, v1, 16, 8
	v_ashrrev_i32_e32 v104, 24, v1
	;; [unrolled: 4-line block ×3, first 2 shown]
	s_waitcnt lgkmcnt(0)
	v_bfe_i32 v121, v122, 0, 8
	v_bfe_i32 v106, v122, 8, 8
	v_bfe_i32 v107, v122, 16, 8
	v_ashrrev_i32_e32 v113, 24, v122
	v_bfe_i32 v122, v123, 0, 8
	v_bfe_i32 v108, v123, 8, 8
	v_bfe_i32 v109, v123, 16, 8
	v_ashrrev_i32_e32 v110, 24, v123
	;; [unrolled: 4-line block ×4, first 2 shown]
	ds_load_2addr_b32 v[124:125], v2 offset1:1
	ds_load_2addr_b32 v[0:1], v2 offset0:2 offset1:3
	ds_load_2addr_b32 v[129:130], v2 offset0:4 offset1:5
	;; [unrolled: 1-line block ×3, first 2 shown]
	s_waitcnt lgkmcnt(3)
	v_ashrrev_i32_e32 v126, s24, v124
	v_ashrrev_i32_e32 v124, s24, v125
	s_waitcnt lgkmcnt(2)
	v_ashrrev_i32_e32 v0, s24, v0
	s_waitcnt lgkmcnt(1)
	v_ashrrev_i32_e32 v127, s24, v129
	v_ashrrev_i32_e32 v125, s24, v130
	v_and_b32_e32 v11, 3, v126
	v_and_b32_e32 v18, 3, v124
	;; [unrolled: 1-line block ×3, first 2 shown]
	s_waitcnt lgkmcnt(0)
	v_ashrrev_i32_e32 v2, s24, v2
	v_ashrrev_i32_e32 v1, s24, v1
	v_mul_i32_i24_e32 v11, v11, v118
	v_ashrrev_i32_e32 v3, s24, v3
	v_mul_i32_i24_e32 v19, v19, v120
	s_delay_alu instid0(VALU_DEP_3) | instskip(SKIP_1) | instid1(VALU_DEP_1)
	v_mad_i32_i24 v11, v18, v119, v11
	v_bfe_u32 v18, v126, 8, 2
	v_mul_i32_i24_e32 v18, v18, v111
	s_delay_alu instid0(VALU_DEP_1) | instskip(SKIP_3) | instid1(VALU_DEP_3)
	v_add3_u32 v128, v11, v19, v18
	v_and_b32_e32 v11, 3, v127
	v_and_b32_e32 v18, 3, v125
	;; [unrolled: 1-line block ×3, first 2 shown]
	v_mul_i32_i24_e32 v11, v11, v121
	s_delay_alu instid0(VALU_DEP_2) | instskip(NEXT) | instid1(VALU_DEP_2)
	v_mul_i32_i24_e32 v19, v19, v123
	v_mad_i32_i24 v11, v18, v122, v11
	v_bfe_u32 v18, v127, 8, 2
	s_delay_alu instid0(VALU_DEP_1) | instskip(NEXT) | instid1(VALU_DEP_1)
	v_mul_i32_i24_e32 v18, v18, v106
	v_add3_u32 v129, v11, v19, v18
	v_add_nc_u32_e32 v11, s25, v64
	v_add_nc_u32_e32 v18, s26, v63
	ds_load_2addr_b32 v[131:132], v11 offset0:2 offset1:3
	ds_load_b32 v130, v18
	ds_load_2addr_b32 v[133:134], v11 offset1:1
	s_waitcnt lgkmcnt(2)
	v_ashrrev_i32_e32 v26, s24, v131
	s_waitcnt lgkmcnt(0)
	v_ashrrev_i32_e32 v18, s24, v133
	v_ashrrev_i32_e32 v19, s24, v134
	s_delay_alu instid0(VALU_DEP_3) | instskip(NEXT) | instid1(VALU_DEP_3)
	v_and_b32_e32 v27, 3, v26
	v_and_b32_e32 v23, 3, v18
	s_delay_alu instid0(VALU_DEP_3) | instskip(NEXT) | instid1(VALU_DEP_3)
	v_and_b32_e32 v24, 3, v19
	v_mul_i32_i24_e32 v27, v27, v120
	s_delay_alu instid0(VALU_DEP_3) | instskip(NEXT) | instid1(VALU_DEP_1)
	v_mul_i32_i24_e32 v23, v23, v118
	v_mad_i32_i24 v23, v24, v119, v23
	v_bfe_u32 v24, v18, 8, 2
	s_delay_alu instid0(VALU_DEP_1) | instskip(NEXT) | instid1(VALU_DEP_1)
	v_mul_i32_i24_e32 v24, v24, v111
	v_add3_u32 v23, v23, v27, v24
	v_add_nc_u32_e32 v24, s22, v88
	v_add_nc_u32_e32 v27, s26, v65
	ds_load_u16 v24, v24 offset:17906
	ds_load_b32 v27, v27
	ds_load_2addr_b32 v[133:134], v11 offset0:4 offset1:5
	ds_load_2addr_b32 v[135:136], v11 offset0:6 offset1:7
	s_waitcnt lgkmcnt(1)
	v_ashrrev_i32_e32 v11, s24, v133
	v_ashrrev_i32_e32 v28, s24, v134
	s_waitcnt lgkmcnt(0)
	v_ashrrev_i32_e32 v32, s24, v135
	s_delay_alu instid0(VALU_DEP_3) | instskip(NEXT) | instid1(VALU_DEP_3)
	v_and_b32_e32 v29, 3, v11
	v_and_b32_e32 v31, 3, v28
	s_delay_alu instid0(VALU_DEP_3) | instskip(NEXT) | instid1(VALU_DEP_3)
	v_and_b32_e32 v33, 3, v32
	v_mul_i32_i24_e32 v29, v29, v121
	s_delay_alu instid0(VALU_DEP_2) | instskip(NEXT) | instid1(VALU_DEP_2)
	v_mul_i32_i24_e32 v33, v33, v123
	v_mad_i32_i24 v29, v31, v122, v29
	v_bfe_u32 v31, v11, 8, 2
	s_delay_alu instid0(VALU_DEP_1) | instskip(NEXT) | instid1(VALU_DEP_1)
	v_mul_i32_i24_e32 v31, v31, v106
	v_add3_u32 v29, v29, v33, v31
	v_add_nc_u32_e32 v31, s25, v66
	ds_load_2addr_b32 v[133:134], v31 offset1:1
	ds_load_2addr_b32 v[137:138], v31 offset0:2 offset1:3
	ds_load_2addr_b32 v[139:140], v31 offset0:4 offset1:5
	;; [unrolled: 1-line block ×3, first 2 shown]
	s_waitcnt lgkmcnt(3)
	v_ashrrev_i32_e32 v31, s24, v133
	v_ashrrev_i32_e32 v33, s24, v134
	s_waitcnt lgkmcnt(2)
	v_ashrrev_i32_e32 v37, s24, v137
	s_waitcnt lgkmcnt(0)
	v_ashrrev_i32_e32 v67, s24, v141
	v_and_b32_e32 v34, 3, v31
	v_and_b32_e32 v36, 3, v33
	;; [unrolled: 1-line block ×3, first 2 shown]
	s_delay_alu instid0(VALU_DEP_4) | instskip(NEXT) | instid1(VALU_DEP_4)
	v_and_b32_e32 v71, 3, v67
	v_mul_i32_i24_e32 v34, v34, v118
	s_delay_alu instid0(VALU_DEP_3) | instskip(NEXT) | instid1(VALU_DEP_3)
	v_mul_i32_i24_e32 v39, v39, v120
	v_mul_i32_i24_e32 v71, v71, v123
	s_delay_alu instid0(VALU_DEP_3) | instskip(SKIP_1) | instid1(VALU_DEP_1)
	v_mad_i32_i24 v34, v36, v119, v34
	v_bfe_u32 v36, v31, 8, 2
	v_mul_i32_i24_e32 v36, v36, v111
	s_delay_alu instid0(VALU_DEP_1) | instskip(SKIP_2) | instid1(VALU_DEP_2)
	v_add3_u32 v34, v34, v39, v36
	v_ashrrev_i32_e32 v36, s24, v139
	v_ashrrev_i32_e32 v39, s24, v140
	v_and_b32_e32 v59, 3, v36
	s_delay_alu instid0(VALU_DEP_2) | instskip(NEXT) | instid1(VALU_DEP_2)
	v_and_b32_e32 v60, 3, v39
	v_mul_i32_i24_e32 v59, v59, v121
	s_delay_alu instid0(VALU_DEP_1) | instskip(SKIP_1) | instid1(VALU_DEP_1)
	v_mad_i32_i24 v59, v60, v122, v59
	v_bfe_u32 v60, v36, 8, 2
	v_mul_i32_i24_e32 v60, v60, v106
	s_delay_alu instid0(VALU_DEP_1)
	v_add3_u32 v59, v59, v71, v60
	v_add_nc_u32_e32 v60, s25, v69
	v_add_nc_u32_e32 v71, s26, v68
	ds_load_2addr_b32 v[133:134], v60 offset0:2 offset1:3
	ds_load_b32 v71, v71
	ds_load_2addr_b32 v[139:140], v60 offset1:1
	s_waitcnt lgkmcnt(2)
	v_ashrrev_i32_e32 v81, s24, v133
	s_waitcnt lgkmcnt(0)
	v_ashrrev_i32_e32 v72, s24, v139
	v_ashrrev_i32_e32 v73, s24, v140
	s_delay_alu instid0(VALU_DEP_3) | instskip(NEXT) | instid1(VALU_DEP_3)
	v_and_b32_e32 v131, 3, v81
	v_and_b32_e32 v74, 3, v72
	s_delay_alu instid0(VALU_DEP_3) | instskip(NEXT) | instid1(VALU_DEP_3)
	v_and_b32_e32 v80, 3, v73
	v_mul_i32_i24_e32 v131, v131, v120
	s_delay_alu instid0(VALU_DEP_3) | instskip(SKIP_1) | instid1(VALU_DEP_2)
	v_mul_i32_i24_e32 v74, v74, v118
	v_add_nc_u32_e32 v118, v119, v118
	v_mad_i32_i24 v74, v80, v119, v74
	v_bfe_u32 v80, v72, 8, 2
	s_delay_alu instid0(VALU_DEP_3) | instskip(SKIP_1) | instid1(VALU_DEP_3)
	v_add3_u32 v118, v118, v120, v114
	v_add_nc_u32_e32 v120, s22, v89
	v_mul_i32_i24_e32 v80, v80, v111
	v_add_nc_u32_e32 v111, v112, v111
	s_delay_alu instid0(VALU_DEP_2) | instskip(SKIP_2) | instid1(VALU_DEP_4)
	v_add3_u32 v74, v74, v131, v80
	v_add_nc_u32_e32 v80, s22, v86
	v_add_nc_u32_e32 v131, s26, v70
	v_add3_u32 v111, v111, v101, v97
	ds_load_u16 v80, v80 offset:19954
	ds_load_b32 v131, v131
	ds_load_2addr_b32 v[139:140], v60 offset0:4 offset1:5
	ds_load_2addr_b32 v[143:144], v60 offset0:6 offset1:7
	ds_load_u16 v120, v120 offset:16882
	s_waitcnt lgkmcnt(2)
	v_ashrrev_i32_e32 v60, s24, v139
	v_ashrrev_i32_e32 v133, s24, v140
	s_waitcnt lgkmcnt(1)
	v_ashrrev_i32_e32 v139, s24, v143
	s_delay_alu instid0(VALU_DEP_3) | instskip(NEXT) | instid1(VALU_DEP_3)
	v_and_b32_e32 v135, 3, v60
	v_and_b32_e32 v137, 3, v133
	s_delay_alu instid0(VALU_DEP_3) | instskip(NEXT) | instid1(VALU_DEP_3)
	v_and_b32_e32 v140, 3, v139
	v_mul_i32_i24_e32 v135, v135, v121
	v_add_nc_u32_e32 v121, v122, v121
	s_delay_alu instid0(VALU_DEP_3) | instskip(NEXT) | instid1(VALU_DEP_3)
	v_mul_i32_i24_e32 v140, v140, v123
	v_mad_i32_i24 v135, v137, v122, v135
	v_bfe_u32 v137, v60, 8, 2
	s_delay_alu instid0(VALU_DEP_4)
	v_add3_u32 v119, v121, v123, v115
	s_waitcnt lgkmcnt(0)
	v_lshrrev_b16 v123, 8, v120
	v_add_nc_u32_e32 v121, v104, v116
	v_add_nc_u32_e32 v122, v105, v117
	v_mul_i32_i24_e32 v137, v137, v106
	s_delay_alu instid0(VALU_DEP_4) | instskip(NEXT) | instid1(VALU_DEP_4)
	v_and_b32_e32 v123, 0xffff, v123
	v_add3_u32 v121, v121, v96, v6
	s_delay_alu instid0(VALU_DEP_4) | instskip(NEXT) | instid1(VALU_DEP_4)
	v_add3_u32 v122, v122, v100, v7
	v_add3_u32 v135, v135, v140, v137
	v_bfe_u32 v137, v120, 4, 4
	v_lshrrev_b32_e32 v141, 4, v123
	s_delay_alu instid0(VALU_DEP_2) | instskip(SKIP_1) | instid1(VALU_DEP_1)
	v_mul_lo_u32 v140, 0x1010101, v137
	v_mul_i32_i24_e32 v137, v137, v118
	v_mad_i32_i24 v137, v141, v119, v137
	s_delay_alu instid0(VALU_DEP_3) | instskip(SKIP_1) | instid1(VALU_DEP_2)
	v_lshrrev_b32_e32 v143, 24, v140
	v_bfe_i32 v145, v140, 16, 8
	v_mul_i32_i24_e32 v143, v121, v143
	s_delay_alu instid0(VALU_DEP_2) | instskip(NEXT) | instid1(VALU_DEP_1)
	v_mul_i32_i24_e32 v145, v122, v145
	v_add3_u32 v137, v137, v143, v145
	v_add_nc_u32_e32 v143, s22, v87
	s_mov_b32 s22, s23
	ds_load_u16 v143, v143 offset:18930
	s_waitcnt lgkmcnt(0)
	v_bfe_u32 v146, v143, 4, 4
	v_lshrrev_b16 v145, 8, v143
	s_delay_alu instid0(VALU_DEP_2) | instskip(NEXT) | instid1(VALU_DEP_2)
	v_mul_lo_u32 v147, 0x1010101, v146
	v_and_b32_e32 v145, 0xffff, v145
	v_mul_i32_i24_e32 v146, v146, v118
	s_delay_alu instid0(VALU_DEP_2) | instskip(NEXT) | instid1(VALU_DEP_4)
	v_lshrrev_b32_e32 v148, 4, v145
	v_lshrrev_b32_e32 v149, 24, v147
	v_bfe_i32 v150, v147, 16, 8
	s_delay_alu instid0(VALU_DEP_3) | instskip(NEXT) | instid1(VALU_DEP_3)
	v_mad_i32_i24 v146, v148, v119, v146
	v_mul_i32_i24_e32 v149, v121, v149
	s_delay_alu instid0(VALU_DEP_3) | instskip(NEXT) | instid1(VALU_DEP_1)
	v_mul_i32_i24_e32 v150, v122, v150
	v_add3_u32 v146, v146, v149, v150
	v_bfe_u32 v150, v24, 4, 4
	v_lshrrev_b16 v149, 8, v24
	v_and_b32_e32 v24, 15, v24
	s_delay_alu instid0(VALU_DEP_3) | instskip(NEXT) | instid1(VALU_DEP_3)
	v_mul_lo_u32 v151, 0x1010101, v150
	v_and_b32_e32 v149, 0xffff, v149
	v_mul_i32_i24_e32 v150, v150, v118
	s_delay_alu instid0(VALU_DEP_2) | instskip(NEXT) | instid1(VALU_DEP_4)
	v_lshrrev_b32_e32 v152, 4, v149
	v_lshrrev_b32_e32 v153, 24, v151
	v_bfe_i32 v154, v151, 16, 8
	s_delay_alu instid0(VALU_DEP_3) | instskip(NEXT) | instid1(VALU_DEP_3)
	v_mad_i32_i24 v150, v152, v119, v150
	v_mul_i32_i24_e32 v153, v121, v153
	s_delay_alu instid0(VALU_DEP_3) | instskip(NEXT) | instid1(VALU_DEP_1)
	v_mul_i32_i24_e32 v154, v122, v154
	v_add3_u32 v150, v150, v153, v154
	v_lshrrev_b16 v153, 8, v80
	v_bfe_u32 v154, v80, 4, 4
	s_delay_alu instid0(VALU_DEP_2) | instskip(NEXT) | instid1(VALU_DEP_2)
	v_and_b32_e32 v153, 0xffff, v153
	v_mul_i32_i24_e32 v118, v154, v118
	s_delay_alu instid0(VALU_DEP_2) | instskip(NEXT) | instid1(VALU_DEP_1)
	v_lshrrev_b32_e32 v155, 4, v153
	v_mad_i32_i24 v118, v155, v119, v118
	v_mul_lo_u32 v119, 0x1010101, v154
	s_delay_alu instid0(VALU_DEP_1) | instskip(NEXT) | instid1(VALU_DEP_1)
	v_lshrrev_b32_e32 v154, 24, v119
	v_mul_i32_i24_e32 v121, v121, v154
	v_bfe_i32 v154, v119, 16, 8
	v_bfe_i32 v119, v119, 8, 8
	s_delay_alu instid0(VALU_DEP_2) | instskip(NEXT) | instid1(VALU_DEP_1)
	v_mul_i32_i24_e32 v122, v122, v154
	v_add3_u32 v118, v118, v121, v122
	v_bfe_u32 v121, v126, 16, 2
	v_bfe_u32 v122, v126, 24, 2
	v_bfe_u32 v126, v127, 24, 2
	s_delay_alu instid0(VALU_DEP_3) | instskip(NEXT) | instid1(VALU_DEP_3)
	v_mul_i32_i24_e32 v121, v121, v117
	v_mul_i32_i24_e32 v122, v122, v116
	s_delay_alu instid0(VALU_DEP_3) | instskip(NEXT) | instid1(VALU_DEP_2)
	v_mul_i32_i24_e32 v126, v126, v113
	v_add3_u32 v121, v128, v121, v122
	v_bfe_u32 v122, v127, 16, 2
	v_mul_lo_u32 v127, 0x1010101, v152
	s_delay_alu instid0(VALU_DEP_2) | instskip(NEXT) | instid1(VALU_DEP_2)
	v_mul_i32_i24_e32 v122, v122, v107
	v_lshrrev_b32_e32 v128, 24, v127
	s_delay_alu instid0(VALU_DEP_2) | instskip(SKIP_2) | instid1(VALU_DEP_2)
	v_add3_u32 v122, v129, v122, v126
	v_bfe_u32 v126, v18, 16, 2
	v_bfe_u32 v18, v18, 24, 2
	v_mul_i32_i24_e32 v126, v126, v117
	s_delay_alu instid0(VALU_DEP_2) | instskip(NEXT) | instid1(VALU_DEP_1)
	v_mul_i32_i24_e32 v18, v18, v116
	v_add3_u32 v18, v23, v126, v18
	v_bfe_u32 v23, v11, 16, 2
	v_bfe_u32 v11, v11, 24, 2
	s_delay_alu instid0(VALU_DEP_2) | instskip(NEXT) | instid1(VALU_DEP_2)
	v_mul_i32_i24_e32 v23, v23, v107
	v_mul_i32_i24_e32 v11, v11, v113
	s_delay_alu instid0(VALU_DEP_1) | instskip(SKIP_3) | instid1(VALU_DEP_3)
	v_add3_u32 v11, v29, v23, v11
	v_bfe_u32 v23, v31, 16, 2
	v_bfe_u32 v29, v31, 24, 2
	;; [unrolled: 1-line block ×3, first 2 shown]
	v_mul_i32_i24_e32 v23, v23, v117
	s_delay_alu instid0(VALU_DEP_3) | instskip(NEXT) | instid1(VALU_DEP_3)
	v_mul_i32_i24_e32 v29, v29, v116
	v_mul_i32_i24_e32 v31, v31, v113
	s_delay_alu instid0(VALU_DEP_2) | instskip(SKIP_3) | instid1(VALU_DEP_3)
	v_add3_u32 v23, v34, v23, v29
	v_bfe_u32 v29, v36, 16, 2
	v_bfe_u32 v34, v72, 24, 2
	;; [unrolled: 1-line block ×3, first 2 shown]
	v_mul_i32_i24_e32 v29, v29, v107
	s_delay_alu instid0(VALU_DEP_3) | instskip(NEXT) | instid1(VALU_DEP_3)
	v_mul_i32_i24_e32 v34, v34, v116
	v_mul_i32_i24_e32 v36, v36, v113
	s_delay_alu instid0(VALU_DEP_3) | instskip(SKIP_3) | instid1(VALU_DEP_3)
	v_add3_u32 v29, v59, v29, v31
	v_bfe_u32 v31, v72, 16, 2
	v_and_b32_e32 v59, 3, v1
	v_bfe_u32 v72, v19, 8, 2
	v_mul_i32_i24_e32 v31, v31, v117
	s_delay_alu instid0(VALU_DEP_3) | instskip(NEXT) | instid1(VALU_DEP_3)
	v_mul_i32_i24_e32 v59, v59, v114
	v_mul_i32_i24_e32 v72, v72, v112
	s_delay_alu instid0(VALU_DEP_3) | instskip(SKIP_2) | instid1(VALU_DEP_2)
	v_add3_u32 v31, v74, v31, v34
	v_bfe_u32 v34, v60, 16, 2
	v_and_b32_e32 v60, 3, v3
	v_mul_i32_i24_e32 v34, v34, v107
	s_delay_alu instid0(VALU_DEP_2) | instskip(NEXT) | instid1(VALU_DEP_2)
	v_mul_i32_i24_e32 v60, v60, v115
	v_add3_u32 v34, v135, v34, v36
	v_bfe_u32 v36, v124, 8, 2
	s_delay_alu instid0(VALU_DEP_1) | instskip(NEXT) | instid1(VALU_DEP_1)
	v_mul_i32_i24_e32 v36, v36, v112
	v_add3_u32 v36, v121, v59, v36
	v_bfe_u32 v59, v125, 8, 2
	s_delay_alu instid0(VALU_DEP_1) | instskip(NEXT) | instid1(VALU_DEP_1)
	v_mul_i32_i24_e32 v59, v59, v108
	v_add3_u32 v59, v122, v60, v59
	v_ashrrev_i32_e32 v60, s24, v132
	v_mul_lo_u32 v122, 0x1010101, v148
	s_delay_alu instid0(VALU_DEP_2) | instskip(NEXT) | instid1(VALU_DEP_2)
	v_and_b32_e32 v74, 3, v60
	v_lshrrev_b32_e32 v126, 24, v122
	s_delay_alu instid0(VALU_DEP_2) | instskip(NEXT) | instid1(VALU_DEP_1)
	v_mul_i32_i24_e32 v74, v74, v114
	v_add3_u32 v18, v18, v74, v72
	v_ashrrev_i32_e32 v72, s24, v136
	v_bfe_u32 v74, v28, 8, 2
	s_delay_alu instid0(VALU_DEP_2) | instskip(NEXT) | instid1(VALU_DEP_2)
	v_and_b32_e32 v116, 3, v72
	v_mul_i32_i24_e32 v74, v74, v108
	s_delay_alu instid0(VALU_DEP_2) | instskip(NEXT) | instid1(VALU_DEP_1)
	v_mul_i32_i24_e32 v116, v116, v115
	v_add3_u32 v11, v11, v116, v74
	v_ashrrev_i32_e32 v74, s24, v138
	v_bfe_u32 v116, v33, 8, 2
	s_delay_alu instid0(VALU_DEP_2) | instskip(NEXT) | instid1(VALU_DEP_2)
	v_and_b32_e32 v117, 3, v74
	v_mul_i32_i24_e32 v116, v116, v112
	s_delay_alu instid0(VALU_DEP_2) | instskip(NEXT) | instid1(VALU_DEP_1)
	v_mul_i32_i24_e32 v117, v117, v114
	v_add3_u32 v23, v23, v117, v116
	v_ashrrev_i32_e32 v116, s24, v142
	v_bfe_u32 v117, v39, 8, 2
	s_delay_alu instid0(VALU_DEP_2) | instskip(NEXT) | instid1(VALU_DEP_2)
	v_and_b32_e32 v121, 3, v116
	v_mul_i32_i24_e32 v117, v117, v108
	s_delay_alu instid0(VALU_DEP_2) | instskip(NEXT) | instid1(VALU_DEP_1)
	v_mul_i32_i24_e32 v121, v121, v115
	v_add3_u32 v29, v29, v121, v117
	v_ashrrev_i32_e32 v117, s24, v134
	s_delay_alu instid0(VALU_DEP_1) | instskip(NEXT) | instid1(VALU_DEP_1)
	v_and_b32_e32 v121, 3, v117
	v_mul_i32_i24_e32 v114, v121, v114
	v_bfe_u32 v121, v73, 8, 2
	s_delay_alu instid0(VALU_DEP_1) | instskip(SKIP_2) | instid1(VALU_DEP_3)
	v_mul_i32_i24_e32 v121, v121, v112
	v_add_nc_u32_e32 v112, v110, v113
	v_bfe_i32 v113, v140, 8, 8
	v_add3_u32 v31, v31, v114, v121
	v_ashrrev_i32_e32 v114, s24, v144
	s_delay_alu instid0(VALU_DEP_4) | instskip(NEXT) | instid1(VALU_DEP_4)
	v_add3_u32 v112, v112, v98, v94
	v_mul_i32_i24_e32 v113, v111, v113
	s_delay_alu instid0(VALU_DEP_3) | instskip(NEXT) | instid1(VALU_DEP_3)
	v_and_b32_e32 v121, 3, v114
	v_mul_i32_i24_e32 v126, v112, v126
	v_mul_i32_i24_e32 v128, v112, v128
	s_delay_alu instid0(VALU_DEP_3) | instskip(SKIP_1) | instid1(VALU_DEP_1)
	v_mul_i32_i24_e32 v115, v121, v115
	v_bfe_u32 v121, v133, 8, 2
	v_mul_i32_i24_e32 v121, v121, v108
	s_delay_alu instid0(VALU_DEP_1) | instskip(SKIP_1) | instid1(VALU_DEP_1)
	v_add3_u32 v34, v34, v115, v121
	v_mul_lo_u32 v115, 0x1010101, v141
	v_lshrrev_b32_e32 v121, 24, v115
	s_delay_alu instid0(VALU_DEP_1) | instskip(NEXT) | instid1(VALU_DEP_1)
	v_mul_i32_i24_e32 v121, v112, v121
	v_add3_u32 v113, v137, v113, v121
	v_bfe_i32 v121, v147, 8, 8
	s_delay_alu instid0(VALU_DEP_1) | instskip(NEXT) | instid1(VALU_DEP_1)
	v_mul_i32_i24_e32 v121, v111, v121
	v_add3_u32 v121, v146, v121, v126
	v_bfe_i32 v126, v151, 8, 8
	s_delay_alu instid0(VALU_DEP_1) | instskip(SKIP_2) | instid1(VALU_DEP_3)
	v_mul_i32_i24_e32 v126, v111, v126
	v_mul_i32_i24_e32 v111, v111, v119
	v_mul_lo_u32 v119, 0x1010101, v155
	v_add3_u32 v126, v150, v126, v128
	s_delay_alu instid0(VALU_DEP_2) | instskip(NEXT) | instid1(VALU_DEP_1)
	v_lshrrev_b32_e32 v128, 24, v119
	v_mul_i32_i24_e32 v112, v112, v128
	s_delay_alu instid0(VALU_DEP_1) | instskip(SKIP_2) | instid1(VALU_DEP_2)
	v_add3_u32 v111, v118, v111, v112
	v_bfe_u32 v112, v124, 16, 2
	v_bfe_u32 v118, v124, 24, 2
	v_mul_i32_i24_e32 v112, v112, v105
	s_delay_alu instid0(VALU_DEP_2) | instskip(NEXT) | instid1(VALU_DEP_1)
	v_mul_i32_i24_e32 v118, v118, v104
	v_add3_u32 v36, v36, v112, v118
	v_bfe_u32 v112, v125, 16, 2
	v_bfe_u32 v118, v125, 24, 2
	s_delay_alu instid0(VALU_DEP_2) | instskip(NEXT) | instid1(VALU_DEP_2)
	v_mul_i32_i24_e32 v112, v112, v109
	v_mul_i32_i24_e32 v118, v118, v110
	s_delay_alu instid0(VALU_DEP_1) | instskip(SKIP_2) | instid1(VALU_DEP_2)
	v_add3_u32 v59, v59, v112, v118
	v_bfe_u32 v112, v19, 16, 2
	v_bfe_u32 v19, v19, 24, 2
	v_mul_i32_i24_e32 v112, v112, v105
	s_delay_alu instid0(VALU_DEP_2) | instskip(NEXT) | instid1(VALU_DEP_1)
	v_mul_i32_i24_e32 v19, v19, v104
	v_add3_u32 v18, v18, v112, v19
	v_bfe_u32 v19, v28, 16, 2
	v_bfe_u32 v28, v28, 24, 2
	s_delay_alu instid0(VALU_DEP_2) | instskip(NEXT) | instid1(VALU_DEP_2)
	v_mul_i32_i24_e32 v19, v19, v109
	v_mul_i32_i24_e32 v28, v28, v110
	s_delay_alu instid0(VALU_DEP_1) | instskip(SKIP_3) | instid1(VALU_DEP_3)
	v_add3_u32 v11, v11, v19, v28
	v_bfe_u32 v19, v33, 16, 2
	v_bfe_u32 v28, v33, 24, 2
	v_add_nc_u32_e32 v33, v108, v106
	v_mul_i32_i24_e32 v19, v19, v105
	s_delay_alu instid0(VALU_DEP_3) | instskip(NEXT) | instid1(VALU_DEP_3)
	v_mul_i32_i24_e32 v28, v28, v104
	v_add3_u32 v33, v33, v103, v99
	s_delay_alu instid0(VALU_DEP_2) | instskip(SKIP_3) | instid1(VALU_DEP_3)
	v_add3_u32 v19, v23, v19, v28
	v_bfe_u32 v23, v39, 16, 2
	v_bfe_u32 v28, v39, 24, 2
	v_bfe_i32 v39, v115, 8, 8
	v_mul_i32_i24_e32 v23, v23, v109
	s_delay_alu instid0(VALU_DEP_3) | instskip(NEXT) | instid1(VALU_DEP_3)
	v_mul_i32_i24_e32 v28, v28, v110
	v_mul_i32_i24_e32 v39, v33, v39
	s_delay_alu instid0(VALU_DEP_2) | instskip(SKIP_3) | instid1(VALU_DEP_3)
	v_add3_u32 v23, v29, v23, v28
	v_bfe_u32 v28, v73, 16, 2
	v_bfe_u32 v29, v73, 24, 2
	v_bfe_i32 v73, v122, 8, 8
	v_mul_i32_i24_e32 v28, v28, v105
	s_delay_alu instid0(VALU_DEP_3) | instskip(NEXT) | instid1(VALU_DEP_3)
	v_mul_i32_i24_e32 v29, v29, v104
	v_mul_i32_i24_e32 v73, v33, v73
	v_bfe_i32 v104, v127, 8, 8
	s_delay_alu instid0(VALU_DEP_3) | instskip(SKIP_2) | instid1(VALU_DEP_4)
	v_add3_u32 v28, v31, v28, v29
	v_bfe_u32 v29, v133, 24, 2
	v_bfe_u32 v31, v133, 16, 2
	v_mul_i32_i24_e32 v104, v33, v104
	s_delay_alu instid0(VALU_DEP_3) | instskip(NEXT) | instid1(VALU_DEP_3)
	v_mul_i32_i24_e32 v29, v29, v110
	v_mul_i32_i24_e32 v31, v31, v109
	s_delay_alu instid0(VALU_DEP_1) | instskip(SKIP_2) | instid1(VALU_DEP_2)
	v_add3_u32 v29, v34, v31, v29
	v_add_nc_u32_e32 v31, v109, v107
	v_bfe_i32 v34, v115, 16, 8
	v_add3_u32 v31, v31, v102, v95
	s_delay_alu instid0(VALU_DEP_1) | instskip(NEXT) | instid1(VALU_DEP_1)
	v_mul_i32_i24_e32 v34, v31, v34
	v_add3_u32 v34, v113, v34, v39
	v_bfe_i32 v39, v122, 16, 8
	s_delay_alu instid0(VALU_DEP_1) | instskip(NEXT) | instid1(VALU_DEP_1)
	v_mul_i32_i24_e32 v39, v31, v39
	v_add3_u32 v39, v121, v39, v73
	v_bfe_i32 v73, v127, 16, 8
	;; [unrolled: 4-line block ×3, first 2 shown]
	s_delay_alu instid0(VALU_DEP_1) | instskip(SKIP_1) | instid1(VALU_DEP_1)
	v_mul_i32_i24_e32 v31, v31, v104
	v_bfe_i32 v104, v119, 8, 8
	v_mul_i32_i24_e32 v33, v33, v104
	v_bfe_u32 v104, v0, 16, 2
	s_delay_alu instid0(VALU_DEP_2) | instskip(SKIP_1) | instid1(VALU_DEP_3)
	v_add3_u32 v31, v111, v31, v33
	v_bfe_u32 v33, v0, 8, 2
	v_mul_i32_i24_e32 v104, v104, v100
	v_bfe_u32 v0, v0, 24, 2
	s_delay_alu instid0(VALU_DEP_4) | instskip(NEXT) | instid1(VALU_DEP_4)
	v_cvt_f32_i32_e32 v31, v31
	v_mul_i32_i24_e32 v33, v33, v101
	s_delay_alu instid0(VALU_DEP_3) | instskip(NEXT) | instid1(VALU_DEP_2)
	v_mul_i32_i24_e32 v0, v0, v96
	v_add3_u32 v33, v36, v33, v104
	v_bfe_u32 v36, v2, 8, 2
	v_bfe_u32 v104, v2, 16, 2
	;; [unrolled: 1-line block ×3, first 2 shown]
	s_delay_alu instid0(VALU_DEP_3) | instskip(NEXT) | instid1(VALU_DEP_3)
	v_mul_i32_i24_e32 v36, v36, v103
	v_mul_i32_i24_e32 v104, v104, v102
	s_delay_alu instid0(VALU_DEP_3) | instskip(NEXT) | instid1(VALU_DEP_2)
	v_mul_i32_i24_e32 v2, v2, v98
	v_add3_u32 v36, v59, v36, v104
	v_bfe_u32 v59, v26, 8, 2
	v_bfe_u32 v104, v26, 16, 2
	;; [unrolled: 1-line block ×3, first 2 shown]
	s_delay_alu instid0(VALU_DEP_3) | instskip(NEXT) | instid1(VALU_DEP_3)
	v_mul_i32_i24_e32 v59, v59, v101
	v_mul_i32_i24_e32 v104, v104, v100
	s_delay_alu instid0(VALU_DEP_3) | instskip(NEXT) | instid1(VALU_DEP_2)
	v_mul_i32_i24_e32 v26, v26, v96
	v_add3_u32 v18, v18, v59, v104
	v_bfe_u32 v59, v32, 8, 2
	v_bfe_u32 v104, v32, 16, 2
	s_delay_alu instid0(VALU_DEP_2) | instskip(NEXT) | instid1(VALU_DEP_2)
	v_mul_i32_i24_e32 v59, v59, v103
	v_mul_i32_i24_e32 v104, v104, v102
	s_delay_alu instid0(VALU_DEP_1) | instskip(SKIP_2) | instid1(VALU_DEP_2)
	v_add3_u32 v11, v11, v59, v104
	v_bfe_u32 v59, v37, 8, 2
	v_bfe_u32 v104, v37, 16, 2
	v_mul_i32_i24_e32 v59, v59, v101
	s_delay_alu instid0(VALU_DEP_2) | instskip(NEXT) | instid1(VALU_DEP_1)
	v_mul_i32_i24_e32 v104, v104, v100
	v_add3_u32 v19, v19, v59, v104
	v_bfe_u32 v59, v67, 8, 2
	v_bfe_u32 v104, v67, 16, 2
	s_delay_alu instid0(VALU_DEP_2) | instskip(NEXT) | instid1(VALU_DEP_2)
	v_mul_i32_i24_e32 v59, v59, v103
	v_mul_i32_i24_e32 v104, v104, v102
	s_delay_alu instid0(VALU_DEP_1) | instskip(SKIP_1) | instid1(VALU_DEP_1)
	v_add3_u32 v23, v23, v59, v104
	v_bfe_u32 v59, v81, 8, 2
	v_mul_i32_i24_e32 v59, v59, v101
	v_bfe_u32 v101, v81, 16, 2
	s_delay_alu instid0(VALU_DEP_1) | instskip(NEXT) | instid1(VALU_DEP_1)
	v_mul_i32_i24_e32 v100, v101, v100
	v_add3_u32 v28, v28, v59, v100
	v_bfe_u32 v59, v139, 8, 2
	v_bfe_u32 v100, v139, 16, 2
	s_delay_alu instid0(VALU_DEP_2) | instskip(NEXT) | instid1(VALU_DEP_2)
	v_mul_i32_i24_e32 v59, v59, v103
	v_mul_i32_i24_e32 v100, v100, v102
	s_delay_alu instid0(VALU_DEP_1) | instskip(SKIP_1) | instid1(VALU_DEP_1)
	v_add3_u32 v29, v29, v59, v100
	v_bfe_u32 v59, v1, 8, 2
	v_mul_i32_i24_e32 v59, v59, v97
	s_delay_alu instid0(VALU_DEP_1) | instskip(SKIP_1) | instid1(VALU_DEP_1)
	v_add3_u32 v0, v33, v0, v59
	v_bfe_u32 v33, v3, 8, 2
	v_mul_i32_i24_e32 v33, v33, v99
	s_delay_alu instid0(VALU_DEP_1) | instskip(SKIP_2) | instid1(VALU_DEP_2)
	v_add3_u32 v2, v36, v2, v33
	v_bfe_u32 v33, v60, 8, 2
	v_and_b32_e32 v36, 15, v153
	v_mul_i32_i24_e32 v33, v33, v97
	s_delay_alu instid0(VALU_DEP_1) | instskip(SKIP_3) | instid1(VALU_DEP_3)
	v_add3_u32 v18, v18, v26, v33
	v_bfe_u32 v26, v32, 24, 2
	v_bfe_u32 v32, v72, 8, 2
	v_and_b32_e32 v33, 15, v149
	v_mul_i32_i24_e32 v26, v26, v98
	s_delay_alu instid0(VALU_DEP_3) | instskip(NEXT) | instid1(VALU_DEP_1)
	v_mul_i32_i24_e32 v32, v32, v99
	v_add3_u32 v11, v11, v26, v32
	v_bfe_u32 v26, v37, 24, 2
	v_bfe_u32 v32, v74, 8, 2
	s_delay_alu instid0(VALU_DEP_2) | instskip(NEXT) | instid1(VALU_DEP_2)
	v_mul_i32_i24_e32 v26, v26, v96
	v_mul_i32_i24_e32 v32, v32, v97
	s_delay_alu instid0(VALU_DEP_1) | instskip(SKIP_2) | instid1(VALU_DEP_2)
	v_add3_u32 v19, v19, v26, v32
	v_bfe_u32 v26, v67, 24, 2
	v_bfe_u32 v32, v116, 8, 2
	v_mul_i32_i24_e32 v26, v26, v98
	s_delay_alu instid0(VALU_DEP_2) | instskip(NEXT) | instid1(VALU_DEP_1)
	v_mul_i32_i24_e32 v32, v32, v99
	v_add3_u32 v23, v23, v26, v32
	v_bfe_u32 v26, v81, 24, 2
	v_bfe_u32 v32, v117, 8, 2
	s_delay_alu instid0(VALU_DEP_2) | instskip(NEXT) | instid1(VALU_DEP_2)
	v_mul_i32_i24_e32 v26, v26, v96
	v_mul_i32_i24_e32 v32, v32, v97
	s_delay_alu instid0(VALU_DEP_1) | instskip(SKIP_2) | instid1(VALU_DEP_2)
	v_add3_u32 v26, v28, v26, v32
	v_bfe_u32 v28, v139, 24, 2
	v_bfe_u32 v32, v114, 8, 2
	v_mul_i32_i24_e32 v28, v28, v98
	s_delay_alu instid0(VALU_DEP_2) | instskip(NEXT) | instid1(VALU_DEP_1)
	v_mul_i32_i24_e32 v32, v32, v99
	v_add3_u32 v28, v29, v28, v32
	v_bfe_u32 v29, v1, 16, 2
	v_bfe_u32 v1, v1, 24, 2
	v_lshrrev_b32_e32 v32, 16, v27
	s_delay_alu instid0(VALU_DEP_3) | instskip(NEXT) | instid1(VALU_DEP_3)
	v_mul_i32_i24_e32 v29, v29, v7
	v_mul_i32_i24_e32 v1, v1, v6
	s_delay_alu instid0(VALU_DEP_1) | instskip(SKIP_3) | instid1(VALU_DEP_3)
	v_add3_u32 v0, v0, v29, v1
	v_bfe_u32 v1, v3, 16, 2
	v_bfe_u32 v3, v3, 24, 2
	v_and_b32_e32 v29, 15, v123
	v_mul_i32_i24_e32 v1, v1, v95
	s_delay_alu instid0(VALU_DEP_3) | instskip(NEXT) | instid1(VALU_DEP_1)
	v_mul_i32_i24_e32 v3, v3, v94
	v_add3_u32 v3, v2, v1, v3
	v_bfe_u32 v1, v60, 16, 2
	v_bfe_u32 v2, v60, 24, 2
	s_delay_alu instid0(VALU_DEP_2) | instskip(NEXT) | instid1(VALU_DEP_2)
	v_mul_i32_i24_e32 v1, v1, v7
	v_mul_i32_i24_e32 v2, v2, v6
	s_delay_alu instid0(VALU_DEP_1) | instskip(SKIP_2) | instid1(VALU_DEP_2)
	v_add3_u32 v18, v18, v1, v2
	v_bfe_u32 v1, v72, 16, 2
	v_bfe_u32 v2, v72, 24, 2
	v_mul_i32_i24_e32 v1, v1, v95
	s_delay_alu instid0(VALU_DEP_2) | instskip(NEXT) | instid1(VALU_DEP_1)
	v_mul_i32_i24_e32 v2, v2, v94
	v_add3_u32 v11, v11, v1, v2
	v_bfe_u32 v1, v74, 16, 2
	v_bfe_u32 v2, v74, 24, 2
	s_delay_alu instid0(VALU_DEP_2) | instskip(NEXT) | instid1(VALU_DEP_2)
	v_mul_i32_i24_e32 v1, v1, v7
	v_mul_i32_i24_e32 v2, v2, v6
	s_delay_alu instid0(VALU_DEP_1) | instskip(SKIP_2) | instid1(VALU_DEP_2)
	v_add3_u32 v19, v19, v1, v2
	v_bfe_u32 v1, v116, 16, 2
	v_bfe_u32 v2, v116, 24, 2
	v_mul_i32_i24_e32 v1, v1, v95
	s_delay_alu instid0(VALU_DEP_2) | instskip(NEXT) | instid1(VALU_DEP_1)
	v_mul_i32_i24_e32 v2, v2, v94
	v_add3_u32 v23, v23, v1, v2
	v_bfe_u32 v1, v117, 16, 2
	v_bfe_u32 v2, v117, 24, 2
	s_delay_alu instid0(VALU_DEP_2) | instskip(NEXT) | instid1(VALU_DEP_2)
	v_mul_i32_i24_e32 v1, v1, v7
	v_mul_i32_i24_e32 v2, v2, v6
	v_and_b32_e32 v7, 15, v143
	s_delay_alu instid0(VALU_DEP_2) | instskip(SKIP_2) | instid1(VALU_DEP_2)
	v_add3_u32 v6, v26, v1, v2
	v_bfe_u32 v1, v114, 16, 2
	v_bfe_u32 v2, v114, 24, 2
	v_mul_i32_i24_e32 v1, v1, v95
	s_delay_alu instid0(VALU_DEP_2) | instskip(NEXT) | instid1(VALU_DEP_1)
	v_mul_i32_i24_e32 v2, v2, v94
	v_add3_u32 v26, v28, v1, v2
	v_and_b32_e32 v1, 15, v120
	ds_load_b32 v28, v5
	v_add_nc_u32_e32 v5, 4, v5
	v_mul_lo_u32 v0, v0, v1
	s_delay_alu instid0(VALU_DEP_1) | instskip(SKIP_3) | instid1(VALU_DEP_2)
	v_mad_u64_u32 v[1:2], null, v3, v29, v[0:1]
	v_mul_lo_u32 v0, v18, v24
	v_lshrrev_b32_e32 v29, 16, v130
	v_cvt_f32_f16_e32 v24, v32
	v_cvt_f32_f16_e32 v18, v29
	s_delay_alu instid0(VALU_DEP_4) | instskip(SKIP_4) | instid1(VALU_DEP_4)
	v_mad_u64_u32 v[2:3], null, v11, v33, v[0:1]
	v_lshrrev_b32_e32 v0, 16, v71
	v_lshrrev_b32_e32 v3, 16, v131
	v_and_b32_e32 v11, 15, v80
	v_and_b32_e32 v33, 15, v145
	v_cvt_f32_f16_e32 v29, v0
	s_delay_alu instid0(VALU_DEP_4)
	v_cvt_f32_f16_e32 v32, v3
	v_mul_lo_u32 v0, v19, v7
	v_mul_lo_u32 v3, v6, v11
	v_cvt_f32_i32_e32 v11, v34
	v_cvt_f32_i32_e32 v19, v39
	;; [unrolled: 1-line block ×4, first 2 shown]
	v_mad_u64_u32 v[6:7], null, v23, v33, v[0:1]
	v_mad_u64_u32 v[94:95], null, v26, v36, v[3:4]
	v_mul_f32_e32 v0, v18, v11
	v_mul_f32_e32 v3, v29, v19
	v_mul_f32_e32 v7, v24, v34
	v_mul_f32_e32 v11, v32, v31
	v_cvt_f32_i32_e32 v1, v1
	v_cvt_f32_i32_e32 v6, v6
	;; [unrolled: 1-line block ×3, first 2 shown]
	v_add_nc_u32_e32 v4, 32, v4
	s_delay_alu instid0(VALU_DEP_4)
	v_fma_mix_f32 v0, v130, v1, -v0 op_sel_hi:[1,0,0]
	v_fma_mix_f32 v1, v27, v2, -v7 op_sel_hi:[1,0,0]
	v_fma_mix_f32 v2, v71, v6, -v3 op_sel_hi:[1,0,0]
	v_fma_mix_f32 v3, v131, v18, -v11 op_sel_hi:[1,0,0]
	s_waitcnt lgkmcnt(0)
	v_fmac_f32_e32 v13, v28, v0
	v_fmac_f32_e32 v61, v28, v1
	;; [unrolled: 1-line block ×4, first 2 shown]
	s_cbranch_scc1 .LBB227_38
; %bb.39:                               ;   in Loop: Header=BB227_7 Depth=1
	s_barrier
	buffer_gl0_inv
	s_branch .LBB227_4
.LBB227_40:                             ;   in Loop: Header=BB227_7 Depth=1
	v_dual_mov_b32 v18, v56 :: v_dual_mov_b32 v19, v58
	v_dual_mov_b32 v23, v91 :: v_dual_mov_b32 v24, v92
	;; [unrolled: 1-line block ×3, first 2 shown]
	v_mov_b32_e32 v28, v57
	v_mov_b32_e32 v156, v9
	s_branch .LBB227_5
.LBB227_41:
	scratch_load_b32 v11, off, off offset:92 ; 4-byte Folded Reload
.LBB227_42:
	s_mul_i32 s0, s7, s4
	s_waitcnt vmcnt(0)
	v_cmp_gt_i32_e32 vcc_lo, s0, v11
	s_and_saveexec_b32 s0, vcc_lo
	s_cbranch_execz .LBB227_51
; %bb.43:
	v_mul_lo_u32 v0, v11, s6
	v_add_nc_u32_e32 v1, s18, v156
	s_mov_b32 s0, exec_lo
	s_delay_alu instid0(VALU_DEP_1)
	v_cmpx_gt_u32_e64 s6, v1
	s_cbranch_execz .LBB227_45
; %bb.44:
	v_bfe_u32 v3, v13, 16, 1
	s_delay_alu instid0(VALU_DEP_4) | instskip(SKIP_1) | instid1(VALU_DEP_3)
	v_add_nc_u32_e32 v2, v0, v1
	v_cmp_o_f32_e32 vcc_lo, v13, v13
	v_add3_u32 v4, v13, v3, 0x7fff
	v_mov_b32_e32 v3, 0
	s_delay_alu instid0(VALU_DEP_2) | instskip(NEXT) | instid1(VALU_DEP_2)
	v_lshrrev_b32_e32 v4, 16, v4
	v_lshlrev_b64 v[2:3], 1, v[2:3]
	s_delay_alu instid0(VALU_DEP_2) | instskip(NEXT) | instid1(VALU_DEP_2)
	v_cndmask_b32_e32 v4, 0x7fc0, v4, vcc_lo
	v_add_co_u32 v2, vcc_lo, s8, v2
	s_delay_alu instid0(VALU_DEP_3)
	v_add_co_ci_u32_e32 v3, vcc_lo, s9, v3, vcc_lo
	global_store_b16 v[2:3], v4, off
.LBB227_45:
	s_or_b32 exec_lo, exec_lo, s0
	v_add_nc_u32_e32 v2, 32, v1
	s_mov_b32 s0, exec_lo
	s_delay_alu instid0(VALU_DEP_1)
	v_cmpx_gt_u32_e64 s6, v2
	s_cbranch_execz .LBB227_47
; %bb.46:
	v_bfe_u32 v3, v61, 16, 1
	v_add_nc_u32_e32 v2, v0, v2
	v_cmp_o_f32_e32 vcc_lo, v61, v61
	s_delay_alu instid0(VALU_DEP_3) | instskip(SKIP_1) | instid1(VALU_DEP_2)
	v_add3_u32 v4, v61, v3, 0x7fff
	v_mov_b32_e32 v3, 0
	v_lshrrev_b32_e32 v4, 16, v4
	s_delay_alu instid0(VALU_DEP_2) | instskip(NEXT) | instid1(VALU_DEP_2)
	v_lshlrev_b64 v[2:3], 1, v[2:3]
	v_cndmask_b32_e32 v4, 0x7fc0, v4, vcc_lo
	s_delay_alu instid0(VALU_DEP_2) | instskip(NEXT) | instid1(VALU_DEP_3)
	v_add_co_u32 v2, vcc_lo, s8, v2
	v_add_co_ci_u32_e32 v3, vcc_lo, s9, v3, vcc_lo
	global_store_b16 v[2:3], v4, off
.LBB227_47:
	s_or_b32 exec_lo, exec_lo, s0
	v_add_nc_u32_e32 v2, 64, v1
	s_mov_b32 s0, exec_lo
	s_delay_alu instid0(VALU_DEP_1)
	v_cmpx_gt_u32_e64 s6, v2
	s_cbranch_execz .LBB227_49
; %bb.48:
	v_bfe_u32 v3, v55, 16, 1
	v_add_nc_u32_e32 v2, v0, v2
	v_cmp_o_f32_e32 vcc_lo, v55, v55
	s_delay_alu instid0(VALU_DEP_3) | instskip(SKIP_1) | instid1(VALU_DEP_2)
	v_add3_u32 v4, v55, v3, 0x7fff
	v_mov_b32_e32 v3, 0
	v_lshrrev_b32_e32 v4, 16, v4
	s_delay_alu instid0(VALU_DEP_2) | instskip(NEXT) | instid1(VALU_DEP_2)
	v_lshlrev_b64 v[2:3], 1, v[2:3]
	v_cndmask_b32_e32 v4, 0x7fc0, v4, vcc_lo
	s_delay_alu instid0(VALU_DEP_2) | instskip(NEXT) | instid1(VALU_DEP_3)
	v_add_co_u32 v2, vcc_lo, s8, v2
	v_add_co_ci_u32_e32 v3, vcc_lo, s9, v3, vcc_lo
	global_store_b16 v[2:3], v4, off
.LBB227_49:
	s_or_b32 exec_lo, exec_lo, s0
	v_add_nc_u32_e32 v1, 0x60, v1
	s_delay_alu instid0(VALU_DEP_1)
	v_cmp_gt_u32_e32 vcc_lo, s6, v1
	s_and_b32 exec_lo, exec_lo, vcc_lo
	s_cbranch_execz .LBB227_51
; %bb.50:
	v_bfe_u32 v2, v8, 16, 1
	v_dual_mov_b32 v1, 0 :: v_dual_add_nc_u32 v0, v0, v1
	v_cmp_o_f32_e32 vcc_lo, v8, v8
	s_delay_alu instid0(VALU_DEP_3) | instskip(NEXT) | instid1(VALU_DEP_3)
	v_add3_u32 v2, v8, v2, 0x7fff
	v_lshlrev_b64 v[0:1], 1, v[0:1]
	s_delay_alu instid0(VALU_DEP_2) | instskip(NEXT) | instid1(VALU_DEP_1)
	v_lshrrev_b32_e32 v2, 16, v2
	v_cndmask_b32_e32 v2, 0x7fc0, v2, vcc_lo
	s_delay_alu instid0(VALU_DEP_3) | instskip(NEXT) | instid1(VALU_DEP_4)
	v_add_co_u32 v0, vcc_lo, s8, v0
	v_add_co_ci_u32_e32 v1, vcc_lo, s9, v1, vcc_lo
	global_store_b16 v[0:1], v2, off
.LBB227_51:
	s_endpgm
	.section	.rodata,"a",@progbits
	.p2align	6, 0x0
	.amdhsa_kernel _ZL8moe_q2_KIN3c108BFloat16ELb0EEvPKvS3_PT_PKiS7_S7_iiiiiii
		.amdhsa_group_segment_fixed_size 23328
		.amdhsa_private_segment_fixed_size 100
		.amdhsa_kernarg_size 76
		.amdhsa_user_sgpr_count 14
		.amdhsa_user_sgpr_dispatch_ptr 0
		.amdhsa_user_sgpr_queue_ptr 0
		.amdhsa_user_sgpr_kernarg_segment_ptr 1
		.amdhsa_user_sgpr_dispatch_id 0
		.amdhsa_user_sgpr_private_segment_size 0
		.amdhsa_wavefront_size32 1
		.amdhsa_uses_dynamic_stack 0
		.amdhsa_enable_private_segment 1
		.amdhsa_system_sgpr_workgroup_id_x 1
		.amdhsa_system_sgpr_workgroup_id_y 1
		.amdhsa_system_sgpr_workgroup_id_z 0
		.amdhsa_system_sgpr_workgroup_info 0
		.amdhsa_system_vgpr_workitem_id 1
		.amdhsa_next_free_vgpr 256
		.amdhsa_next_free_sgpr 30
		.amdhsa_reserve_vcc 1
		.amdhsa_float_round_mode_32 0
		.amdhsa_float_round_mode_16_64 0
		.amdhsa_float_denorm_mode_32 3
		.amdhsa_float_denorm_mode_16_64 3
		.amdhsa_dx10_clamp 1
		.amdhsa_ieee_mode 1
		.amdhsa_fp16_overflow 0
		.amdhsa_workgroup_processor_mode 1
		.amdhsa_memory_ordered 1
		.amdhsa_forward_progress 0
		.amdhsa_shared_vgpr_count 0
		.amdhsa_exception_fp_ieee_invalid_op 0
		.amdhsa_exception_fp_denorm_src 0
		.amdhsa_exception_fp_ieee_div_zero 0
		.amdhsa_exception_fp_ieee_overflow 0
		.amdhsa_exception_fp_ieee_underflow 0
		.amdhsa_exception_fp_ieee_inexact 0
		.amdhsa_exception_int_div_zero 0
	.end_amdhsa_kernel
	.section	.text._ZL8moe_q2_KIN3c108BFloat16ELb0EEvPKvS3_PT_PKiS7_S7_iiiiiii,"axG",@progbits,_ZL8moe_q2_KIN3c108BFloat16ELb0EEvPKvS3_PT_PKiS7_S7_iiiiiii,comdat
.Lfunc_end227:
	.size	_ZL8moe_q2_KIN3c108BFloat16ELb0EEvPKvS3_PT_PKiS7_S7_iiiiiii, .Lfunc_end227-_ZL8moe_q2_KIN3c108BFloat16ELb0EEvPKvS3_PT_PKiS7_S7_iiiiiii
                                        ; -- End function
	.section	.AMDGPU.csdata,"",@progbits
; Kernel info:
; codeLenInByte = 20384
; NumSgprs: 32
; NumVgprs: 256
; ScratchSize: 100
; MemoryBound: 0
; FloatMode: 240
; IeeeMode: 1
; LDSByteSize: 23328 bytes/workgroup (compile time only)
; SGPRBlocks: 3
; VGPRBlocks: 31
; NumSGPRsForWavesPerEU: 32
; NumVGPRsForWavesPerEU: 256
; Occupancy: 5
; WaveLimiterHint : 1
; COMPUTE_PGM_RSRC2:SCRATCH_EN: 1
; COMPUTE_PGM_RSRC2:USER_SGPR: 14
; COMPUTE_PGM_RSRC2:TRAP_HANDLER: 0
; COMPUTE_PGM_RSRC2:TGID_X_EN: 1
; COMPUTE_PGM_RSRC2:TGID_Y_EN: 1
; COMPUTE_PGM_RSRC2:TGID_Z_EN: 0
; COMPUTE_PGM_RSRC2:TIDIG_COMP_CNT: 1
	.section	.text._ZL8moe_q2_KIN3c108BFloat16ELb1EEvPKvS3_PT_PKiS7_S7_iiiiiii,"axG",@progbits,_ZL8moe_q2_KIN3c108BFloat16ELb1EEvPKvS3_PT_PKiS7_S7_iiiiiii,comdat
	.globl	_ZL8moe_q2_KIN3c108BFloat16ELb1EEvPKvS3_PT_PKiS7_S7_iiiiiii ; -- Begin function _ZL8moe_q2_KIN3c108BFloat16ELb1EEvPKvS3_PT_PKiS7_S7_iiiiiii
	.p2align	8
	.type	_ZL8moe_q2_KIN3c108BFloat16ELb1EEvPKvS3_PT_PKiS7_S7_iiiiiii,@function
_ZL8moe_q2_KIN3c108BFloat16ELb1EEvPKvS3_PT_PKiS7_S7_iiiiiii: ; @_ZL8moe_q2_KIN3c108BFloat16ELb1EEvPKvS3_PT_PKiS7_S7_iiiiiii
; %bb.0:
	s_load_b128 s[4:7], s[0:1], 0x18
	s_mov_b32 s2, s15
	s_mov_b32 s3, 0
	s_delay_alu instid0(SALU_CYCLE_1)
	s_lshl_b64 s[8:9], s[2:3], 2
	s_waitcnt lgkmcnt(0)
	s_add_u32 s6, s6, s8
	s_addc_u32 s7, s7, s9
	s_load_b32 s15, s[6:7], 0x0
	s_waitcnt lgkmcnt(0)
	s_cmpk_gt_u32 s15, 0xff
	s_cbranch_scc1 .LBB228_53
; %bb.1:
	s_load_b64 s[6:7], s[0:1], 0x28
	s_lshl_b32 s2, s2, 3
	s_waitcnt lgkmcnt(0)
	s_load_b32 s3, s[6:7], 0x0
	s_waitcnt lgkmcnt(0)
	s_cmp_gt_u32 s2, s3
	s_cbranch_scc1 .LBB228_53
; %bb.2:
	v_bfe_u32 v1, v0, 10, 10
	v_mov_b32_e32 v24, 0
	s_mov_b32 s20, 0
	s_delay_alu instid0(VALU_DEP_2) | instskip(NEXT) | instid1(VALU_DEP_2)
	v_add_nc_u32_e32 v23, s2, v1
	v_dual_mov_b32 v55, v24 :: v_dual_and_b32 v156, 0x3ff, v0
	v_mov_b32_e32 v60, v24
	v_mov_b32_e32 v29, v24
	s_delay_alu instid0(VALU_DEP_4) | instskip(NEXT) | instid1(VALU_DEP_1)
	v_lshlrev_b64 v[2:3], 2, v[23:24]
	v_add_co_u32 v2, vcc_lo, s4, v2
	s_delay_alu instid0(VALU_DEP_2)
	v_add_co_ci_u32_e32 v3, vcc_lo, s5, v3, vcc_lo
	global_load_b32 v27, v[2:3], off
	s_clause 0x1
	s_load_b256 s[4:11], s[0:1], 0x30
	s_load_b64 s[12:13], s[0:1], 0x10
	s_waitcnt lgkmcnt(0)
	s_lshl_b32 s11, s14, 7
	s_cmpk_lt_i32 s5, 0x100
	s_cbranch_scc1 .LBB228_44
; %bb.3:
	s_load_b128 s[0:3], s[0:1], 0x0
	s_ashr_i32 s14, s5, 31
	s_mul_i32 s15, s15, s4
	s_lshr_b32 s4, s14, 24
	s_ashr_i32 s16, s8, 31
	s_add_i32 s4, s5, s4
	s_lshr_b32 s14, s16, 27
	s_ashr_i32 s4, s4, 8
	s_add_i32 s8, s8, s14
	s_mul_i32 s14, s4, s11
	s_ashr_i32 s16, s15, 31
	s_ashr_i32 s8, s8, 5
	s_mul_hi_i32 s17, s14, 0x54
	s_mulk_i32 s14, 0x54
	v_dual_mov_b32 v29, 0 :: v_dual_lshlrev_b32 v0, 2, v156
	v_add_nc_u32_e32 v2, 8, v1
	v_add_nc_u32_e32 v3, 16, v1
	v_lshlrev_b32_e32 v5, 4, v1
	v_lshrrev_b32_e32 v6, 1, v156
	s_waitcnt lgkmcnt(0)
	s_add_u32 s0, s0, s15
	s_addc_u32 s1, s1, s16
	s_add_u32 s21, s0, s14
	s_addc_u32 s22, s1, s17
	s_not_b32 s0, s11
	v_add_nc_u32_e32 v6, v6, v5
	s_add_i32 s0, s0, s6
	v_lshrrev_b32_e32 v24, 3, v156
	v_min_i32_e32 v4, s0, v1
	v_min_i32_e32 v2, s0, v2
	;; [unrolled: 1-line block ×3, first 2 shown]
	v_and_b32_e32 v6, 0x7f, v6
	v_add_nc_u32_e32 v23, 0x78, v1
	v_mul_lo_u32 v47, v4, s4
	v_mad_u64_u32 v[9:10], null, 0x84, v4, v[0:1]
	v_add_nc_u32_e32 v4, 24, v1
	v_mul_lo_u32 v49, v2, s4
	v_mad_u64_u32 v[42:43], null, 0x84, v2, v[0:1]
	v_mul_lo_u32 v50, v3, s4
	s_delay_alu instid0(VALU_DEP_4) | instskip(SKIP_3) | instid1(VALU_DEP_4)
	v_min_i32_e32 v2, s0, v4
	v_add_nc_u32_e32 v4, 32, v1
	v_mad_u64_u32 v[40:41], null, 0x84, v3, v[0:1]
	v_add_nc_u32_e32 v3, 40, v1
	v_mul_lo_u32 v30, v2, s4
	s_delay_alu instid0(VALU_DEP_4) | instskip(SKIP_1) | instid1(VALU_DEP_4)
	v_min_i32_e32 v4, s0, v4
	v_mad_u64_u32 v[10:11], null, 0x84, v2, v[0:1]
	v_min_i32_e32 v2, s0, v3
	v_add_nc_u32_e32 v3, 48, v1
	s_delay_alu instid0(VALU_DEP_4) | instskip(SKIP_2) | instid1(VALU_DEP_4)
	v_mul_lo_u32 v52, v4, s4
	v_mad_u64_u32 v[11:12], null, 0x84, v4, v[0:1]
	v_add_nc_u32_e32 v4, 56, v1
	v_min_i32_e32 v3, s0, v3
	v_mul_lo_u32 v32, v2, s4
	v_mad_u64_u32 v[12:13], null, 0x84, v2, v[0:1]
	v_add_nc_u32_e32 v2, 64, v1
	v_min_i32_e32 v4, s0, v4
	v_mad_u64_u32 v[13:14], null, 0x84, v3, v[0:1]
	v_mul_lo_u32 v33, v3, s4
	s_delay_alu instid0(VALU_DEP_4)
	v_min_i32_e32 v2, s0, v2
	v_add_nc_u32_e32 v3, 0x48, v1
	v_mul_lo_u32 v34, v4, s4
	v_mad_u64_u32 v[14:15], null, 0x84, v4, v[0:1]
	v_add_nc_u32_e32 v4, 0x50, v1
	v_mul_lo_u32 v35, v2, s4
	v_min_i32_e32 v3, s0, v3
	v_mad_u64_u32 v[15:16], null, 0x84, v2, v[0:1]
	s_delay_alu instid0(VALU_DEP_4) | instskip(SKIP_1) | instid1(VALU_DEP_4)
	v_min_i32_e32 v2, s0, v4
	v_add_nc_u32_e32 v4, 0x58, v1
	v_mul_lo_u32 v89, v3, s4
	v_mad_u64_u32 v[16:17], null, 0x84, v3, v[0:1]
	s_delay_alu instid0(VALU_DEP_4) | instskip(NEXT) | instid1(VALU_DEP_4)
	v_mul_lo_u32 v90, v2, s4
	v_min_i32_e32 v3, s0, v4
	v_add_nc_u32_e32 v4, 0x60, v1
	v_mad_u64_u32 v[17:18], null, 0x84, v2, v[0:1]
	v_min_i32_e32 v6, s0, v6
	s_delay_alu instid0(VALU_DEP_4) | instskip(NEXT) | instid1(VALU_DEP_4)
	v_mul_lo_u32 v36, v3, s4
	v_min_i32_e32 v2, s0, v4
	v_add_nc_u32_e32 v4, 0x68, v1
	v_mad_u64_u32 v[18:19], null, 0x84, v3, v[0:1]
	v_ashrrev_i32_e32 v7, 31, v6
	s_delay_alu instid0(VALU_DEP_4) | instskip(NEXT) | instid1(VALU_DEP_4)
	v_mul_lo_u32 v37, v2, s4
	v_min_i32_e32 v3, s0, v4
	v_add_nc_u32_e32 v4, 0x70, v1
	v_mad_u64_u32 v[19:20], null, 0x84, v2, v[0:1]
	s_abs_i32 s1, s10
	s_delay_alu instid0(VALU_DEP_3) | instskip(NEXT) | instid1(VALU_DEP_3)
	v_mul_lo_u32 v38, v3, s4
	v_min_i32_e32 v2, s0, v4
	v_lshrrev_b32_e32 v4, 28, v7
	v_lshlrev_b32_e32 v7, 2, v1
	v_mad_u64_u32 v[20:21], null, 0x84, v3, v[0:1]
	v_min_i32_e32 v25, s0, v23
	s_delay_alu instid0(VALU_DEP_4) | instskip(NEXT) | instid1(VALU_DEP_4)
	v_add_nc_u32_e32 v3, v6, v4
	v_add_nc_u32_e32 v4, v24, v7
	v_cvt_f32_u32_e32 v24, s1
	v_mul_lo_u32 v48, v2, s4
	v_mad_u64_u32 v[22:23], null, 0x84, v2, v[0:1]
	v_mul_lo_u32 v2, v25, s4
	s_delay_alu instid0(VALU_DEP_4)
	v_rcp_iflag_f32_e32 v24, v24
	v_mad_u64_u32 v[43:44], null, 0x84, v25, v[0:1]
	v_add_nc_u32_e32 v25, 32, v4
	s_sub_i32 s6, 0, s1
	v_and_b32_e32 v53, 7, v156
	v_and_b32_e32 v28, 1, v156
	v_ashrrev_i32_e32 v3, 4, v3
	v_min_i32_e32 v25, s0, v25
	v_min_i32_e32 v26, s0, v4
	s_delay_alu instid0(TRANS32_DEP_1)
	v_mul_f32_e32 v24, 0x4f7ffffe, v24
	v_add_nc_u32_e32 v55, 64, v4
	v_or_b32_e32 v7, v7, v156
	v_ashrrev_i32_e32 v54, 31, v25
	v_lshlrev_b32_e32 v58, 2, v53
	v_cvt_u32_f32_e32 v24, v24
	v_ashrrev_i32_e32 v51, 31, v26
	v_min_i32_e32 v55, s0, v55
	v_lshrrev_b32_e32 v54, 30, v54
	v_add_nc_u32_e32 v4, 0x60, v4
	v_mul_lo_u32 v57, s6, v24
	v_lshl_add_u32 v7, v7, 2, 0x5aa0
	scratch_store_b32 off, v2, off          ; 4-byte Folded Spill
	v_add_nc_u32_e32 v54, v25, v54
	v_lshlrev_b32_e32 v2, 2, v3
	v_lshlrev_b32_e32 v3, 2, v28
	scratch_store_b32 off, v7, off offset:84 ; 4-byte Folded Spill
	v_ashrrev_i32_e32 v56, 31, v55
	v_and_b32_e32 v59, -4, v54
	v_mul_hi_u32 v57, v24, v57
	v_add3_u32 v2, v2, v3, 0x5280
	v_lshrrev_b32_e32 v3, 30, v51
	v_min_i32_e32 v4, s0, v4
	v_add3_u32 v91, v59, v58, 0x4200
	s_waitcnt vmcnt(0)
	v_sub_nc_u32_e32 v59, 0, v27
	v_mul_lo_u32 v21, v26, s4
	v_add_nc_u32_e32 v3, v26, v3
	v_add_nc_u32_e32 v24, v24, v57
	v_lshrrev_b32_e32 v56, 30, v56
	v_max_i32_e32 v61, v27, v59
	v_lshlrev_b32_e32 v60, 5, v26
	v_ashrrev_i32_e32 v26, 31, v4
	v_mul_lo_u32 v41, v25, s4
	v_add_nc_u32_e32 v56, v55, v56
	v_mul_hi_u32 v24, v61, v24
	v_lshlrev_b32_e32 v92, 5, v25
	v_lshrrev_b32_e32 v26, 30, v26
	v_and_b32_e32 v45, 60, v0
	v_and_b32_e32 v25, -4, v56
	v_and_b32_e32 v23, 12, v0
	v_and_b32_e32 v0, 28, v0
	v_add_nc_u32_e32 v26, v4, v26
	v_mul_lo_u32 v62, v24, s1
	v_add3_u32 v93, v25, v58, 0x4200
	v_and_b32_e32 v3, -4, v3
	v_lshlrev_b32_e32 v1, 7, v1
	v_and_b32_e32 v25, -4, v26
	v_and_b32_e32 v26, 31, v156
	v_lshrrev_b32_e32 v31, 4, v156
	v_add3_u32 v3, v3, v58, 0x4200
	v_sub_nc_u32_e32 v62, v61, v62
	v_add3_u32 v94, v25, v58, 0x4200
	v_add_co_u32 v25, s0, s2, v0
	v_lshl_or_b32 v58, v26, 2, v1
	v_add_co_ci_u32_e64 v26, null, s3, 0, s0
	v_add_nc_u32_e32 v61, 1, v24
	v_subrev_nc_u32_e32 v63, s1, v62
	v_cmp_le_u32_e64 s0, s1, v62
	v_xor_b32_e32 v65, s10, v27
	v_lshlrev_b32_e32 v7, 3, v156
	v_lshlrev_b32_e32 v66, 2, v31
	v_add_nc_u32_e32 v0, 0x56a0, v58
	v_cndmask_b32_e64 v24, v24, v61, s0
	v_cndmask_b32_e64 v62, v62, v63, s0
	v_ashrrev_i32_e32 v65, 31, v65
	v_add_nc_u32_e32 v76, 64, v156
	s_clause 0x2
	scratch_store_b64 off, v[25:26], off offset:68
	scratch_store_b32 off, v0, off offset:76
	scratch_store_b32 off, v27, off offset:100
	v_add_nc_u32_e32 v63, 1, v24
	v_cmp_le_u32_e64 s0, s1, v62
	v_add3_u32 v62, v66, v7, 0x5280
	v_add_nc_u32_e32 v0, 32, v156
	v_lshlrev_b32_e32 v67, 3, v76
	v_add_nc_u32_e32 v74, 0x60, v156
	v_cndmask_b32_e64 v24, v24, v63, s0
	s_movk_i32 s0, 0x1080
	v_lshrrev_b32_e32 v68, 2, v0
	v_lshlrev_b32_e32 v64, 3, v0
	v_and_b32_e32 v77, 0x1fc, v0
	v_xor_b32_e32 v7, v24, v65
	v_lshrrev_b32_e32 v24, 2, v76
	v_and_b32_e32 v68, 0x7c, v68
	v_mad_u32_u24 v63, 0x84, v156, s0
	s_movk_i32 s0, 0x2100
	v_sub_nc_u32_e32 v7, v7, v65
	v_and_b32_e32 v24, 0x7c, v24
	v_mad_u32_u24 v65, 0x84, v156, s0
	s_movk_i32 s0, 0x3180
	v_add3_u32 v64, v64, v68, 0x5280
	v_mul_lo_u32 v25, v7, s8
	v_add3_u32 v67, v67, v24, 0x5280
	v_lshrrev_b32_e32 v24, 3, v0
	v_add_nc_u32_e32 v0, 0x56a0, v1
	v_lshrrev_b32_e32 v66, 2, v74
	v_mad_u32_u24 v68, 0x84, v156, s0
	v_cmp_gt_i32_e64 s0, s7, v7
	v_mul_lo_u32 v39, v6, s4
	v_ashrrev_i32_e32 v7, 31, v25
	s_clause 0x1
	scratch_store_b32 off, v25, off offset:12
	scratch_store_b32 off, v0, off offset:4
	v_add_nc_u32_e32 v0, 0x5aa0, v5
	scratch_store_b32 off, v24, off offset:80 ; 4-byte Folded Spill
	v_lshrrev_b32_e32 v24, 3, v76
	v_lshlrev_b32_e32 v6, 3, v6
	v_cmp_lt_u32_e32 vcc_lo, 3, v53
	scratch_store_b32 off, v0, off offset:8 ; 4-byte Folded Spill
	v_mul_lo_u32 v44, v55, s4
	v_lshlrev_b32_e32 v55, 5, v55
	v_mul_lo_u32 v46, v4, s4
	v_lshlrev_b32_e32 v4, 5, v4
	v_lshlrev_b32_e32 v69, 3, v74
	v_and_b32_e32 v70, 0x7c, v66
	scratch_store_b32 off, v24, off offset:88 ; 4-byte Folded Spill
	v_lshrrev_b32_e32 v24, 3, v74
	v_and_b32_e32 v74, 0x1fc, v74
	v_lshlrev_b32_e32 v75, 5, v156
	v_and_b32_e32 v76, 0x1fc, v76
	v_and_b32_e32 v78, 0xfc, v156
	s_add_u32 s14, s2, 0x90
	s_addc_u32 s15, s3, 0
	v_cndmask_b32_e64 v8, 0, 1, vcc_lo
	v_cmp_gt_u32_e32 vcc_lo, 4, v156
	v_mul_u32_u24_e32 v61, 0x84, v156
	v_add3_u32 v69, v69, v70, 0x5280
	s_clause 0x1
	scratch_store_b32 off, v24, off offset:96
	scratch_store_b32 off, v7, off offset:92
	s_add_u32 s16, s2, 0x120
	v_add_nc_u32_e32 v81, 0x4e08, v74
	v_add_nc_u32_e32 v82, 0x4a08, v76
	;; [unrolled: 1-line block ×13, first 2 shown]
	v_dual_mov_b32 v60, 0 :: v_dual_mov_b32 v55, 0
	v_mov_b32_e32 v24, 0
	s_addc_u32 s17, s3, 0
	s_add_u32 s18, s2, 0x1b0
	s_addc_u32 s19, s3, 0
	s_clause 0xa
	scratch_store_b64 off, v[42:43], off offset:16
	scratch_store_b64 off, v[43:44], off offset:24
	scratch_store_b32 off, v21, off offset:32
	scratch_store_b32 off, v41, off offset:36
	scratch_store_b32 off, v44, off offset:40
	scratch_store_b32 off, v46, off offset:44
	scratch_store_b32 off, v26, off offset:48
	scratch_store_b32 off, v27, off offset:52
	scratch_store_b32 off, v51, off offset:56
	scratch_store_b32 off, v53, off offset:60
	scratch_store_b32 off, v54, off offset:64
	s_branch .LBB228_7
.LBB228_4:                              ;   in Loop: Header=BB228_7 Depth=1
	scratch_load_b64 v[42:43], off, off offset:16 ; 8-byte Folded Reload
	v_mov_b32_e32 v40, v10
	v_dual_mov_b32 v10, v11 :: v_dual_mov_b32 v11, v12
	v_dual_mov_b32 v12, v13 :: v_dual_mov_b32 v13, v14
	;; [unrolled: 1-line block ×5, first 2 shown]
	v_mov_b32_e32 v20, v21
	s_clause 0x2
	scratch_load_b64 v[43:44], off, off offset:24
	scratch_load_b32 v21, off, off offset:32
	scratch_load_b32 v41, off, off offset:36
	v_dual_mov_b32 v31, v51 :: v_dual_mov_b32 v32, v53
	v_dual_mov_b32 v33, v54 :: v_dual_mov_b32 v34, v56
	;; [unrolled: 1-line block ×3, first 2 shown]
	s_clause 0x6
	scratch_load_b32 v44, off, off offset:40
	scratch_load_b32 v46, off, off offset:44
	;; [unrolled: 1-line block ×7, first 2 shown]
.LBB228_5:                              ;   in Loop: Header=BB228_7 Depth=1
	v_dual_mov_b32 v35, v57 :: v_dual_mov_b32 v36, v91
	v_dual_mov_b32 v37, v92 :: v_dual_mov_b32 v38, v93
.LBB228_6:                              ;   in Loop: Header=BB228_7 Depth=1
	s_add_i32 s20, s20, 2
	s_delay_alu instid0(SALU_CYCLE_1)
	s_cmp_ge_i32 s20, s4
	s_cbranch_scc1 .LBB228_43
.LBB228_7:                              ; =>This Loop Header: Depth=1
                                        ;     Child Loop BB228_14 Depth 2
                                        ;     Child Loop BB228_22 Depth 2
	;; [unrolled: 1-line block ×4, first 2 shown]
	s_mul_i32 s1, s20, 0x54
	s_mul_hi_u32 s6, s20, 0x54
	s_add_u32 s24, s21, s1
	s_addc_u32 s25, s22, s6
	s_lshl_b32 s23, s20, 8
	v_mad_u64_u32 v[0:1], null, 0x54, v31, s[24:25]
	v_mad_i64_i32 v[104:105], null, 0x54, v39, s[24:25]
	s_cmp_lt_i32 s23, s5
	s_delay_alu instid0(VALU_DEP_2) | instskip(NEXT) | instid1(VALU_DEP_1)
	v_add_co_u32 v0, s1, v0, v45
	v_add_co_ci_u32_e64 v1, s1, 0, v1, s1
	s_delay_alu instid0(VALU_DEP_2) | instskip(NEXT) | instid1(VALU_DEP_1)
	v_add_co_u32 v0, s1, v0, 16
	v_add_co_ci_u32_e64 v1, s1, 0, v1, s1
	s_delay_alu instid0(VALU_DEP_1)
	v_mad_i64_i32 v[2:3], null, 0x54, v47, v[0:1]
	v_mad_i64_i32 v[4:5], null, 0x54, v49, v[0:1]
	;; [unrolled: 1-line block ×8, first 2 shown]
	s_clause 0x7
	global_load_b32 v114, v[2:3], off
	global_load_b32 v115, v[4:5], off
	;; [unrolled: 1-line block ×8, first 2 shown]
	scratch_load_b32 v25, off, off          ; 4-byte Folded Reload
	v_mad_u64_u32 v[98:99], null, 0x54, v8, s[24:25]
	v_mad_i64_i32 v[2:3], null, 0x54, v35, v[0:1]
	v_mad_i64_i32 v[4:5], null, 0x54, v89, v[0:1]
	;; [unrolled: 1-line block ×3, first 2 shown]
	s_delay_alu instid0(VALU_DEP_4)
	v_add_co_u32 v98, s1, v98, v23
	v_mad_i64_i32 v[94:95], null, 0x54, v36, v[0:1]
	v_add_co_ci_u32_e64 v99, s1, 0, v99, s1
	v_mad_i64_i32 v[96:97], null, 0x54, v37, v[0:1]
	v_mad_i64_i32 v[100:101], null, 0x54, v38, v[0:1]
	;; [unrolled: 1-line block ×3, first 2 shown]
	s_waitcnt vmcnt(16)
	v_mad_i64_i32 v[108:109], null, 0x54, v41, v[98:99]
	s_waitcnt vmcnt(9)
	v_mad_i64_i32 v[110:111], null, 0x54, v44, v[98:99]
	v_mad_i64_i32 v[112:113], null, 0x54, v46, v[98:99]
	s_waitcnt vmcnt(0)
	v_mad_i64_i32 v[106:107], null, 0x54, v25, v[0:1]
	v_mad_u64_u32 v[0:1], null, 0x54, v28, v[104:105]
	v_mad_i64_i32 v[104:105], null, 0x54, v21, v[98:99]
	s_clause 0xc
	global_load_b32 v2, v[2:3], off
	global_load_b32 v3, v[4:5], off
	;; [unrolled: 1-line block ×8, first 2 shown]
	global_load_b32 v0, v[0:1], off offset:80
	global_load_b32 v1, v[104:105], off
	global_load_b32 v96, v[108:109], off
	global_load_b32 v97, v[110:111], off
	global_load_b32 v98, v[112:113], off
	ds_store_b32 v9, v114
	ds_store_b32 v42, v115
	;; [unrolled: 1-line block ×8, first 2 shown]
	s_waitcnt vmcnt(12)
	ds_store_b32 v15, v2
	s_waitcnt vmcnt(11)
	ds_store_b32 v16, v3
	;; [unrolled: 2-line block ×13, first 2 shown]
	s_cbranch_scc0 .LBB228_6
; %bb.8:                                ;   in Loop: Header=BB228_7 Depth=1
	v_lshrrev_b32_e32 v0, 3, v156
	s_lshl_b32 s6, s20, 3
	s_delay_alu instid0(VALU_DEP_1) | instid1(SALU_CYCLE_1)
	v_add_nc_u32_e32 v0, s6, v0
	s_delay_alu instid0(VALU_DEP_1) | instskip(NEXT) | instid1(VALU_DEP_1)
	v_cmp_gt_i32_e64 s1, s8, v0
	s_and_b32 s24, s0, s1
	s_delay_alu instid0(SALU_CYCLE_1)
	s_and_saveexec_b32 s1, s24
	s_cbranch_execz .LBB228_10
; %bb.9:                                ;   in Loop: Header=BB228_7 Depth=1
	s_clause 0x1
	scratch_load_b32 v1, off, off offset:12
	scratch_load_b64 v[3:4], off, off offset:68
	s_waitcnt vmcnt(1)
	v_add_nc_u32_e32 v2, v1, v0
	s_waitcnt vmcnt(0)
	s_delay_alu instid0(VALU_DEP_1)
	v_mad_i64_i32 v[0:1], null, v2, 36, v[3:4]
	global_load_b32 v0, v[0:1], off offset:4
	scratch_load_b32 v1, off, off offset:76 ; 4-byte Folded Reload
	s_waitcnt vmcnt(0)
	ds_store_b32 v1, v0
.LBB228_10:                             ;   in Loop: Header=BB228_7 Depth=1
	s_or_b32 exec_lo, exec_lo, s1
	v_dual_mov_b32 v21, v20 :: v_dual_mov_b32 v20, v19
	v_dual_mov_b32 v19, v18 :: v_dual_mov_b32 v18, v17
	;; [unrolled: 1-line block ×10, first 2 shown]
	v_mov_b32_e32 v51, v31
	s_and_saveexec_b32 s24, vcc_lo
	s_cbranch_execz .LBB228_13
; %bb.11:                               ;   in Loop: Header=BB228_7 Depth=1
	v_or_b32_e32 v0, s6, v156
	s_delay_alu instid0(VALU_DEP_1) | instskip(NEXT) | instid1(VALU_DEP_1)
	v_cmp_gt_i32_e64 s1, s8, v0
	s_and_b32 s1, s0, s1
	s_delay_alu instid0(SALU_CYCLE_1)
	s_and_b32 exec_lo, exec_lo, s1
	s_cbranch_execz .LBB228_13
; %bb.12:                               ;   in Loop: Header=BB228_7 Depth=1
	scratch_load_b32 v1, off, off offset:12 ; 4-byte Folded Reload
	s_waitcnt vmcnt(0)
	v_add_nc_u32_e32 v2, v1, v0
	s_delay_alu instid0(VALU_DEP_1)
	v_mad_i64_i32 v[0:1], null, v2, 36, s[2:3]
	global_load_b32 v0, v[0:1], off
	scratch_load_b32 v1, off, off offset:84 ; 4-byte Folded Reload
	s_waitcnt vmcnt(1)
	v_cvt_f32_f16_e32 v0, v0
	s_waitcnt vmcnt(0)
	ds_store_b32 v1, v0
.LBB228_13:                             ;   in Loop: Header=BB228_7 Depth=1
	s_or_b32 exec_lo, exec_lo, s24
	s_waitcnt lgkmcnt(0)
	s_waitcnt_vscnt null, 0x0
	s_clause 0x1
	scratch_load_b32 v94, off, off offset:8
	scratch_load_b32 v95, off, off offset:4
	v_mov_b32_e32 v25, v156
	s_mov_b32 s1, 0
	s_mov_b32 s25, -2
	s_waitcnt vmcnt(0)
	s_barrier
	buffer_gl0_inv
.LBB228_14:                             ;   Parent Loop BB228_7 Depth=1
                                        ; =>  This Inner Loop Header: Depth=2
	ds_load_b32 v96, v94
	ds_load_b128 v[4:7], v95
	ds_load_b128 v[0:3], v95 offset:16
	s_and_b32 s26, s1, -16
	s_add_i32 s24, s25, 2
	v_add_nc_u32_e32 v97, s26, v75
	s_and_b32 s26, s24, 0x3ffffff8
	s_lshr_b32 s27, s24, 2
	s_lshl_b32 s26, s26, 2
	s_and_b32 s27, s27, 0x3ffffffc
	v_add_nc_u32_e32 v98, s26, v61
	v_add_nc_u32_e32 v100, s27, v62
	;; [unrolled: 1-line block ×8, first 2 shown]
	v_add3_u32 v106, v78, s25, v97
	v_add3_u32 v107, v77, s25, v97
	v_add3_u32 v108, v76, s25, v97
	v_add3_u32 v109, v74, s25, v97
	ds_load_2addr_b32 v[133:134], v98 offset1:1
	ds_load_2addr_b32 v[135:136], v98 offset0:2 offset1:3
	ds_load_2addr_b32 v[137:138], v98 offset0:4 offset1:5
	;; [unrolled: 1-line block ×6, first 2 shown]
	ds_load_b32 v97, v99
	ds_load_2addr_b32 v[147:148], v102 offset1:1
	ds_load_2addr_b32 v[149:150], v102 offset0:2 offset1:3
	ds_load_2addr_b32 v[151:152], v102 offset0:4 offset1:5
	;; [unrolled: 1-line block ×3, first 2 shown]
	ds_load_b32 v98, v103
	ds_load_2addr_b32 v[155:156], v104 offset1:1
	ds_load_2addr_b32 v[157:158], v104 offset0:2 offset1:3
	ds_load_2addr_b32 v[159:160], v104 offset0:4 offset1:5
	;; [unrolled: 1-line block ×3, first 2 shown]
	ds_load_b32 v99, v105
	ds_load_2addr_b32 v[163:164], v101 offset1:1
	ds_load_b32 v100, v100
	ds_load_u16 v165, v106 offset:16898
	ds_load_u16 v166, v107 offset:17922
	;; [unrolled: 1-line block ×4, first 2 shown]
	s_waitcnt lgkmcnt(25)
	v_bfe_i32 v129, v4, 0, 8
	v_bfe_i32 v126, v4, 8, 8
	;; [unrolled: 1-line block ×3, first 2 shown]
	v_ashrrev_i32_e32 v123, 24, v4
	v_bfe_i32 v4, v5, 0, 8
	v_bfe_i32 v121, v5, 8, 8
	;; [unrolled: 1-line block ×3, first 2 shown]
	v_ashrrev_i32_e32 v119, 24, v5
	s_waitcnt lgkmcnt(24)
	v_bfe_i32 v131, v0, 0, 8
	v_bfe_i32 v128, v0, 8, 8
	v_ashrrev_i32_e32 v125, 24, v0
	v_bfe_i32 v5, v1, 0, 8
	v_bfe_i32 v112, v1, 8, 8
	v_ashrrev_i32_e32 v109, 24, v1
	v_bfe_i32 v127, v6, 0, 8
	v_bfe_i32 v118, v6, 8, 8
	v_bfe_i32 v117, v6, 16, 8
	v_ashrrev_i32_e32 v116, 24, v6
	v_bfe_i32 v115, v7, 0, 8
	;; [unrolled: 4-line block ×4, first 2 shown]
	v_bfe_i32 v104, v3, 8, 8
	v_bfe_i32 v103, v3, 16, 8
	v_ashrrev_i32_e32 v102, 24, v3
	v_add_nc_u32_e32 v0, v109, v125
	v_add_nc_u32_e32 v3, v112, v128
	;; [unrolled: 1-line block ×7, first 2 shown]
	v_bfe_i32 v107, v2, 16, 8
	v_add3_u32 v2, v0, v106, v102
	v_add3_u32 v0, v3, v108, v104
	;; [unrolled: 1-line block ×7, first 2 shown]
	s_waitcnt lgkmcnt(23)
	v_ashrrev_i32_e32 v169, s24, v133
	v_ashrrev_i32_e32 v170, s24, v134
	s_waitcnt lgkmcnt(21)
	v_ashrrev_i32_e32 v137, s24, v137
	s_waitcnt lgkmcnt(20)
	;; [unrolled: 2-line block ×3, first 2 shown]
	v_ashrrev_i32_e32 v140, s24, v163
	v_ashrrev_i32_e32 v147, s24, v147
	;; [unrolled: 1-line block ×3, first 2 shown]
	v_bfe_i32 v110, v1, 16, 8
	v_ashrrev_i32_e32 v135, s24, v135
	v_ashrrev_i32_e32 v136, s24, v136
	;; [unrolled: 1-line block ×25, first 2 shown]
	s_waitcnt lgkmcnt(3)
	v_lshrrev_b16 v173, 8, v165
	v_bfe_u32 v174, v165, 4, 4
	s_waitcnt lgkmcnt(2)
	v_lshrrev_b16 v175, 8, v166
	v_bfe_u32 v176, v166, 4, 4
	;; [unrolled: 3-line block ×4, first 2 shown]
	v_and_b32_e32 v181, 3, v169
	v_and_b32_e32 v193, 3, v137
	;; [unrolled: 1-line block ×5, first 2 shown]
	v_add_nc_u32_e32 v1, v110, v124
	v_bfe_u32 v182, v169, 8, 2
	v_bfe_u32 v183, v169, 16, 2
	v_bfe_u32 v169, v169, 24, 2
	v_and_b32_e32 v184, 3, v170
	v_bfe_u32 v185, v170, 8, 2
	v_bfe_u32 v186, v170, 16, 2
	v_bfe_u32 v170, v170, 24, 2
	v_and_b32_e32 v187, 3, v135
	;; [unrolled: 4-line block ×3, first 2 shown]
	v_bfe_u32 v191, v136, 8, 2
	v_bfe_u32 v192, v136, 16, 2
	;; [unrolled: 1-line block ×6, first 2 shown]
	v_and_b32_e32 v196, 3, v138
	v_bfe_u32 v197, v138, 8, 2
	v_bfe_u32 v198, v138, 16, 2
	v_bfe_u32 v138, v138, 24, 2
	v_and_b32_e32 v199, 3, v139
	v_bfe_u32 v200, v139, 8, 2
	v_bfe_u32 v201, v139, 16, 2
	v_bfe_u32 v139, v139, 24, 2
	;; [unrolled: 4-line block ×3, first 2 shown]
	v_bfe_u32 v207, v140, 16, 2
	v_bfe_u32 v140, v140, 24, 2
	v_and_b32_e32 v210, 3, v163
	v_and_b32_e32 v211, 3, v148
	;; [unrolled: 1-line block ×9, first 2 shown]
	v_bfe_u32 v219, v163, 8, 2
	v_bfe_u32 v220, v163, 16, 2
	v_bfe_u32 v163, v163, 24, 2
	v_and_b32_e32 v221, 3, v141
	v_bfe_u32 v222, v141, 8, 2
	v_bfe_u32 v223, v141, 16, 2
	;; [unrolled: 1-line block ×3, first 2 shown]
	v_and_b32_e32 v224, 3, v142
	v_bfe_u32 v225, v143, 8, 2
	v_and_b32_e32 v226, 3, v145
	v_bfe_u32 v227, v147, 8, 2
	;; [unrolled: 2-line block ×6, first 2 shown]
	v_bfe_u32 v236, v142, 16, 2
	v_bfe_u32 v142, v142, 24, 2
	;; [unrolled: 1-line block ×10, first 2 shown]
	v_and_b32_e32 v242, 3, v146
	v_bfe_u32 v243, v146, 8, 2
	v_bfe_u32 v244, v147, 16, 2
	;; [unrolled: 1-line block ×15, first 2 shown]
	v_and_b32_e32 v253, 3, v150
	v_bfe_u32 v159, v159, 24, 2
	v_bfe_u32 v254, v150, 8, 2
	;; [unrolled: 1-line block ×14, first 2 shown]
	v_and_b32_e32 v46, 3, v158
	v_bfe_u32 v66, v153, 16, 2
	v_bfe_u32 v79, v158, 8, 2
	v_bfe_u32 v153, v153, 24, 2
	v_bfe_u32 v80, v158, 16, 2
	v_bfe_u32 v158, v158, 24, 2
	v_bfe_u32 v31, v160, 8, 2
	v_and_b32_e32 v32, 3, v154
	v_bfe_u32 v33, v160, 16, 2
	v_bfe_u32 v160, v160, 24, 2
	v_bfe_u32 v34, v161, 8, 2
	v_bfe_u32 v35, v154, 8, 2
	v_bfe_u32 v36, v161, 16, 2
	v_bfe_u32 v161, v161, 24, 2
	;; [unrolled: 7-line block ×3, first 2 shown]
	v_bfe_u32 v162, v162, 24, 2
	v_mul_lo_u32 v41, 0x1010101, v174
	v_and_b32_e32 v173, 0xffff, v173
	v_mul_lo_u32 v42, 0x1010101, v176
	v_and_b32_e32 v175, 0xffff, v175
	;; [unrolled: 2-line block ×3, first 2 shown]
	v_and_b32_e32 v179, 0xffff, v179
	v_mul_lo_u32 v44, 0x1010101, v180
	v_mul_i32_i24_e32 v174, v174, v132
	v_mul_i32_i24_e32 v176, v176, v132
	;; [unrolled: 1-line block ×9, first 2 shown]
	v_add3_u32 v1, v1, v107, v103
	v_mul_i32_i24_e32 v208, v213, v131
	v_mul_i32_i24_e32 v209, v214, v131
	;; [unrolled: 1-line block ×91, first 2 shown]
	v_lshrrev_b32_e32 v154, 4, v173
	v_lshrrev_b32_e32 v162, 4, v175
	;; [unrolled: 1-line block ×4, first 2 shown]
	v_mul_i32_i24_e32 v182, v182, v126
	v_mul_i32_i24_e32 v187, v187, v127
	;; [unrolled: 1-line block ×16, first 2 shown]
	v_lshrrev_b32_e32 v204, 24, v41
	v_bfe_i32 v224, v41, 16, 8
	v_lshrrev_b32_e32 v231, 24, v42
	v_bfe_i32 v232, v42, 16, 8
	;; [unrolled: 2-line block ×4, first 2 shown]
	v_bfe_i32 v41, v41, 8, 8
	v_bfe_i32 v42, v42, 8, 8
	;; [unrolled: 1-line block ×4, first 2 shown]
	v_mad_i32_i24 v180, v184, v4, v180
	v_mad_i32_i24 v181, v210, v4, v181
	;; [unrolled: 1-line block ×12, first 2 shown]
	v_mul_lo_u32 v132, 0x1010101, v154
	v_mul_lo_u32 v154, 0x1010101, v162
	;; [unrolled: 1-line block ×4, first 2 shown]
	v_mul_i32_i24_e32 v183, v183, v122
	v_mul_i32_i24_e32 v195, v195, v124
	;; [unrolled: 1-line block ×15, first 2 shown]
	v_add3_u32 v44, v180, v187, v182
	v_add3_u32 v129, v129, v199, v194
	;; [unrolled: 1-line block ×3, first 2 shown]
	v_mul_i32_i24_e32 v228, v237, v124
	v_mul_i32_i24_e32 v229, v244, v122
	;; [unrolled: 1-line block ×5, first 2 shown]
	v_add3_u32 v181, v193, v215, v214
	v_add3_u32 v182, v184, v225, v221
	;; [unrolled: 1-line block ×9, first 2 shown]
	v_lshrrev_b32_e32 v101, 24, v132
	v_lshrrev_b32_e32 v131, 24, v154
	;; [unrolled: 1-line block ×4, first 2 shown]
	v_add3_u32 v44, v44, v183, v169
	v_add3_u32 v129, v129, v195, v137
	;; [unrolled: 1-line block ×3, first 2 shown]
	v_bfe_i32 v7, v132, 16, 8
	v_bfe_i32 v130, v154, 16, 8
	;; [unrolled: 1-line block ×8, first 2 shown]
	v_add3_u32 v140, v181, v228, v143
	v_add3_u32 v143, v182, v229, v147
	;; [unrolled: 1-line block ×5, first 2 shown]
	v_mul_i32_i24_e32 v101, v2, v101
	v_mul_i32_i24_e32 v122, v2, v131
	;; [unrolled: 1-line block ×4, first 2 shown]
	v_add3_u32 v44, v44, v149, v155
	v_add3_u32 v129, v129, v153, v150
	v_add3_u32 v137, v137, v157, v159
	v_mul_i32_i24_e32 v7, v1, v7
	v_mul_i32_i24_e32 v124, v1, v130
	v_mul_i32_i24_e32 v125, v1, v187
	v_mul_i32_i24_e32 v1, v1, v193
	v_mul_i32_i24_e32 v130, v0, v132
	v_mul_i32_i24_e32 v131, v0, v154
	v_mul_i32_i24_e32 v132, v0, v162
	v_mul_i32_i24_e32 v0, v0, v178
	v_add3_u32 v32, v147, v32, v72
	v_add3_u32 v5, v5, v37, v31
	;; [unrolled: 1-line block ×23, first 2 shown]
	v_cvt_f32_i32_e32 v32, v33
	v_cvt_f32_i32_e32 v33, v0
	v_add3_u32 v0, v1, v117, v115
	v_add3_u32 v1, v2, v107, v105
	v_add3_u32 v2, v3, v135, v191
	v_add3_u32 v7, v31, v7, v130
	v_add3_u32 v31, v37, v124, v131
	v_add3_u32 v6, v43, v160, v198
	v_add3_u32 v37, v44, v188, v220
	v_add3_u32 v4, v4, v70, v58
	v_and_b32_e32 v165, 15, v165
	v_and_b32_e32 v166, 15, v166
	v_add3_u32 v5, v5, v34, v36
	v_add3_u32 v0, v0, v114, v113
	;; [unrolled: 1-line block ×7, first 2 shown]
	v_mul_lo_u32 v0, v0, v165
	v_mul_lo_u32 v1, v1, v166
	v_and_b32_e32 v167, 15, v167
	v_and_b32_e32 v168, 15, v168
	v_add3_u32 v27, v27, v145, v35
	v_add3_u32 v35, v3, v201, v134
	;; [unrolled: 1-line block ×4, first 2 shown]
	v_and_b32_e32 v173, 15, v173
	v_add3_u32 v5, v5, v106, v38
	v_and_b32_e32 v175, 15, v175
	v_mul_lo_u32 v2, v2, v167
	v_mul_lo_u32 v3, v3, v168
	v_and_b32_e32 v177, 15, v177
	v_add3_u32 v36, v5, v40, v102
	v_mad_u64_u32 v[4:5], null, v34, v173, v[0:1]
	v_add3_u32 v27, v27, v39, v146
	v_and_b32_e32 v179, 15, v179
	v_lshrrev_b32_e32 v133, 16, v100
	v_lshrrev_b32_e32 v164, 16, v97
	v_lshrrev_b32_e32 v171, 16, v98
	v_lshrrev_b32_e32 v172, 16, v99
	v_mad_u64_u32 v[5:6], null, v35, v175, v[1:2]
	v_mad_u64_u32 v[0:1], null, v27, v177, v[2:3]
	;; [unrolled: 1-line block ×3, first 2 shown]
	v_cvt_f32_f16_e64 v133, v133
	v_cvt_f32_f16_e64 v164, v164
	;; [unrolled: 1-line block ×4, first 2 shown]
	v_cvt_f32_i32_e32 v7, v7
	v_cvt_f32_i32_e32 v31, v31
	;; [unrolled: 1-line block ×3, first 2 shown]
	v_mul_f32_e32 v6, v171, v32
	v_cvt_f32_i32_e32 v5, v5
	v_mul_f32_e32 v2, v133, v7
	v_mul_f32_e32 v3, v164, v31
	;; [unrolled: 1-line block ×3, first 2 shown]
	v_cvt_f32_i32_e32 v0, v0
	v_cvt_f32_i32_e32 v1, v1
	v_fma_mix_f32 v2, v100, v4, -v2 op_sel_hi:[1,0,0]
	v_fma_mix_f32 v3, v97, v5, -v3 op_sel_hi:[1,0,0]
	v_add_nc_u32_e32 v95, 32, v95
	v_fma_mix_f32 v0, v98, v0, -v6 op_sel_hi:[1,0,0]
	v_fma_mix_f32 v1, v99, v1, -v7 op_sel_hi:[1,0,0]
	v_add_nc_u32_e32 v94, 4, v94
	v_fmac_f32_e32 v29, v96, v2
	v_fmac_f32_e32 v60, v96, v3
	;; [unrolled: 1-line block ×4, first 2 shown]
	s_add_i32 s1, s1, 2
	s_cmp_lt_u32 s24, 6
	s_mov_b32 s25, s24
	s_cbranch_scc1 .LBB228_14
; %bb.15:                               ;   in Loop: Header=BB228_7 Depth=1
	s_or_b32 s1, s23, 0x80
	s_delay_alu instid0(SALU_CYCLE_1)
	s_cmp_ge_i32 s1, s5
	s_barrier
	buffer_gl0_inv
	s_cbranch_scc1 .LBB228_4
; %bb.16:                               ;   in Loop: Header=BB228_7 Depth=1
	scratch_load_b32 v0, off, off offset:80 ; 4-byte Folded Reload
	s_waitcnt vmcnt(0)
	v_add_nc_u32_e32 v0, s6, v0
	s_delay_alu instid0(VALU_DEP_1) | instskip(NEXT) | instid1(VALU_DEP_1)
	v_cmp_gt_i32_e64 s1, s8, v0
	s_and_b32 s24, s0, s1
	s_mov_b32 s1, exec_lo
	v_mov_b32_e32 v156, v25
	s_and_b32 s24, s1, s24
	s_delay_alu instid0(SALU_CYCLE_1)
	s_mov_b32 exec_lo, s24
	s_cbranch_execz .LBB228_18
; %bb.17:                               ;   in Loop: Header=BB228_7 Depth=1
	s_clause 0x1
	scratch_load_b32 v1, off, off offset:12
	scratch_load_b64 v[3:4], off, off offset:68
	s_waitcnt vmcnt(1)
	v_add_nc_u32_e32 v2, v1, v0
	s_waitcnt vmcnt(0)
	s_delay_alu instid0(VALU_DEP_1)
	v_mad_i64_i32 v[0:1], null, v2, 36, v[3:4]
	global_load_b32 v0, v[0:1], off offset:4
	scratch_load_b32 v1, off, off offset:76 ; 4-byte Folded Reload
	s_waitcnt vmcnt(0)
	ds_store_b32 v1, v0
.LBB228_18:                             ;   in Loop: Header=BB228_7 Depth=1
	s_or_b32 exec_lo, exec_lo, s1
	s_and_saveexec_b32 s24, vcc_lo
	s_cbranch_execz .LBB228_21
; %bb.19:                               ;   in Loop: Header=BB228_7 Depth=1
	v_or_b32_e32 v0, s6, v156
	s_delay_alu instid0(VALU_DEP_1) | instskip(NEXT) | instid1(VALU_DEP_1)
	v_or_b32_e32 v1, 4, v0
	v_cmp_gt_i32_e64 s1, s8, v1
	s_delay_alu instid0(VALU_DEP_1) | instskip(NEXT) | instid1(SALU_CYCLE_1)
	s_and_b32 s1, s0, s1
	s_and_b32 exec_lo, exec_lo, s1
	s_cbranch_execz .LBB228_21
; %bb.20:                               ;   in Loop: Header=BB228_7 Depth=1
	scratch_load_b32 v2, off, off offset:12 ; 4-byte Folded Reload
	v_ashrrev_i32_e32 v1, 31, v0
	s_waitcnt vmcnt(0)
	v_add_co_u32 v2, s1, v2, v0
	scratch_load_b32 v0, off, off offset:92 ; 4-byte Folded Reload
	s_waitcnt vmcnt(0)
	v_add_co_ci_u32_e64 v3, s1, v0, v1, s1
	v_mad_u64_u32 v[0:1], null, v2, 36, s[14:15]
	s_delay_alu instid0(VALU_DEP_1)
	v_mad_i32_i24 v1, v3, 36, v1
	global_load_b32 v0, v[0:1], off
	scratch_load_b32 v1, off, off offset:84 ; 4-byte Folded Reload
	s_waitcnt vmcnt(1)
	v_cvt_f32_f16_e32 v0, v0
	s_waitcnt vmcnt(0)
	ds_store_b32 v1, v0
.LBB228_21:                             ;   in Loop: Header=BB228_7 Depth=1
	s_or_b32 exec_lo, exec_lo, s24
	s_waitcnt lgkmcnt(0)
	s_clause 0x1
	scratch_load_b32 v4, off, off offset:4
	scratch_load_b32 v5, off, off offset:8
	s_mov_b32 s1, 8
	s_mov_b32 s24, 0
	s_waitcnt vmcnt(0)
	s_barrier
	buffer_gl0_inv
.LBB228_22:                             ;   Parent Loop BB228_7 Depth=1
                                        ; =>  This Inner Loop Header: Depth=2
	ds_load_b128 v[0:3], v4
	ds_load_b128 v[122:125], v4 offset:16
	s_add_i32 s25, s24, 8
	s_and_b32 s28, s1, -16
	s_and_b32 s26, s25, 0x3ffffff8
	s_lshr_b32 s27, s25, 2
	s_lshl_b32 s26, s26, 2
	s_and_b32 s27, s27, 0x3ffffffc
	v_add_nc_u32_e32 v4, 32, v4
	v_add_nc_u32_e32 v37, s27, v64
	s_add_i32 s1, s1, 2
	s_waitcnt lgkmcnt(1)
	v_bfe_i32 v120, v2, 0, 8
	v_bfe_i32 v101, v2, 8, 8
	;; [unrolled: 1-line block ×3, first 2 shown]
	v_ashrrev_i32_e32 v96, 24, v2
	v_add_nc_u32_e32 v2, s26, v61
	v_bfe_i32 v118, v0, 0, 8
	v_bfe_i32 v111, v0, 8, 8
	v_bfe_i32 v117, v0, 16, 8
	v_ashrrev_i32_e32 v116, 24, v0
	v_bfe_i32 v119, v1, 0, 8
	v_bfe_i32 v112, v1, 8, 8
	v_bfe_i32 v105, v1, 16, 8
	v_ashrrev_i32_e32 v104, 24, v1
	;; [unrolled: 4-line block ×3, first 2 shown]
	s_waitcnt lgkmcnt(0)
	v_bfe_i32 v121, v122, 0, 8
	v_bfe_i32 v106, v122, 8, 8
	v_bfe_i32 v107, v122, 16, 8
	v_ashrrev_i32_e32 v113, 24, v122
	v_bfe_i32 v122, v123, 0, 8
	v_bfe_i32 v108, v123, 8, 8
	v_bfe_i32 v109, v123, 16, 8
	v_ashrrev_i32_e32 v110, 24, v123
	;; [unrolled: 4-line block ×4, first 2 shown]
	ds_load_2addr_b32 v[124:125], v2 offset1:1
	ds_load_2addr_b32 v[0:1], v2 offset0:2 offset1:3
	ds_load_2addr_b32 v[129:130], v2 offset0:4 offset1:5
	;; [unrolled: 1-line block ×3, first 2 shown]
	s_waitcnt lgkmcnt(3)
	v_ashrrev_i32_e32 v126, s24, v124
	v_ashrrev_i32_e32 v124, s24, v125
	s_waitcnt lgkmcnt(2)
	v_ashrrev_i32_e32 v0, s24, v0
	s_waitcnt lgkmcnt(1)
	v_ashrrev_i32_e32 v127, s24, v129
	v_ashrrev_i32_e32 v125, s24, v130
	v_and_b32_e32 v27, 3, v126
	v_and_b32_e32 v31, 3, v124
	;; [unrolled: 1-line block ×3, first 2 shown]
	s_waitcnt lgkmcnt(0)
	v_ashrrev_i32_e32 v2, s24, v2
	v_ashrrev_i32_e32 v1, s24, v1
	v_mul_i32_i24_e32 v27, v27, v118
	v_ashrrev_i32_e32 v3, s24, v3
	v_mul_i32_i24_e32 v32, v32, v120
	s_delay_alu instid0(VALU_DEP_3) | instskip(SKIP_1) | instid1(VALU_DEP_1)
	v_mad_i32_i24 v27, v31, v119, v27
	v_bfe_u32 v31, v126, 8, 2
	v_mul_i32_i24_e32 v31, v31, v111
	s_delay_alu instid0(VALU_DEP_1) | instskip(SKIP_3) | instid1(VALU_DEP_3)
	v_add3_u32 v128, v27, v32, v31
	v_and_b32_e32 v27, 3, v127
	v_and_b32_e32 v31, 3, v125
	;; [unrolled: 1-line block ×3, first 2 shown]
	v_mul_i32_i24_e32 v27, v27, v121
	s_delay_alu instid0(VALU_DEP_2) | instskip(NEXT) | instid1(VALU_DEP_2)
	v_mul_i32_i24_e32 v32, v32, v123
	v_mad_i32_i24 v27, v31, v122, v27
	v_bfe_u32 v31, v127, 8, 2
	s_delay_alu instid0(VALU_DEP_1) | instskip(NEXT) | instid1(VALU_DEP_1)
	v_mul_i32_i24_e32 v31, v31, v106
	v_add3_u32 v129, v27, v32, v31
	v_add_nc_u32_e32 v27, s26, v63
	v_add_nc_u32_e32 v31, s27, v62
	ds_load_2addr_b32 v[131:132], v27 offset0:2 offset1:3
	ds_load_b32 v130, v31
	ds_load_2addr_b32 v[133:134], v27 offset1:1
	s_waitcnt lgkmcnt(2)
	v_ashrrev_i32_e32 v35, s24, v131
	s_waitcnt lgkmcnt(0)
	v_ashrrev_i32_e32 v31, s24, v133
	v_ashrrev_i32_e32 v32, s24, v134
	s_delay_alu instid0(VALU_DEP_3) | instskip(NEXT) | instid1(VALU_DEP_3)
	v_and_b32_e32 v36, 3, v35
	v_and_b32_e32 v33, 3, v31
	s_delay_alu instid0(VALU_DEP_3) | instskip(NEXT) | instid1(VALU_DEP_3)
	v_and_b32_e32 v34, 3, v32
	v_mul_i32_i24_e32 v36, v36, v120
	s_delay_alu instid0(VALU_DEP_3) | instskip(NEXT) | instid1(VALU_DEP_1)
	v_mul_i32_i24_e32 v33, v33, v118
	v_mad_i32_i24 v33, v34, v119, v33
	v_bfe_u32 v34, v31, 8, 2
	s_delay_alu instid0(VALU_DEP_1) | instskip(NEXT) | instid1(VALU_DEP_1)
	v_mul_i32_i24_e32 v34, v34, v111
	v_add3_u32 v33, v33, v36, v34
	v_add_nc_u32_e32 v34, s24, v75
	s_delay_alu instid0(VALU_DEP_1)
	v_add3_u32 v36, v83, s28, v34
	ds_load_u16 v36, v36
	ds_load_b32 v37, v37
	ds_load_2addr_b32 v[133:134], v27 offset0:4 offset1:5
	ds_load_2addr_b32 v[135:136], v27 offset0:6 offset1:7
	s_waitcnt lgkmcnt(1)
	v_ashrrev_i32_e32 v27, s24, v133
	v_ashrrev_i32_e32 v38, s24, v134
	s_waitcnt lgkmcnt(0)
	v_ashrrev_i32_e32 v41, s24, v135
	s_delay_alu instid0(VALU_DEP_3) | instskip(NEXT) | instid1(VALU_DEP_3)
	v_and_b32_e32 v39, 3, v27
	v_and_b32_e32 v40, 3, v38
	s_delay_alu instid0(VALU_DEP_3) | instskip(NEXT) | instid1(VALU_DEP_3)
	v_and_b32_e32 v42, 3, v41
	v_mul_i32_i24_e32 v39, v39, v121
	s_delay_alu instid0(VALU_DEP_2) | instskip(NEXT) | instid1(VALU_DEP_2)
	v_mul_i32_i24_e32 v42, v42, v123
	v_mad_i32_i24 v39, v40, v122, v39
	v_bfe_u32 v40, v27, 8, 2
	s_delay_alu instid0(VALU_DEP_1) | instskip(NEXT) | instid1(VALU_DEP_1)
	v_mul_i32_i24_e32 v40, v40, v106
	v_add3_u32 v39, v39, v42, v40
	v_add_nc_u32_e32 v40, s26, v65
	ds_load_2addr_b32 v[133:134], v40 offset1:1
	ds_load_2addr_b32 v[137:138], v40 offset0:2 offset1:3
	ds_load_2addr_b32 v[139:140], v40 offset0:4 offset1:5
	;; [unrolled: 1-line block ×3, first 2 shown]
	s_waitcnt lgkmcnt(3)
	v_ashrrev_i32_e32 v40, s24, v133
	v_ashrrev_i32_e32 v42, s24, v134
	s_waitcnt lgkmcnt(2)
	v_ashrrev_i32_e32 v46, s24, v137
	s_waitcnt lgkmcnt(0)
	v_ashrrev_i32_e32 v70, s24, v141
	v_and_b32_e32 v43, 3, v40
	v_and_b32_e32 v44, 3, v42
	v_and_b32_e32 v58, 3, v46
	s_delay_alu instid0(VALU_DEP_4) | instskip(NEXT) | instid1(VALU_DEP_4)
	v_and_b32_e32 v71, 3, v70
	v_mul_i32_i24_e32 v43, v43, v118
	s_delay_alu instid0(VALU_DEP_3) | instskip(NEXT) | instid1(VALU_DEP_3)
	v_mul_i32_i24_e32 v58, v58, v120
	v_mul_i32_i24_e32 v71, v71, v123
	s_delay_alu instid0(VALU_DEP_3) | instskip(SKIP_1) | instid1(VALU_DEP_1)
	v_mad_i32_i24 v43, v44, v119, v43
	v_bfe_u32 v44, v40, 8, 2
	v_mul_i32_i24_e32 v44, v44, v111
	s_delay_alu instid0(VALU_DEP_1) | instskip(SKIP_2) | instid1(VALU_DEP_2)
	v_add3_u32 v43, v43, v58, v44
	v_ashrrev_i32_e32 v44, s24, v139
	v_ashrrev_i32_e32 v58, s24, v140
	v_and_b32_e32 v59, 3, v44
	s_delay_alu instid0(VALU_DEP_2) | instskip(NEXT) | instid1(VALU_DEP_2)
	v_and_b32_e32 v66, 3, v58
	v_mul_i32_i24_e32 v59, v59, v121
	s_delay_alu instid0(VALU_DEP_1) | instskip(SKIP_1) | instid1(VALU_DEP_1)
	v_mad_i32_i24 v59, v66, v122, v59
	v_bfe_u32 v66, v44, 8, 2
	v_mul_i32_i24_e32 v66, v66, v106
	s_delay_alu instid0(VALU_DEP_1)
	v_add3_u32 v59, v59, v71, v66
	v_add_nc_u32_e32 v66, s26, v68
	v_add_nc_u32_e32 v71, s27, v67
	ds_load_2addr_b32 v[133:134], v66 offset0:2 offset1:3
	ds_load_b32 v71, v71
	ds_load_2addr_b32 v[139:140], v66 offset1:1
	s_waitcnt lgkmcnt(2)
	v_ashrrev_i32_e32 v131, s24, v133
	s_waitcnt lgkmcnt(0)
	v_ashrrev_i32_e32 v72, s24, v139
	v_ashrrev_i32_e32 v73, s24, v140
	s_delay_alu instid0(VALU_DEP_3) | instskip(NEXT) | instid1(VALU_DEP_3)
	v_and_b32_e32 v133, 3, v131
	v_and_b32_e32 v79, 3, v72
	s_delay_alu instid0(VALU_DEP_3) | instskip(NEXT) | instid1(VALU_DEP_3)
	v_and_b32_e32 v80, 3, v73
	v_mul_i32_i24_e32 v133, v133, v120
	s_delay_alu instid0(VALU_DEP_3) | instskip(SKIP_1) | instid1(VALU_DEP_2)
	v_mul_i32_i24_e32 v79, v79, v118
	v_add_nc_u32_e32 v118, v119, v118
	v_mad_i32_i24 v79, v80, v119, v79
	v_bfe_u32 v80, v72, 8, 2
	s_delay_alu instid0(VALU_DEP_3) | instskip(SKIP_1) | instid1(VALU_DEP_3)
	v_add3_u32 v118, v118, v120, v114
	v_add3_u32 v120, v84, s28, v34
	v_mul_i32_i24_e32 v80, v80, v111
	v_add_nc_u32_e32 v111, v112, v111
	s_delay_alu instid0(VALU_DEP_2)
	v_add3_u32 v79, v79, v133, v80
	v_add3_u32 v80, v81, s28, v34
	v_add_nc_u32_e32 v133, s27, v69
	v_add3_u32 v34, v82, s28, v34
	v_add3_u32 v111, v111, v101, v97
	ds_load_u16 v80, v80
	ds_load_b32 v133, v133
	ds_load_2addr_b32 v[139:140], v66 offset0:4 offset1:5
	ds_load_2addr_b32 v[143:144], v66 offset0:6 offset1:7
	ds_load_u16 v120, v120
	ds_load_u16 v34, v34
	s_waitcnt lgkmcnt(3)
	v_ashrrev_i32_e32 v66, s24, v139
	v_ashrrev_i32_e32 v135, s24, v140
	s_waitcnt lgkmcnt(2)
	v_ashrrev_i32_e32 v140, s24, v143
	s_delay_alu instid0(VALU_DEP_3) | instskip(NEXT) | instid1(VALU_DEP_3)
	v_and_b32_e32 v137, 3, v66
	v_and_b32_e32 v139, 3, v135
	s_delay_alu instid0(VALU_DEP_3) | instskip(NEXT) | instid1(VALU_DEP_3)
	v_and_b32_e32 v141, 3, v140
	v_mul_i32_i24_e32 v137, v137, v121
	v_add_nc_u32_e32 v121, v122, v121
	s_delay_alu instid0(VALU_DEP_3) | instskip(NEXT) | instid1(VALU_DEP_3)
	v_mul_i32_i24_e32 v141, v141, v123
	v_mad_i32_i24 v137, v139, v122, v137
	v_bfe_u32 v139, v66, 8, 2
	s_delay_alu instid0(VALU_DEP_4)
	v_add3_u32 v119, v121, v123, v115
	s_waitcnt lgkmcnt(1)
	v_lshrrev_b16 v123, 8, v120
	v_add_nc_u32_e32 v121, v104, v116
	v_add_nc_u32_e32 v122, v105, v117
	v_mul_i32_i24_e32 v139, v139, v106
	s_delay_alu instid0(VALU_DEP_4) | instskip(NEXT) | instid1(VALU_DEP_4)
	v_and_b32_e32 v123, 0xffff, v123
	v_add3_u32 v121, v121, v96, v6
	s_delay_alu instid0(VALU_DEP_4) | instskip(NEXT) | instid1(VALU_DEP_4)
	v_add3_u32 v122, v122, v100, v7
	v_add3_u32 v137, v137, v141, v139
	v_bfe_u32 v139, v120, 4, 4
	v_lshrrev_b32_e32 v143, 4, v123
	s_delay_alu instid0(VALU_DEP_2) | instskip(SKIP_1) | instid1(VALU_DEP_1)
	v_mul_lo_u32 v141, 0x1010101, v139
	v_mul_i32_i24_e32 v139, v139, v118
	v_mad_i32_i24 v139, v143, v119, v139
	s_delay_alu instid0(VALU_DEP_3) | instskip(SKIP_1) | instid1(VALU_DEP_2)
	v_lshrrev_b32_e32 v145, 24, v141
	v_bfe_i32 v146, v141, 16, 8
	v_mul_i32_i24_e32 v145, v121, v145
	s_delay_alu instid0(VALU_DEP_2) | instskip(NEXT) | instid1(VALU_DEP_1)
	v_mul_i32_i24_e32 v146, v122, v146
	v_add3_u32 v139, v139, v145, v146
	s_waitcnt lgkmcnt(0)
	v_bfe_u32 v146, v34, 4, 4
	v_lshrrev_b16 v145, 8, v34
	s_delay_alu instid0(VALU_DEP_2) | instskip(NEXT) | instid1(VALU_DEP_2)
	v_mul_lo_u32 v147, 0x1010101, v146
	v_and_b32_e32 v145, 0xffff, v145
	v_mul_i32_i24_e32 v146, v146, v118
	s_delay_alu instid0(VALU_DEP_2) | instskip(NEXT) | instid1(VALU_DEP_4)
	v_lshrrev_b32_e32 v148, 4, v145
	v_lshrrev_b32_e32 v149, 24, v147
	v_bfe_i32 v150, v147, 16, 8
	s_delay_alu instid0(VALU_DEP_3) | instskip(NEXT) | instid1(VALU_DEP_3)
	v_mad_i32_i24 v146, v148, v119, v146
	v_mul_i32_i24_e32 v149, v121, v149
	s_delay_alu instid0(VALU_DEP_3) | instskip(NEXT) | instid1(VALU_DEP_1)
	v_mul_i32_i24_e32 v150, v122, v150
	v_add3_u32 v146, v146, v149, v150
	v_bfe_u32 v150, v36, 4, 4
	v_lshrrev_b16 v149, 8, v36
	s_delay_alu instid0(VALU_DEP_2) | instskip(NEXT) | instid1(VALU_DEP_2)
	v_mul_lo_u32 v151, 0x1010101, v150
	v_and_b32_e32 v149, 0xffff, v149
	v_mul_i32_i24_e32 v150, v150, v118
	s_delay_alu instid0(VALU_DEP_2) | instskip(NEXT) | instid1(VALU_DEP_4)
	v_lshrrev_b32_e32 v152, 4, v149
	v_lshrrev_b32_e32 v153, 24, v151
	v_bfe_i32 v154, v151, 16, 8
	s_delay_alu instid0(VALU_DEP_3) | instskip(NEXT) | instid1(VALU_DEP_3)
	v_mad_i32_i24 v150, v152, v119, v150
	v_mul_i32_i24_e32 v153, v121, v153
	s_delay_alu instid0(VALU_DEP_3) | instskip(NEXT) | instid1(VALU_DEP_1)
	v_mul_i32_i24_e32 v154, v122, v154
	v_add3_u32 v150, v150, v153, v154
	v_lshrrev_b16 v153, 8, v80
	v_bfe_u32 v154, v80, 4, 4
	s_delay_alu instid0(VALU_DEP_2) | instskip(NEXT) | instid1(VALU_DEP_2)
	v_and_b32_e32 v153, 0xffff, v153
	v_mul_i32_i24_e32 v118, v154, v118
	s_delay_alu instid0(VALU_DEP_2) | instskip(NEXT) | instid1(VALU_DEP_1)
	v_lshrrev_b32_e32 v155, 4, v153
	v_mad_i32_i24 v118, v155, v119, v118
	v_mul_lo_u32 v119, 0x1010101, v154
	s_delay_alu instid0(VALU_DEP_1) | instskip(NEXT) | instid1(VALU_DEP_1)
	v_lshrrev_b32_e32 v154, 24, v119
	v_mul_i32_i24_e32 v121, v121, v154
	v_bfe_i32 v154, v119, 16, 8
	v_bfe_i32 v119, v119, 8, 8
	s_delay_alu instid0(VALU_DEP_2) | instskip(NEXT) | instid1(VALU_DEP_1)
	v_mul_i32_i24_e32 v122, v122, v154
	v_add3_u32 v118, v118, v121, v122
	v_bfe_u32 v121, v126, 16, 2
	v_bfe_u32 v122, v126, 24, 2
	;; [unrolled: 1-line block ×3, first 2 shown]
	s_delay_alu instid0(VALU_DEP_3) | instskip(NEXT) | instid1(VALU_DEP_3)
	v_mul_i32_i24_e32 v121, v121, v117
	v_mul_i32_i24_e32 v122, v122, v116
	s_delay_alu instid0(VALU_DEP_3) | instskip(NEXT) | instid1(VALU_DEP_2)
	v_mul_i32_i24_e32 v126, v126, v113
	v_add3_u32 v121, v128, v121, v122
	v_bfe_u32 v122, v127, 16, 2
	v_mul_lo_u32 v127, 0x1010101, v152
	s_delay_alu instid0(VALU_DEP_2) | instskip(NEXT) | instid1(VALU_DEP_2)
	v_mul_i32_i24_e32 v122, v122, v107
	v_lshrrev_b32_e32 v128, 24, v127
	s_delay_alu instid0(VALU_DEP_2) | instskip(SKIP_2) | instid1(VALU_DEP_2)
	v_add3_u32 v122, v129, v122, v126
	v_bfe_u32 v126, v31, 16, 2
	v_bfe_u32 v31, v31, 24, 2
	v_mul_i32_i24_e32 v126, v126, v117
	s_delay_alu instid0(VALU_DEP_2) | instskip(NEXT) | instid1(VALU_DEP_1)
	v_mul_i32_i24_e32 v31, v31, v116
	v_add3_u32 v31, v33, v126, v31
	v_bfe_u32 v33, v27, 16, 2
	v_bfe_u32 v27, v27, 24, 2
	s_delay_alu instid0(VALU_DEP_2) | instskip(NEXT) | instid1(VALU_DEP_2)
	v_mul_i32_i24_e32 v33, v33, v107
	v_mul_i32_i24_e32 v27, v27, v113
	s_delay_alu instid0(VALU_DEP_1) | instskip(SKIP_3) | instid1(VALU_DEP_3)
	v_add3_u32 v27, v39, v33, v27
	v_bfe_u32 v33, v40, 16, 2
	v_bfe_u32 v39, v40, 24, 2
	;; [unrolled: 1-line block ×3, first 2 shown]
	v_mul_i32_i24_e32 v33, v33, v117
	s_delay_alu instid0(VALU_DEP_3) | instskip(NEXT) | instid1(VALU_DEP_3)
	v_mul_i32_i24_e32 v39, v39, v116
	v_mul_i32_i24_e32 v40, v40, v113
	s_delay_alu instid0(VALU_DEP_2) | instskip(SKIP_3) | instid1(VALU_DEP_3)
	v_add3_u32 v33, v43, v33, v39
	v_bfe_u32 v39, v44, 16, 2
	v_bfe_u32 v43, v72, 24, 2
	;; [unrolled: 1-line block ×3, first 2 shown]
	v_mul_i32_i24_e32 v39, v39, v107
	s_delay_alu instid0(VALU_DEP_3) | instskip(NEXT) | instid1(VALU_DEP_3)
	v_mul_i32_i24_e32 v43, v43, v116
	v_mul_i32_i24_e32 v44, v44, v113
	s_delay_alu instid0(VALU_DEP_3) | instskip(SKIP_3) | instid1(VALU_DEP_3)
	v_add3_u32 v39, v59, v39, v40
	v_bfe_u32 v40, v72, 16, 2
	v_and_b32_e32 v59, 3, v1
	v_bfe_u32 v72, v32, 8, 2
	v_mul_i32_i24_e32 v40, v40, v117
	s_delay_alu instid0(VALU_DEP_3) | instskip(NEXT) | instid1(VALU_DEP_3)
	v_mul_i32_i24_e32 v59, v59, v114
	v_mul_i32_i24_e32 v72, v72, v112
	s_delay_alu instid0(VALU_DEP_3) | instskip(SKIP_2) | instid1(VALU_DEP_2)
	v_add3_u32 v40, v79, v40, v43
	v_bfe_u32 v43, v66, 16, 2
	v_and_b32_e32 v66, 3, v3
	v_mul_i32_i24_e32 v43, v43, v107
	s_delay_alu instid0(VALU_DEP_2) | instskip(NEXT) | instid1(VALU_DEP_2)
	v_mul_i32_i24_e32 v66, v66, v115
	v_add3_u32 v43, v137, v43, v44
	v_bfe_u32 v44, v124, 8, 2
	s_delay_alu instid0(VALU_DEP_1) | instskip(NEXT) | instid1(VALU_DEP_1)
	v_mul_i32_i24_e32 v44, v44, v112
	v_add3_u32 v44, v121, v59, v44
	v_bfe_u32 v59, v125, 8, 2
	s_delay_alu instid0(VALU_DEP_1) | instskip(NEXT) | instid1(VALU_DEP_1)
	v_mul_i32_i24_e32 v59, v59, v108
	v_add3_u32 v59, v122, v66, v59
	v_ashrrev_i32_e32 v66, s24, v132
	v_mul_lo_u32 v122, 0x1010101, v148
	s_delay_alu instid0(VALU_DEP_2) | instskip(NEXT) | instid1(VALU_DEP_2)
	v_and_b32_e32 v79, 3, v66
	v_lshrrev_b32_e32 v126, 24, v122
	s_delay_alu instid0(VALU_DEP_2) | instskip(NEXT) | instid1(VALU_DEP_1)
	v_mul_i32_i24_e32 v79, v79, v114
	v_add3_u32 v31, v31, v79, v72
	v_ashrrev_i32_e32 v72, s24, v136
	v_bfe_u32 v79, v38, 8, 2
	s_delay_alu instid0(VALU_DEP_2) | instskip(NEXT) | instid1(VALU_DEP_2)
	v_and_b32_e32 v116, 3, v72
	v_mul_i32_i24_e32 v79, v79, v108
	s_delay_alu instid0(VALU_DEP_2) | instskip(NEXT) | instid1(VALU_DEP_1)
	v_mul_i32_i24_e32 v116, v116, v115
	v_add3_u32 v27, v27, v116, v79
	v_ashrrev_i32_e32 v79, s24, v138
	v_bfe_u32 v116, v42, 8, 2
	s_delay_alu instid0(VALU_DEP_2) | instskip(NEXT) | instid1(VALU_DEP_2)
	v_and_b32_e32 v117, 3, v79
	v_mul_i32_i24_e32 v116, v116, v112
	;; [unrolled: 8-line block ×3, first 2 shown]
	s_delay_alu instid0(VALU_DEP_2) | instskip(NEXT) | instid1(VALU_DEP_1)
	v_mul_i32_i24_e32 v121, v121, v115
	v_add3_u32 v39, v39, v121, v117
	v_ashrrev_i32_e32 v117, s24, v134
	s_delay_alu instid0(VALU_DEP_1) | instskip(NEXT) | instid1(VALU_DEP_1)
	v_and_b32_e32 v121, 3, v117
	v_mul_i32_i24_e32 v114, v121, v114
	v_bfe_u32 v121, v73, 8, 2
	s_delay_alu instid0(VALU_DEP_1) | instskip(SKIP_2) | instid1(VALU_DEP_3)
	v_mul_i32_i24_e32 v121, v121, v112
	v_add_nc_u32_e32 v112, v110, v113
	v_bfe_i32 v113, v141, 8, 8
	v_add3_u32 v40, v40, v114, v121
	v_ashrrev_i32_e32 v114, s24, v144
	s_delay_alu instid0(VALU_DEP_4) | instskip(NEXT) | instid1(VALU_DEP_4)
	v_add3_u32 v112, v112, v98, v94
	v_mul_i32_i24_e32 v113, v111, v113
	s_add_i32 s24, s24, 2
	s_cmp_lt_u32 s25, 14
	v_and_b32_e32 v121, 3, v114
	v_mul_i32_i24_e32 v126, v112, v126
	v_mul_i32_i24_e32 v128, v112, v128
	s_delay_alu instid0(VALU_DEP_3) | instskip(SKIP_1) | instid1(VALU_DEP_1)
	v_mul_i32_i24_e32 v115, v121, v115
	v_bfe_u32 v121, v135, 8, 2
	v_mul_i32_i24_e32 v121, v121, v108
	s_delay_alu instid0(VALU_DEP_1) | instskip(SKIP_1) | instid1(VALU_DEP_1)
	v_add3_u32 v43, v43, v115, v121
	v_mul_lo_u32 v115, 0x1010101, v143
	v_lshrrev_b32_e32 v121, 24, v115
	s_delay_alu instid0(VALU_DEP_1) | instskip(NEXT) | instid1(VALU_DEP_1)
	v_mul_i32_i24_e32 v121, v112, v121
	v_add3_u32 v113, v139, v113, v121
	v_bfe_i32 v121, v147, 8, 8
	s_delay_alu instid0(VALU_DEP_1) | instskip(NEXT) | instid1(VALU_DEP_1)
	v_mul_i32_i24_e32 v121, v111, v121
	v_add3_u32 v121, v146, v121, v126
	v_bfe_i32 v126, v151, 8, 8
	s_delay_alu instid0(VALU_DEP_1) | instskip(SKIP_2) | instid1(VALU_DEP_3)
	v_mul_i32_i24_e32 v126, v111, v126
	v_mul_i32_i24_e32 v111, v111, v119
	v_mul_lo_u32 v119, 0x1010101, v155
	v_add3_u32 v126, v150, v126, v128
	s_delay_alu instid0(VALU_DEP_2) | instskip(NEXT) | instid1(VALU_DEP_1)
	v_lshrrev_b32_e32 v128, 24, v119
	v_mul_i32_i24_e32 v112, v112, v128
	s_delay_alu instid0(VALU_DEP_1) | instskip(SKIP_2) | instid1(VALU_DEP_2)
	v_add3_u32 v111, v118, v111, v112
	v_bfe_u32 v112, v124, 16, 2
	v_bfe_u32 v118, v124, 24, 2
	v_mul_i32_i24_e32 v112, v112, v105
	s_delay_alu instid0(VALU_DEP_2) | instskip(NEXT) | instid1(VALU_DEP_1)
	v_mul_i32_i24_e32 v118, v118, v104
	v_add3_u32 v44, v44, v112, v118
	v_bfe_u32 v112, v125, 16, 2
	v_bfe_u32 v118, v125, 24, 2
	s_delay_alu instid0(VALU_DEP_2) | instskip(NEXT) | instid1(VALU_DEP_2)
	v_mul_i32_i24_e32 v112, v112, v109
	v_mul_i32_i24_e32 v118, v118, v110
	s_delay_alu instid0(VALU_DEP_1) | instskip(SKIP_2) | instid1(VALU_DEP_2)
	v_add3_u32 v59, v59, v112, v118
	v_bfe_u32 v112, v32, 16, 2
	v_bfe_u32 v32, v32, 24, 2
	v_mul_i32_i24_e32 v112, v112, v105
	s_delay_alu instid0(VALU_DEP_2) | instskip(NEXT) | instid1(VALU_DEP_1)
	v_mul_i32_i24_e32 v32, v32, v104
	v_add3_u32 v31, v31, v112, v32
	v_bfe_u32 v32, v38, 16, 2
	v_bfe_u32 v38, v38, 24, 2
	s_delay_alu instid0(VALU_DEP_2) | instskip(NEXT) | instid1(VALU_DEP_2)
	v_mul_i32_i24_e32 v32, v32, v109
	v_mul_i32_i24_e32 v38, v38, v110
	s_delay_alu instid0(VALU_DEP_1) | instskip(SKIP_3) | instid1(VALU_DEP_3)
	v_add3_u32 v27, v27, v32, v38
	v_bfe_u32 v32, v42, 16, 2
	v_bfe_u32 v38, v42, 24, 2
	v_add_nc_u32_e32 v42, v108, v106
	v_mul_i32_i24_e32 v32, v32, v105
	s_delay_alu instid0(VALU_DEP_3) | instskip(NEXT) | instid1(VALU_DEP_3)
	v_mul_i32_i24_e32 v38, v38, v104
	v_add3_u32 v42, v42, v103, v99
	s_delay_alu instid0(VALU_DEP_2) | instskip(SKIP_3) | instid1(VALU_DEP_3)
	v_add3_u32 v32, v33, v32, v38
	v_bfe_u32 v33, v58, 16, 2
	v_bfe_u32 v38, v58, 24, 2
	v_bfe_i32 v58, v115, 8, 8
	v_mul_i32_i24_e32 v33, v33, v109
	s_delay_alu instid0(VALU_DEP_3) | instskip(NEXT) | instid1(VALU_DEP_3)
	v_mul_i32_i24_e32 v38, v38, v110
	v_mul_i32_i24_e32 v58, v42, v58
	s_delay_alu instid0(VALU_DEP_2) | instskip(SKIP_3) | instid1(VALU_DEP_3)
	v_add3_u32 v33, v39, v33, v38
	v_bfe_u32 v38, v73, 16, 2
	v_bfe_u32 v39, v73, 24, 2
	v_bfe_i32 v73, v122, 8, 8
	v_mul_i32_i24_e32 v38, v38, v105
	s_delay_alu instid0(VALU_DEP_3) | instskip(NEXT) | instid1(VALU_DEP_3)
	v_mul_i32_i24_e32 v39, v39, v104
	v_mul_i32_i24_e32 v73, v42, v73
	v_bfe_i32 v104, v127, 8, 8
	s_delay_alu instid0(VALU_DEP_3) | instskip(SKIP_2) | instid1(VALU_DEP_4)
	v_add3_u32 v38, v40, v38, v39
	v_bfe_u32 v39, v135, 24, 2
	v_bfe_u32 v40, v135, 16, 2
	v_mul_i32_i24_e32 v104, v42, v104
	s_delay_alu instid0(VALU_DEP_3) | instskip(NEXT) | instid1(VALU_DEP_3)
	v_mul_i32_i24_e32 v39, v39, v110
	v_mul_i32_i24_e32 v40, v40, v109
	s_delay_alu instid0(VALU_DEP_1) | instskip(SKIP_2) | instid1(VALU_DEP_2)
	v_add3_u32 v39, v43, v40, v39
	v_add_nc_u32_e32 v40, v109, v107
	v_bfe_i32 v43, v115, 16, 8
	v_add3_u32 v40, v40, v102, v95
	s_delay_alu instid0(VALU_DEP_1) | instskip(NEXT) | instid1(VALU_DEP_1)
	v_mul_i32_i24_e32 v43, v40, v43
	v_add3_u32 v43, v113, v43, v58
	v_bfe_i32 v58, v122, 16, 8
	s_delay_alu instid0(VALU_DEP_1) | instskip(NEXT) | instid1(VALU_DEP_1)
	v_mul_i32_i24_e32 v58, v40, v58
	v_add3_u32 v58, v121, v58, v73
	v_bfe_i32 v73, v127, 16, 8
	;; [unrolled: 4-line block ×3, first 2 shown]
	s_delay_alu instid0(VALU_DEP_1) | instskip(SKIP_1) | instid1(VALU_DEP_1)
	v_mul_i32_i24_e32 v40, v40, v104
	v_bfe_i32 v104, v119, 8, 8
	v_mul_i32_i24_e32 v42, v42, v104
	v_bfe_u32 v104, v0, 16, 2
	s_delay_alu instid0(VALU_DEP_2) | instskip(SKIP_1) | instid1(VALU_DEP_3)
	v_add3_u32 v40, v111, v40, v42
	v_bfe_u32 v42, v0, 8, 2
	v_mul_i32_i24_e32 v104, v104, v100
	v_bfe_u32 v0, v0, 24, 2
	s_delay_alu instid0(VALU_DEP_3) | instskip(NEXT) | instid1(VALU_DEP_2)
	v_mul_i32_i24_e32 v42, v42, v101
	v_mul_i32_i24_e32 v0, v0, v96
	s_delay_alu instid0(VALU_DEP_2) | instskip(SKIP_3) | instid1(VALU_DEP_3)
	v_add3_u32 v42, v44, v42, v104
	v_bfe_u32 v44, v2, 8, 2
	v_bfe_u32 v104, v2, 16, 2
	;; [unrolled: 1-line block ×3, first 2 shown]
	v_mul_i32_i24_e32 v44, v44, v103
	s_delay_alu instid0(VALU_DEP_3) | instskip(NEXT) | instid1(VALU_DEP_3)
	v_mul_i32_i24_e32 v104, v104, v102
	v_mul_i32_i24_e32 v2, v2, v98
	s_delay_alu instid0(VALU_DEP_2) | instskip(SKIP_3) | instid1(VALU_DEP_3)
	v_add3_u32 v44, v59, v44, v104
	v_bfe_u32 v59, v35, 8, 2
	v_bfe_u32 v104, v35, 16, 2
	;; [unrolled: 1-line block ×3, first 2 shown]
	v_mul_i32_i24_e32 v59, v59, v101
	s_delay_alu instid0(VALU_DEP_3) | instskip(NEXT) | instid1(VALU_DEP_3)
	v_mul_i32_i24_e32 v104, v104, v100
	v_mul_i32_i24_e32 v35, v35, v96
	s_delay_alu instid0(VALU_DEP_2) | instskip(SKIP_2) | instid1(VALU_DEP_2)
	v_add3_u32 v31, v31, v59, v104
	v_bfe_u32 v59, v41, 8, 2
	v_bfe_u32 v104, v41, 16, 2
	v_mul_i32_i24_e32 v59, v59, v103
	s_delay_alu instid0(VALU_DEP_2) | instskip(NEXT) | instid1(VALU_DEP_1)
	v_mul_i32_i24_e32 v104, v104, v102
	v_add3_u32 v27, v27, v59, v104
	v_bfe_u32 v59, v46, 8, 2
	v_bfe_u32 v104, v46, 16, 2
	s_delay_alu instid0(VALU_DEP_2) | instskip(NEXT) | instid1(VALU_DEP_2)
	v_mul_i32_i24_e32 v59, v59, v101
	v_mul_i32_i24_e32 v104, v104, v100
	s_delay_alu instid0(VALU_DEP_1) | instskip(SKIP_2) | instid1(VALU_DEP_2)
	v_add3_u32 v32, v32, v59, v104
	v_bfe_u32 v59, v70, 8, 2
	v_bfe_u32 v104, v70, 16, 2
	v_mul_i32_i24_e32 v59, v59, v103
	s_delay_alu instid0(VALU_DEP_2) | instskip(NEXT) | instid1(VALU_DEP_1)
	v_mul_i32_i24_e32 v104, v104, v102
	v_add3_u32 v33, v33, v59, v104
	v_bfe_u32 v59, v131, 8, 2
	s_delay_alu instid0(VALU_DEP_1) | instskip(SKIP_1) | instid1(VALU_DEP_1)
	v_mul_i32_i24_e32 v59, v59, v101
	v_bfe_u32 v101, v131, 16, 2
	v_mul_i32_i24_e32 v100, v101, v100
	s_delay_alu instid0(VALU_DEP_1) | instskip(SKIP_2) | instid1(VALU_DEP_2)
	v_add3_u32 v38, v38, v59, v100
	v_bfe_u32 v59, v140, 8, 2
	v_bfe_u32 v100, v140, 16, 2
	v_mul_i32_i24_e32 v59, v59, v103
	s_delay_alu instid0(VALU_DEP_2) | instskip(NEXT) | instid1(VALU_DEP_1)
	v_mul_i32_i24_e32 v100, v100, v102
	v_add3_u32 v39, v39, v59, v100
	v_bfe_u32 v59, v1, 8, 2
	s_delay_alu instid0(VALU_DEP_1) | instskip(NEXT) | instid1(VALU_DEP_1)
	v_mul_i32_i24_e32 v59, v59, v97
	v_add3_u32 v0, v42, v0, v59
	v_bfe_u32 v42, v3, 8, 2
	s_delay_alu instid0(VALU_DEP_1) | instskip(NEXT) | instid1(VALU_DEP_1)
	;; [unrolled: 4-line block ×3, first 2 shown]
	v_mul_i32_i24_e32 v42, v42, v97
	v_add3_u32 v31, v31, v35, v42
	v_bfe_u32 v35, v41, 24, 2
	v_bfe_u32 v41, v72, 8, 2
	s_delay_alu instid0(VALU_DEP_2) | instskip(NEXT) | instid1(VALU_DEP_2)
	v_mul_i32_i24_e32 v35, v35, v98
	v_mul_i32_i24_e32 v41, v41, v99
	s_delay_alu instid0(VALU_DEP_1) | instskip(SKIP_2) | instid1(VALU_DEP_2)
	v_add3_u32 v27, v27, v35, v41
	v_bfe_u32 v35, v46, 24, 2
	v_bfe_u32 v41, v79, 8, 2
	v_mul_i32_i24_e32 v35, v35, v96
	s_delay_alu instid0(VALU_DEP_2) | instskip(NEXT) | instid1(VALU_DEP_1)
	v_mul_i32_i24_e32 v41, v41, v97
	v_add3_u32 v32, v32, v35, v41
	v_bfe_u32 v35, v70, 24, 2
	v_bfe_u32 v41, v116, 8, 2
	s_delay_alu instid0(VALU_DEP_2) | instskip(NEXT) | instid1(VALU_DEP_2)
	v_mul_i32_i24_e32 v35, v35, v98
	v_mul_i32_i24_e32 v41, v41, v99
	s_delay_alu instid0(VALU_DEP_1) | instskip(SKIP_2) | instid1(VALU_DEP_2)
	v_add3_u32 v33, v33, v35, v41
	v_bfe_u32 v35, v131, 24, 2
	v_bfe_u32 v41, v117, 8, 2
	v_mul_i32_i24_e32 v35, v35, v96
	s_delay_alu instid0(VALU_DEP_2) | instskip(NEXT) | instid1(VALU_DEP_1)
	;; [unrolled: 13-line block ×3, first 2 shown]
	v_mul_i32_i24_e32 v1, v1, v6
	v_add3_u32 v0, v0, v39, v1
	v_bfe_u32 v1, v3, 16, 2
	v_bfe_u32 v3, v3, 24, 2
	ds_load_b32 v39, v5
	v_add_nc_u32_e32 v5, 4, v5
	v_mul_i32_i24_e32 v1, v1, v95
	v_mul_i32_i24_e32 v3, v3, v94
	s_delay_alu instid0(VALU_DEP_1) | instskip(SKIP_2) | instid1(VALU_DEP_2)
	v_add3_u32 v3, v2, v1, v3
	v_bfe_u32 v1, v66, 16, 2
	v_bfe_u32 v2, v66, 24, 2
	v_mul_i32_i24_e32 v1, v1, v7
	s_delay_alu instid0(VALU_DEP_2) | instskip(NEXT) | instid1(VALU_DEP_1)
	v_mul_i32_i24_e32 v2, v2, v6
	v_add3_u32 v31, v31, v1, v2
	v_bfe_u32 v1, v72, 16, 2
	v_bfe_u32 v2, v72, 24, 2
	s_delay_alu instid0(VALU_DEP_2) | instskip(NEXT) | instid1(VALU_DEP_2)
	v_mul_i32_i24_e32 v1, v1, v95
	v_mul_i32_i24_e32 v2, v2, v94
	s_delay_alu instid0(VALU_DEP_1) | instskip(SKIP_2) | instid1(VALU_DEP_2)
	v_add3_u32 v27, v27, v1, v2
	v_bfe_u32 v1, v79, 16, 2
	v_bfe_u32 v2, v79, 24, 2
	v_mul_i32_i24_e32 v1, v1, v7
	s_delay_alu instid0(VALU_DEP_2) | instskip(NEXT) | instid1(VALU_DEP_1)
	v_mul_i32_i24_e32 v2, v2, v6
	v_add3_u32 v32, v32, v1, v2
	v_bfe_u32 v1, v116, 16, 2
	v_bfe_u32 v2, v116, 24, 2
	s_delay_alu instid0(VALU_DEP_2) | instskip(NEXT) | instid1(VALU_DEP_2)
	v_mul_i32_i24_e32 v1, v1, v95
	v_mul_i32_i24_e32 v2, v2, v94
	s_delay_alu instid0(VALU_DEP_1) | instskip(SKIP_2) | instid1(VALU_DEP_2)
	v_add3_u32 v33, v33, v1, v2
	v_bfe_u32 v1, v117, 16, 2
	v_bfe_u32 v2, v117, 24, 2
	v_mul_i32_i24_e32 v1, v1, v7
	s_delay_alu instid0(VALU_DEP_2) | instskip(SKIP_2) | instid1(VALU_DEP_3)
	v_mul_i32_i24_e32 v2, v2, v6
	v_and_b32_e32 v6, 15, v123
	v_and_b32_e32 v7, 15, v149
	v_add3_u32 v35, v35, v1, v2
	v_bfe_u32 v1, v114, 16, 2
	v_bfe_u32 v2, v114, 24, 2
	s_delay_alu instid0(VALU_DEP_2) | instskip(NEXT) | instid1(VALU_DEP_2)
	v_mul_i32_i24_e32 v1, v1, v95
	v_mul_i32_i24_e32 v2, v2, v94
	s_delay_alu instid0(VALU_DEP_1) | instskip(SKIP_1) | instid1(VALU_DEP_1)
	v_add3_u32 v38, v38, v1, v2
	v_and_b32_e32 v1, 15, v120
	v_mul_lo_u32 v0, v0, v1
	s_delay_alu instid0(VALU_DEP_1) | instskip(SKIP_4) | instid1(VALU_DEP_4)
	v_mad_u64_u32 v[1:2], null, v3, v6, v[0:1]
	v_and_b32_e32 v0, 15, v36
	v_and_b32_e32 v6, 15, v34
	;; [unrolled: 1-line block ×3, first 2 shown]
	v_lshrrev_b32_e32 v36, 16, v130
	v_mul_lo_u32 v0, v31, v0
	v_and_b32_e32 v31, 15, v145
	s_delay_alu instid0(VALU_DEP_2)
	v_mad_u64_u32 v[2:3], null, v27, v7, v[0:1]
	v_mul_lo_u32 v0, v32, v6
	v_and_b32_e32 v32, 15, v153
	v_lshrrev_b32_e32 v3, 16, v37
	v_lshrrev_b32_e32 v27, 16, v71
	v_cvt_f32_i32_e32 v2, v2
	s_delay_alu instid0(VALU_DEP_3)
	v_cvt_f32_f16_e32 v3, v3
	v_mad_u64_u32 v[6:7], null, v33, v31, v[0:1]
	v_mul_lo_u32 v0, v35, v34
	v_lshrrev_b32_e32 v7, 16, v133
	v_cvt_f32_f16_e32 v31, v36
	v_cvt_f32_f16_e32 v27, v27
	v_cvt_f32_i32_e32 v33, v43
	v_cvt_f32_i32_e32 v34, v58
	v_cvt_f32_f16_e32 v7, v7
	v_cvt_f32_i32_e32 v35, v73
	v_mad_u64_u32 v[94:95], null, v38, v32, v[0:1]
	v_cvt_f32_i32_e32 v36, v40
	v_mul_f32_e32 v0, v31, v33
	v_mul_f32_e32 v27, v27, v34
	;; [unrolled: 1-line block ×3, first 2 shown]
	v_cvt_f32_i32_e32 v1, v1
	v_mul_f32_e32 v7, v7, v36
	v_cvt_f32_i32_e32 v6, v6
	v_cvt_f32_i32_e32 v31, v94
	s_delay_alu instid0(VALU_DEP_4) | instskip(SKIP_1) | instid1(VALU_DEP_4)
	v_fma_mix_f32 v0, v130, v1, -v0 op_sel_hi:[1,0,0]
	v_fma_mix_f32 v1, v37, v2, -v3 op_sel_hi:[1,0,0]
	;; [unrolled: 1-line block ×3, first 2 shown]
	s_delay_alu instid0(VALU_DEP_4)
	v_fma_mix_f32 v3, v133, v31, -v7 op_sel_hi:[1,0,0]
	s_waitcnt lgkmcnt(0)
	v_fmac_f32_e32 v29, v39, v0
	v_fmac_f32_e32 v60, v39, v1
	;; [unrolled: 1-line block ×4, first 2 shown]
	s_cbranch_scc1 .LBB228_22
; %bb.23:                               ;   in Loop: Header=BB228_7 Depth=1
	s_or_b32 s1, s23, 0x100
	s_delay_alu instid0(SALU_CYCLE_1)
	s_cmp_ge_i32 s1, s5
	s_barrier
	buffer_gl0_inv
	s_cbranch_scc1 .LBB228_41
; %bb.24:                               ;   in Loop: Header=BB228_7 Depth=1
	scratch_load_b32 v0, off, off offset:88 ; 4-byte Folded Reload
	s_waitcnt vmcnt(0)
	v_add_nc_u32_e32 v0, s6, v0
	s_delay_alu instid0(VALU_DEP_1) | instskip(NEXT) | instid1(VALU_DEP_1)
	v_cmp_gt_i32_e64 s1, s8, v0
	s_and_b32 s24, s0, s1
	s_delay_alu instid0(SALU_CYCLE_1)
	s_and_saveexec_b32 s1, s24
	s_cbranch_execz .LBB228_26
; %bb.25:                               ;   in Loop: Header=BB228_7 Depth=1
	s_clause 0x1
	scratch_load_b32 v1, off, off offset:12
	scratch_load_b64 v[3:4], off, off offset:68
	s_waitcnt vmcnt(1)
	v_add_nc_u32_e32 v2, v1, v0
	s_waitcnt vmcnt(0)
	s_delay_alu instid0(VALU_DEP_1)
	v_mad_i64_i32 v[0:1], null, v2, 36, v[3:4]
	global_load_b32 v0, v[0:1], off offset:4
	scratch_load_b32 v1, off, off offset:76 ; 4-byte Folded Reload
	s_waitcnt vmcnt(0)
	ds_store_b32 v1, v0
.LBB228_26:                             ;   in Loop: Header=BB228_7 Depth=1
	s_or_b32 exec_lo, exec_lo, s1
	s_and_saveexec_b32 s24, vcc_lo
	s_cbranch_execz .LBB228_29
; %bb.27:                               ;   in Loop: Header=BB228_7 Depth=1
	v_or_b32_e32 v0, s6, v156
	s_delay_alu instid0(VALU_DEP_1) | instskip(NEXT) | instid1(VALU_DEP_1)
	v_or_b32_e32 v1, 8, v0
	v_cmp_gt_i32_e64 s1, s8, v1
	s_delay_alu instid0(VALU_DEP_1) | instskip(NEXT) | instid1(SALU_CYCLE_1)
	s_and_b32 s1, s0, s1
	s_and_b32 exec_lo, exec_lo, s1
	s_cbranch_execz .LBB228_29
; %bb.28:                               ;   in Loop: Header=BB228_7 Depth=1
	scratch_load_b32 v2, off, off offset:12 ; 4-byte Folded Reload
	v_ashrrev_i32_e32 v1, 31, v0
	s_waitcnt vmcnt(0)
	v_add_co_u32 v2, s1, v2, v0
	scratch_load_b32 v0, off, off offset:92 ; 4-byte Folded Reload
	s_waitcnt vmcnt(0)
	v_add_co_ci_u32_e64 v3, s1, v0, v1, s1
	v_mad_u64_u32 v[0:1], null, v2, 36, s[16:17]
	s_delay_alu instid0(VALU_DEP_1)
	v_mad_i32_i24 v1, v3, 36, v1
	global_load_b32 v0, v[0:1], off
	scratch_load_b32 v1, off, off offset:84 ; 4-byte Folded Reload
	s_waitcnt vmcnt(1)
	v_cvt_f32_f16_e32 v0, v0
	s_waitcnt vmcnt(0)
	ds_store_b32 v1, v0
.LBB228_29:                             ;   in Loop: Header=BB228_7 Depth=1
	s_or_b32 exec_lo, exec_lo, s24
	s_waitcnt lgkmcnt(0)
	s_clause 0x1
	scratch_load_b32 v4, off, off offset:4
	scratch_load_b32 v5, off, off offset:8
	s_mov_b32 s1, 16
	s_mov_b32 s24, 14
	s_waitcnt vmcnt(0)
	s_barrier
	buffer_gl0_inv
.LBB228_30:                             ;   Parent Loop BB228_7 Depth=1
                                        ; =>  This Inner Loop Header: Depth=2
	ds_load_b128 v[0:3], v4
	ds_load_b128 v[122:125], v4 offset:16
	s_add_i32 s25, s24, 2
	s_add_i32 s26, s24, -14
	s_and_b32 s27, s25, 0x3ffffff8
	s_lshr_b32 s28, s25, 2
	s_lshl_b32 s27, s27, 2
	s_and_b32 s28, s28, 0x3ffffffc
	s_and_b32 s29, s1, -16
	s_add_i32 s1, s1, 2
	s_add_i32 s24, s24, s29
	s_cmp_lt_u32 s25, 22
	s_waitcnt lgkmcnt(1)
	v_bfe_i32 v120, v2, 0, 8
	v_bfe_i32 v101, v2, 8, 8
	;; [unrolled: 1-line block ×3, first 2 shown]
	v_ashrrev_i32_e32 v96, 24, v2
	v_add_nc_u32_e32 v2, s27, v61
	v_bfe_i32 v118, v0, 0, 8
	v_bfe_i32 v111, v0, 8, 8
	v_bfe_i32 v117, v0, 16, 8
	v_ashrrev_i32_e32 v116, 24, v0
	v_bfe_i32 v119, v1, 0, 8
	v_bfe_i32 v112, v1, 8, 8
	v_bfe_i32 v105, v1, 16, 8
	v_ashrrev_i32_e32 v104, 24, v1
	v_bfe_i32 v114, v3, 0, 8
	v_bfe_i32 v97, v3, 8, 8
	v_bfe_i32 v7, v3, 16, 8
	v_ashrrev_i32_e32 v6, 24, v3
	s_waitcnt lgkmcnt(0)
	v_bfe_i32 v121, v122, 0, 8
	v_bfe_i32 v106, v122, 8, 8
	v_bfe_i32 v107, v122, 16, 8
	v_ashrrev_i32_e32 v113, 24, v122
	v_bfe_i32 v122, v123, 0, 8
	v_bfe_i32 v108, v123, 8, 8
	v_bfe_i32 v109, v123, 16, 8
	v_ashrrev_i32_e32 v110, 24, v123
	;; [unrolled: 4-line block ×4, first 2 shown]
	ds_load_2addr_b32 v[124:125], v2 offset1:1
	ds_load_2addr_b32 v[0:1], v2 offset0:2 offset1:3
	ds_load_2addr_b32 v[129:130], v2 offset0:4 offset1:5
	;; [unrolled: 1-line block ×3, first 2 shown]
	s_waitcnt lgkmcnt(3)
	v_ashrrev_i32_e32 v126, s26, v124
	v_ashrrev_i32_e32 v124, s26, v125
	s_waitcnt lgkmcnt(2)
	v_ashrrev_i32_e32 v0, s26, v0
	s_waitcnt lgkmcnt(1)
	v_ashrrev_i32_e32 v127, s26, v129
	v_ashrrev_i32_e32 v125, s26, v130
	v_and_b32_e32 v27, 3, v126
	v_and_b32_e32 v31, 3, v124
	;; [unrolled: 1-line block ×3, first 2 shown]
	s_waitcnt lgkmcnt(0)
	v_ashrrev_i32_e32 v2, s26, v2
	v_ashrrev_i32_e32 v1, s26, v1
	v_mul_i32_i24_e32 v27, v27, v118
	v_ashrrev_i32_e32 v3, s26, v3
	v_mul_i32_i24_e32 v32, v32, v120
	s_delay_alu instid0(VALU_DEP_3) | instskip(SKIP_1) | instid1(VALU_DEP_1)
	v_mad_i32_i24 v27, v31, v119, v27
	v_bfe_u32 v31, v126, 8, 2
	v_mul_i32_i24_e32 v31, v31, v111
	s_delay_alu instid0(VALU_DEP_1) | instskip(SKIP_3) | instid1(VALU_DEP_3)
	v_add3_u32 v128, v27, v32, v31
	v_and_b32_e32 v27, 3, v127
	v_and_b32_e32 v31, 3, v125
	;; [unrolled: 1-line block ×3, first 2 shown]
	v_mul_i32_i24_e32 v27, v27, v121
	s_delay_alu instid0(VALU_DEP_2) | instskip(NEXT) | instid1(VALU_DEP_2)
	v_mul_i32_i24_e32 v32, v32, v123
	v_mad_i32_i24 v27, v31, v122, v27
	v_bfe_u32 v31, v127, 8, 2
	s_delay_alu instid0(VALU_DEP_1) | instskip(NEXT) | instid1(VALU_DEP_1)
	v_mul_i32_i24_e32 v31, v31, v106
	v_add3_u32 v129, v27, v32, v31
	v_add_nc_u32_e32 v27, s27, v63
	v_add_nc_u32_e32 v31, s28, v62
	ds_load_2addr_b32 v[131:132], v27 offset0:2 offset1:3
	ds_load_b32 v130, v31
	ds_load_2addr_b32 v[133:134], v27 offset1:1
	s_waitcnt lgkmcnt(2)
	v_ashrrev_i32_e32 v35, s26, v131
	s_waitcnt lgkmcnt(0)
	v_ashrrev_i32_e32 v31, s26, v133
	v_ashrrev_i32_e32 v32, s26, v134
	s_delay_alu instid0(VALU_DEP_3) | instskip(NEXT) | instid1(VALU_DEP_3)
	v_and_b32_e32 v36, 3, v35
	v_and_b32_e32 v33, 3, v31
	s_delay_alu instid0(VALU_DEP_3) | instskip(NEXT) | instid1(VALU_DEP_3)
	v_and_b32_e32 v34, 3, v32
	v_mul_i32_i24_e32 v36, v36, v120
	s_delay_alu instid0(VALU_DEP_3) | instskip(NEXT) | instid1(VALU_DEP_1)
	v_mul_i32_i24_e32 v33, v33, v118
	v_mad_i32_i24 v33, v34, v119, v33
	v_bfe_u32 v34, v31, 8, 2
	s_delay_alu instid0(VALU_DEP_1) | instskip(NEXT) | instid1(VALU_DEP_1)
	v_mul_i32_i24_e32 v34, v34, v111
	v_add3_u32 v33, v33, v36, v34
	v_add_nc_u32_e32 v34, s24, v87
	v_add_nc_u32_e32 v36, s28, v64
	ds_load_u16 v34, v34 offset:17906
	ds_load_b32 v36, v36
	ds_load_2addr_b32 v[133:134], v27 offset0:4 offset1:5
	ds_load_2addr_b32 v[135:136], v27 offset0:6 offset1:7
	s_waitcnt lgkmcnt(1)
	v_ashrrev_i32_e32 v27, s26, v133
	v_ashrrev_i32_e32 v37, s26, v134
	s_waitcnt lgkmcnt(0)
	v_ashrrev_i32_e32 v40, s26, v135
	s_delay_alu instid0(VALU_DEP_3) | instskip(NEXT) | instid1(VALU_DEP_3)
	v_and_b32_e32 v38, 3, v27
	v_and_b32_e32 v39, 3, v37
	s_delay_alu instid0(VALU_DEP_3) | instskip(NEXT) | instid1(VALU_DEP_3)
	v_and_b32_e32 v41, 3, v40
	v_mul_i32_i24_e32 v38, v38, v121
	s_delay_alu instid0(VALU_DEP_2) | instskip(NEXT) | instid1(VALU_DEP_2)
	v_mul_i32_i24_e32 v41, v41, v123
	v_mad_i32_i24 v38, v39, v122, v38
	v_bfe_u32 v39, v27, 8, 2
	s_delay_alu instid0(VALU_DEP_1) | instskip(NEXT) | instid1(VALU_DEP_1)
	v_mul_i32_i24_e32 v39, v39, v106
	v_add3_u32 v38, v38, v41, v39
	v_add_nc_u32_e32 v39, s27, v65
	ds_load_2addr_b32 v[133:134], v39 offset1:1
	ds_load_2addr_b32 v[137:138], v39 offset0:2 offset1:3
	ds_load_2addr_b32 v[139:140], v39 offset0:4 offset1:5
	;; [unrolled: 1-line block ×3, first 2 shown]
	s_waitcnt lgkmcnt(3)
	v_ashrrev_i32_e32 v39, s26, v133
	v_ashrrev_i32_e32 v41, s26, v134
	s_waitcnt lgkmcnt(2)
	v_ashrrev_i32_e32 v44, s26, v137
	s_waitcnt lgkmcnt(0)
	v_ashrrev_i32_e32 v66, s26, v141
	v_and_b32_e32 v42, 3, v39
	v_and_b32_e32 v43, 3, v41
	;; [unrolled: 1-line block ×3, first 2 shown]
	s_delay_alu instid0(VALU_DEP_4) | instskip(NEXT) | instid1(VALU_DEP_4)
	v_and_b32_e32 v70, 3, v66
	v_mul_i32_i24_e32 v42, v42, v118
	s_delay_alu instid0(VALU_DEP_3) | instskip(NEXT) | instid1(VALU_DEP_3)
	v_mul_i32_i24_e32 v46, v46, v120
	v_mul_i32_i24_e32 v70, v70, v123
	s_delay_alu instid0(VALU_DEP_3) | instskip(SKIP_1) | instid1(VALU_DEP_1)
	v_mad_i32_i24 v42, v43, v119, v42
	v_bfe_u32 v43, v39, 8, 2
	v_mul_i32_i24_e32 v43, v43, v111
	s_delay_alu instid0(VALU_DEP_1) | instskip(SKIP_2) | instid1(VALU_DEP_2)
	v_add3_u32 v42, v42, v46, v43
	v_ashrrev_i32_e32 v43, s26, v139
	v_ashrrev_i32_e32 v46, s26, v140
	v_and_b32_e32 v58, 3, v43
	s_delay_alu instid0(VALU_DEP_2) | instskip(NEXT) | instid1(VALU_DEP_2)
	v_and_b32_e32 v59, 3, v46
	v_mul_i32_i24_e32 v58, v58, v121
	s_delay_alu instid0(VALU_DEP_1) | instskip(SKIP_1) | instid1(VALU_DEP_1)
	v_mad_i32_i24 v58, v59, v122, v58
	v_bfe_u32 v59, v43, 8, 2
	v_mul_i32_i24_e32 v59, v59, v106
	s_delay_alu instid0(VALU_DEP_1)
	v_add3_u32 v58, v58, v70, v59
	v_add_nc_u32_e32 v59, s27, v68
	v_add_nc_u32_e32 v70, s28, v67
	ds_load_2addr_b32 v[133:134], v59 offset0:2 offset1:3
	ds_load_b32 v70, v70
	ds_load_2addr_b32 v[139:140], v59 offset1:1
	s_waitcnt lgkmcnt(2)
	v_ashrrev_i32_e32 v80, s26, v133
	s_waitcnt lgkmcnt(0)
	v_ashrrev_i32_e32 v71, s26, v139
	v_ashrrev_i32_e32 v72, s26, v140
	s_delay_alu instid0(VALU_DEP_3) | instskip(NEXT) | instid1(VALU_DEP_3)
	v_and_b32_e32 v131, 3, v80
	v_and_b32_e32 v73, 3, v71
	s_delay_alu instid0(VALU_DEP_3) | instskip(NEXT) | instid1(VALU_DEP_3)
	v_and_b32_e32 v79, 3, v72
	v_mul_i32_i24_e32 v131, v131, v120
	s_delay_alu instid0(VALU_DEP_3) | instskip(SKIP_1) | instid1(VALU_DEP_2)
	v_mul_i32_i24_e32 v73, v73, v118
	v_add_nc_u32_e32 v118, v119, v118
	v_mad_i32_i24 v73, v79, v119, v73
	v_bfe_u32 v79, v71, 8, 2
	s_delay_alu instid0(VALU_DEP_3) | instskip(SKIP_1) | instid1(VALU_DEP_3)
	v_add3_u32 v118, v118, v120, v114
	v_add_nc_u32_e32 v120, s24, v88
	v_mul_i32_i24_e32 v79, v79, v111
	v_add_nc_u32_e32 v111, v112, v111
	s_delay_alu instid0(VALU_DEP_2) | instskip(SKIP_2) | instid1(VALU_DEP_4)
	v_add3_u32 v73, v73, v131, v79
	v_add_nc_u32_e32 v79, s24, v85
	v_add_nc_u32_e32 v131, s28, v69
	v_add3_u32 v111, v111, v101, v97
	ds_load_u16 v79, v79 offset:19954
	ds_load_b32 v131, v131
	ds_load_2addr_b32 v[139:140], v59 offset0:4 offset1:5
	ds_load_2addr_b32 v[143:144], v59 offset0:6 offset1:7
	ds_load_u16 v120, v120 offset:16882
	s_waitcnt lgkmcnt(2)
	v_ashrrev_i32_e32 v59, s26, v139
	v_ashrrev_i32_e32 v133, s26, v140
	s_waitcnt lgkmcnt(1)
	v_ashrrev_i32_e32 v139, s26, v143
	s_delay_alu instid0(VALU_DEP_3) | instskip(NEXT) | instid1(VALU_DEP_3)
	v_and_b32_e32 v135, 3, v59
	v_and_b32_e32 v137, 3, v133
	s_delay_alu instid0(VALU_DEP_3) | instskip(NEXT) | instid1(VALU_DEP_3)
	v_and_b32_e32 v140, 3, v139
	v_mul_i32_i24_e32 v135, v135, v121
	v_add_nc_u32_e32 v121, v122, v121
	s_delay_alu instid0(VALU_DEP_3) | instskip(NEXT) | instid1(VALU_DEP_3)
	v_mul_i32_i24_e32 v140, v140, v123
	v_mad_i32_i24 v135, v137, v122, v135
	v_bfe_u32 v137, v59, 8, 2
	s_delay_alu instid0(VALU_DEP_4)
	v_add3_u32 v119, v121, v123, v115
	s_waitcnt lgkmcnt(0)
	v_lshrrev_b16 v123, 8, v120
	v_add_nc_u32_e32 v121, v104, v116
	v_add_nc_u32_e32 v122, v105, v117
	v_mul_i32_i24_e32 v137, v137, v106
	s_delay_alu instid0(VALU_DEP_4) | instskip(NEXT) | instid1(VALU_DEP_4)
	v_and_b32_e32 v123, 0xffff, v123
	v_add3_u32 v121, v121, v96, v6
	s_delay_alu instid0(VALU_DEP_4) | instskip(NEXT) | instid1(VALU_DEP_4)
	v_add3_u32 v122, v122, v100, v7
	v_add3_u32 v135, v135, v140, v137
	v_bfe_u32 v137, v120, 4, 4
	v_lshrrev_b32_e32 v141, 4, v123
	s_delay_alu instid0(VALU_DEP_2) | instskip(SKIP_1) | instid1(VALU_DEP_1)
	v_mul_lo_u32 v140, 0x1010101, v137
	v_mul_i32_i24_e32 v137, v137, v118
	v_mad_i32_i24 v137, v141, v119, v137
	s_delay_alu instid0(VALU_DEP_3) | instskip(SKIP_1) | instid1(VALU_DEP_2)
	v_lshrrev_b32_e32 v143, 24, v140
	v_bfe_i32 v145, v140, 16, 8
	v_mul_i32_i24_e32 v143, v121, v143
	s_delay_alu instid0(VALU_DEP_2) | instskip(NEXT) | instid1(VALU_DEP_1)
	v_mul_i32_i24_e32 v145, v122, v145
	v_add3_u32 v137, v137, v143, v145
	v_add_nc_u32_e32 v143, s24, v86
	s_mov_b32 s24, s25
	ds_load_u16 v143, v143 offset:18930
	s_waitcnt lgkmcnt(0)
	v_bfe_u32 v146, v143, 4, 4
	v_lshrrev_b16 v145, 8, v143
	s_delay_alu instid0(VALU_DEP_2) | instskip(NEXT) | instid1(VALU_DEP_2)
	v_mul_lo_u32 v147, 0x1010101, v146
	v_and_b32_e32 v145, 0xffff, v145
	v_mul_i32_i24_e32 v146, v146, v118
	s_delay_alu instid0(VALU_DEP_2) | instskip(NEXT) | instid1(VALU_DEP_4)
	v_lshrrev_b32_e32 v148, 4, v145
	v_lshrrev_b32_e32 v149, 24, v147
	v_bfe_i32 v150, v147, 16, 8
	s_delay_alu instid0(VALU_DEP_3) | instskip(NEXT) | instid1(VALU_DEP_3)
	v_mad_i32_i24 v146, v148, v119, v146
	v_mul_i32_i24_e32 v149, v121, v149
	s_delay_alu instid0(VALU_DEP_3) | instskip(NEXT) | instid1(VALU_DEP_1)
	v_mul_i32_i24_e32 v150, v122, v150
	v_add3_u32 v146, v146, v149, v150
	v_bfe_u32 v150, v34, 4, 4
	v_lshrrev_b16 v149, 8, v34
	v_and_b32_e32 v34, 15, v34
	s_delay_alu instid0(VALU_DEP_3) | instskip(NEXT) | instid1(VALU_DEP_3)
	v_mul_lo_u32 v151, 0x1010101, v150
	v_and_b32_e32 v149, 0xffff, v149
	v_mul_i32_i24_e32 v150, v150, v118
	s_delay_alu instid0(VALU_DEP_2) | instskip(NEXT) | instid1(VALU_DEP_4)
	v_lshrrev_b32_e32 v152, 4, v149
	v_lshrrev_b32_e32 v153, 24, v151
	v_bfe_i32 v154, v151, 16, 8
	s_delay_alu instid0(VALU_DEP_3) | instskip(NEXT) | instid1(VALU_DEP_3)
	v_mad_i32_i24 v150, v152, v119, v150
	v_mul_i32_i24_e32 v153, v121, v153
	s_delay_alu instid0(VALU_DEP_3) | instskip(NEXT) | instid1(VALU_DEP_1)
	v_mul_i32_i24_e32 v154, v122, v154
	v_add3_u32 v150, v150, v153, v154
	v_lshrrev_b16 v153, 8, v79
	v_bfe_u32 v154, v79, 4, 4
	s_delay_alu instid0(VALU_DEP_2) | instskip(NEXT) | instid1(VALU_DEP_2)
	v_and_b32_e32 v153, 0xffff, v153
	v_mul_i32_i24_e32 v118, v154, v118
	s_delay_alu instid0(VALU_DEP_2) | instskip(NEXT) | instid1(VALU_DEP_1)
	v_lshrrev_b32_e32 v155, 4, v153
	v_mad_i32_i24 v118, v155, v119, v118
	v_mul_lo_u32 v119, 0x1010101, v154
	s_delay_alu instid0(VALU_DEP_1) | instskip(NEXT) | instid1(VALU_DEP_1)
	v_lshrrev_b32_e32 v154, 24, v119
	v_mul_i32_i24_e32 v121, v121, v154
	v_bfe_i32 v154, v119, 16, 8
	v_bfe_i32 v119, v119, 8, 8
	s_delay_alu instid0(VALU_DEP_2) | instskip(NEXT) | instid1(VALU_DEP_1)
	v_mul_i32_i24_e32 v122, v122, v154
	v_add3_u32 v118, v118, v121, v122
	v_bfe_u32 v121, v126, 16, 2
	v_bfe_u32 v122, v126, 24, 2
	;; [unrolled: 1-line block ×3, first 2 shown]
	s_delay_alu instid0(VALU_DEP_3) | instskip(NEXT) | instid1(VALU_DEP_3)
	v_mul_i32_i24_e32 v121, v121, v117
	v_mul_i32_i24_e32 v122, v122, v116
	s_delay_alu instid0(VALU_DEP_3) | instskip(NEXT) | instid1(VALU_DEP_2)
	v_mul_i32_i24_e32 v126, v126, v113
	v_add3_u32 v121, v128, v121, v122
	v_bfe_u32 v122, v127, 16, 2
	v_mul_lo_u32 v127, 0x1010101, v152
	s_delay_alu instid0(VALU_DEP_2) | instskip(NEXT) | instid1(VALU_DEP_2)
	v_mul_i32_i24_e32 v122, v122, v107
	v_lshrrev_b32_e32 v128, 24, v127
	s_delay_alu instid0(VALU_DEP_2) | instskip(SKIP_2) | instid1(VALU_DEP_2)
	v_add3_u32 v122, v129, v122, v126
	v_bfe_u32 v126, v31, 16, 2
	v_bfe_u32 v31, v31, 24, 2
	v_mul_i32_i24_e32 v126, v126, v117
	s_delay_alu instid0(VALU_DEP_2) | instskip(NEXT) | instid1(VALU_DEP_1)
	v_mul_i32_i24_e32 v31, v31, v116
	v_add3_u32 v31, v33, v126, v31
	v_bfe_u32 v33, v27, 16, 2
	v_bfe_u32 v27, v27, 24, 2
	s_delay_alu instid0(VALU_DEP_2) | instskip(NEXT) | instid1(VALU_DEP_2)
	v_mul_i32_i24_e32 v33, v33, v107
	v_mul_i32_i24_e32 v27, v27, v113
	s_delay_alu instid0(VALU_DEP_1) | instskip(SKIP_3) | instid1(VALU_DEP_3)
	v_add3_u32 v27, v38, v33, v27
	v_bfe_u32 v33, v39, 16, 2
	v_bfe_u32 v38, v39, 24, 2
	;; [unrolled: 1-line block ×3, first 2 shown]
	v_mul_i32_i24_e32 v33, v33, v117
	s_delay_alu instid0(VALU_DEP_3) | instskip(NEXT) | instid1(VALU_DEP_3)
	v_mul_i32_i24_e32 v38, v38, v116
	v_mul_i32_i24_e32 v39, v39, v113
	s_delay_alu instid0(VALU_DEP_2) | instskip(SKIP_3) | instid1(VALU_DEP_3)
	v_add3_u32 v33, v42, v33, v38
	v_bfe_u32 v38, v43, 16, 2
	v_bfe_u32 v42, v71, 24, 2
	v_bfe_u32 v43, v59, 24, 2
	v_mul_i32_i24_e32 v38, v38, v107
	s_delay_alu instid0(VALU_DEP_3) | instskip(NEXT) | instid1(VALU_DEP_3)
	v_mul_i32_i24_e32 v42, v42, v116
	v_mul_i32_i24_e32 v43, v43, v113
	s_delay_alu instid0(VALU_DEP_3) | instskip(SKIP_3) | instid1(VALU_DEP_3)
	v_add3_u32 v38, v58, v38, v39
	v_bfe_u32 v39, v71, 16, 2
	v_and_b32_e32 v58, 3, v1
	v_bfe_u32 v71, v32, 8, 2
	v_mul_i32_i24_e32 v39, v39, v117
	s_delay_alu instid0(VALU_DEP_3) | instskip(NEXT) | instid1(VALU_DEP_3)
	v_mul_i32_i24_e32 v58, v58, v114
	v_mul_i32_i24_e32 v71, v71, v112
	s_delay_alu instid0(VALU_DEP_3) | instskip(SKIP_2) | instid1(VALU_DEP_2)
	v_add3_u32 v39, v73, v39, v42
	v_bfe_u32 v42, v59, 16, 2
	v_and_b32_e32 v59, 3, v3
	v_mul_i32_i24_e32 v42, v42, v107
	s_delay_alu instid0(VALU_DEP_2) | instskip(NEXT) | instid1(VALU_DEP_2)
	v_mul_i32_i24_e32 v59, v59, v115
	v_add3_u32 v42, v135, v42, v43
	v_bfe_u32 v43, v124, 8, 2
	s_delay_alu instid0(VALU_DEP_1) | instskip(NEXT) | instid1(VALU_DEP_1)
	v_mul_i32_i24_e32 v43, v43, v112
	v_add3_u32 v43, v121, v58, v43
	v_bfe_u32 v58, v125, 8, 2
	s_delay_alu instid0(VALU_DEP_1) | instskip(NEXT) | instid1(VALU_DEP_1)
	v_mul_i32_i24_e32 v58, v58, v108
	v_add3_u32 v58, v122, v59, v58
	v_ashrrev_i32_e32 v59, s26, v132
	v_mul_lo_u32 v122, 0x1010101, v148
	s_delay_alu instid0(VALU_DEP_2) | instskip(NEXT) | instid1(VALU_DEP_2)
	v_and_b32_e32 v73, 3, v59
	v_lshrrev_b32_e32 v126, 24, v122
	s_delay_alu instid0(VALU_DEP_2) | instskip(NEXT) | instid1(VALU_DEP_1)
	v_mul_i32_i24_e32 v73, v73, v114
	v_add3_u32 v31, v31, v73, v71
	v_ashrrev_i32_e32 v71, s26, v136
	v_bfe_u32 v73, v37, 8, 2
	s_delay_alu instid0(VALU_DEP_2) | instskip(NEXT) | instid1(VALU_DEP_2)
	v_and_b32_e32 v116, 3, v71
	v_mul_i32_i24_e32 v73, v73, v108
	s_delay_alu instid0(VALU_DEP_2) | instskip(NEXT) | instid1(VALU_DEP_1)
	v_mul_i32_i24_e32 v116, v116, v115
	v_add3_u32 v27, v27, v116, v73
	v_ashrrev_i32_e32 v73, s26, v138
	v_bfe_u32 v116, v41, 8, 2
	s_delay_alu instid0(VALU_DEP_2) | instskip(NEXT) | instid1(VALU_DEP_2)
	v_and_b32_e32 v117, 3, v73
	v_mul_i32_i24_e32 v116, v116, v112
	s_delay_alu instid0(VALU_DEP_2) | instskip(NEXT) | instid1(VALU_DEP_1)
	v_mul_i32_i24_e32 v117, v117, v114
	v_add3_u32 v33, v33, v117, v116
	v_ashrrev_i32_e32 v116, s26, v142
	v_bfe_u32 v117, v46, 8, 2
	s_delay_alu instid0(VALU_DEP_2) | instskip(NEXT) | instid1(VALU_DEP_2)
	v_and_b32_e32 v121, 3, v116
	v_mul_i32_i24_e32 v117, v117, v108
	s_delay_alu instid0(VALU_DEP_2) | instskip(NEXT) | instid1(VALU_DEP_1)
	v_mul_i32_i24_e32 v121, v121, v115
	v_add3_u32 v38, v38, v121, v117
	v_ashrrev_i32_e32 v117, s26, v134
	s_delay_alu instid0(VALU_DEP_1) | instskip(NEXT) | instid1(VALU_DEP_1)
	v_and_b32_e32 v121, 3, v117
	v_mul_i32_i24_e32 v114, v121, v114
	v_bfe_u32 v121, v72, 8, 2
	s_delay_alu instid0(VALU_DEP_1) | instskip(SKIP_2) | instid1(VALU_DEP_3)
	v_mul_i32_i24_e32 v121, v121, v112
	v_add_nc_u32_e32 v112, v110, v113
	v_bfe_i32 v113, v140, 8, 8
	v_add3_u32 v39, v39, v114, v121
	v_ashrrev_i32_e32 v114, s26, v144
	s_delay_alu instid0(VALU_DEP_4) | instskip(NEXT) | instid1(VALU_DEP_4)
	v_add3_u32 v112, v112, v98, v94
	v_mul_i32_i24_e32 v113, v111, v113
	s_delay_alu instid0(VALU_DEP_3) | instskip(NEXT) | instid1(VALU_DEP_3)
	v_and_b32_e32 v121, 3, v114
	v_mul_i32_i24_e32 v126, v112, v126
	v_mul_i32_i24_e32 v128, v112, v128
	s_delay_alu instid0(VALU_DEP_3) | instskip(SKIP_1) | instid1(VALU_DEP_1)
	v_mul_i32_i24_e32 v115, v121, v115
	v_bfe_u32 v121, v133, 8, 2
	v_mul_i32_i24_e32 v121, v121, v108
	s_delay_alu instid0(VALU_DEP_1) | instskip(SKIP_1) | instid1(VALU_DEP_1)
	v_add3_u32 v42, v42, v115, v121
	v_mul_lo_u32 v115, 0x1010101, v141
	v_lshrrev_b32_e32 v121, 24, v115
	s_delay_alu instid0(VALU_DEP_1) | instskip(NEXT) | instid1(VALU_DEP_1)
	v_mul_i32_i24_e32 v121, v112, v121
	v_add3_u32 v113, v137, v113, v121
	v_bfe_i32 v121, v147, 8, 8
	s_delay_alu instid0(VALU_DEP_1) | instskip(NEXT) | instid1(VALU_DEP_1)
	v_mul_i32_i24_e32 v121, v111, v121
	v_add3_u32 v121, v146, v121, v126
	v_bfe_i32 v126, v151, 8, 8
	s_delay_alu instid0(VALU_DEP_1) | instskip(SKIP_2) | instid1(VALU_DEP_3)
	v_mul_i32_i24_e32 v126, v111, v126
	v_mul_i32_i24_e32 v111, v111, v119
	v_mul_lo_u32 v119, 0x1010101, v155
	v_add3_u32 v126, v150, v126, v128
	s_delay_alu instid0(VALU_DEP_2) | instskip(NEXT) | instid1(VALU_DEP_1)
	v_lshrrev_b32_e32 v128, 24, v119
	v_mul_i32_i24_e32 v112, v112, v128
	s_delay_alu instid0(VALU_DEP_1) | instskip(SKIP_2) | instid1(VALU_DEP_2)
	v_add3_u32 v111, v118, v111, v112
	v_bfe_u32 v112, v124, 16, 2
	v_bfe_u32 v118, v124, 24, 2
	v_mul_i32_i24_e32 v112, v112, v105
	s_delay_alu instid0(VALU_DEP_2) | instskip(NEXT) | instid1(VALU_DEP_1)
	v_mul_i32_i24_e32 v118, v118, v104
	v_add3_u32 v43, v43, v112, v118
	v_bfe_u32 v112, v125, 16, 2
	v_bfe_u32 v118, v125, 24, 2
	s_delay_alu instid0(VALU_DEP_2) | instskip(NEXT) | instid1(VALU_DEP_2)
	v_mul_i32_i24_e32 v112, v112, v109
	v_mul_i32_i24_e32 v118, v118, v110
	s_delay_alu instid0(VALU_DEP_1) | instskip(SKIP_2) | instid1(VALU_DEP_2)
	v_add3_u32 v58, v58, v112, v118
	v_bfe_u32 v112, v32, 16, 2
	v_bfe_u32 v32, v32, 24, 2
	v_mul_i32_i24_e32 v112, v112, v105
	s_delay_alu instid0(VALU_DEP_2) | instskip(NEXT) | instid1(VALU_DEP_1)
	v_mul_i32_i24_e32 v32, v32, v104
	v_add3_u32 v31, v31, v112, v32
	v_bfe_u32 v32, v37, 16, 2
	v_bfe_u32 v37, v37, 24, 2
	s_delay_alu instid0(VALU_DEP_2) | instskip(NEXT) | instid1(VALU_DEP_2)
	v_mul_i32_i24_e32 v32, v32, v109
	v_mul_i32_i24_e32 v37, v37, v110
	s_delay_alu instid0(VALU_DEP_1) | instskip(SKIP_3) | instid1(VALU_DEP_3)
	v_add3_u32 v27, v27, v32, v37
	v_bfe_u32 v32, v41, 16, 2
	v_bfe_u32 v37, v41, 24, 2
	v_add_nc_u32_e32 v41, v108, v106
	v_mul_i32_i24_e32 v32, v32, v105
	s_delay_alu instid0(VALU_DEP_3) | instskip(NEXT) | instid1(VALU_DEP_3)
	v_mul_i32_i24_e32 v37, v37, v104
	v_add3_u32 v41, v41, v103, v99
	s_delay_alu instid0(VALU_DEP_2) | instskip(SKIP_3) | instid1(VALU_DEP_3)
	v_add3_u32 v32, v33, v32, v37
	v_bfe_u32 v33, v46, 16, 2
	v_bfe_u32 v37, v46, 24, 2
	v_bfe_i32 v46, v115, 8, 8
	v_mul_i32_i24_e32 v33, v33, v109
	s_delay_alu instid0(VALU_DEP_3) | instskip(NEXT) | instid1(VALU_DEP_3)
	v_mul_i32_i24_e32 v37, v37, v110
	v_mul_i32_i24_e32 v46, v41, v46
	s_delay_alu instid0(VALU_DEP_2) | instskip(SKIP_3) | instid1(VALU_DEP_3)
	v_add3_u32 v33, v38, v33, v37
	v_bfe_u32 v37, v72, 16, 2
	v_bfe_u32 v38, v72, 24, 2
	v_bfe_i32 v72, v122, 8, 8
	v_mul_i32_i24_e32 v37, v37, v105
	s_delay_alu instid0(VALU_DEP_3) | instskip(NEXT) | instid1(VALU_DEP_3)
	v_mul_i32_i24_e32 v38, v38, v104
	v_mul_i32_i24_e32 v72, v41, v72
	v_bfe_i32 v104, v127, 8, 8
	s_delay_alu instid0(VALU_DEP_3) | instskip(SKIP_2) | instid1(VALU_DEP_4)
	v_add3_u32 v37, v39, v37, v38
	v_bfe_u32 v38, v133, 24, 2
	v_bfe_u32 v39, v133, 16, 2
	v_mul_i32_i24_e32 v104, v41, v104
	s_delay_alu instid0(VALU_DEP_3) | instskip(NEXT) | instid1(VALU_DEP_3)
	v_mul_i32_i24_e32 v38, v38, v110
	v_mul_i32_i24_e32 v39, v39, v109
	s_delay_alu instid0(VALU_DEP_1) | instskip(SKIP_2) | instid1(VALU_DEP_2)
	v_add3_u32 v38, v42, v39, v38
	v_add_nc_u32_e32 v39, v109, v107
	v_bfe_i32 v42, v115, 16, 8
	v_add3_u32 v39, v39, v102, v95
	s_delay_alu instid0(VALU_DEP_1) | instskip(NEXT) | instid1(VALU_DEP_1)
	v_mul_i32_i24_e32 v42, v39, v42
	v_add3_u32 v42, v113, v42, v46
	v_bfe_i32 v46, v122, 16, 8
	s_delay_alu instid0(VALU_DEP_1) | instskip(NEXT) | instid1(VALU_DEP_1)
	v_mul_i32_i24_e32 v46, v39, v46
	v_add3_u32 v46, v121, v46, v72
	v_bfe_i32 v72, v127, 16, 8
	;; [unrolled: 4-line block ×3, first 2 shown]
	s_delay_alu instid0(VALU_DEP_1) | instskip(SKIP_1) | instid1(VALU_DEP_1)
	v_mul_i32_i24_e32 v39, v39, v104
	v_bfe_i32 v104, v119, 8, 8
	v_mul_i32_i24_e32 v41, v41, v104
	v_bfe_u32 v104, v0, 16, 2
	s_delay_alu instid0(VALU_DEP_2) | instskip(SKIP_1) | instid1(VALU_DEP_3)
	v_add3_u32 v39, v111, v39, v41
	v_bfe_u32 v41, v0, 8, 2
	v_mul_i32_i24_e32 v104, v104, v100
	v_bfe_u32 v0, v0, 24, 2
	s_delay_alu instid0(VALU_DEP_4) | instskip(NEXT) | instid1(VALU_DEP_4)
	v_cvt_f32_i32_e32 v39, v39
	v_mul_i32_i24_e32 v41, v41, v101
	s_delay_alu instid0(VALU_DEP_3) | instskip(NEXT) | instid1(VALU_DEP_2)
	v_mul_i32_i24_e32 v0, v0, v96
	v_add3_u32 v41, v43, v41, v104
	v_bfe_u32 v43, v2, 8, 2
	v_bfe_u32 v104, v2, 16, 2
	;; [unrolled: 1-line block ×3, first 2 shown]
	s_delay_alu instid0(VALU_DEP_3) | instskip(NEXT) | instid1(VALU_DEP_3)
	v_mul_i32_i24_e32 v43, v43, v103
	v_mul_i32_i24_e32 v104, v104, v102
	s_delay_alu instid0(VALU_DEP_3) | instskip(NEXT) | instid1(VALU_DEP_2)
	v_mul_i32_i24_e32 v2, v2, v98
	v_add3_u32 v43, v58, v43, v104
	v_bfe_u32 v58, v35, 8, 2
	v_bfe_u32 v104, v35, 16, 2
	;; [unrolled: 1-line block ×3, first 2 shown]
	s_delay_alu instid0(VALU_DEP_3) | instskip(NEXT) | instid1(VALU_DEP_3)
	v_mul_i32_i24_e32 v58, v58, v101
	v_mul_i32_i24_e32 v104, v104, v100
	s_delay_alu instid0(VALU_DEP_3) | instskip(NEXT) | instid1(VALU_DEP_2)
	v_mul_i32_i24_e32 v35, v35, v96
	v_add3_u32 v31, v31, v58, v104
	v_bfe_u32 v58, v40, 8, 2
	v_bfe_u32 v104, v40, 16, 2
	s_delay_alu instid0(VALU_DEP_2) | instskip(NEXT) | instid1(VALU_DEP_2)
	v_mul_i32_i24_e32 v58, v58, v103
	v_mul_i32_i24_e32 v104, v104, v102
	s_delay_alu instid0(VALU_DEP_1) | instskip(SKIP_2) | instid1(VALU_DEP_2)
	v_add3_u32 v27, v27, v58, v104
	v_bfe_u32 v58, v44, 8, 2
	v_bfe_u32 v104, v44, 16, 2
	v_mul_i32_i24_e32 v58, v58, v101
	s_delay_alu instid0(VALU_DEP_2) | instskip(NEXT) | instid1(VALU_DEP_1)
	v_mul_i32_i24_e32 v104, v104, v100
	v_add3_u32 v32, v32, v58, v104
	v_bfe_u32 v58, v66, 8, 2
	v_bfe_u32 v104, v66, 16, 2
	s_delay_alu instid0(VALU_DEP_2) | instskip(NEXT) | instid1(VALU_DEP_2)
	v_mul_i32_i24_e32 v58, v58, v103
	v_mul_i32_i24_e32 v104, v104, v102
	s_delay_alu instid0(VALU_DEP_1) | instskip(SKIP_1) | instid1(VALU_DEP_1)
	v_add3_u32 v33, v33, v58, v104
	v_bfe_u32 v58, v80, 8, 2
	v_mul_i32_i24_e32 v58, v58, v101
	v_bfe_u32 v101, v80, 16, 2
	s_delay_alu instid0(VALU_DEP_1) | instskip(NEXT) | instid1(VALU_DEP_1)
	v_mul_i32_i24_e32 v100, v101, v100
	v_add3_u32 v37, v37, v58, v100
	v_bfe_u32 v58, v139, 8, 2
	v_bfe_u32 v100, v139, 16, 2
	s_delay_alu instid0(VALU_DEP_2) | instskip(NEXT) | instid1(VALU_DEP_2)
	v_mul_i32_i24_e32 v58, v58, v103
	v_mul_i32_i24_e32 v100, v100, v102
	s_delay_alu instid0(VALU_DEP_1) | instskip(SKIP_1) | instid1(VALU_DEP_1)
	v_add3_u32 v38, v38, v58, v100
	v_bfe_u32 v58, v1, 8, 2
	v_mul_i32_i24_e32 v58, v58, v97
	s_delay_alu instid0(VALU_DEP_1) | instskip(SKIP_1) | instid1(VALU_DEP_1)
	v_add3_u32 v0, v41, v0, v58
	v_bfe_u32 v41, v3, 8, 2
	v_mul_i32_i24_e32 v41, v41, v99
	s_delay_alu instid0(VALU_DEP_1) | instskip(SKIP_2) | instid1(VALU_DEP_2)
	v_add3_u32 v2, v43, v2, v41
	v_bfe_u32 v41, v59, 8, 2
	v_and_b32_e32 v43, 15, v153
	v_mul_i32_i24_e32 v41, v41, v97
	s_delay_alu instid0(VALU_DEP_1) | instskip(SKIP_3) | instid1(VALU_DEP_3)
	v_add3_u32 v31, v31, v35, v41
	v_bfe_u32 v35, v40, 24, 2
	v_bfe_u32 v40, v71, 8, 2
	v_and_b32_e32 v41, 15, v149
	v_mul_i32_i24_e32 v35, v35, v98
	s_delay_alu instid0(VALU_DEP_3) | instskip(NEXT) | instid1(VALU_DEP_1)
	v_mul_i32_i24_e32 v40, v40, v99
	v_add3_u32 v27, v27, v35, v40
	v_bfe_u32 v35, v44, 24, 2
	v_bfe_u32 v40, v73, 8, 2
	s_delay_alu instid0(VALU_DEP_2) | instskip(NEXT) | instid1(VALU_DEP_2)
	v_mul_i32_i24_e32 v35, v35, v96
	v_mul_i32_i24_e32 v40, v40, v97
	s_delay_alu instid0(VALU_DEP_1) | instskip(SKIP_2) | instid1(VALU_DEP_2)
	v_add3_u32 v32, v32, v35, v40
	v_bfe_u32 v35, v66, 24, 2
	v_bfe_u32 v40, v116, 8, 2
	v_mul_i32_i24_e32 v35, v35, v98
	s_delay_alu instid0(VALU_DEP_2) | instskip(NEXT) | instid1(VALU_DEP_1)
	v_mul_i32_i24_e32 v40, v40, v99
	v_add3_u32 v33, v33, v35, v40
	v_bfe_u32 v35, v80, 24, 2
	v_bfe_u32 v40, v117, 8, 2
	s_delay_alu instid0(VALU_DEP_2) | instskip(NEXT) | instid1(VALU_DEP_2)
	v_mul_i32_i24_e32 v35, v35, v96
	v_mul_i32_i24_e32 v40, v40, v97
	s_delay_alu instid0(VALU_DEP_1) | instskip(SKIP_2) | instid1(VALU_DEP_2)
	v_add3_u32 v35, v37, v35, v40
	v_bfe_u32 v37, v139, 24, 2
	v_bfe_u32 v40, v114, 8, 2
	v_mul_i32_i24_e32 v37, v37, v98
	s_delay_alu instid0(VALU_DEP_2) | instskip(NEXT) | instid1(VALU_DEP_1)
	v_mul_i32_i24_e32 v40, v40, v99
	v_add3_u32 v37, v38, v37, v40
	v_bfe_u32 v38, v1, 16, 2
	v_bfe_u32 v1, v1, 24, 2
	v_lshrrev_b32_e32 v40, 16, v36
	s_delay_alu instid0(VALU_DEP_3) | instskip(NEXT) | instid1(VALU_DEP_3)
	v_mul_i32_i24_e32 v38, v38, v7
	v_mul_i32_i24_e32 v1, v1, v6
	s_delay_alu instid0(VALU_DEP_1) | instskip(SKIP_3) | instid1(VALU_DEP_3)
	v_add3_u32 v0, v0, v38, v1
	v_bfe_u32 v1, v3, 16, 2
	v_bfe_u32 v3, v3, 24, 2
	v_and_b32_e32 v38, 15, v123
	v_mul_i32_i24_e32 v1, v1, v95
	s_delay_alu instid0(VALU_DEP_3) | instskip(NEXT) | instid1(VALU_DEP_1)
	v_mul_i32_i24_e32 v3, v3, v94
	v_add3_u32 v3, v2, v1, v3
	v_bfe_u32 v1, v59, 16, 2
	v_bfe_u32 v2, v59, 24, 2
	s_delay_alu instid0(VALU_DEP_2) | instskip(NEXT) | instid1(VALU_DEP_2)
	v_mul_i32_i24_e32 v1, v1, v7
	v_mul_i32_i24_e32 v2, v2, v6
	s_delay_alu instid0(VALU_DEP_1) | instskip(SKIP_2) | instid1(VALU_DEP_2)
	v_add3_u32 v31, v31, v1, v2
	v_bfe_u32 v1, v71, 16, 2
	v_bfe_u32 v2, v71, 24, 2
	v_mul_i32_i24_e32 v1, v1, v95
	s_delay_alu instid0(VALU_DEP_2) | instskip(NEXT) | instid1(VALU_DEP_1)
	v_mul_i32_i24_e32 v2, v2, v94
	v_add3_u32 v27, v27, v1, v2
	v_bfe_u32 v1, v73, 16, 2
	v_bfe_u32 v2, v73, 24, 2
	s_delay_alu instid0(VALU_DEP_2) | instskip(NEXT) | instid1(VALU_DEP_2)
	v_mul_i32_i24_e32 v1, v1, v7
	v_mul_i32_i24_e32 v2, v2, v6
	s_delay_alu instid0(VALU_DEP_1) | instskip(SKIP_2) | instid1(VALU_DEP_2)
	v_add3_u32 v32, v32, v1, v2
	v_bfe_u32 v1, v116, 16, 2
	v_bfe_u32 v2, v116, 24, 2
	v_mul_i32_i24_e32 v1, v1, v95
	s_delay_alu instid0(VALU_DEP_2) | instskip(NEXT) | instid1(VALU_DEP_1)
	v_mul_i32_i24_e32 v2, v2, v94
	v_add3_u32 v33, v33, v1, v2
	v_bfe_u32 v1, v117, 16, 2
	v_bfe_u32 v2, v117, 24, 2
	s_delay_alu instid0(VALU_DEP_2) | instskip(NEXT) | instid1(VALU_DEP_2)
	v_mul_i32_i24_e32 v1, v1, v7
	v_mul_i32_i24_e32 v2, v2, v6
	v_and_b32_e32 v7, 15, v143
	s_delay_alu instid0(VALU_DEP_2) | instskip(SKIP_2) | instid1(VALU_DEP_2)
	v_add3_u32 v6, v35, v1, v2
	v_bfe_u32 v1, v114, 16, 2
	v_bfe_u32 v2, v114, 24, 2
	v_mul_i32_i24_e32 v1, v1, v95
	s_delay_alu instid0(VALU_DEP_2) | instskip(NEXT) | instid1(VALU_DEP_1)
	v_mul_i32_i24_e32 v2, v2, v94
	v_add3_u32 v35, v37, v1, v2
	v_and_b32_e32 v1, 15, v120
	ds_load_b32 v37, v5
	v_add_nc_u32_e32 v5, 4, v5
	v_mul_lo_u32 v0, v0, v1
	s_delay_alu instid0(VALU_DEP_1) | instskip(SKIP_3) | instid1(VALU_DEP_2)
	v_mad_u64_u32 v[1:2], null, v3, v38, v[0:1]
	v_mul_lo_u32 v0, v31, v34
	v_lshrrev_b32_e32 v38, 16, v130
	v_cvt_f32_f16_e32 v34, v40
	v_cvt_f32_f16_e32 v31, v38
	s_delay_alu instid0(VALU_DEP_4) | instskip(SKIP_4) | instid1(VALU_DEP_4)
	v_mad_u64_u32 v[2:3], null, v27, v41, v[0:1]
	v_lshrrev_b32_e32 v0, 16, v70
	v_lshrrev_b32_e32 v3, 16, v131
	v_and_b32_e32 v27, 15, v79
	v_and_b32_e32 v41, 15, v145
	v_cvt_f32_f16_e32 v38, v0
	s_delay_alu instid0(VALU_DEP_4)
	v_cvt_f32_f16_e32 v40, v3
	v_mul_lo_u32 v0, v32, v7
	v_mul_lo_u32 v3, v6, v27
	v_cvt_f32_i32_e32 v27, v42
	v_cvt_f32_i32_e32 v32, v46
	;; [unrolled: 1-line block ×4, first 2 shown]
	v_mad_u64_u32 v[6:7], null, v33, v41, v[0:1]
	v_mul_f32_e32 v0, v31, v27
	v_mad_u64_u32 v[94:95], null, v35, v43, v[3:4]
	v_mul_f32_e32 v3, v38, v32
	v_mul_f32_e32 v7, v34, v42
	;; [unrolled: 1-line block ×3, first 2 shown]
	v_cvt_f32_i32_e32 v1, v1
	v_cvt_f32_i32_e32 v6, v6
	v_add_nc_u32_e32 v4, 32, v4
	v_cvt_f32_i32_e32 v31, v94
	s_delay_alu instid0(VALU_DEP_4) | instskip(SKIP_2) | instid1(VALU_DEP_4)
	v_fma_mix_f32 v0, v130, v1, -v0 op_sel_hi:[1,0,0]
	v_fma_mix_f32 v1, v36, v2, -v7 op_sel_hi:[1,0,0]
	;; [unrolled: 1-line block ×4, first 2 shown]
	s_waitcnt lgkmcnt(0)
	v_fmac_f32_e32 v29, v37, v0
	v_fmac_f32_e32 v60, v37, v1
	v_fmac_f32_e32 v55, v37, v2
	v_fmac_f32_e32 v24, v37, v3
	s_cbranch_scc1 .LBB228_30
; %bb.31:                               ;   in Loop: Header=BB228_7 Depth=1
	s_or_b32 s1, s23, 0x180
	s_delay_alu instid0(SALU_CYCLE_1)
	s_cmp_ge_i32 s1, s5
	s_barrier
	buffer_gl0_inv
	s_cbranch_scc1 .LBB228_40
; %bb.32:                               ;   in Loop: Header=BB228_7 Depth=1
	scratch_load_b32 v0, off, off offset:96 ; 4-byte Folded Reload
	s_waitcnt vmcnt(0)
	v_add_nc_u32_e32 v0, s6, v0
	s_delay_alu instid0(VALU_DEP_1) | instskip(NEXT) | instid1(VALU_DEP_1)
	v_cmp_gt_i32_e64 s1, s8, v0
	s_and_b32 s23, s0, s1
	s_delay_alu instid0(SALU_CYCLE_1)
	s_and_saveexec_b32 s1, s23
	s_cbranch_execz .LBB228_34
; %bb.33:                               ;   in Loop: Header=BB228_7 Depth=1
	s_clause 0x1
	scratch_load_b32 v1, off, off offset:12
	scratch_load_b64 v[3:4], off, off offset:68
	s_waitcnt vmcnt(1)
	v_add_nc_u32_e32 v2, v1, v0
	s_waitcnt vmcnt(0)
	s_delay_alu instid0(VALU_DEP_1)
	v_mad_i64_i32 v[0:1], null, v2, 36, v[3:4]
	global_load_b32 v0, v[0:1], off offset:4
	scratch_load_b32 v1, off, off offset:76 ; 4-byte Folded Reload
	s_waitcnt vmcnt(0)
	ds_store_b32 v1, v0
.LBB228_34:                             ;   in Loop: Header=BB228_7 Depth=1
	s_or_b32 exec_lo, exec_lo, s1
	s_and_saveexec_b32 s23, vcc_lo
	s_cbranch_execz .LBB228_37
; %bb.35:                               ;   in Loop: Header=BB228_7 Depth=1
	v_or_b32_e32 v0, s6, v156
	s_delay_alu instid0(VALU_DEP_1) | instskip(NEXT) | instid1(VALU_DEP_1)
	v_or_b32_e32 v1, 12, v0
	v_cmp_gt_i32_e64 s1, s8, v1
	s_delay_alu instid0(VALU_DEP_1) | instskip(NEXT) | instid1(SALU_CYCLE_1)
	s_and_b32 s1, s0, s1
	s_and_b32 exec_lo, exec_lo, s1
	s_cbranch_execz .LBB228_37
; %bb.36:                               ;   in Loop: Header=BB228_7 Depth=1
	scratch_load_b32 v2, off, off offset:12 ; 4-byte Folded Reload
	v_ashrrev_i32_e32 v1, 31, v0
	s_waitcnt vmcnt(0)
	v_add_co_u32 v2, s1, v2, v0
	scratch_load_b32 v0, off, off offset:92 ; 4-byte Folded Reload
	s_waitcnt vmcnt(0)
	v_add_co_ci_u32_e64 v3, s1, v0, v1, s1
	v_mad_u64_u32 v[0:1], null, v2, 36, s[18:19]
	s_delay_alu instid0(VALU_DEP_1)
	v_mad_i32_i24 v1, v3, 36, v1
	global_load_b32 v0, v[0:1], off
	scratch_load_b32 v1, off, off offset:84 ; 4-byte Folded Reload
	s_waitcnt vmcnt(1)
	v_cvt_f32_f16_e32 v0, v0
	s_waitcnt vmcnt(0)
	ds_store_b32 v1, v0
.LBB228_37:                             ;   in Loop: Header=BB228_7 Depth=1
	s_or_b32 exec_lo, exec_lo, s23
	s_waitcnt lgkmcnt(0)
	s_clause 0x1
	scratch_load_b32 v4, off, off offset:4
	scratch_load_b32 v5, off, off offset:8
	s_mov_b32 s1, 24
	s_mov_b32 s6, 22
	s_waitcnt vmcnt(0)
	s_barrier
	buffer_gl0_inv
.LBB228_38:                             ;   Parent Loop BB228_7 Depth=1
                                        ; =>  This Inner Loop Header: Depth=2
	ds_load_b128 v[0:3], v4
	ds_load_b128 v[122:125], v4 offset:16
	s_add_i32 s23, s6, 2
	s_sub_i32 s24, s6, 22
	s_and_b32 s25, s23, 0x3ffffff8
	s_lshr_b32 s26, s23, 2
	s_lshl_b32 s25, s25, 2
	s_and_b32 s26, s26, 0x3ffffffc
	s_and_b32 s27, s1, -16
	s_add_i32 s1, s1, 2
	s_add_i32 s6, s6, s27
	s_cmp_lt_u32 s23, 30
	s_waitcnt lgkmcnt(1)
	v_bfe_i32 v120, v2, 0, 8
	v_bfe_i32 v101, v2, 8, 8
	;; [unrolled: 1-line block ×3, first 2 shown]
	v_ashrrev_i32_e32 v96, 24, v2
	v_add_nc_u32_e32 v2, s25, v61
	v_bfe_i32 v118, v0, 0, 8
	v_bfe_i32 v111, v0, 8, 8
	v_bfe_i32 v117, v0, 16, 8
	v_ashrrev_i32_e32 v116, 24, v0
	v_bfe_i32 v119, v1, 0, 8
	v_bfe_i32 v112, v1, 8, 8
	v_bfe_i32 v105, v1, 16, 8
	v_ashrrev_i32_e32 v104, 24, v1
	;; [unrolled: 4-line block ×3, first 2 shown]
	s_waitcnt lgkmcnt(0)
	v_bfe_i32 v121, v122, 0, 8
	v_bfe_i32 v106, v122, 8, 8
	v_bfe_i32 v107, v122, 16, 8
	v_ashrrev_i32_e32 v113, 24, v122
	v_bfe_i32 v122, v123, 0, 8
	v_bfe_i32 v108, v123, 8, 8
	v_bfe_i32 v109, v123, 16, 8
	v_ashrrev_i32_e32 v110, 24, v123
	;; [unrolled: 4-line block ×4, first 2 shown]
	ds_load_2addr_b32 v[124:125], v2 offset1:1
	ds_load_2addr_b32 v[0:1], v2 offset0:2 offset1:3
	ds_load_2addr_b32 v[129:130], v2 offset0:4 offset1:5
	ds_load_2addr_b32 v[2:3], v2 offset0:6 offset1:7
	s_waitcnt lgkmcnt(3)
	v_ashrrev_i32_e32 v126, s24, v124
	v_ashrrev_i32_e32 v124, s24, v125
	s_waitcnt lgkmcnt(2)
	v_ashrrev_i32_e32 v0, s24, v0
	s_waitcnt lgkmcnt(1)
	v_ashrrev_i32_e32 v127, s24, v129
	v_ashrrev_i32_e32 v125, s24, v130
	v_and_b32_e32 v27, 3, v126
	v_and_b32_e32 v31, 3, v124
	;; [unrolled: 1-line block ×3, first 2 shown]
	s_waitcnt lgkmcnt(0)
	v_ashrrev_i32_e32 v2, s24, v2
	v_ashrrev_i32_e32 v1, s24, v1
	v_mul_i32_i24_e32 v27, v27, v118
	v_ashrrev_i32_e32 v3, s24, v3
	v_mul_i32_i24_e32 v32, v32, v120
	s_delay_alu instid0(VALU_DEP_3) | instskip(SKIP_1) | instid1(VALU_DEP_1)
	v_mad_i32_i24 v27, v31, v119, v27
	v_bfe_u32 v31, v126, 8, 2
	v_mul_i32_i24_e32 v31, v31, v111
	s_delay_alu instid0(VALU_DEP_1) | instskip(SKIP_3) | instid1(VALU_DEP_3)
	v_add3_u32 v128, v27, v32, v31
	v_and_b32_e32 v27, 3, v127
	v_and_b32_e32 v31, 3, v125
	;; [unrolled: 1-line block ×3, first 2 shown]
	v_mul_i32_i24_e32 v27, v27, v121
	s_delay_alu instid0(VALU_DEP_2) | instskip(NEXT) | instid1(VALU_DEP_2)
	v_mul_i32_i24_e32 v32, v32, v123
	v_mad_i32_i24 v27, v31, v122, v27
	v_bfe_u32 v31, v127, 8, 2
	s_delay_alu instid0(VALU_DEP_1) | instskip(NEXT) | instid1(VALU_DEP_1)
	v_mul_i32_i24_e32 v31, v31, v106
	v_add3_u32 v129, v27, v32, v31
	v_add_nc_u32_e32 v27, s25, v63
	v_add_nc_u32_e32 v31, s26, v62
	ds_load_2addr_b32 v[131:132], v27 offset0:2 offset1:3
	ds_load_b32 v130, v31
	ds_load_2addr_b32 v[133:134], v27 offset1:1
	s_waitcnt lgkmcnt(2)
	v_ashrrev_i32_e32 v35, s24, v131
	s_waitcnt lgkmcnt(0)
	v_ashrrev_i32_e32 v31, s24, v133
	v_ashrrev_i32_e32 v32, s24, v134
	s_delay_alu instid0(VALU_DEP_3) | instskip(NEXT) | instid1(VALU_DEP_3)
	v_and_b32_e32 v36, 3, v35
	v_and_b32_e32 v33, 3, v31
	s_delay_alu instid0(VALU_DEP_3) | instskip(NEXT) | instid1(VALU_DEP_3)
	v_and_b32_e32 v34, 3, v32
	v_mul_i32_i24_e32 v36, v36, v120
	s_delay_alu instid0(VALU_DEP_3) | instskip(NEXT) | instid1(VALU_DEP_1)
	v_mul_i32_i24_e32 v33, v33, v118
	v_mad_i32_i24 v33, v34, v119, v33
	v_bfe_u32 v34, v31, 8, 2
	s_delay_alu instid0(VALU_DEP_1) | instskip(NEXT) | instid1(VALU_DEP_1)
	v_mul_i32_i24_e32 v34, v34, v111
	v_add3_u32 v33, v33, v36, v34
	v_add_nc_u32_e32 v34, s6, v87
	v_add_nc_u32_e32 v36, s26, v64
	ds_load_u16 v34, v34 offset:17906
	ds_load_b32 v36, v36
	ds_load_2addr_b32 v[133:134], v27 offset0:4 offset1:5
	ds_load_2addr_b32 v[135:136], v27 offset0:6 offset1:7
	s_waitcnt lgkmcnt(1)
	v_ashrrev_i32_e32 v27, s24, v133
	v_ashrrev_i32_e32 v37, s24, v134
	s_waitcnt lgkmcnt(0)
	v_ashrrev_i32_e32 v40, s24, v135
	s_delay_alu instid0(VALU_DEP_3) | instskip(NEXT) | instid1(VALU_DEP_3)
	v_and_b32_e32 v38, 3, v27
	v_and_b32_e32 v39, 3, v37
	s_delay_alu instid0(VALU_DEP_3) | instskip(NEXT) | instid1(VALU_DEP_3)
	v_and_b32_e32 v41, 3, v40
	v_mul_i32_i24_e32 v38, v38, v121
	s_delay_alu instid0(VALU_DEP_2) | instskip(NEXT) | instid1(VALU_DEP_2)
	v_mul_i32_i24_e32 v41, v41, v123
	v_mad_i32_i24 v38, v39, v122, v38
	v_bfe_u32 v39, v27, 8, 2
	s_delay_alu instid0(VALU_DEP_1) | instskip(NEXT) | instid1(VALU_DEP_1)
	v_mul_i32_i24_e32 v39, v39, v106
	v_add3_u32 v38, v38, v41, v39
	v_add_nc_u32_e32 v39, s25, v65
	ds_load_2addr_b32 v[133:134], v39 offset1:1
	ds_load_2addr_b32 v[137:138], v39 offset0:2 offset1:3
	ds_load_2addr_b32 v[139:140], v39 offset0:4 offset1:5
	ds_load_2addr_b32 v[141:142], v39 offset0:6 offset1:7
	s_waitcnt lgkmcnt(3)
	v_ashrrev_i32_e32 v39, s24, v133
	v_ashrrev_i32_e32 v41, s24, v134
	s_waitcnt lgkmcnt(2)
	v_ashrrev_i32_e32 v44, s24, v137
	s_waitcnt lgkmcnt(0)
	v_ashrrev_i32_e32 v66, s24, v141
	v_and_b32_e32 v42, 3, v39
	v_and_b32_e32 v43, 3, v41
	;; [unrolled: 1-line block ×3, first 2 shown]
	s_delay_alu instid0(VALU_DEP_4) | instskip(NEXT) | instid1(VALU_DEP_4)
	v_and_b32_e32 v70, 3, v66
	v_mul_i32_i24_e32 v42, v42, v118
	s_delay_alu instid0(VALU_DEP_3) | instskip(NEXT) | instid1(VALU_DEP_3)
	v_mul_i32_i24_e32 v46, v46, v120
	v_mul_i32_i24_e32 v70, v70, v123
	s_delay_alu instid0(VALU_DEP_3) | instskip(SKIP_1) | instid1(VALU_DEP_1)
	v_mad_i32_i24 v42, v43, v119, v42
	v_bfe_u32 v43, v39, 8, 2
	v_mul_i32_i24_e32 v43, v43, v111
	s_delay_alu instid0(VALU_DEP_1) | instskip(SKIP_2) | instid1(VALU_DEP_2)
	v_add3_u32 v42, v42, v46, v43
	v_ashrrev_i32_e32 v43, s24, v139
	v_ashrrev_i32_e32 v46, s24, v140
	v_and_b32_e32 v58, 3, v43
	s_delay_alu instid0(VALU_DEP_2) | instskip(NEXT) | instid1(VALU_DEP_2)
	v_and_b32_e32 v59, 3, v46
	v_mul_i32_i24_e32 v58, v58, v121
	s_delay_alu instid0(VALU_DEP_1) | instskip(SKIP_1) | instid1(VALU_DEP_1)
	v_mad_i32_i24 v58, v59, v122, v58
	v_bfe_u32 v59, v43, 8, 2
	v_mul_i32_i24_e32 v59, v59, v106
	s_delay_alu instid0(VALU_DEP_1)
	v_add3_u32 v58, v58, v70, v59
	v_add_nc_u32_e32 v59, s25, v68
	v_add_nc_u32_e32 v70, s26, v67
	ds_load_2addr_b32 v[133:134], v59 offset0:2 offset1:3
	ds_load_b32 v70, v70
	ds_load_2addr_b32 v[139:140], v59 offset1:1
	s_waitcnt lgkmcnt(2)
	v_ashrrev_i32_e32 v80, s24, v133
	s_waitcnt lgkmcnt(0)
	v_ashrrev_i32_e32 v71, s24, v139
	v_ashrrev_i32_e32 v72, s24, v140
	s_delay_alu instid0(VALU_DEP_3) | instskip(NEXT) | instid1(VALU_DEP_3)
	v_and_b32_e32 v131, 3, v80
	v_and_b32_e32 v73, 3, v71
	s_delay_alu instid0(VALU_DEP_3) | instskip(NEXT) | instid1(VALU_DEP_3)
	v_and_b32_e32 v79, 3, v72
	v_mul_i32_i24_e32 v131, v131, v120
	s_delay_alu instid0(VALU_DEP_3) | instskip(SKIP_1) | instid1(VALU_DEP_2)
	v_mul_i32_i24_e32 v73, v73, v118
	v_add_nc_u32_e32 v118, v119, v118
	v_mad_i32_i24 v73, v79, v119, v73
	v_bfe_u32 v79, v71, 8, 2
	s_delay_alu instid0(VALU_DEP_3) | instskip(SKIP_1) | instid1(VALU_DEP_3)
	v_add3_u32 v118, v118, v120, v114
	v_add_nc_u32_e32 v120, s6, v88
	v_mul_i32_i24_e32 v79, v79, v111
	v_add_nc_u32_e32 v111, v112, v111
	s_delay_alu instid0(VALU_DEP_2) | instskip(SKIP_2) | instid1(VALU_DEP_4)
	v_add3_u32 v73, v73, v131, v79
	v_add_nc_u32_e32 v79, s6, v85
	v_add_nc_u32_e32 v131, s26, v69
	v_add3_u32 v111, v111, v101, v97
	ds_load_u16 v79, v79 offset:19954
	ds_load_b32 v131, v131
	ds_load_2addr_b32 v[139:140], v59 offset0:4 offset1:5
	ds_load_2addr_b32 v[143:144], v59 offset0:6 offset1:7
	ds_load_u16 v120, v120 offset:16882
	s_waitcnt lgkmcnt(2)
	v_ashrrev_i32_e32 v59, s24, v139
	v_ashrrev_i32_e32 v133, s24, v140
	s_waitcnt lgkmcnt(1)
	v_ashrrev_i32_e32 v139, s24, v143
	s_delay_alu instid0(VALU_DEP_3) | instskip(NEXT) | instid1(VALU_DEP_3)
	v_and_b32_e32 v135, 3, v59
	v_and_b32_e32 v137, 3, v133
	s_delay_alu instid0(VALU_DEP_3) | instskip(NEXT) | instid1(VALU_DEP_3)
	v_and_b32_e32 v140, 3, v139
	v_mul_i32_i24_e32 v135, v135, v121
	v_add_nc_u32_e32 v121, v122, v121
	s_delay_alu instid0(VALU_DEP_3) | instskip(NEXT) | instid1(VALU_DEP_3)
	v_mul_i32_i24_e32 v140, v140, v123
	v_mad_i32_i24 v135, v137, v122, v135
	v_bfe_u32 v137, v59, 8, 2
	s_delay_alu instid0(VALU_DEP_4)
	v_add3_u32 v119, v121, v123, v115
	s_waitcnt lgkmcnt(0)
	v_lshrrev_b16 v123, 8, v120
	v_add_nc_u32_e32 v121, v104, v116
	v_add_nc_u32_e32 v122, v105, v117
	v_mul_i32_i24_e32 v137, v137, v106
	s_delay_alu instid0(VALU_DEP_4) | instskip(NEXT) | instid1(VALU_DEP_4)
	v_and_b32_e32 v123, 0xffff, v123
	v_add3_u32 v121, v121, v96, v6
	s_delay_alu instid0(VALU_DEP_4) | instskip(NEXT) | instid1(VALU_DEP_4)
	v_add3_u32 v122, v122, v100, v7
	v_add3_u32 v135, v135, v140, v137
	v_bfe_u32 v137, v120, 4, 4
	v_lshrrev_b32_e32 v141, 4, v123
	s_delay_alu instid0(VALU_DEP_2) | instskip(SKIP_1) | instid1(VALU_DEP_1)
	v_mul_lo_u32 v140, 0x1010101, v137
	v_mul_i32_i24_e32 v137, v137, v118
	v_mad_i32_i24 v137, v141, v119, v137
	s_delay_alu instid0(VALU_DEP_3) | instskip(SKIP_1) | instid1(VALU_DEP_2)
	v_lshrrev_b32_e32 v143, 24, v140
	v_bfe_i32 v145, v140, 16, 8
	v_mul_i32_i24_e32 v143, v121, v143
	s_delay_alu instid0(VALU_DEP_2) | instskip(NEXT) | instid1(VALU_DEP_1)
	v_mul_i32_i24_e32 v145, v122, v145
	v_add3_u32 v137, v137, v143, v145
	v_add_nc_u32_e32 v143, s6, v86
	s_mov_b32 s6, s23
	ds_load_u16 v143, v143 offset:18930
	s_waitcnt lgkmcnt(0)
	v_bfe_u32 v146, v143, 4, 4
	v_lshrrev_b16 v145, 8, v143
	s_delay_alu instid0(VALU_DEP_2) | instskip(NEXT) | instid1(VALU_DEP_2)
	v_mul_lo_u32 v147, 0x1010101, v146
	v_and_b32_e32 v145, 0xffff, v145
	v_mul_i32_i24_e32 v146, v146, v118
	s_delay_alu instid0(VALU_DEP_2) | instskip(NEXT) | instid1(VALU_DEP_4)
	v_lshrrev_b32_e32 v148, 4, v145
	v_lshrrev_b32_e32 v149, 24, v147
	v_bfe_i32 v150, v147, 16, 8
	s_delay_alu instid0(VALU_DEP_3) | instskip(NEXT) | instid1(VALU_DEP_3)
	v_mad_i32_i24 v146, v148, v119, v146
	v_mul_i32_i24_e32 v149, v121, v149
	s_delay_alu instid0(VALU_DEP_3) | instskip(NEXT) | instid1(VALU_DEP_1)
	v_mul_i32_i24_e32 v150, v122, v150
	v_add3_u32 v146, v146, v149, v150
	v_bfe_u32 v150, v34, 4, 4
	v_lshrrev_b16 v149, 8, v34
	v_and_b32_e32 v34, 15, v34
	s_delay_alu instid0(VALU_DEP_3) | instskip(NEXT) | instid1(VALU_DEP_3)
	v_mul_lo_u32 v151, 0x1010101, v150
	v_and_b32_e32 v149, 0xffff, v149
	v_mul_i32_i24_e32 v150, v150, v118
	s_delay_alu instid0(VALU_DEP_2) | instskip(NEXT) | instid1(VALU_DEP_4)
	v_lshrrev_b32_e32 v152, 4, v149
	v_lshrrev_b32_e32 v153, 24, v151
	v_bfe_i32 v154, v151, 16, 8
	s_delay_alu instid0(VALU_DEP_3) | instskip(NEXT) | instid1(VALU_DEP_3)
	v_mad_i32_i24 v150, v152, v119, v150
	v_mul_i32_i24_e32 v153, v121, v153
	s_delay_alu instid0(VALU_DEP_3) | instskip(NEXT) | instid1(VALU_DEP_1)
	v_mul_i32_i24_e32 v154, v122, v154
	v_add3_u32 v150, v150, v153, v154
	v_lshrrev_b16 v153, 8, v79
	v_bfe_u32 v154, v79, 4, 4
	s_delay_alu instid0(VALU_DEP_2) | instskip(NEXT) | instid1(VALU_DEP_2)
	v_and_b32_e32 v153, 0xffff, v153
	v_mul_i32_i24_e32 v118, v154, v118
	s_delay_alu instid0(VALU_DEP_2) | instskip(NEXT) | instid1(VALU_DEP_1)
	v_lshrrev_b32_e32 v155, 4, v153
	v_mad_i32_i24 v118, v155, v119, v118
	v_mul_lo_u32 v119, 0x1010101, v154
	s_delay_alu instid0(VALU_DEP_1) | instskip(NEXT) | instid1(VALU_DEP_1)
	v_lshrrev_b32_e32 v154, 24, v119
	v_mul_i32_i24_e32 v121, v121, v154
	v_bfe_i32 v154, v119, 16, 8
	v_bfe_i32 v119, v119, 8, 8
	s_delay_alu instid0(VALU_DEP_2) | instskip(NEXT) | instid1(VALU_DEP_1)
	v_mul_i32_i24_e32 v122, v122, v154
	v_add3_u32 v118, v118, v121, v122
	v_bfe_u32 v121, v126, 16, 2
	v_bfe_u32 v122, v126, 24, 2
	;; [unrolled: 1-line block ×3, first 2 shown]
	s_delay_alu instid0(VALU_DEP_3) | instskip(NEXT) | instid1(VALU_DEP_3)
	v_mul_i32_i24_e32 v121, v121, v117
	v_mul_i32_i24_e32 v122, v122, v116
	s_delay_alu instid0(VALU_DEP_3) | instskip(NEXT) | instid1(VALU_DEP_2)
	v_mul_i32_i24_e32 v126, v126, v113
	v_add3_u32 v121, v128, v121, v122
	v_bfe_u32 v122, v127, 16, 2
	v_mul_lo_u32 v127, 0x1010101, v152
	s_delay_alu instid0(VALU_DEP_2) | instskip(NEXT) | instid1(VALU_DEP_2)
	v_mul_i32_i24_e32 v122, v122, v107
	v_lshrrev_b32_e32 v128, 24, v127
	s_delay_alu instid0(VALU_DEP_2) | instskip(SKIP_2) | instid1(VALU_DEP_2)
	v_add3_u32 v122, v129, v122, v126
	v_bfe_u32 v126, v31, 16, 2
	v_bfe_u32 v31, v31, 24, 2
	v_mul_i32_i24_e32 v126, v126, v117
	s_delay_alu instid0(VALU_DEP_2) | instskip(NEXT) | instid1(VALU_DEP_1)
	v_mul_i32_i24_e32 v31, v31, v116
	v_add3_u32 v31, v33, v126, v31
	v_bfe_u32 v33, v27, 16, 2
	v_bfe_u32 v27, v27, 24, 2
	s_delay_alu instid0(VALU_DEP_2) | instskip(NEXT) | instid1(VALU_DEP_2)
	v_mul_i32_i24_e32 v33, v33, v107
	v_mul_i32_i24_e32 v27, v27, v113
	s_delay_alu instid0(VALU_DEP_1) | instskip(SKIP_3) | instid1(VALU_DEP_3)
	v_add3_u32 v27, v38, v33, v27
	v_bfe_u32 v33, v39, 16, 2
	v_bfe_u32 v38, v39, 24, 2
	;; [unrolled: 1-line block ×3, first 2 shown]
	v_mul_i32_i24_e32 v33, v33, v117
	s_delay_alu instid0(VALU_DEP_3) | instskip(NEXT) | instid1(VALU_DEP_3)
	v_mul_i32_i24_e32 v38, v38, v116
	v_mul_i32_i24_e32 v39, v39, v113
	s_delay_alu instid0(VALU_DEP_2) | instskip(SKIP_3) | instid1(VALU_DEP_3)
	v_add3_u32 v33, v42, v33, v38
	v_bfe_u32 v38, v43, 16, 2
	v_bfe_u32 v42, v71, 24, 2
	;; [unrolled: 1-line block ×3, first 2 shown]
	v_mul_i32_i24_e32 v38, v38, v107
	s_delay_alu instid0(VALU_DEP_3) | instskip(NEXT) | instid1(VALU_DEP_3)
	v_mul_i32_i24_e32 v42, v42, v116
	v_mul_i32_i24_e32 v43, v43, v113
	s_delay_alu instid0(VALU_DEP_3) | instskip(SKIP_3) | instid1(VALU_DEP_3)
	v_add3_u32 v38, v58, v38, v39
	v_bfe_u32 v39, v71, 16, 2
	v_and_b32_e32 v58, 3, v1
	v_bfe_u32 v71, v32, 8, 2
	v_mul_i32_i24_e32 v39, v39, v117
	s_delay_alu instid0(VALU_DEP_3) | instskip(NEXT) | instid1(VALU_DEP_3)
	v_mul_i32_i24_e32 v58, v58, v114
	v_mul_i32_i24_e32 v71, v71, v112
	s_delay_alu instid0(VALU_DEP_3) | instskip(SKIP_2) | instid1(VALU_DEP_2)
	v_add3_u32 v39, v73, v39, v42
	v_bfe_u32 v42, v59, 16, 2
	v_and_b32_e32 v59, 3, v3
	v_mul_i32_i24_e32 v42, v42, v107
	s_delay_alu instid0(VALU_DEP_2) | instskip(NEXT) | instid1(VALU_DEP_2)
	v_mul_i32_i24_e32 v59, v59, v115
	v_add3_u32 v42, v135, v42, v43
	v_bfe_u32 v43, v124, 8, 2
	s_delay_alu instid0(VALU_DEP_1) | instskip(NEXT) | instid1(VALU_DEP_1)
	v_mul_i32_i24_e32 v43, v43, v112
	v_add3_u32 v43, v121, v58, v43
	v_bfe_u32 v58, v125, 8, 2
	s_delay_alu instid0(VALU_DEP_1) | instskip(NEXT) | instid1(VALU_DEP_1)
	v_mul_i32_i24_e32 v58, v58, v108
	v_add3_u32 v58, v122, v59, v58
	v_ashrrev_i32_e32 v59, s24, v132
	v_mul_lo_u32 v122, 0x1010101, v148
	s_delay_alu instid0(VALU_DEP_2) | instskip(NEXT) | instid1(VALU_DEP_2)
	v_and_b32_e32 v73, 3, v59
	v_lshrrev_b32_e32 v126, 24, v122
	s_delay_alu instid0(VALU_DEP_2) | instskip(NEXT) | instid1(VALU_DEP_1)
	v_mul_i32_i24_e32 v73, v73, v114
	v_add3_u32 v31, v31, v73, v71
	v_ashrrev_i32_e32 v71, s24, v136
	v_bfe_u32 v73, v37, 8, 2
	s_delay_alu instid0(VALU_DEP_2) | instskip(NEXT) | instid1(VALU_DEP_2)
	v_and_b32_e32 v116, 3, v71
	v_mul_i32_i24_e32 v73, v73, v108
	s_delay_alu instid0(VALU_DEP_2) | instskip(NEXT) | instid1(VALU_DEP_1)
	v_mul_i32_i24_e32 v116, v116, v115
	v_add3_u32 v27, v27, v116, v73
	v_ashrrev_i32_e32 v73, s24, v138
	v_bfe_u32 v116, v41, 8, 2
	s_delay_alu instid0(VALU_DEP_2) | instskip(NEXT) | instid1(VALU_DEP_2)
	v_and_b32_e32 v117, 3, v73
	v_mul_i32_i24_e32 v116, v116, v112
	;; [unrolled: 8-line block ×3, first 2 shown]
	s_delay_alu instid0(VALU_DEP_2) | instskip(NEXT) | instid1(VALU_DEP_1)
	v_mul_i32_i24_e32 v121, v121, v115
	v_add3_u32 v38, v38, v121, v117
	v_ashrrev_i32_e32 v117, s24, v134
	s_delay_alu instid0(VALU_DEP_1) | instskip(NEXT) | instid1(VALU_DEP_1)
	v_and_b32_e32 v121, 3, v117
	v_mul_i32_i24_e32 v114, v121, v114
	v_bfe_u32 v121, v72, 8, 2
	s_delay_alu instid0(VALU_DEP_1) | instskip(SKIP_2) | instid1(VALU_DEP_3)
	v_mul_i32_i24_e32 v121, v121, v112
	v_add_nc_u32_e32 v112, v110, v113
	v_bfe_i32 v113, v140, 8, 8
	v_add3_u32 v39, v39, v114, v121
	v_ashrrev_i32_e32 v114, s24, v144
	s_delay_alu instid0(VALU_DEP_4) | instskip(NEXT) | instid1(VALU_DEP_4)
	v_add3_u32 v112, v112, v98, v94
	v_mul_i32_i24_e32 v113, v111, v113
	s_delay_alu instid0(VALU_DEP_3) | instskip(NEXT) | instid1(VALU_DEP_3)
	v_and_b32_e32 v121, 3, v114
	v_mul_i32_i24_e32 v126, v112, v126
	v_mul_i32_i24_e32 v128, v112, v128
	s_delay_alu instid0(VALU_DEP_3) | instskip(SKIP_1) | instid1(VALU_DEP_1)
	v_mul_i32_i24_e32 v115, v121, v115
	v_bfe_u32 v121, v133, 8, 2
	v_mul_i32_i24_e32 v121, v121, v108
	s_delay_alu instid0(VALU_DEP_1) | instskip(SKIP_1) | instid1(VALU_DEP_1)
	v_add3_u32 v42, v42, v115, v121
	v_mul_lo_u32 v115, 0x1010101, v141
	v_lshrrev_b32_e32 v121, 24, v115
	s_delay_alu instid0(VALU_DEP_1) | instskip(NEXT) | instid1(VALU_DEP_1)
	v_mul_i32_i24_e32 v121, v112, v121
	v_add3_u32 v113, v137, v113, v121
	v_bfe_i32 v121, v147, 8, 8
	s_delay_alu instid0(VALU_DEP_1) | instskip(NEXT) | instid1(VALU_DEP_1)
	v_mul_i32_i24_e32 v121, v111, v121
	v_add3_u32 v121, v146, v121, v126
	v_bfe_i32 v126, v151, 8, 8
	s_delay_alu instid0(VALU_DEP_1) | instskip(SKIP_2) | instid1(VALU_DEP_3)
	v_mul_i32_i24_e32 v126, v111, v126
	v_mul_i32_i24_e32 v111, v111, v119
	v_mul_lo_u32 v119, 0x1010101, v155
	v_add3_u32 v126, v150, v126, v128
	s_delay_alu instid0(VALU_DEP_2) | instskip(NEXT) | instid1(VALU_DEP_1)
	v_lshrrev_b32_e32 v128, 24, v119
	v_mul_i32_i24_e32 v112, v112, v128
	s_delay_alu instid0(VALU_DEP_1) | instskip(SKIP_2) | instid1(VALU_DEP_2)
	v_add3_u32 v111, v118, v111, v112
	v_bfe_u32 v112, v124, 16, 2
	v_bfe_u32 v118, v124, 24, 2
	v_mul_i32_i24_e32 v112, v112, v105
	s_delay_alu instid0(VALU_DEP_2) | instskip(NEXT) | instid1(VALU_DEP_1)
	v_mul_i32_i24_e32 v118, v118, v104
	v_add3_u32 v43, v43, v112, v118
	v_bfe_u32 v112, v125, 16, 2
	v_bfe_u32 v118, v125, 24, 2
	s_delay_alu instid0(VALU_DEP_2) | instskip(NEXT) | instid1(VALU_DEP_2)
	v_mul_i32_i24_e32 v112, v112, v109
	v_mul_i32_i24_e32 v118, v118, v110
	s_delay_alu instid0(VALU_DEP_1) | instskip(SKIP_2) | instid1(VALU_DEP_2)
	v_add3_u32 v58, v58, v112, v118
	v_bfe_u32 v112, v32, 16, 2
	v_bfe_u32 v32, v32, 24, 2
	v_mul_i32_i24_e32 v112, v112, v105
	s_delay_alu instid0(VALU_DEP_2) | instskip(NEXT) | instid1(VALU_DEP_1)
	v_mul_i32_i24_e32 v32, v32, v104
	v_add3_u32 v31, v31, v112, v32
	v_bfe_u32 v32, v37, 16, 2
	v_bfe_u32 v37, v37, 24, 2
	s_delay_alu instid0(VALU_DEP_2) | instskip(NEXT) | instid1(VALU_DEP_2)
	v_mul_i32_i24_e32 v32, v32, v109
	v_mul_i32_i24_e32 v37, v37, v110
	s_delay_alu instid0(VALU_DEP_1) | instskip(SKIP_3) | instid1(VALU_DEP_3)
	v_add3_u32 v27, v27, v32, v37
	v_bfe_u32 v32, v41, 16, 2
	v_bfe_u32 v37, v41, 24, 2
	v_add_nc_u32_e32 v41, v108, v106
	v_mul_i32_i24_e32 v32, v32, v105
	s_delay_alu instid0(VALU_DEP_3) | instskip(NEXT) | instid1(VALU_DEP_3)
	v_mul_i32_i24_e32 v37, v37, v104
	v_add3_u32 v41, v41, v103, v99
	s_delay_alu instid0(VALU_DEP_2) | instskip(SKIP_3) | instid1(VALU_DEP_3)
	v_add3_u32 v32, v33, v32, v37
	v_bfe_u32 v33, v46, 16, 2
	v_bfe_u32 v37, v46, 24, 2
	v_bfe_i32 v46, v115, 8, 8
	v_mul_i32_i24_e32 v33, v33, v109
	s_delay_alu instid0(VALU_DEP_3) | instskip(NEXT) | instid1(VALU_DEP_3)
	v_mul_i32_i24_e32 v37, v37, v110
	v_mul_i32_i24_e32 v46, v41, v46
	s_delay_alu instid0(VALU_DEP_2) | instskip(SKIP_3) | instid1(VALU_DEP_3)
	v_add3_u32 v33, v38, v33, v37
	v_bfe_u32 v37, v72, 16, 2
	v_bfe_u32 v38, v72, 24, 2
	v_bfe_i32 v72, v122, 8, 8
	v_mul_i32_i24_e32 v37, v37, v105
	s_delay_alu instid0(VALU_DEP_3) | instskip(NEXT) | instid1(VALU_DEP_3)
	v_mul_i32_i24_e32 v38, v38, v104
	v_mul_i32_i24_e32 v72, v41, v72
	v_bfe_i32 v104, v127, 8, 8
	s_delay_alu instid0(VALU_DEP_3) | instskip(SKIP_2) | instid1(VALU_DEP_4)
	v_add3_u32 v37, v39, v37, v38
	v_bfe_u32 v38, v133, 24, 2
	v_bfe_u32 v39, v133, 16, 2
	v_mul_i32_i24_e32 v104, v41, v104
	s_delay_alu instid0(VALU_DEP_3) | instskip(NEXT) | instid1(VALU_DEP_3)
	v_mul_i32_i24_e32 v38, v38, v110
	v_mul_i32_i24_e32 v39, v39, v109
	s_delay_alu instid0(VALU_DEP_1) | instskip(SKIP_2) | instid1(VALU_DEP_2)
	v_add3_u32 v38, v42, v39, v38
	v_add_nc_u32_e32 v39, v109, v107
	v_bfe_i32 v42, v115, 16, 8
	v_add3_u32 v39, v39, v102, v95
	s_delay_alu instid0(VALU_DEP_1) | instskip(NEXT) | instid1(VALU_DEP_1)
	v_mul_i32_i24_e32 v42, v39, v42
	v_add3_u32 v42, v113, v42, v46
	v_bfe_i32 v46, v122, 16, 8
	s_delay_alu instid0(VALU_DEP_1) | instskip(NEXT) | instid1(VALU_DEP_1)
	v_mul_i32_i24_e32 v46, v39, v46
	v_add3_u32 v46, v121, v46, v72
	v_bfe_i32 v72, v127, 16, 8
	;; [unrolled: 4-line block ×3, first 2 shown]
	s_delay_alu instid0(VALU_DEP_1) | instskip(SKIP_1) | instid1(VALU_DEP_1)
	v_mul_i32_i24_e32 v39, v39, v104
	v_bfe_i32 v104, v119, 8, 8
	v_mul_i32_i24_e32 v41, v41, v104
	v_bfe_u32 v104, v0, 16, 2
	s_delay_alu instid0(VALU_DEP_2) | instskip(SKIP_1) | instid1(VALU_DEP_3)
	v_add3_u32 v39, v111, v39, v41
	v_bfe_u32 v41, v0, 8, 2
	v_mul_i32_i24_e32 v104, v104, v100
	v_bfe_u32 v0, v0, 24, 2
	s_delay_alu instid0(VALU_DEP_4) | instskip(NEXT) | instid1(VALU_DEP_4)
	v_cvt_f32_i32_e32 v39, v39
	v_mul_i32_i24_e32 v41, v41, v101
	s_delay_alu instid0(VALU_DEP_3) | instskip(NEXT) | instid1(VALU_DEP_2)
	v_mul_i32_i24_e32 v0, v0, v96
	v_add3_u32 v41, v43, v41, v104
	v_bfe_u32 v43, v2, 8, 2
	v_bfe_u32 v104, v2, 16, 2
	;; [unrolled: 1-line block ×3, first 2 shown]
	s_delay_alu instid0(VALU_DEP_3) | instskip(NEXT) | instid1(VALU_DEP_3)
	v_mul_i32_i24_e32 v43, v43, v103
	v_mul_i32_i24_e32 v104, v104, v102
	s_delay_alu instid0(VALU_DEP_3) | instskip(NEXT) | instid1(VALU_DEP_2)
	v_mul_i32_i24_e32 v2, v2, v98
	v_add3_u32 v43, v58, v43, v104
	v_bfe_u32 v58, v35, 8, 2
	v_bfe_u32 v104, v35, 16, 2
	;; [unrolled: 1-line block ×3, first 2 shown]
	s_delay_alu instid0(VALU_DEP_3) | instskip(NEXT) | instid1(VALU_DEP_3)
	v_mul_i32_i24_e32 v58, v58, v101
	v_mul_i32_i24_e32 v104, v104, v100
	s_delay_alu instid0(VALU_DEP_3) | instskip(NEXT) | instid1(VALU_DEP_2)
	v_mul_i32_i24_e32 v35, v35, v96
	v_add3_u32 v31, v31, v58, v104
	v_bfe_u32 v58, v40, 8, 2
	v_bfe_u32 v104, v40, 16, 2
	s_delay_alu instid0(VALU_DEP_2) | instskip(NEXT) | instid1(VALU_DEP_2)
	v_mul_i32_i24_e32 v58, v58, v103
	v_mul_i32_i24_e32 v104, v104, v102
	s_delay_alu instid0(VALU_DEP_1) | instskip(SKIP_2) | instid1(VALU_DEP_2)
	v_add3_u32 v27, v27, v58, v104
	v_bfe_u32 v58, v44, 8, 2
	v_bfe_u32 v104, v44, 16, 2
	v_mul_i32_i24_e32 v58, v58, v101
	s_delay_alu instid0(VALU_DEP_2) | instskip(NEXT) | instid1(VALU_DEP_1)
	v_mul_i32_i24_e32 v104, v104, v100
	v_add3_u32 v32, v32, v58, v104
	v_bfe_u32 v58, v66, 8, 2
	v_bfe_u32 v104, v66, 16, 2
	s_delay_alu instid0(VALU_DEP_2) | instskip(NEXT) | instid1(VALU_DEP_2)
	v_mul_i32_i24_e32 v58, v58, v103
	v_mul_i32_i24_e32 v104, v104, v102
	s_delay_alu instid0(VALU_DEP_1) | instskip(SKIP_1) | instid1(VALU_DEP_1)
	v_add3_u32 v33, v33, v58, v104
	v_bfe_u32 v58, v80, 8, 2
	v_mul_i32_i24_e32 v58, v58, v101
	v_bfe_u32 v101, v80, 16, 2
	s_delay_alu instid0(VALU_DEP_1) | instskip(NEXT) | instid1(VALU_DEP_1)
	v_mul_i32_i24_e32 v100, v101, v100
	v_add3_u32 v37, v37, v58, v100
	v_bfe_u32 v58, v139, 8, 2
	v_bfe_u32 v100, v139, 16, 2
	s_delay_alu instid0(VALU_DEP_2) | instskip(NEXT) | instid1(VALU_DEP_2)
	v_mul_i32_i24_e32 v58, v58, v103
	v_mul_i32_i24_e32 v100, v100, v102
	s_delay_alu instid0(VALU_DEP_1) | instskip(SKIP_1) | instid1(VALU_DEP_1)
	v_add3_u32 v38, v38, v58, v100
	v_bfe_u32 v58, v1, 8, 2
	v_mul_i32_i24_e32 v58, v58, v97
	s_delay_alu instid0(VALU_DEP_1) | instskip(SKIP_1) | instid1(VALU_DEP_1)
	v_add3_u32 v0, v41, v0, v58
	v_bfe_u32 v41, v3, 8, 2
	v_mul_i32_i24_e32 v41, v41, v99
	s_delay_alu instid0(VALU_DEP_1) | instskip(SKIP_2) | instid1(VALU_DEP_2)
	v_add3_u32 v2, v43, v2, v41
	v_bfe_u32 v41, v59, 8, 2
	v_and_b32_e32 v43, 15, v153
	v_mul_i32_i24_e32 v41, v41, v97
	s_delay_alu instid0(VALU_DEP_1) | instskip(SKIP_3) | instid1(VALU_DEP_3)
	v_add3_u32 v31, v31, v35, v41
	v_bfe_u32 v35, v40, 24, 2
	v_bfe_u32 v40, v71, 8, 2
	v_and_b32_e32 v41, 15, v149
	v_mul_i32_i24_e32 v35, v35, v98
	s_delay_alu instid0(VALU_DEP_3) | instskip(NEXT) | instid1(VALU_DEP_1)
	v_mul_i32_i24_e32 v40, v40, v99
	v_add3_u32 v27, v27, v35, v40
	v_bfe_u32 v35, v44, 24, 2
	v_bfe_u32 v40, v73, 8, 2
	s_delay_alu instid0(VALU_DEP_2) | instskip(NEXT) | instid1(VALU_DEP_2)
	v_mul_i32_i24_e32 v35, v35, v96
	v_mul_i32_i24_e32 v40, v40, v97
	s_delay_alu instid0(VALU_DEP_1) | instskip(SKIP_2) | instid1(VALU_DEP_2)
	v_add3_u32 v32, v32, v35, v40
	v_bfe_u32 v35, v66, 24, 2
	v_bfe_u32 v40, v116, 8, 2
	v_mul_i32_i24_e32 v35, v35, v98
	s_delay_alu instid0(VALU_DEP_2) | instskip(NEXT) | instid1(VALU_DEP_1)
	v_mul_i32_i24_e32 v40, v40, v99
	v_add3_u32 v33, v33, v35, v40
	v_bfe_u32 v35, v80, 24, 2
	v_bfe_u32 v40, v117, 8, 2
	s_delay_alu instid0(VALU_DEP_2) | instskip(NEXT) | instid1(VALU_DEP_2)
	v_mul_i32_i24_e32 v35, v35, v96
	v_mul_i32_i24_e32 v40, v40, v97
	s_delay_alu instid0(VALU_DEP_1) | instskip(SKIP_2) | instid1(VALU_DEP_2)
	v_add3_u32 v35, v37, v35, v40
	v_bfe_u32 v37, v139, 24, 2
	v_bfe_u32 v40, v114, 8, 2
	v_mul_i32_i24_e32 v37, v37, v98
	s_delay_alu instid0(VALU_DEP_2) | instskip(NEXT) | instid1(VALU_DEP_1)
	v_mul_i32_i24_e32 v40, v40, v99
	v_add3_u32 v37, v38, v37, v40
	v_bfe_u32 v38, v1, 16, 2
	v_bfe_u32 v1, v1, 24, 2
	v_lshrrev_b32_e32 v40, 16, v36
	s_delay_alu instid0(VALU_DEP_3) | instskip(NEXT) | instid1(VALU_DEP_3)
	v_mul_i32_i24_e32 v38, v38, v7
	v_mul_i32_i24_e32 v1, v1, v6
	s_delay_alu instid0(VALU_DEP_1) | instskip(SKIP_3) | instid1(VALU_DEP_3)
	v_add3_u32 v0, v0, v38, v1
	v_bfe_u32 v1, v3, 16, 2
	v_bfe_u32 v3, v3, 24, 2
	v_and_b32_e32 v38, 15, v123
	v_mul_i32_i24_e32 v1, v1, v95
	s_delay_alu instid0(VALU_DEP_3) | instskip(NEXT) | instid1(VALU_DEP_1)
	v_mul_i32_i24_e32 v3, v3, v94
	v_add3_u32 v3, v2, v1, v3
	v_bfe_u32 v1, v59, 16, 2
	v_bfe_u32 v2, v59, 24, 2
	s_delay_alu instid0(VALU_DEP_2) | instskip(NEXT) | instid1(VALU_DEP_2)
	v_mul_i32_i24_e32 v1, v1, v7
	v_mul_i32_i24_e32 v2, v2, v6
	s_delay_alu instid0(VALU_DEP_1) | instskip(SKIP_2) | instid1(VALU_DEP_2)
	v_add3_u32 v31, v31, v1, v2
	v_bfe_u32 v1, v71, 16, 2
	v_bfe_u32 v2, v71, 24, 2
	v_mul_i32_i24_e32 v1, v1, v95
	s_delay_alu instid0(VALU_DEP_2) | instskip(NEXT) | instid1(VALU_DEP_1)
	v_mul_i32_i24_e32 v2, v2, v94
	v_add3_u32 v27, v27, v1, v2
	v_bfe_u32 v1, v73, 16, 2
	v_bfe_u32 v2, v73, 24, 2
	s_delay_alu instid0(VALU_DEP_2) | instskip(NEXT) | instid1(VALU_DEP_2)
	v_mul_i32_i24_e32 v1, v1, v7
	v_mul_i32_i24_e32 v2, v2, v6
	s_delay_alu instid0(VALU_DEP_1) | instskip(SKIP_2) | instid1(VALU_DEP_2)
	v_add3_u32 v32, v32, v1, v2
	v_bfe_u32 v1, v116, 16, 2
	v_bfe_u32 v2, v116, 24, 2
	v_mul_i32_i24_e32 v1, v1, v95
	s_delay_alu instid0(VALU_DEP_2) | instskip(NEXT) | instid1(VALU_DEP_1)
	v_mul_i32_i24_e32 v2, v2, v94
	v_add3_u32 v33, v33, v1, v2
	v_bfe_u32 v1, v117, 16, 2
	v_bfe_u32 v2, v117, 24, 2
	s_delay_alu instid0(VALU_DEP_2) | instskip(NEXT) | instid1(VALU_DEP_2)
	v_mul_i32_i24_e32 v1, v1, v7
	v_mul_i32_i24_e32 v2, v2, v6
	v_and_b32_e32 v7, 15, v143
	s_delay_alu instid0(VALU_DEP_2) | instskip(SKIP_2) | instid1(VALU_DEP_2)
	v_add3_u32 v6, v35, v1, v2
	v_bfe_u32 v1, v114, 16, 2
	v_bfe_u32 v2, v114, 24, 2
	v_mul_i32_i24_e32 v1, v1, v95
	s_delay_alu instid0(VALU_DEP_2) | instskip(NEXT) | instid1(VALU_DEP_1)
	v_mul_i32_i24_e32 v2, v2, v94
	v_add3_u32 v35, v37, v1, v2
	v_and_b32_e32 v1, 15, v120
	ds_load_b32 v37, v5
	v_add_nc_u32_e32 v5, 4, v5
	v_mul_lo_u32 v0, v0, v1
	s_delay_alu instid0(VALU_DEP_1) | instskip(SKIP_3) | instid1(VALU_DEP_2)
	v_mad_u64_u32 v[1:2], null, v3, v38, v[0:1]
	v_mul_lo_u32 v0, v31, v34
	v_lshrrev_b32_e32 v38, 16, v130
	v_cvt_f32_f16_e32 v34, v40
	v_cvt_f32_f16_e32 v31, v38
	s_delay_alu instid0(VALU_DEP_4) | instskip(SKIP_4) | instid1(VALU_DEP_4)
	v_mad_u64_u32 v[2:3], null, v27, v41, v[0:1]
	v_lshrrev_b32_e32 v0, 16, v70
	v_lshrrev_b32_e32 v3, 16, v131
	v_and_b32_e32 v27, 15, v79
	v_and_b32_e32 v41, 15, v145
	v_cvt_f32_f16_e32 v38, v0
	s_delay_alu instid0(VALU_DEP_4)
	v_cvt_f32_f16_e32 v40, v3
	v_mul_lo_u32 v0, v32, v7
	v_mul_lo_u32 v3, v6, v27
	v_cvt_f32_i32_e32 v27, v42
	v_cvt_f32_i32_e32 v32, v46
	;; [unrolled: 1-line block ×4, first 2 shown]
	v_mad_u64_u32 v[6:7], null, v33, v41, v[0:1]
	v_mul_f32_e32 v0, v31, v27
	v_mad_u64_u32 v[94:95], null, v35, v43, v[3:4]
	v_mul_f32_e32 v3, v38, v32
	v_mul_f32_e32 v7, v34, v42
	;; [unrolled: 1-line block ×3, first 2 shown]
	v_cvt_f32_i32_e32 v1, v1
	v_cvt_f32_i32_e32 v6, v6
	v_add_nc_u32_e32 v4, 32, v4
	v_cvt_f32_i32_e32 v31, v94
	s_delay_alu instid0(VALU_DEP_4) | instskip(SKIP_2) | instid1(VALU_DEP_4)
	v_fma_mix_f32 v0, v130, v1, -v0 op_sel_hi:[1,0,0]
	v_fma_mix_f32 v1, v36, v2, -v7 op_sel_hi:[1,0,0]
	;; [unrolled: 1-line block ×4, first 2 shown]
	s_waitcnt lgkmcnt(0)
	v_fmac_f32_e32 v29, v37, v0
	v_fmac_f32_e32 v60, v37, v1
	;; [unrolled: 1-line block ×4, first 2 shown]
	s_cbranch_scc1 .LBB228_38
; %bb.39:                               ;   in Loop: Header=BB228_7 Depth=1
	s_barrier
	buffer_gl0_inv
.LBB228_40:                             ;   in Loop: Header=BB228_7 Depth=1
	v_dual_mov_b32 v31, v51 :: v_dual_mov_b32 v32, v53
	v_dual_mov_b32 v33, v54 :: v_dual_mov_b32 v34, v56
	v_mov_b32_e32 v39, v26
	v_mov_b32_e32 v40, v10
	v_dual_mov_b32 v10, v11 :: v_dual_mov_b32 v11, v12
	v_dual_mov_b32 v12, v13 :: v_dual_mov_b32 v13, v14
	;; [unrolled: 1-line block ×5, first 2 shown]
	v_mov_b32_e32 v20, v21
	s_clause 0x9
	scratch_load_b64 v[42:43], off, off offset:16
	scratch_load_b32 v21, off, off offset:32
	scratch_load_b32 v41, off, off offset:36
	;; [unrolled: 1-line block ×8, first 2 shown]
	scratch_load_b64 v[43:44], off, off offset:24
	s_branch .LBB228_42
.LBB228_41:                             ;   in Loop: Header=BB228_7 Depth=1
	scratch_load_b64 v[42:43], off, off offset:16 ; 8-byte Folded Reload
	v_dual_mov_b32 v31, v51 :: v_dual_mov_b32 v32, v53
	v_dual_mov_b32 v33, v54 :: v_dual_mov_b32 v34, v56
	v_mov_b32_e32 v39, v26
	v_mov_b32_e32 v40, v10
	v_dual_mov_b32 v10, v11 :: v_dual_mov_b32 v11, v12
	v_dual_mov_b32 v12, v13 :: v_dual_mov_b32 v13, v14
	;; [unrolled: 1-line block ×5, first 2 shown]
	v_mov_b32_e32 v20, v21
	s_clause 0x8
	scratch_load_b64 v[43:44], off, off offset:24
	scratch_load_b32 v21, off, off offset:32
	scratch_load_b32 v41, off, off offset:36
	;; [unrolled: 1-line block ×8, first 2 shown]
.LBB228_42:                             ;   in Loop: Header=BB228_7 Depth=1
	scratch_load_b32 v44, off, off offset:40 ; 4-byte Folded Reload
	s_branch .LBB228_5
.LBB228_43:
	scratch_load_b32 v27, off, off offset:100 ; 4-byte Folded Reload
.LBB228_44:
	s_mul_i32 s0, s10, s7
	s_waitcnt vmcnt(0)
	v_cmp_gt_i32_e32 vcc_lo, s0, v27
	s_and_saveexec_b32 s0, vcc_lo
	s_cbranch_execz .LBB228_53
; %bb.45:
	v_mul_lo_u32 v0, v27, s9
	v_add_nc_u32_e32 v1, s11, v156
	s_mov_b32 s0, exec_lo
	s_delay_alu instid0(VALU_DEP_1)
	v_cmpx_gt_u32_e64 s9, v1
	s_cbranch_execz .LBB228_47
; %bb.46:
	v_bfe_u32 v3, v29, 16, 1
	s_delay_alu instid0(VALU_DEP_4) | instskip(SKIP_1) | instid1(VALU_DEP_3)
	v_add_nc_u32_e32 v2, v0, v1
	v_cmp_o_f32_e32 vcc_lo, v29, v29
	v_add3_u32 v4, v29, v3, 0x7fff
	v_mov_b32_e32 v3, 0
	s_delay_alu instid0(VALU_DEP_2) | instskip(NEXT) | instid1(VALU_DEP_2)
	v_lshrrev_b32_e32 v4, 16, v4
	v_lshlrev_b64 v[2:3], 1, v[2:3]
	s_delay_alu instid0(VALU_DEP_2) | instskip(NEXT) | instid1(VALU_DEP_2)
	v_cndmask_b32_e32 v4, 0x7fc0, v4, vcc_lo
	v_add_co_u32 v2, vcc_lo, s12, v2
	s_delay_alu instid0(VALU_DEP_3)
	v_add_co_ci_u32_e32 v3, vcc_lo, s13, v3, vcc_lo
	global_store_b16 v[2:3], v4, off
.LBB228_47:
	s_or_b32 exec_lo, exec_lo, s0
	v_add_nc_u32_e32 v2, 32, v1
	s_mov_b32 s0, exec_lo
	s_delay_alu instid0(VALU_DEP_1)
	v_cmpx_gt_u32_e64 s9, v2
	s_cbranch_execz .LBB228_49
; %bb.48:
	v_bfe_u32 v3, v60, 16, 1
	v_add_nc_u32_e32 v2, v0, v2
	v_cmp_o_f32_e32 vcc_lo, v60, v60
	s_delay_alu instid0(VALU_DEP_3) | instskip(SKIP_1) | instid1(VALU_DEP_2)
	v_add3_u32 v4, v60, v3, 0x7fff
	v_mov_b32_e32 v3, 0
	v_lshrrev_b32_e32 v4, 16, v4
	s_delay_alu instid0(VALU_DEP_2) | instskip(NEXT) | instid1(VALU_DEP_2)
	v_lshlrev_b64 v[2:3], 1, v[2:3]
	v_cndmask_b32_e32 v4, 0x7fc0, v4, vcc_lo
	s_delay_alu instid0(VALU_DEP_2) | instskip(NEXT) | instid1(VALU_DEP_3)
	v_add_co_u32 v2, vcc_lo, s12, v2
	v_add_co_ci_u32_e32 v3, vcc_lo, s13, v3, vcc_lo
	global_store_b16 v[2:3], v4, off
.LBB228_49:
	s_or_b32 exec_lo, exec_lo, s0
	v_add_nc_u32_e32 v2, 64, v1
	s_mov_b32 s0, exec_lo
	s_delay_alu instid0(VALU_DEP_1)
	v_cmpx_gt_u32_e64 s9, v2
	s_cbranch_execz .LBB228_51
; %bb.50:
	v_bfe_u32 v3, v55, 16, 1
	v_add_nc_u32_e32 v2, v0, v2
	v_cmp_o_f32_e32 vcc_lo, v55, v55
	s_delay_alu instid0(VALU_DEP_3) | instskip(SKIP_1) | instid1(VALU_DEP_2)
	v_add3_u32 v4, v55, v3, 0x7fff
	v_mov_b32_e32 v3, 0
	v_lshrrev_b32_e32 v4, 16, v4
	s_delay_alu instid0(VALU_DEP_2) | instskip(NEXT) | instid1(VALU_DEP_2)
	v_lshlrev_b64 v[2:3], 1, v[2:3]
	v_cndmask_b32_e32 v4, 0x7fc0, v4, vcc_lo
	s_delay_alu instid0(VALU_DEP_2) | instskip(NEXT) | instid1(VALU_DEP_3)
	v_add_co_u32 v2, vcc_lo, s12, v2
	v_add_co_ci_u32_e32 v3, vcc_lo, s13, v3, vcc_lo
	global_store_b16 v[2:3], v4, off
.LBB228_51:
	s_or_b32 exec_lo, exec_lo, s0
	v_add_nc_u32_e32 v1, 0x60, v1
	s_delay_alu instid0(VALU_DEP_1)
	v_cmp_gt_u32_e32 vcc_lo, s9, v1
	s_and_b32 exec_lo, exec_lo, vcc_lo
	s_cbranch_execz .LBB228_53
; %bb.52:
	v_bfe_u32 v2, v24, 16, 1
	v_dual_mov_b32 v1, 0 :: v_dual_add_nc_u32 v0, v0, v1
	v_cmp_o_f32_e32 vcc_lo, v24, v24
	s_delay_alu instid0(VALU_DEP_3) | instskip(NEXT) | instid1(VALU_DEP_3)
	v_add3_u32 v2, v24, v2, 0x7fff
	v_lshlrev_b64 v[0:1], 1, v[0:1]
	s_delay_alu instid0(VALU_DEP_2) | instskip(NEXT) | instid1(VALU_DEP_1)
	v_lshrrev_b32_e32 v2, 16, v2
	v_cndmask_b32_e32 v2, 0x7fc0, v2, vcc_lo
	s_delay_alu instid0(VALU_DEP_3) | instskip(NEXT) | instid1(VALU_DEP_4)
	v_add_co_u32 v0, vcc_lo, s12, v0
	v_add_co_ci_u32_e32 v1, vcc_lo, s13, v1, vcc_lo
	global_store_b16 v[0:1], v2, off
.LBB228_53:
	s_endpgm
	.section	.rodata,"a",@progbits
	.p2align	6, 0x0
	.amdhsa_kernel _ZL8moe_q2_KIN3c108BFloat16ELb1EEvPKvS3_PT_PKiS7_S7_iiiiiii
		.amdhsa_group_segment_fixed_size 23328
		.amdhsa_private_segment_fixed_size 108
		.amdhsa_kernarg_size 76
		.amdhsa_user_sgpr_count 14
		.amdhsa_user_sgpr_dispatch_ptr 0
		.amdhsa_user_sgpr_queue_ptr 0
		.amdhsa_user_sgpr_kernarg_segment_ptr 1
		.amdhsa_user_sgpr_dispatch_id 0
		.amdhsa_user_sgpr_private_segment_size 0
		.amdhsa_wavefront_size32 1
		.amdhsa_uses_dynamic_stack 0
		.amdhsa_enable_private_segment 1
		.amdhsa_system_sgpr_workgroup_id_x 1
		.amdhsa_system_sgpr_workgroup_id_y 1
		.amdhsa_system_sgpr_workgroup_id_z 0
		.amdhsa_system_sgpr_workgroup_info 0
		.amdhsa_system_vgpr_workitem_id 1
		.amdhsa_next_free_vgpr 256
		.amdhsa_next_free_sgpr 30
		.amdhsa_reserve_vcc 1
		.amdhsa_float_round_mode_32 0
		.amdhsa_float_round_mode_16_64 0
		.amdhsa_float_denorm_mode_32 3
		.amdhsa_float_denorm_mode_16_64 3
		.amdhsa_dx10_clamp 1
		.amdhsa_ieee_mode 1
		.amdhsa_fp16_overflow 0
		.amdhsa_workgroup_processor_mode 1
		.amdhsa_memory_ordered 1
		.amdhsa_forward_progress 0
		.amdhsa_shared_vgpr_count 0
		.amdhsa_exception_fp_ieee_invalid_op 0
		.amdhsa_exception_fp_denorm_src 0
		.amdhsa_exception_fp_ieee_div_zero 0
		.amdhsa_exception_fp_ieee_overflow 0
		.amdhsa_exception_fp_ieee_underflow 0
		.amdhsa_exception_fp_ieee_inexact 0
		.amdhsa_exception_int_div_zero 0
	.end_amdhsa_kernel
	.section	.text._ZL8moe_q2_KIN3c108BFloat16ELb1EEvPKvS3_PT_PKiS7_S7_iiiiiii,"axG",@progbits,_ZL8moe_q2_KIN3c108BFloat16ELb1EEvPKvS3_PT_PKiS7_S7_iiiiiii,comdat
.Lfunc_end228:
	.size	_ZL8moe_q2_KIN3c108BFloat16ELb1EEvPKvS3_PT_PKiS7_S7_iiiiiii, .Lfunc_end228-_ZL8moe_q2_KIN3c108BFloat16ELb1EEvPKvS3_PT_PKiS7_S7_iiiiiii
                                        ; -- End function
	.section	.AMDGPU.csdata,"",@progbits
; Kernel info:
; codeLenInByte = 21152
; NumSgprs: 32
; NumVgprs: 256
; ScratchSize: 108
; MemoryBound: 0
; FloatMode: 240
; IeeeMode: 1
; LDSByteSize: 23328 bytes/workgroup (compile time only)
; SGPRBlocks: 3
; VGPRBlocks: 31
; NumSGPRsForWavesPerEU: 32
; NumVGPRsForWavesPerEU: 256
; Occupancy: 5
; WaveLimiterHint : 1
; COMPUTE_PGM_RSRC2:SCRATCH_EN: 1
; COMPUTE_PGM_RSRC2:USER_SGPR: 14
; COMPUTE_PGM_RSRC2:TRAP_HANDLER: 0
; COMPUTE_PGM_RSRC2:TGID_X_EN: 1
; COMPUTE_PGM_RSRC2:TGID_Y_EN: 1
; COMPUTE_PGM_RSRC2:TGID_Z_EN: 0
; COMPUTE_PGM_RSRC2:TIDIG_COMP_CNT: 1
	.section	.text._ZL8moe_q3_KIN3c108BFloat16ELb0EEvPKvS3_PT_PKiS7_S7_iiiiiii,"axG",@progbits,_ZL8moe_q3_KIN3c108BFloat16ELb0EEvPKvS3_PT_PKiS7_S7_iiiiiii,comdat
	.globl	_ZL8moe_q3_KIN3c108BFloat16ELb0EEvPKvS3_PT_PKiS7_S7_iiiiiii ; -- Begin function _ZL8moe_q3_KIN3c108BFloat16ELb0EEvPKvS3_PT_PKiS7_S7_iiiiiii
	.p2align	8
	.type	_ZL8moe_q3_KIN3c108BFloat16ELb0EEvPKvS3_PT_PKiS7_S7_iiiiiii,@function
_ZL8moe_q3_KIN3c108BFloat16ELb0EEvPKvS3_PT_PKiS7_S7_iiiiiii: ; @_ZL8moe_q3_KIN3c108BFloat16ELb0EEvPKvS3_PT_PKiS7_S7_iiiiiii
; %bb.0:
	s_load_b128 s[4:7], s[0:1], 0x18
	s_mov_b32 s2, s15
	s_mov_b32 s3, 0
	s_delay_alu instid0(SALU_CYCLE_1)
	s_lshl_b64 s[8:9], s[2:3], 2
	s_waitcnt lgkmcnt(0)
	s_add_u32 s6, s6, s8
	s_addc_u32 s7, s7, s9
	s_load_b32 s12, s[6:7], 0x0
	s_waitcnt lgkmcnt(0)
	s_cmpk_gt_u32 s12, 0xff
	s_cbranch_scc1 .LBB229_47
; %bb.1:
	s_load_b64 s[6:7], s[0:1], 0x28
	s_lshl_b32 s2, s2, 3
	s_waitcnt lgkmcnt(0)
	s_load_b32 s3, s[6:7], 0x0
	s_waitcnt lgkmcnt(0)
	s_cmp_gt_u32 s2, s3
	s_cbranch_scc1 .LBB229_47
; %bb.2:
	v_bfe_u32 v1, v0, 10, 10
	v_mov_b32_e32 v8, 0
	s_lshl_b32 s20, s14, 7
	s_mov_b32 s21, 0
	s_delay_alu instid0(VALU_DEP_2) | instskip(NEXT) | instid1(VALU_DEP_2)
	v_add_nc_u32_e32 v7, s2, v1
	v_dual_mov_b32 v33, v8 :: v_dual_and_b32 v32, 0x3ff, v0
	v_mov_b32_e32 v90, v8
	v_mov_b32_e32 v96, v8
	s_delay_alu instid0(VALU_DEP_4) | instskip(NEXT) | instid1(VALU_DEP_1)
	v_lshlrev_b64 v[2:3], 2, v[7:8]
	v_add_co_u32 v2, vcc_lo, s4, v2
	s_delay_alu instid0(VALU_DEP_2)
	v_add_co_ci_u32_e32 v3, vcc_lo, s5, v3, vcc_lo
	global_load_b32 v31, v[2:3], off
	s_clause 0x2
	s_load_b64 s[10:11], s[0:1], 0x30
	s_load_b64 s[8:9], s[0:1], 0x10
	s_load_b128 s[4:7], s[0:1], 0x3c
	s_waitcnt lgkmcnt(0)
	s_cmpk_lt_i32 s11, 0x100
	s_cbranch_scc1 .LBB229_38
; %bb.3:
	s_load_b128 s[0:3], s[0:1], 0x0
	s_ashr_i32 s13, s11, 31
	v_lshrrev_b32_e32 v34, 4, v32
	v_lshlrev_b32_e32 v3, 4, v1
	v_lshrrev_b32_e32 v4, 1, v32
	v_lshlrev_b32_e32 v5, 1, v1
	s_mul_i32 s12, s12, s10
	s_lshr_b32 s10, s13, 24
	s_ashr_i32 s14, s5, 31
	s_add_i32 s10, s11, s10
	v_dual_mov_b32 v33, 0 :: v_dual_and_b32 v0, 15, v32
	s_lshr_b32 s13, s14, 27
	v_and_b32_e32 v36, 1, v32
	v_add_nc_u32_e32 v7, v4, v3
	v_add_nc_u32_e32 v9, v34, v5
	s_ashr_i32 s10, s10, 8
	s_add_i32 s5, s5, s13
	s_mul_i32 s13, s10, s20
	s_ashr_i32 s14, s12, 31
	s_ashr_i32 s5, s5, 5
	s_mul_hi_i32 s15, s13, 0x6e
	s_mulk_i32 s13, 0x6e
	s_waitcnt lgkmcnt(0)
	s_add_u32 s0, s0, s12
	v_lshlrev_b32_e32 v38, 2, v0
	v_lshlrev_b32_e32 v8, 2, v36
	v_cmp_lt_u32_e32 vcc_lo, 7, v0
	v_add_nc_u16 v0, v34, v5
	v_and_b32_e32 v5, 0x7f, v7
	v_lshrrev_b32_e32 v7, 2, v7
	v_add_nc_u32_e32 v10, 16, v9
	v_add_nc_u32_e32 v13, 48, v9
	s_addc_u32 s1, s1, s14
	s_add_u32 s22, s0, s13
	s_addc_u32 s23, s1, s15
	s_lshl_b32 s0, s10, 3
	v_mul_i32_i24_e32 v68, s10, v5
	v_mad_i32_i24 v35, s10, v1, s0
	v_lshl_or_b32 v5, v5, 3, v8
	v_and_b32_e32 v7, 28, v7
	v_lshlrev_b32_e32 v8, 1, v10
	v_lshlrev_b32_e32 v16, 1, v13
	v_add_nc_u32_e32 v37, s0, v35
	s_lshl_b32 s14, s10, 4
	v_add3_u32 v71, v5, v7, 0x7380
	v_and_b32_e32 v5, 0x3ffc, v8
	v_and_b32_e32 v8, 0x3ffc, v16
	v_mad_i32_i24 v73, s10, v9, s14
	v_add_nc_u32_e32 v39, s0, v37
	v_lshlrev_b32_e32 v13, 6, v13
	v_add_nc_u32_e32 v12, 32, v9
	v_add3_u32 v8, v8, v38, 0x4200
	v_add_nc_u32_e32 v75, s14, v73
	v_add_nc_u32_e32 v14, 64, v9
	v_lshlrev_b32_e32 v15, 6, v10
	v_lshlrev_b32_e32 v10, 1, v12
	v_dual_mov_b32 v8, 0 :: v_dual_add_nc_u32 v129, v8, v13
	v_add_nc_u32_e32 v41, s0, v39
	v_add_nc_u32_e32 v76, s14, v75
	s_delay_alu instid0(VALU_DEP_4)
	v_and_b32_e32 v7, 0x3ffc, v10
	v_lshlrev_b32_e32 v10, 1, v14
	v_add_nc_u32_e32 v16, 0x50, v9
	v_add_nc_u32_e32 v45, s0, v41
	;; [unrolled: 1-line block ×3, first 2 shown]
	v_mul_i32_i24_e32 v65, s10, v9
	v_lshlrev_b32_e32 v11, 6, v9
	v_add_nc_u32_e32 v18, 0x60, v9
	v_add_nc_u32_e32 v50, s0, v45
	;; [unrolled: 1-line block ×4, first 2 shown]
	v_and_b32_e32 v10, 0x3ffc, v10
	v_lshlrev_b32_e32 v17, 1, v16
	v_add_nc_u32_e32 v55, s0, v50
	v_add_nc_u32_e32 v79, s14, v78
	v_lshlrev_b32_e32 v20, 1, v9
	v_lshlrev_b32_e32 v23, 6, v9
	v_add3_u32 v19, v10, v38, 0x4200
	v_add_nc_u32_e32 v60, s0, v55
	v_add_nc_u32_e32 v80, s14, v79
	s_abs_i32 s14, s7
	v_and_b32_e32 v10, 0x3ffc, v17
	v_cvt_f32_u32_e32 v9, s14
	v_add_nc_u32_e32 v64, s0, v60
	v_lshlrev_b32_e32 v17, 1, v18
	v_cndmask_b32_e64 v42, 0, 1, vcc_lo
	v_add3_u32 v21, v10, v38, 0x4200
	v_rcp_iflag_f32_e32 v9, v9
	v_add_nc_u32_e32 v66, s0, v64
	v_and_b32_e32 v10, 0x3ffc, v17
	v_and_b32_e32 v17, 0x3ffc, v20
	;; [unrolled: 1-line block ×3, first 2 shown]
	v_lshlrev_b32_e32 v2, 2, v32
	v_add_nc_u32_e32 v67, s0, v66
	v_add3_u32 v22, v10, v38, 0x4200
	v_lshlrev_b32_e32 v24, 2, v1
	v_add_nc_u16 v10, v20, -2
	v_mul_f32_e32 v9, 0x4f7ffffe, v9
	v_cmp_gt_u32_e32 vcc_lo, 2, v20
	v_add_nc_u32_e32 v69, s0, v67
	v_lshrrev_b32_e32 v81, 3, v32
	s_sub_i32 s15, 0, s14
	v_cvt_u32_f32_e32 v9, v9
	v_cndmask_b32_e32 v10, v10, v20, vcc_lo
	v_add_nc_u32_e32 v70, s0, v69
	v_cmp_lt_u32_e32 vcc_lo, 1, v20
	v_add_nc_u32_e32 v26, v81, v24
	v_mul_lo_u32 v27, s15, v9
	v_and_b32_e32 v10, 0xff, v10
	v_add_nc_u32_e32 v72, s0, v70
	v_and_b32_e32 v6, 7, v32
	v_cndmask_b32_e64 v25, 0, 1, vcc_lo
	v_lshlrev_b32_e32 v85, 1, v20
	v_lshlrev_b32_e32 v84, 2, v10
	v_add_nc_u32_e32 v10, 32, v26
	v_add_nc_u32_e32 v74, s0, v72
	s_lshl_b32 s0, s10, 5
	v_lshlrev_b32_e32 v43, 2, v6
	v_cmp_lt_u32_e32 vcc_lo, 3, v6
	v_lshlrev_b32_e32 v83, 2, v25
	v_and_b32_e32 v6, 0x1ffc, v26
	v_mul_i32_i24_e32 v86, s10, v26
	v_add_nc_u32_e32 v20, 64, v26
	v_and_b32_e32 v25, 0x3ffc, v10
	v_mad_i32_i24 v87, s10, v26, s0
	v_lshlrev_b32_e32 v29, 5, v26
	v_lshlrev_b32_e32 v30, 5, v10
	v_add_nc_u32_e32 v10, 0x60, v26
	v_mul_hi_u32 v26, v9, v27
	s_waitcnt vmcnt(0)
	v_sub_nc_u32_e32 v27, 0, v31
	v_mad_u32_u24 v40, 0x84, v1, v2
	v_add_nc_u32_e32 v88, s0, v87
	v_and_b32_e32 v2, 28, v2
	v_and_b32_e32 v90, 0x3ffc, v10
	v_max_i32_e32 v27, v31, v27
	v_lshl_add_u32 v94, v32, 4, v4
	v_add_nc_u32_e32 v9, v9, v26
	v_add_nc_u32_e32 v89, s0, v88
	v_add3_u32 v26, v90, v43, 0x6300
	v_lshlrev_b32_e32 v90, 5, v10
	v_lshlrev_b32_e32 v97, 2, v34
	v_mul_hi_u32 v96, v27, v9
	v_add_co_u32 v9, s0, s2, v2
	s_delay_alu instid0(VALU_DEP_1)
	v_add_co_ci_u32_e64 v10, null, s3, 0, s0
	v_lshlrev_b32_e32 v98, 3, v32
	v_lshrrev_b16 v0, 1, v0
	v_or_b32_e32 v2, v24, v32
	v_mul_lo_u32 v95, v96, s14
	v_add_nc_u32_e32 v24, 32, v32
	v_add3_u32 v97, v97, v98, 0x7380
	v_xor_b32_e32 v98, s7, v31
	v_and_b32_e32 v0, 0xffff, v0
	v_add_nc_u32_e32 v113, 64, v32
	v_add_nc_u32_e32 v112, 0x60, v32
	v_lshl_add_u32 v92, v2, 2, 0x7ba0
	v_sub_nc_u32_e32 v4, v27, v95
	v_add_nc_u32_e32 v27, 1, v96
	v_ashrrev_i32_e32 v102, 31, v98
	v_lshrrev_b32_e32 v2, 1, v24
	v_mul_i32_i24_e32 v44, s10, v1
	v_subrev_nc_u32_e32 v99, s14, v4
	v_cmp_le_u32_e64 s0, s14, v4
	v_lshlrev_b32_e32 v0, 2, v0
	v_and_b32_e32 v28, 0x3ffc, v20
	v_and_b32_e32 v91, 31, v32
	v_lshlrev_b32_e32 v1, 7, v1
	v_cndmask_b32_e64 v27, v96, v27, s0
	v_cndmask_b32_e64 v4, v4, v99, s0
	v_lshrrev_b32_e32 v96, 2, v24
	v_lshrrev_b32_e32 v101, 1, v113
	;; [unrolled: 1-line block ×3, first 2 shown]
	v_add_nc_u32_e32 v99, 1, v27
	v_cmp_le_u32_e64 s0, s14, v4
	v_and_b32_e32 v96, 0x7c, v96
	v_lshlrev_b32_e32 v100, 3, v24
	v_lshl_add_u32 v98, v24, 4, v2
	v_lshrrev_b32_e32 v2, 2, v113
	v_cndmask_b32_e64 v4, v27, v99, s0
	v_lshrrev_b32_e32 v27, 2, v112
	v_add3_u32 v0, v0, v38, 0x4200
	v_add3_u32 v5, v5, v38, 0x4200
	;; [unrolled: 1-line block ×3, first 2 shown]
	v_xor_b32_e32 v4, v4, v102
	v_lshlrev_b32_e32 v12, 6, v12
	v_lshlrev_b32_e32 v14, 6, v14
	v_lshlrev_b32_e32 v16, 6, v16
	v_lshlrev_b32_e32 v18, 6, v18
	v_sub_nc_u32_e32 v4, v4, v102
	v_add3_u32 v17, v17, v38, 0x4200
	v_add3_u32 v6, v6, v43, 0x6300
	;; [unrolled: 1-line block ×4, first 2 shown]
	v_mul_lo_u32 v104, v4, s5
	v_lshlrev_b32_e32 v20, 5, v20
	v_lshl_or_b32 v91, v91, 2, v1
	v_lshlrev_b32_e32 v93, 5, v32
	v_add3_u32 v100, v100, v96, 0x7380
	v_lshl_add_u32 v101, v113, 4, v101
	v_and_b32_e32 v2, 0x7c, v2
	v_lshlrev_b32_e32 v96, 3, v113
	v_and_b32_e32 v27, 0x7c, v27
	v_lshlrev_b32_e32 v107, 3, v112
	v_lshl_add_u32 v105, v112, 4, v105
	v_lshrrev_b32_e32 v109, 3, v113
	v_lshrrev_b32_e32 v110, 3, v112
	v_and_b32_e32 v112, 0x1fc, v112
	v_and_b32_e32 v113, 0x1fc, v113
	;; [unrolled: 1-line block ×4, first 2 shown]
	s_movk_i32 s12, 0x2100
	s_movk_i32 s13, 0x3180
	;; [unrolled: 1-line block ×3, first 2 shown]
	v_mad_u32_u24 v102, 0x84, v32, s12
	s_add_u32 s12, s2, 0x90
	v_mad_u32_u24 v106, 0x84, v32, s13
	s_addc_u32 s13, s3, 0
	v_add_nc_u32_e32 v46, 0x420, v40
	v_add_nc_u32_e32 v47, 0x840, v40
	;; [unrolled: 1-line block ×15, first 2 shown]
	v_cndmask_b32_e64 v82, 0, 1, vcc_lo
	v_add_nc_u32_e32 v91, 0x77a0, v91
	v_cmp_gt_u32_e32 vcc_lo, 4, v32
	v_mul_u32_u24_e32 v95, 0x84, v32
	v_mad_u32_u24 v99, 0x84, v32, s1
	v_add3_u32 v103, v96, v2, 0x7380
	v_add3_u32 v107, v107, v27, 0x7380
	v_lshrrev_b32_e32 v108, 3, v24
	v_cmp_gt_i32_e64 s0, s4, v4
	v_ashrrev_i32_e32 v111, 31, v104
	s_add_u32 s14, s2, 0x120
	v_add_nc_u32_e32 v116, 0x77a0, v1
	v_add_nc_u32_e32 v117, 0x7ba0, v3
	;; [unrolled: 1-line block ×20, first 2 shown]
	v_dual_mov_b32 v96, 0 :: v_dual_add_nc_u32 v137, v26, v90
	v_mov_b32_e32 v90, 0
	s_addc_u32 s15, s3, 0
	s_add_u32 s16, s2, 0x1b0
	s_addc_u32 s17, s3, 0
	s_branch .LBB229_5
.LBB229_4:                              ;   in Loop: Header=BB229_5 Depth=1
	s_add_i32 s21, s21, 2
	s_delay_alu instid0(SALU_CYCLE_1)
	s_cmp_ge_i32 s21, s10
	s_cbranch_scc1 .LBB229_38
.LBB229_5:                              ; =>This Loop Header: Depth=1
                                        ;     Child Loop BB229_12 Depth 2
                                        ;     Child Loop BB229_20 Depth 2
	;; [unrolled: 1-line block ×4, first 2 shown]
	s_mul_i32 s1, s21, 0x6e
	s_mul_hi_u32 s19, s21, 0x6e
	s_add_u32 s18, s22, s1
	s_addc_u32 s19, s23, s19
	s_delay_alu instid0(SALU_CYCLE_1) | instskip(SKIP_2) | instid1(VALU_DEP_3)
	v_mad_u64_u32 v[0:1], null, 0x6e, v34, s[18:19]
	v_mad_u64_u32 v[29:30], null, 0x6e, v82, s[18:19]
	;; [unrolled: 1-line block ×3, first 2 shown]
	v_add_co_u32 v0, s1, v0, v38
	s_delay_alu instid0(VALU_DEP_1) | instskip(NEXT) | instid1(VALU_DEP_2)
	v_add_co_ci_u32_e64 v1, s1, 0, v1, s1
	v_add_co_u32 v0, s1, v0, 32
	s_delay_alu instid0(VALU_DEP_1) | instskip(NEXT) | instid1(VALU_DEP_1)
	v_add_co_ci_u32_e64 v1, s1, 0, v1, s1
	v_mad_u64_u32 v[2:3], null, 0x6e, v44, v[0:1]
	v_mad_u64_u32 v[4:5], null, 0x6e, v35, v[0:1]
	;; [unrolled: 1-line block ×8, first 2 shown]
	s_clause 0x7
	global_load_b32 v148, v[2:3], off
	global_load_b32 v149, v[4:5], off
	;; [unrolled: 1-line block ×8, first 2 shown]
	v_mad_u64_u32 v[15:16], null, 0x6e, v42, s[18:19]
	v_mad_u64_u32 v[2:3], null, 0x6e, v60, v[0:1]
	;; [unrolled: 1-line block ×4, first 2 shown]
	s_delay_alu instid0(VALU_DEP_4) | instskip(NEXT) | instid1(VALU_DEP_1)
	v_add_co_u32 v15, s1, v15, v43
	v_add_co_ci_u32_e64 v16, s1, 0, v16, s1
	v_add_co_u32 v29, s1, 0x60, v29
	v_mad_u64_u32 v[11:12], null, 0x6e, v67, v[0:1]
	v_mad_u64_u32 v[13:14], null, 0x6e, v69, v[0:1]
	;; [unrolled: 1-line block ×6, first 2 shown]
	v_add_co_ci_u32_e64 v30, s1, 0, v30, s1
	v_mad_u64_u32 v[21:22], null, 0x6e, v65, v[15:16]
	v_mad_u64_u32 v[25:26], null, 0x6e, v73, v[15:16]
	;; [unrolled: 1-line block ×9, first 2 shown]
	s_clause 0x8
	global_load_u16 v156, v[0:1], off offset:108
	global_load_b32 v157, v[21:22], off
	global_load_b32 v158, v[25:26], off
	;; [unrolled: 1-line block ×8, first 2 shown]
	v_mad_u64_u32 v[21:22], null, 0x6e, v87, v[29:30]
	v_mad_u64_u32 v[25:26], null, 0x6e, v88, v[29:30]
	;; [unrolled: 1-line block ×3, first 2 shown]
	v_add_co_u32 v0, s1, v15, v84
	s_delay_alu instid0(VALU_DEP_1)
	v_add_co_ci_u32_e64 v1, s1, 0, v16, s1
	s_clause 0xc
	global_load_b32 v29, v[2:3], off
	global_load_b32 v30, v[4:5], off
	;; [unrolled: 1-line block ×8, first 2 shown]
	global_load_b32 v17, v[27:28], off offset:8
	global_load_b32 v18, v[25:26], off offset:8
	;; [unrolled: 1-line block ×3, first 2 shown]
	global_load_b32 v20, v[0:1], off
	global_load_b32 v15, v[15:16], off offset:8
	v_add_co_u32 v0, s1, v21, v84
	s_delay_alu instid0(VALU_DEP_1) | instskip(SKIP_1) | instid1(VALU_DEP_1)
	v_add_co_ci_u32_e64 v1, s1, 0, v22, s1
	v_add_co_u32 v2, s1, v25, v84
	v_add_co_ci_u32_e64 v3, s1, 0, v26, s1
	v_add_co_u32 v4, s1, v27, v84
	s_delay_alu instid0(VALU_DEP_1)
	v_add_co_ci_u32_e64 v5, s1, 0, v28, s1
	s_clause 0x2
	global_load_b32 v0, v[0:1], off
	global_load_b32 v1, v[2:3], off
	;; [unrolled: 1-line block ×3, first 2 shown]
	s_lshl_b32 s18, s21, 8
	s_delay_alu instid0(SALU_CYCLE_1)
	s_cmp_lt_i32 s18, s11
	s_waitcnt vmcnt(24)
	v_cvt_f32_f16_e64 v3, v156
	s_waitcnt vmcnt(23)
	v_not_b32_e32 v4, v157
	s_waitcnt vmcnt(22)
	v_not_b32_e32 v5, v158
	;; [unrolled: 2-line block ×5, first 2 shown]
	ds_store_b32 v40, v148
	ds_store_b32 v46, v149
	;; [unrolled: 1-line block ×8, first 2 shown]
	s_waitcnt vmcnt(15)
	ds_store_b32 v54, v29
	s_waitcnt vmcnt(14)
	ds_store_b32 v56, v30
	;; [unrolled: 2-line block ×8, first 2 shown]
	ds_store_b32 v71, v3
	ds_store_b32 v126, v4
	;; [unrolled: 1-line block ×6, first 2 shown]
	s_waitcnt vmcnt(7)
	v_ashrrev_i32_e32 v7, v85, v17
	s_waitcnt vmcnt(6)
	v_ashrrev_i32_e32 v6, v85, v18
	;; [unrolled: 2-line block ×5, first 2 shown]
	v_lshlrev_b32_e32 v7, 4, v7
	v_lshlrev_b32_e32 v6, 4, v6
	;; [unrolled: 1-line block ×3, first 2 shown]
	v_and_b32_e32 v3, 0xf0f0f0f, v3
	v_lshlrev_b32_e32 v4, 4, v4
	v_not_b32_e32 v23, v140
	v_not_b32_e32 v24, v141
	;; [unrolled: 1-line block ×3, first 2 shown]
	s_delay_alu instid0(VALU_DEP_4)
	v_and_or_b32 v3, 0x30303030, v4, v3
	ds_store_b32 v131, v23
	s_waitcnt vmcnt(2)
	v_ashrrev_i32_e32 v0, v83, v0
	s_waitcnt vmcnt(1)
	v_ashrrev_i32_e32 v1, v83, v1
	;; [unrolled: 2-line block ×3, first 2 shown]
	v_lshrrev_b32_e32 v4, 16, v3
	ds_store_b32 v132, v24
	v_and_b32_e32 v0, 0xf0f0f0f, v0
	v_and_b32_e32 v1, 0xf0f0f0f, v1
	;; [unrolled: 1-line block ×4, first 2 shown]
	v_lshlrev_b16 v4, 8, v4
	v_and_or_b32 v0, 0x30303030, v5, v0
	v_and_or_b32 v1, 0x30303030, v6, v1
	v_and_or_b32 v2, 0x30303030, v7, v2
	v_and_b32_e32 v5, 0x3f00, v3
	v_lshlrev_b16 v3, 8, v3
	v_lshrrev_b32_e32 v6, 16, v0
	v_lshrrev_b32_e32 v11, 16, v1
	v_and_b32_e32 v7, 0x3f00, v0
	v_lshlrev_b16 v0, 8, v0
	v_lshrrev_b32_e32 v13, 16, v2
	v_add_nc_u16 v3, v3, 0xe000
	v_and_b32_e32 v16, 0x3f00, v6
	v_lshlrev_b16 v6, 8, v6
	v_and_b32_e32 v12, 0x3f00, v1
	v_lshlrev_b16 v1, 8, v1
	;; [unrolled: 2-line block ×4, first 2 shown]
	v_add_nc_u16 v0, v0, 0xe000
	v_and_b32_e32 v18, 0x3f00, v13
	v_lshlrev_b16 v13, 8, v13
	v_add_nc_u16 v4, v4, 0xe000
	v_lshrrev_b16 v3, 8, v3
	v_add_nc_u16 v6, v6, 0xe000
	v_add_nc_u16 v1, v1, 0xe000
	;; [unrolled: 1-line block ×4, first 2 shown]
	v_lshrrev_b16 v0, 8, v0
	v_add_nc_u16 v13, v13, 0xe000
	v_lshrrev_b16 v4, 8, v4
	v_or_b32_e32 v3, v5, v3
	v_lshrrev_b16 v5, 8, v6
	v_lshrrev_b16 v1, 8, v1
	;; [unrolled: 1-line block ×4, first 2 shown]
	v_or_b32_e32 v0, v7, v0
	v_lshrrev_b16 v7, 8, v13
	v_or_b32_e32 v4, v15, v4
	v_or_b32_e32 v5, v16, v5
	;; [unrolled: 1-line block ×6, first 2 shown]
	v_add_nc_u16 v3, v3, 0xe000
	v_add_nc_u16 v4, v4, 0xe000
	;; [unrolled: 1-line block ×8, first 2 shown]
	v_and_b32_e32 v3, 0xffff, v3
	v_lshlrev_b32_e32 v4, 16, v4
	v_and_b32_e32 v0, 0xffff, v0
	v_lshlrev_b32_e32 v5, 16, v5
	;; [unrolled: 2-line block ×4, first 2 shown]
	v_or_b32_e32 v3, v3, v4
	v_or_b32_e32 v0, v0, v5
	;; [unrolled: 1-line block ×3, first 2 shown]
	s_delay_alu instid0(VALU_DEP_4)
	v_or_b32_e32 v2, v2, v7
	ds_store_b32 v133, v25
	ds_store_b32 v134, v3
	;; [unrolled: 1-line block ×5, first 2 shown]
	s_cbranch_scc0 .LBB229_4
; %bb.6:                                ;   in Loop: Header=BB229_5 Depth=1
	s_lshl_b32 s19, s21, 3
	s_delay_alu instid0(SALU_CYCLE_1) | instskip(NEXT) | instid1(VALU_DEP_1)
	v_add_nc_u32_e32 v0, s19, v81
	v_cmp_gt_i32_e64 s1, s5, v0
	s_delay_alu instid0(VALU_DEP_1) | instskip(NEXT) | instid1(SALU_CYCLE_1)
	s_and_b32 s24, s0, s1
	s_and_saveexec_b32 s1, s24
	s_cbranch_execz .LBB229_8
; %bb.7:                                ;   in Loop: Header=BB229_5 Depth=1
	v_add_nc_u32_e32 v2, v104, v0
	s_delay_alu instid0(VALU_DEP_1)
	v_mad_i64_i32 v[0:1], null, v2, 36, v[9:10]
	global_load_b32 v0, v[0:1], off offset:4
	s_waitcnt vmcnt(0)
	ds_store_b32 v91, v0
.LBB229_8:                              ;   in Loop: Header=BB229_5 Depth=1
	s_or_b32 exec_lo, exec_lo, s1
	s_and_saveexec_b32 s24, vcc_lo
	s_cbranch_execz .LBB229_11
; %bb.9:                                ;   in Loop: Header=BB229_5 Depth=1
	v_or_b32_e32 v0, s19, v32
	s_delay_alu instid0(VALU_DEP_1) | instskip(NEXT) | instid1(VALU_DEP_1)
	v_cmp_gt_i32_e64 s1, s5, v0
	s_and_b32 s1, s0, s1
	s_delay_alu instid0(SALU_CYCLE_1)
	s_and_b32 exec_lo, exec_lo, s1
	s_cbranch_execz .LBB229_11
; %bb.10:                               ;   in Loop: Header=BB229_5 Depth=1
	v_add_nc_u32_e32 v2, v104, v0
	s_delay_alu instid0(VALU_DEP_1)
	v_mad_i64_i32 v[0:1], null, v2, 36, s[2:3]
	global_load_b32 v0, v[0:1], off
	s_waitcnt vmcnt(0)
	v_cvt_f32_f16_e32 v0, v0
	ds_store_b32 v92, v0
.LBB229_11:                             ;   in Loop: Header=BB229_5 Depth=1
	s_or_b32 exec_lo, exec_lo, s24
	v_dual_mov_b32 v138, v117 :: v_dual_mov_b32 v139, v116
	s_mov_b32 s26, -2
	s_mov_b32 s1, 0
	s_mov_b32 s24, 0
	s_waitcnt lgkmcnt(0)
	s_barrier
	buffer_gl0_inv
.LBB229_12:                             ;   Parent Loop BB229_5 Depth=1
                                        ; =>  This Inner Loop Header: Depth=2
	ds_load_b128 v[0:3], v139 offset:16
	s_add_i32 s25, s26, 2
	ds_load_b128 v[4:7], v139
	ds_load_b32 v140, v138
	s_and_b32 s27, s25, 0x3ffffff8
	s_lshr_b32 s28, s25, 4
	s_lshl_b32 s29, s27, 2
	s_lshl_b32 s27, s28, 2
	v_add_nc_u32_e32 v148, s29, v95
	v_add_nc_u32_e32 v149, s29, v99
	;; [unrolled: 1-line block ×4, first 2 shown]
	ds_load_2addr_b32 v[13:14], v148 offset1:1
	ds_load_2addr_b32 v[11:12], v148 offset0:6 offset1:7
	ds_load_2addr_b32 v[15:16], v148 offset0:2 offset1:3
	v_add_nc_u32_e32 v162, s29, v106
	s_lshl_b32 s28, s28, 3
	v_add_nc_u32_e32 v139, 32, v139
	v_add_lshl_u32 v165, v94, s28, 2
	v_add_lshl_u32 v168, v98, s28, 2
	;; [unrolled: 1-line block ×3, first 2 shown]
	s_waitcnt lgkmcnt(5)
	v_perm_b32 v158, v0, v0, 0x30201
	v_perm_b32 v159, v1, v1, 0x30201
	ds_load_2addr_b32 v[17:18], v149 offset0:2 offset1:3
	ds_load_b32 v142, v19
	ds_load_2addr_b32 v[0:1], v149 offset1:1
	v_perm_b32 v145, v2, v2, 0x30201
	v_perm_b32 v141, v3, v3, 0x30201
	s_waitcnt lgkmcnt(7)
	v_perm_b32 v150, v6, v6, 0x30201
	v_add_nc_u32_e32 v6, 0x4208, v165
	v_perm_b32 v151, v4, v4, 0x30201
	v_perm_b32 v152, v5, v5, 0x30201
	;; [unrolled: 1-line block ×3, first 2 shown]
	v_add_nc_u32_e32 v27, 0x4208, v171
	s_waitcnt lgkmcnt(5)
	v_ashrrev_i32_e32 v153, s25, v13
	v_ashrrev_i32_e32 v154, s25, v14
	v_add_lshl_u32 v174, v105, s28, 2
	s_and_b32 s28, s24, -16
	s_waitcnt lgkmcnt(3)
	v_ashrrev_i32_e32 v15, s25, v15
	v_bfe_u32 v175, v153, 24, 2
	v_and_b32_e32 v153, 0x3030303, v153
	v_ashrrev_i32_e32 v11, s25, v11
	v_ashrrev_i32_e32 v12, s25, v12
	s_waitcnt lgkmcnt(2)
	v_ashrrev_i32_e32 v17, s25, v17
	v_add_nc_u32_e32 v138, 4, v138
	s_waitcnt lgkmcnt(0)
	v_ashrrev_i32_e32 v155, s25, v0
	v_ashrrev_i32_e32 v156, s25, v1
	ds_load_2addr_b32 v[2:3], v157 offset1:1
	ds_load_2addr_b32 v[0:1], v157 offset0:6 offset1:7
	ds_load_2addr_b32 v[19:20], v157 offset0:2 offset1:3
	s_add_i32 s24, s24, 2
	s_waitcnt lgkmcnt(2)
	v_ashrrev_i32_e32 v160, s25, v2
	v_add_nc_u32_e32 v2, s27, v103
	v_ashrrev_i32_e32 v161, s25, v3
	ds_load_2addr_b32 v[21:22], v162 offset0:2 offset1:3
	ds_load_b32 v143, v2
	ds_load_2addr_b32 v[2:3], v162 offset1:1
	s_waitcnt lgkmcnt(3)
	v_ashrrev_i32_e32 v19, s25, v19
	v_ashrrev_i32_e32 v0, s25, v0
	v_ashrrev_i32_e32 v1, s25, v1
	s_waitcnt lgkmcnt(2)
	v_ashrrev_i32_e32 v21, s25, v21
	s_waitcnt lgkmcnt(0)
	v_ashrrev_i32_e32 v163, s25, v2
	v_add_nc_u32_e32 v2, 0x4200, v165
	v_ashrrev_i32_e32 v164, s25, v3
	v_add_nc_u32_e32 v3, 0x4218, v165
	ds_load_2addr_b32 v[4:5], v2 offset1:1
	ds_load_2addr_b32 v[2:3], v3 offset1:1
	;; [unrolled: 1-line block ×3, first 2 shown]
	s_waitcnt lgkmcnt(2)
	v_ashrrev_i32_e32 v166, s1, v4
	v_add_nc_u32_e32 v4, 0x4200, v168
	v_ashrrev_i32_e32 v167, s1, v5
	v_add_nc_u32_e32 v5, 0x4208, v168
	ds_load_2addr_b32 v[6:7], v4 offset1:1
	ds_load_2addr_b32 v[25:26], v5 offset1:1
	ds_load_2addr_b32 v[4:5], v149 offset0:6 offset1:7
	v_lshlrev_b32_e32 v166, 2, v166
	v_lshlrev_b32_e32 v167, 2, v167
	s_waitcnt lgkmcnt(3)
	v_ashrrev_i32_e32 v23, s1, v23
	v_ashrrev_i32_e32 v2, s1, v2
	;; [unrolled: 1-line block ×3, first 2 shown]
	v_and_b32_e32 v166, 0x4040404, v166
	v_and_b32_e32 v167, 0x4040404, v167
	v_lshlrev_b32_e32 v23, 2, v23
	v_lshlrev_b32_e32 v2, 2, v2
	;; [unrolled: 1-line block ×3, first 2 shown]
	v_lshrrev_b32_e32 v176, 24, v166
	v_lshrrev_b32_e32 v177, 16, v166
	;; [unrolled: 1-line block ×4, first 2 shown]
	v_and_b32_e32 v23, 0x4040404, v23
	v_sub_nc_u16 v175, v175, v176
	v_lshrrev_b32_e32 v176, 16, v153
	s_waitcnt lgkmcnt(2)
	v_ashrrev_i32_e32 v169, s1, v6
	v_add_nc_u32_e32 v6, 0x4200, v171
	v_ashrrev_i32_e32 v170, s1, v7
	v_add_nc_u32_e32 v7, 0x4218, v171
	v_sub_nc_u16 v176, v176, v177
	v_lshrrev_b16 v177, 8, v153
	v_sub_nc_u16 v153, v153, v166
	v_lshrrev_b16 v166, 8, v166
	v_lshlrev_b32_e32 v169, 2, v169
	ds_load_2addr_b32 v[13:14], v6 offset1:1
	ds_load_2addr_b32 v[6:7], v7 offset1:1
	;; [unrolled: 1-line block ×3, first 2 shown]
	v_lshlrev_b32_e32 v170, 2, v170
	v_lshlrev_b16 v175, 8, v175
	v_sub_nc_u16 v166, v177, v166
	v_bfe_u32 v177, v154, 24, 2
	v_and_b32_e32 v154, 0x3030303, v154
	v_and_b32_e32 v169, 0x4040404, v169
	;; [unrolled: 1-line block ×3, first 2 shown]
	v_lshlrev_b16 v166, 8, v166
	v_sub_nc_u16 v177, v177, v178
	v_lshrrev_b32_e32 v178, 16, v154
	v_lshrrev_b32_e32 v180, 24, v169
	;; [unrolled: 1-line block ×5, first 2 shown]
	v_sub_nc_u16 v178, v178, v179
	v_lshrrev_b16 v179, 8, v154
	v_sub_nc_u16 v154, v154, v167
	v_lshrrev_b16 v167, 8, v167
	s_waitcnt lgkmcnt(2)
	v_ashrrev_i32_e32 v172, s1, v13
	v_add_nc_u32_e32 v13, 0x4200, v174
	v_ashrrev_i32_e32 v173, s1, v14
	v_add_nc_u32_e32 v14, 0x4208, v174
	v_sub_nc_u16 v167, v179, v167
	v_bfe_u32 v179, v155, 24, 2
	v_and_b32_e32 v155, 0x3030303, v155
	v_lshlrev_b32_e32 v172, 2, v172
	ds_load_2addr_b32 v[146:147], v13 offset1:1
	ds_load_2addr_b32 v[29:30], v14 offset1:1
	ds_load_2addr_b32 v[13:14], v162 offset0:6 offset1:7
	v_lshlrev_b32_e32 v173, 2, v173
	v_sub_nc_u16 v179, v179, v180
	v_lshrrev_b32_e32 v180, 16, v155
	v_and_b32_e32 v172, 0x4040404, v172
	v_lshlrev_b16 v177, 8, v177
	v_and_b32_e32 v173, 0x4040404, v173
	v_lshlrev_b16 v167, 8, v167
	v_sub_nc_u16 v180, v180, v181
	v_lshrrev_b16 v181, 8, v155
	v_sub_nc_u16 v155, v155, v169
	v_lshrrev_b16 v169, 8, v169
	v_lshrrev_b32_e32 v184, 24, v172
	v_lshrrev_b32_e32 v185, 16, v172
	;; [unrolled: 1-line block ×4, first 2 shown]
	v_sub_nc_u16 v169, v181, v169
	v_bfe_u32 v181, v156, 24, 2
	v_and_b32_e32 v156, 0x3030303, v156
	s_waitcnt lgkmcnt(2)
	v_ashrrev_i32_e32 v146, s1, v146
	v_ashrrev_i32_e32 v147, s1, v147
	v_lshlrev_b16 v179, 8, v179
	v_sub_nc_u16 v181, v181, v182
	v_lshrrev_b32_e32 v182, 16, v156
	v_lshlrev_b32_e32 v146, 2, v146
	v_lshlrev_b32_e32 v147, 2, v147
	v_lshlrev_b16 v169, 8, v169
	v_lshlrev_b16 v181, 8, v181
	v_sub_nc_u16 v182, v182, v183
	v_lshrrev_b16 v183, 8, v156
	v_sub_nc_u16 v156, v156, v170
	v_lshrrev_b16 v170, 8, v170
	v_and_b32_e32 v146, 0x4040404, v146
	v_and_b32_e32 v147, 0x4040404, v147
	v_ashrrev_i32_e32 v25, s1, v25
	v_ashrrev_i32_e32 v27, s1, v27
	v_sub_nc_u16 v170, v183, v170
	v_bfe_u32 v183, v160, 24, 2
	v_and_b32_e32 v160, 0x3030303, v160
	v_lshrrev_b32_e32 v188, 24, v146
	v_lshrrev_b32_e32 v189, 16, v146
	;; [unrolled: 1-line block ×3, first 2 shown]
	v_sub_nc_u16 v183, v183, v184
	v_lshrrev_b32_e32 v184, 16, v160
	v_lshrrev_b32_e32 v191, 16, v147
	v_lshlrev_b16 v170, 8, v170
	v_lshlrev_b32_e32 v25, 2, v25
	v_lshlrev_b16 v183, 8, v183
	v_sub_nc_u16 v184, v184, v185
	v_lshrrev_b16 v185, 8, v160
	v_sub_nc_u16 v160, v160, v172
	v_lshrrev_b16 v172, 8, v172
	v_and_b32_e32 v25, 0x4040404, v25
	v_lshlrev_b32_e32 v27, 2, v27
	s_waitcnt lgkmcnt(1)
	v_ashrrev_i32_e32 v29, s1, v29
	v_and_b32_e32 v2, 0x4040404, v2
	v_sub_nc_u16 v172, v185, v172
	v_bfe_u32 v185, v161, 24, 2
	v_and_b32_e32 v161, 0x3030303, v161
	v_and_b32_e32 v27, 0x4040404, v27
	v_lshlrev_b32_e32 v29, 2, v29
	v_lshlrev_b16 v172, 8, v172
	v_sub_nc_u16 v185, v185, v186
	v_lshrrev_b32_e32 v186, 16, v161
	v_ashrrev_i32_e32 v4, s25, v4
	v_and_b32_e32 v29, 0x4040404, v29
	v_ashrrev_i32_e32 v6, s1, v6
	v_lshlrev_b16 v185, 8, v185
	v_sub_nc_u16 v186, v186, v187
	v_lshrrev_b16 v187, 8, v161
	v_sub_nc_u16 v161, v161, v173
	v_lshrrev_b16 v173, 8, v173
	v_lshlrev_b32_e32 v6, 2, v6
	s_waitcnt lgkmcnt(0)
	v_ashrrev_i32_e32 v13, s25, v13
	v_and_b32_e32 v3, 0x4040404, v3
	v_ashrrev_i32_e32 v5, s25, v5
	v_sub_nc_u16 v173, v187, v173
	v_bfe_u32 v187, v163, 24, 2
	v_and_b32_e32 v163, 0x3030303, v163
	v_and_b32_e32 v6, 0x4040404, v6
	v_ashrrev_i32_e32 v7, s1, v7
	v_lshlrev_b16 v173, 8, v173
	v_sub_nc_u16 v187, v187, v188
	v_lshrrev_b32_e32 v188, 16, v163
	v_ashrrev_i32_e32 v14, s25, v14
	v_lshlrev_b32_e32 v7, 2, v7
	s_delay_alu instid0(VALU_DEP_4) | instskip(NEXT) | instid1(VALU_DEP_4)
	v_lshlrev_b16 v187, 8, v187
	v_sub_nc_u16 v188, v188, v189
	v_lshrrev_b16 v189, 8, v163
	v_sub_nc_u16 v163, v163, v146
	v_lshrrev_b16 v146, 8, v146
	v_and_b32_e32 v7, 0x4040404, v7
	s_delay_alu instid0(VALU_DEP_2) | instskip(SKIP_2) | instid1(VALU_DEP_3)
	v_sub_nc_u16 v146, v189, v146
	v_bfe_u32 v189, v164, 24, 2
	v_and_b32_e32 v164, 0x3030303, v164
	v_lshlrev_b16 v146, 8, v146
	s_delay_alu instid0(VALU_DEP_3) | instskip(NEXT) | instid1(VALU_DEP_3)
	v_sub_nc_u16 v189, v189, v190
	v_lshrrev_b32_e32 v190, 16, v164
	s_delay_alu instid0(VALU_DEP_2) | instskip(NEXT) | instid1(VALU_DEP_2)
	v_lshlrev_b16 v189, 8, v189
	v_sub_nc_u16 v190, v190, v191
	v_lshrrev_b16 v191, 8, v164
	v_sub_nc_u16 v164, v164, v147
	v_lshrrev_b16 v147, 8, v147
	s_delay_alu instid0(VALU_DEP_1) | instskip(SKIP_1) | instid1(VALU_DEP_2)
	v_sub_nc_u16 v147, v191, v147
	v_and_b32_e32 v191, 0xff, v176
	v_lshlrev_b16 v147, 8, v147
	s_delay_alu instid0(VALU_DEP_2) | instskip(SKIP_1) | instid1(VALU_DEP_2)
	v_or_b32_e32 v175, v191, v175
	v_and_b32_e32 v191, 0xff, v153
	v_perm_b32 v153, v153, v175, 0x4010c0c
	s_delay_alu instid0(VALU_DEP_2) | instskip(SKIP_1) | instid1(VALU_DEP_2)
	v_or_b32_e32 v166, v191, v166
	v_and_b32_e32 v191, 0xff, v178
	v_perm_b32 v166, v176, v166, 0xc0c0401
	s_delay_alu instid0(VALU_DEP_2) | instskip(SKIP_1) | instid1(VALU_DEP_3)
	v_or_b32_e32 v177, v191, v177
	v_and_b32_e32 v191, 0xff, v154
	v_or_b32_e32 v153, v153, v166
	s_delay_alu instid0(VALU_DEP_3) | instskip(NEXT) | instid1(VALU_DEP_3)
	v_perm_b32 v154, v154, v177, 0x4010c0c
	v_or_b32_e32 v167, v191, v167
	v_and_b32_e32 v191, 0xff, v180
	s_delay_alu instid0(VALU_DEP_4) | instskip(NEXT) | instid1(VALU_DEP_3)
	v_dot4_i32_iu8 v153, v153, v151, 0 neg_lo:[1,1,0]
	v_perm_b32 v167, v178, v167, 0xc0c0401
	s_delay_alu instid0(VALU_DEP_3) | instskip(SKIP_1) | instid1(VALU_DEP_3)
	v_or_b32_e32 v179, v191, v179
	v_and_b32_e32 v191, 0xff, v155
	v_or_b32_e32 v154, v154, v167
	s_delay_alu instid0(VALU_DEP_3) | instskip(NEXT) | instid1(VALU_DEP_3)
	v_perm_b32 v155, v155, v179, 0x4010c0c
	v_or_b32_e32 v169, v191, v169
	v_and_b32_e32 v191, 0xff, v182
	s_delay_alu instid0(VALU_DEP_2) | instskip(NEXT) | instid1(VALU_DEP_2)
	v_perm_b32 v169, v180, v169, 0xc0c0401
	v_or_b32_e32 v181, v191, v181
	v_and_b32_e32 v191, 0xff, v156
	s_delay_alu instid0(VALU_DEP_3) | instskip(NEXT) | instid1(VALU_DEP_3)
	v_or_b32_e32 v155, v155, v169
	v_perm_b32 v156, v156, v181, 0x4010c0c
	s_delay_alu instid0(VALU_DEP_3) | instskip(SKIP_1) | instid1(VALU_DEP_4)
	v_or_b32_e32 v170, v191, v170
	v_and_b32_e32 v191, 0xff, v184
	v_dot4_i32_iu8 v155, v155, v151, 0 neg_lo:[1,1,0]
	s_delay_alu instid0(VALU_DEP_3) | instskip(NEXT) | instid1(VALU_DEP_3)
	v_perm_b32 v170, v182, v170, 0xc0c0401
	v_or_b32_e32 v183, v191, v183
	v_and_b32_e32 v191, 0xff, v160
	s_delay_alu instid0(VALU_DEP_3) | instskip(NEXT) | instid1(VALU_DEP_3)
	v_or_b32_e32 v156, v156, v170
	v_perm_b32 v160, v160, v183, 0x4010c0c
	s_delay_alu instid0(VALU_DEP_3) | instskip(SKIP_1) | instid1(VALU_DEP_2)
	v_or_b32_e32 v172, v191, v172
	v_and_b32_e32 v191, 0xff, v186
	v_perm_b32 v172, v184, v172, 0xc0c0401
	s_delay_alu instid0(VALU_DEP_2) | instskip(SKIP_1) | instid1(VALU_DEP_3)
	v_or_b32_e32 v185, v191, v185
	v_and_b32_e32 v191, 0xff, v161
	v_or_b32_e32 v160, v160, v172
	s_delay_alu instid0(VALU_DEP_3) | instskip(NEXT) | instid1(VALU_DEP_3)
	v_perm_b32 v161, v161, v185, 0x4010c0c
	v_or_b32_e32 v173, v191, v173
	v_and_b32_e32 v191, 0xff, v188
	s_delay_alu instid0(VALU_DEP_4) | instskip(NEXT) | instid1(VALU_DEP_3)
	v_dot4_i32_iu8 v160, v160, v151, 0 neg_lo:[1,1,0]
	v_perm_b32 v173, v186, v173, 0xc0c0401
	s_delay_alu instid0(VALU_DEP_3) | instskip(SKIP_1) | instid1(VALU_DEP_3)
	v_or_b32_e32 v187, v191, v187
	v_and_b32_e32 v191, 0xff, v163
	v_or_b32_e32 v161, v161, v173
	s_delay_alu instid0(VALU_DEP_3) | instskip(NEXT) | instid1(VALU_DEP_3)
	v_perm_b32 v163, v163, v187, 0x4010c0c
	v_or_b32_e32 v146, v191, v146
	v_and_b32_e32 v191, 0xff, v190
	s_delay_alu instid0(VALU_DEP_4) | instskip(NEXT) | instid1(VALU_DEP_3)
	v_dot4_i32_iu8 v160, v161, v152, v160 neg_lo:[1,1,0]
	v_perm_b32 v146, v188, v146, 0xc0c0401
	s_delay_alu instid0(VALU_DEP_3) | instskip(SKIP_1) | instid1(VALU_DEP_3)
	v_or_b32_e32 v189, v191, v189
	v_and_b32_e32 v191, 0xff, v164
	v_or_b32_e32 v146, v163, v146
	s_delay_alu instid0(VALU_DEP_3) | instskip(NEXT) | instid1(VALU_DEP_3)
	v_perm_b32 v164, v164, v189, 0x4010c0c
	v_or_b32_e32 v147, v191, v147
	v_dot4_i32_iu8 v163, v154, v152, v153 neg_lo:[1,1,0]
	s_delay_alu instid0(VALU_DEP_4) | instskip(SKIP_1) | instid1(VALU_DEP_4)
	v_dot4_i32_iu8 v146, v146, v151, 0 neg_lo:[1,1,0]
	v_add_nc_u32_e32 v151, s28, v93
	v_perm_b32 v147, v190, v147, 0xc0c0401
	s_delay_alu instid0(VALU_DEP_1) | instskip(SKIP_2) | instid1(VALU_DEP_3)
	v_or_b32_e32 v147, v164, v147
	v_dot4_i32_iu8 v164, v156, v152, v155 neg_lo:[1,1,0]
	v_add_nc_u32_e32 v156, 0x4218, v174
	v_dot4_i32_iu8 v161, v147, v152, v146 neg_lo:[1,1,0]
	ds_load_2addr_b32 v[146:147], v148 offset0:4 offset1:5
	s_waitcnt lgkmcnt(0)
	v_ashrrev_i32_e32 v166, s25, v146
	v_ashrrev_i32_e32 v167, s25, v147
	ds_load_2addr_b32 v[146:147], v149 offset0:4 offset1:5
	v_add_nc_u32_e32 v149, 0x4218, v168
	s_waitcnt lgkmcnt(0)
	v_ashrrev_i32_e32 v169, s25, v146
	v_ashrrev_i32_e32 v170, s25, v147
	ds_load_2addr_b32 v[146:147], v157 offset0:4 offset1:5
	s_waitcnt lgkmcnt(0)
	v_ashrrev_i32_e32 v172, s25, v146
	v_ashrrev_i32_e32 v173, s25, v147
	ds_load_2addr_b32 v[146:147], v162 offset0:4 offset1:5
	s_waitcnt lgkmcnt(0)
	v_ashrrev_i32_e32 v162, s25, v146
	v_add_nc_u32_e32 v146, 0x4210, v165
	v_ashrrev_i32_e32 v175, s25, v147
	ds_load_2addr_b32 v[146:147], v146 offset1:1
	s_waitcnt lgkmcnt(0)
	v_ashrrev_i32_e32 v165, s1, v146
	v_add3_u32 v146, v114, s26, v151
	v_ashrrev_i32_e32 v176, s1, v147
	v_add_nc_u32_e32 v147, 0x4210, v168
	s_delay_alu instid0(VALU_DEP_4)
	v_lshlrev_b32_e32 v165, 2, v165
	ds_load_u16 v148, v146 offset:26370
	v_add_nc_u32_e32 v146, s27, v100
	ds_load_b32 v146, v146
	ds_load_2addr_b32 v[152:153], v147 offset1:1
	ds_load_2addr_b32 v[154:155], v149 offset1:1
	v_add_nc_u32_e32 v147, 0x4210, v171
	v_and_b32_e32 v165, 0x4040404, v165
	v_lshlrev_b32_e32 v176, 2, v176
	s_delay_alu instid0(VALU_DEP_2) | instskip(SKIP_1) | instid1(VALU_DEP_3)
	v_lshrrev_b32_e32 v179, 24, v165
	v_lshrrev_b32_e32 v180, 16, v165
	v_and_b32_e32 v176, 0x4040404, v176
	s_delay_alu instid0(VALU_DEP_1)
	v_lshrrev_b32_e32 v181, 24, v176
	v_lshrrev_b32_e32 v182, 16, v176
	s_waitcnt lgkmcnt(1)
	v_ashrrev_i32_e32 v168, s1, v152
	v_ashrrev_i32_e32 v177, s1, v153
	ds_load_2addr_b32 v[152:153], v147 offset1:1
	v_add3_u32 v147, v112, s26, v151
	v_lshlrev_b32_e32 v168, 2, v168
	v_lshlrev_b32_e32 v177, 2, v177
	ds_load_u16 v149, v147 offset:28418
	v_add_nc_u32_e32 v147, s27, v107
	v_and_b32_e32 v168, 0x4040404, v168
	v_and_b32_e32 v177, 0x4040404, v177
	s_delay_alu instid0(VALU_DEP_2) | instskip(SKIP_1) | instid1(VALU_DEP_3)
	v_lshrrev_b32_e32 v183, 24, v168
	v_lshrrev_b32_e32 v184, 16, v168
	;; [unrolled: 1-line block ×4, first 2 shown]
	s_waitcnt lgkmcnt(1)
	v_ashrrev_i32_e32 v171, s1, v152
	v_add_nc_u32_e32 v152, 0x4210, v174
	v_bfe_u32 v174, v166, 24, 2
	v_and_b32_e32 v166, 0x3030303, v166
	v_ashrrev_i32_e32 v178, s1, v153
	v_lshlrev_b32_e32 v171, 2, v171
	ds_load_b32 v147, v147
	ds_load_2addr_b32 v[152:153], v152 offset1:1
	ds_load_2addr_b32 v[156:157], v156 offset1:1
	v_sub_nc_u16 v174, v174, v179
	v_lshrrev_b32_e32 v179, 16, v166
	v_lshlrev_b32_e32 v178, 2, v178
	v_and_b32_e32 v171, 0x4040404, v171
	s_delay_alu instid0(VALU_DEP_4) | instskip(NEXT) | instid1(VALU_DEP_4)
	v_lshlrev_b16 v174, 8, v174
	v_sub_nc_u16 v179, v179, v180
	v_lshrrev_b16 v180, 8, v166
	v_sub_nc_u16 v166, v166, v165
	v_lshrrev_b16 v165, 8, v165
	v_lshrrev_b32_e32 v187, 24, v171
	v_lshrrev_b32_e32 v188, 16, v171
	v_and_b32_e32 v178, 0x4040404, v178
	s_delay_alu instid0(VALU_DEP_4) | instskip(SKIP_2) | instid1(VALU_DEP_4)
	v_sub_nc_u16 v165, v180, v165
	v_bfe_u32 v180, v167, 24, 2
	v_and_b32_e32 v167, 0x3030303, v167
	v_lshrrev_b32_e32 v189, 24, v178
	s_waitcnt lgkmcnt(1)
	v_ashrrev_i32_e32 v152, s1, v152
	v_lshrrev_b32_e32 v190, 16, v178
	v_sub_nc_u16 v180, v180, v181
	v_lshrrev_b32_e32 v181, 16, v167
	v_ashrrev_i32_e32 v153, s1, v153
	v_lshlrev_b32_e32 v152, 2, v152
	v_lshlrev_b16 v165, 8, v165
	v_lshlrev_b16 v180, 8, v180
	v_sub_nc_u16 v181, v181, v182
	v_lshrrev_b16 v182, 8, v167
	v_sub_nc_u16 v167, v167, v176
	v_lshrrev_b16 v176, 8, v176
	v_and_b32_e32 v152, 0x4040404, v152
	v_lshlrev_b32_e32 v153, 2, v153
	s_waitcnt lgkmcnt(0)
	v_ashrrev_i32_e32 v156, s1, v156
	v_sub_nc_u16 v176, v182, v176
	v_bfe_u32 v182, v169, 24, 2
	v_and_b32_e32 v169, 0x3030303, v169
	v_lshrrev_b32_e32 v191, 24, v152
	v_lshrrev_b32_e32 v192, 16, v152
	v_and_b32_e32 v153, 0x4040404, v153
	v_sub_nc_u16 v182, v182, v183
	v_lshrrev_b32_e32 v183, 16, v169
	v_lshlrev_b16 v176, 8, v176
	v_lshlrev_b32_e32 v156, 2, v156
	v_lshrrev_b32_e32 v193, 24, v153
	v_lshrrev_b32_e32 v194, 16, v153
	v_sub_nc_u16 v183, v183, v184
	v_lshrrev_b16 v184, 8, v169
	v_sub_nc_u16 v169, v169, v168
	v_lshrrev_b16 v168, 8, v168
	v_lshlrev_b16 v182, 8, v182
	v_and_b32_e32 v156, 0x4040404, v156
	s_delay_alu instid0(VALU_DEP_3) | instskip(SKIP_2) | instid1(VALU_DEP_3)
	v_sub_nc_u16 v168, v184, v168
	v_bfe_u32 v184, v170, 24, 2
	v_and_b32_e32 v170, 0x3030303, v170
	v_lshlrev_b16 v168, 8, v168
	s_delay_alu instid0(VALU_DEP_3) | instskip(NEXT) | instid1(VALU_DEP_3)
	v_sub_nc_u16 v184, v184, v185
	v_lshrrev_b32_e32 v185, 16, v170
	s_delay_alu instid0(VALU_DEP_2) | instskip(NEXT) | instid1(VALU_DEP_2)
	v_lshlrev_b16 v184, 8, v184
	v_sub_nc_u16 v185, v185, v186
	v_lshrrev_b16 v186, 8, v170
	v_sub_nc_u16 v170, v170, v177
	v_lshrrev_b16 v177, 8, v177
	s_delay_alu instid0(VALU_DEP_1) | instskip(SKIP_2) | instid1(VALU_DEP_3)
	v_sub_nc_u16 v177, v186, v177
	v_bfe_u32 v186, v172, 24, 2
	v_and_b32_e32 v172, 0x3030303, v172
	v_lshlrev_b16 v177, 8, v177
	s_delay_alu instid0(VALU_DEP_3) | instskip(NEXT) | instid1(VALU_DEP_3)
	v_sub_nc_u16 v186, v186, v187
	v_lshrrev_b32_e32 v187, 16, v172
	s_delay_alu instid0(VALU_DEP_2) | instskip(NEXT) | instid1(VALU_DEP_2)
	v_lshlrev_b16 v186, 8, v186
	v_sub_nc_u16 v187, v187, v188
	v_lshrrev_b16 v188, 8, v172
	v_sub_nc_u16 v172, v172, v171
	v_lshrrev_b16 v171, 8, v171
	s_delay_alu instid0(VALU_DEP_1) | instskip(SKIP_2) | instid1(VALU_DEP_3)
	;; [unrolled: 14-line block ×4, first 2 shown]
	v_sub_nc_u16 v152, v192, v152
	v_bfe_u32 v192, v175, 24, 2
	v_and_b32_e32 v175, 0x3030303, v175
	v_lshlrev_b16 v152, 8, v152
	s_delay_alu instid0(VALU_DEP_3) | instskip(NEXT) | instid1(VALU_DEP_3)
	v_sub_nc_u16 v192, v192, v193
	v_lshrrev_b32_e32 v193, 16, v175
	s_delay_alu instid0(VALU_DEP_2) | instskip(NEXT) | instid1(VALU_DEP_2)
	v_lshlrev_b16 v192, 8, v192
	v_sub_nc_u16 v193, v193, v194
	v_lshrrev_b16 v194, 8, v175
	v_sub_nc_u16 v175, v175, v153
	v_lshrrev_b16 v153, 8, v153
	s_delay_alu instid0(VALU_DEP_1) | instskip(SKIP_1) | instid1(VALU_DEP_2)
	v_sub_nc_u16 v153, v194, v153
	v_and_b32_e32 v194, 0xff, v179
	v_lshlrev_b16 v153, 8, v153
	s_delay_alu instid0(VALU_DEP_2) | instskip(SKIP_1) | instid1(VALU_DEP_2)
	v_or_b32_e32 v174, v194, v174
	v_and_b32_e32 v194, 0xff, v166
	v_perm_b32 v166, v166, v174, 0x4010c0c
	s_delay_alu instid0(VALU_DEP_2) | instskip(SKIP_1) | instid1(VALU_DEP_2)
	v_or_b32_e32 v165, v194, v165
	v_and_b32_e32 v194, 0xff, v181
	v_perm_b32 v165, v179, v165, 0xc0c0401
	s_delay_alu instid0(VALU_DEP_2) | instskip(SKIP_1) | instid1(VALU_DEP_3)
	v_or_b32_e32 v180, v194, v180
	v_and_b32_e32 v194, 0xff, v167
	v_or_b32_e32 v165, v166, v165
	s_delay_alu instid0(VALU_DEP_3) | instskip(NEXT) | instid1(VALU_DEP_3)
	v_perm_b32 v167, v167, v180, 0x4010c0c
	v_or_b32_e32 v176, v194, v176
	v_and_b32_e32 v194, 0xff, v183
	s_delay_alu instid0(VALU_DEP_2) | instskip(NEXT) | instid1(VALU_DEP_2)
	v_perm_b32 v174, v181, v176, 0xc0c0401
	v_or_b32_e32 v182, v194, v182
	v_and_b32_e32 v194, 0xff, v169
	s_delay_alu instid0(VALU_DEP_3) | instskip(NEXT) | instid1(VALU_DEP_3)
	v_or_b32_e32 v166, v167, v174
	v_perm_b32 v169, v169, v182, 0x4010c0c
	s_delay_alu instid0(VALU_DEP_3) | instskip(SKIP_1) | instid1(VALU_DEP_2)
	v_or_b32_e32 v168, v194, v168
	v_and_b32_e32 v194, 0xff, v185
	v_perm_b32 v168, v183, v168, 0xc0c0401
	s_delay_alu instid0(VALU_DEP_2) | instskip(SKIP_1) | instid1(VALU_DEP_3)
	v_or_b32_e32 v184, v194, v184
	v_and_b32_e32 v194, 0xff, v170
	v_or_b32_e32 v167, v169, v168
	s_delay_alu instid0(VALU_DEP_3) | instskip(NEXT) | instid1(VALU_DEP_3)
	v_perm_b32 v170, v170, v184, 0x4010c0c
	v_or_b32_e32 v177, v194, v177
	v_and_b32_e32 v194, 0xff, v187
	s_delay_alu instid0(VALU_DEP_2) | instskip(NEXT) | instid1(VALU_DEP_2)
	v_perm_b32 v176, v185, v177, 0xc0c0401
	v_or_b32_e32 v186, v194, v186
	v_and_b32_e32 v194, 0xff, v172
	s_delay_alu instid0(VALU_DEP_3) | instskip(NEXT) | instid1(VALU_DEP_3)
	v_or_b32_e32 v168, v170, v176
	v_perm_b32 v172, v172, v186, 0x4010c0c
	s_delay_alu instid0(VALU_DEP_3) | instskip(SKIP_1) | instid1(VALU_DEP_2)
	v_or_b32_e32 v171, v194, v171
	v_and_b32_e32 v194, 0xff, v189
	v_perm_b32 v171, v187, v171, 0xc0c0401
	s_delay_alu instid0(VALU_DEP_2) | instskip(SKIP_1) | instid1(VALU_DEP_3)
	v_or_b32_e32 v188, v194, v188
	v_and_b32_e32 v194, 0xff, v173
	v_or_b32_e32 v169, v172, v171
	s_delay_alu instid0(VALU_DEP_3) | instskip(NEXT) | instid1(VALU_DEP_3)
	v_perm_b32 v173, v173, v188, 0x4010c0c
	v_or_b32_e32 v178, v194, v178
	v_and_b32_e32 v194, 0xff, v191
	v_lshrrev_b32_e32 v171, 24, v29
	v_lshrrev_b32_e32 v172, 16, v29
	s_delay_alu instid0(VALU_DEP_4) | instskip(NEXT) | instid1(VALU_DEP_4)
	v_perm_b32 v177, v189, v178, 0xc0c0401
	v_or_b32_e32 v190, v194, v190
	v_and_b32_e32 v194, 0xff, v162
	s_delay_alu instid0(VALU_DEP_3) | instskip(NEXT) | instid1(VALU_DEP_3)
	v_or_b32_e32 v170, v173, v177
	v_perm_b32 v162, v162, v190, 0x4010c0c
	s_delay_alu instid0(VALU_DEP_3) | instskip(SKIP_1) | instid1(VALU_DEP_2)
	v_or_b32_e32 v152, v194, v152
	v_and_b32_e32 v194, 0xff, v193
	v_perm_b32 v152, v191, v152, 0xc0c0401
	s_delay_alu instid0(VALU_DEP_2) | instskip(SKIP_1) | instid1(VALU_DEP_3)
	v_or_b32_e32 v192, v194, v192
	v_and_b32_e32 v194, 0xff, v175
	v_or_b32_e32 v152, v162, v152
	s_delay_alu instid0(VALU_DEP_3) | instskip(NEXT) | instid1(VALU_DEP_3)
	v_perm_b32 v175, v175, v192, 0x4010c0c
	v_or_b32_e32 v153, v194, v153
	v_dot4_i32_iu8 v162, v165, v158, 0 neg_lo:[1,1,0]
	v_dot4_i32_iu8 v165, v167, v158, 0 neg_lo:[1,1,0]
	;; [unrolled: 1-line block ×4, first 2 shown]
	v_perm_b32 v153, v193, v153, 0xc0c0401
	v_dot4_i32_iu8 v158, v166, v159, v162 neg_lo:[1,1,0]
	v_dot4_i32_iu8 v162, v168, v159, v165 neg_lo:[1,1,0]
	;; [unrolled: 1-line block ×3, first 2 shown]
	v_lshrrev_b32_e32 v166, 16, v23
	v_or_b32_e32 v153, v175, v153
	v_lshrrev_b32_e32 v167, 24, v25
	v_lshrrev_b32_e32 v168, 16, v25
	v_lshrrev_b32_e32 v169, 24, v27
	v_lshrrev_b32_e32 v170, 16, v27
	v_dot4_i32_iu8 v152, v153, v159, v152 neg_lo:[1,1,0]
	v_bfe_u32 v153, v15, 24, 2
	v_lshrrev_b32_e32 v159, 24, v23
	v_and_b32_e32 v15, 0x3030303, v15
	s_delay_alu instid0(VALU_DEP_2) | instskip(NEXT) | instid1(VALU_DEP_2)
	v_sub_nc_u16 v153, v153, v159
	v_lshrrev_b32_e32 v159, 16, v15
	s_delay_alu instid0(VALU_DEP_2) | instskip(NEXT) | instid1(VALU_DEP_2)
	v_lshlrev_b16 v153, 8, v153
	v_sub_nc_u16 v159, v159, v166
	v_lshrrev_b16 v166, 8, v15
	v_sub_nc_u16 v15, v15, v23
	v_lshrrev_b16 v23, 8, v23
	s_delay_alu instid0(VALU_DEP_1) | instskip(SKIP_2) | instid1(VALU_DEP_3)
	v_sub_nc_u16 v23, v166, v23
	v_bfe_u32 v166, v17, 24, 2
	v_and_b32_e32 v17, 0x3030303, v17
	v_lshlrev_b16 v23, 8, v23
	s_delay_alu instid0(VALU_DEP_3) | instskip(NEXT) | instid1(VALU_DEP_3)
	v_sub_nc_u16 v166, v166, v167
	v_lshrrev_b32_e32 v167, 16, v17
	s_delay_alu instid0(VALU_DEP_2) | instskip(NEXT) | instid1(VALU_DEP_2)
	v_lshlrev_b16 v166, 8, v166
	v_sub_nc_u16 v167, v167, v168
	v_lshrrev_b16 v168, 8, v17
	v_sub_nc_u16 v17, v17, v25
	v_lshrrev_b16 v25, 8, v25
	s_delay_alu instid0(VALU_DEP_1) | instskip(SKIP_2) | instid1(VALU_DEP_3)
	v_sub_nc_u16 v25, v168, v25
	v_bfe_u32 v168, v19, 24, 2
	v_and_b32_e32 v19, 0x3030303, v19
	v_lshlrev_b16 v25, 8, v25
	s_delay_alu instid0(VALU_DEP_3) | instskip(NEXT) | instid1(VALU_DEP_3)
	;; [unrolled: 14-line block ×3, first 2 shown]
	v_sub_nc_u16 v170, v170, v171
	v_lshrrev_b32_e32 v171, 16, v21
	s_delay_alu instid0(VALU_DEP_2) | instskip(NEXT) | instid1(VALU_DEP_2)
	v_lshlrev_b16 v170, 8, v170
	v_sub_nc_u16 v171, v171, v172
	v_lshrrev_b16 v172, 8, v21
	v_sub_nc_u16 v21, v21, v29
	v_lshrrev_b16 v29, 8, v29
	s_delay_alu instid0(VALU_DEP_1) | instskip(SKIP_1) | instid1(VALU_DEP_2)
	v_sub_nc_u16 v29, v172, v29
	v_and_b32_e32 v172, 0xff, v159
	v_lshlrev_b16 v29, 8, v29
	s_delay_alu instid0(VALU_DEP_2) | instskip(SKIP_1) | instid1(VALU_DEP_2)
	v_or_b32_e32 v153, v172, v153
	v_and_b32_e32 v172, 0xff, v15
	v_perm_b32 v15, v15, v153, 0x4010c0c
	s_delay_alu instid0(VALU_DEP_2) | instskip(SKIP_1) | instid1(VALU_DEP_2)
	v_or_b32_e32 v23, v172, v23
	v_and_b32_e32 v172, 0xff, v167
	v_perm_b32 v23, v159, v23, 0xc0c0401
	s_delay_alu instid0(VALU_DEP_2) | instskip(SKIP_2) | instid1(VALU_DEP_4)
	v_or_b32_e32 v166, v172, v166
	v_and_b32_e32 v172, 0xff, v17
	v_lshrrev_b32_e32 v159, 16, v6
	v_or_b32_e32 v15, v15, v23
	s_delay_alu instid0(VALU_DEP_4) | instskip(NEXT) | instid1(VALU_DEP_4)
	v_perm_b32 v17, v17, v166, 0x4010c0c
	v_or_b32_e32 v25, v172, v25
	v_and_b32_e32 v172, 0xff, v169
	v_bfe_u32 v23, v11, 24, 2
	v_and_b32_e32 v11, 0x3030303, v11
	v_dot4_i32_iu8 v15, v15, v150, v163 neg_lo:[1,1,0]
	v_perm_b32 v25, v167, v25, 0xc0c0401
	v_or_b32_e32 v168, v172, v168
	v_and_b32_e32 v172, 0xff, v19
	s_delay_alu instid0(VALU_DEP_3) | instskip(NEXT) | instid1(VALU_DEP_3)
	v_or_b32_e32 v17, v17, v25
	v_perm_b32 v19, v19, v168, 0x4010c0c
	s_delay_alu instid0(VALU_DEP_3) | instskip(SKIP_3) | instid1(VALU_DEP_4)
	v_or_b32_e32 v27, v172, v27
	v_lshrrev_b32_e32 v25, 24, v2
	v_and_b32_e32 v172, 0xff, v171
	v_dot4_i32_iu8 v17, v17, v150, v164 neg_lo:[1,1,0]
	v_perm_b32 v27, v169, v27, 0xc0c0401
	s_delay_alu instid0(VALU_DEP_4)
	v_sub_nc_u16 v23, v23, v25
	v_lshrrev_b32_e32 v25, 16, v11
	v_or_b32_e32 v170, v172, v170
	v_and_b32_e32 v172, 0xff, v21
	v_or_b32_e32 v19, v19, v27
	v_lshrrev_b32_e32 v27, 16, v2
	v_lshlrev_b16 v23, 8, v23
	v_perm_b32 v21, v21, v170, 0x4010c0c
	v_or_b32_e32 v29, v172, v29
	v_dot4_i32_iu8 v19, v19, v150, v160 neg_lo:[1,1,0]
	v_sub_nc_u16 v25, v25, v27
	v_lshrrev_b16 v27, 8, v11
	v_sub_nc_u16 v11, v11, v2
	v_lshrrev_b16 v2, 8, v2
	v_perm_b32 v29, v171, v29, 0xc0c0401
	v_lshrrev_b32_e32 v160, 24, v156
	s_delay_alu instid0(VALU_DEP_3) | instskip(SKIP_1) | instid1(VALU_DEP_4)
	v_sub_nc_u16 v2, v27, v2
	v_ashrrev_i32_e32 v27, s1, v154
	v_or_b32_e32 v21, v21, v29
	v_bfe_u32 v29, v4, 24, 2
	v_and_b32_e32 v4, 0x3030303, v4
	v_lshrrev_b32_e32 v154, 24, v6
	v_lshlrev_b32_e32 v27, 2, v27
	v_dot4_i32_iu8 v21, v21, v150, v161 neg_lo:[1,1,0]
	v_lshrrev_b32_e32 v161, 16, v156
	v_lshlrev_b16 v2, 8, v2
	s_delay_alu instid0(VALU_DEP_4) | instskip(NEXT) | instid1(VALU_DEP_1)
	v_and_b32_e32 v27, 0x4040404, v27
	v_lshrrev_b32_e32 v150, 24, v27
	v_lshrrev_b32_e32 v153, 16, v27
	s_delay_alu instid0(VALU_DEP_2) | instskip(SKIP_1) | instid1(VALU_DEP_2)
	v_sub_nc_u16 v29, v29, v150
	v_lshrrev_b32_e32 v150, 16, v4
	v_lshlrev_b16 v29, 8, v29
	s_delay_alu instid0(VALU_DEP_2) | instskip(SKIP_3) | instid1(VALU_DEP_1)
	v_sub_nc_u16 v150, v150, v153
	v_lshrrev_b16 v153, 8, v4
	v_sub_nc_u16 v4, v4, v27
	v_lshrrev_b16 v27, 8, v27
	v_sub_nc_u16 v27, v153, v27
	v_bfe_u32 v153, v0, 24, 2
	v_and_b32_e32 v0, 0x3030303, v0
	s_delay_alu instid0(VALU_DEP_3) | instskip(NEXT) | instid1(VALU_DEP_3)
	v_lshlrev_b16 v27, 8, v27
	v_sub_nc_u16 v153, v153, v154
	s_delay_alu instid0(VALU_DEP_3) | instskip(NEXT) | instid1(VALU_DEP_2)
	v_lshrrev_b32_e32 v154, 16, v0
	v_lshlrev_b16 v153, 8, v153
	s_delay_alu instid0(VALU_DEP_2) | instskip(SKIP_3) | instid1(VALU_DEP_1)
	v_sub_nc_u16 v154, v154, v159
	v_lshrrev_b16 v159, 8, v0
	v_sub_nc_u16 v0, v0, v6
	v_lshrrev_b16 v6, 8, v6
	v_sub_nc_u16 v6, v159, v6
	v_bfe_u32 v159, v13, 24, 2
	v_and_b32_e32 v13, 0x3030303, v13
	s_delay_alu instid0(VALU_DEP_3) | instskip(NEXT) | instid1(VALU_DEP_3)
	v_lshlrev_b16 v6, 8, v6
	v_sub_nc_u16 v159, v159, v160
	s_delay_alu instid0(VALU_DEP_3) | instskip(NEXT) | instid1(VALU_DEP_2)
	v_lshrrev_b32_e32 v160, 16, v13
	v_lshlrev_b16 v159, 8, v159
	s_delay_alu instid0(VALU_DEP_2) | instskip(SKIP_3) | instid1(VALU_DEP_1)
	v_sub_nc_u16 v160, v160, v161
	v_lshrrev_b16 v161, 8, v13
	v_sub_nc_u16 v13, v13, v156
	v_lshrrev_b16 v156, 8, v156
	v_sub_nc_u16 v156, v161, v156
	v_and_b32_e32 v161, 0xff, v25
	s_delay_alu instid0(VALU_DEP_2) | instskip(NEXT) | instid1(VALU_DEP_2)
	v_lshlrev_b16 v156, 8, v156
	v_or_b32_e32 v23, v161, v23
	v_and_b32_e32 v161, 0xff, v11
	s_delay_alu instid0(VALU_DEP_2) | instskip(NEXT) | instid1(VALU_DEP_2)
	v_perm_b32 v11, v11, v23, 0x4010c0c
	v_or_b32_e32 v2, v161, v2
	v_and_b32_e32 v161, 0xff, v150
	s_delay_alu instid0(VALU_DEP_2) | instskip(NEXT) | instid1(VALU_DEP_2)
	v_perm_b32 v2, v25, v2, 0xc0c0401
	v_or_b32_e32 v29, v161, v29
	v_and_b32_e32 v161, 0xff, v4
	s_delay_alu instid0(VALU_DEP_3) | instskip(SKIP_1) | instid1(VALU_DEP_3)
	v_or_b32_e32 v2, v11, v2
	v_ashrrev_i32_e32 v11, s25, v16
	v_or_b32_e32 v27, v161, v27
	v_and_b32_e32 v161, 0xff, v154
	v_ashrrev_i32_e32 v16, s25, v20
	v_ashrrev_i32_e32 v20, s1, v24
	v_perm_b32 v4, v4, v29, 0x4010c0c
	v_perm_b32 v23, v150, v27, 0xc0c0401
	v_or_b32_e32 v153, v161, v153
	v_and_b32_e32 v161, 0xff, v0
	v_lshlrev_b32_e32 v20, 2, v20
	v_ashrrev_i32_e32 v24, s1, v30
	v_or_b32_e32 v4, v4, v23
	v_perm_b32 v0, v0, v153, 0x4010c0c
	v_or_b32_e32 v6, v161, v6
	v_and_b32_e32 v161, 0xff, v160
	v_and_b32_e32 v20, 0x4040404, v20
	v_ashrrev_i32_e32 v23, s1, v28
	v_dot4_i32_iu8 v2, v2, v145, v158 neg_lo:[1,1,0]
	v_perm_b32 v6, v154, v6, 0xc0c0401
	v_or_b32_e32 v159, v161, v159
	v_and_b32_e32 v161, 0xff, v13
	v_lshrrev_b32_e32 v27, 16, v20
	v_lshlrev_b32_e32 v23, 2, v23
	v_or_b32_e32 v0, v0, v6
	v_perm_b32 v13, v13, v159, 0x4010c0c
	v_or_b32_e32 v156, v161, v156
	v_dot4_i32_iu8 v4, v4, v145, v162 neg_lo:[1,1,0]
	v_and_b32_e32 v23, 0x4040404, v23
	v_dot4_i32_iu8 v0, v0, v145, v165 neg_lo:[1,1,0]
	v_lshlrev_b32_e32 v24, 2, v24
	v_perm_b32 v25, v160, v156, 0xc0c0401
	s_delay_alu instid0(VALU_DEP_4) | instskip(NEXT) | instid1(VALU_DEP_3)
	v_lshrrev_b32_e32 v30, 24, v23
	v_and_b32_e32 v24, 0x4040404, v24
	s_delay_alu instid0(VALU_DEP_3)
	v_or_b32_e32 v6, v13, v25
	v_ashrrev_i32_e32 v13, s25, v18
	v_ashrrev_i32_e32 v18, s25, v22
	;; [unrolled: 1-line block ×3, first 2 shown]
	v_bfe_u32 v25, v11, 24, 2
	v_lshrrev_b32_e32 v26, 24, v20
	v_and_b32_e32 v11, 0x3030303, v11
	v_dot4_i32_iu8 v6, v6, v145, v152 neg_lo:[1,1,0]
	v_lshlrev_b32_e32 v22, 2, v22
	v_lshrrev_b32_e32 v145, 16, v23
	v_sub_nc_u16 v25, v25, v26
	v_lshrrev_b32_e32 v26, 16, v11
	v_lshrrev_b32_e32 v150, 24, v24
	v_and_b32_e32 v22, 0x4040404, v22
	v_lshrrev_b32_e32 v152, 16, v24
	v_lshlrev_b16 v25, 8, v25
	v_sub_nc_u16 v26, v26, v27
	v_lshrrev_b16 v27, 8, v11
	v_sub_nc_u16 v11, v11, v20
	v_lshrrev_b16 v20, 8, v20
	v_lshrrev_b32_e32 v28, 24, v22
	v_lshrrev_b32_e32 v29, 16, v22
	s_delay_alu instid0(VALU_DEP_3) | instskip(SKIP_2) | instid1(VALU_DEP_3)
	v_sub_nc_u16 v20, v27, v20
	v_bfe_u32 v27, v13, 24, 2
	v_and_b32_e32 v13, 0x3030303, v13
	v_lshlrev_b16 v20, 8, v20
	s_delay_alu instid0(VALU_DEP_3) | instskip(NEXT) | instid1(VALU_DEP_3)
	v_sub_nc_u16 v27, v27, v28
	v_lshrrev_b32_e32 v28, 16, v13
	s_delay_alu instid0(VALU_DEP_2) | instskip(NEXT) | instid1(VALU_DEP_2)
	v_lshlrev_b16 v27, 8, v27
	v_sub_nc_u16 v28, v28, v29
	v_lshrrev_b16 v29, 8, v13
	v_sub_nc_u16 v13, v13, v22
	v_lshrrev_b16 v22, 8, v22
	s_delay_alu instid0(VALU_DEP_1) | instskip(SKIP_2) | instid1(VALU_DEP_3)
	v_sub_nc_u16 v22, v29, v22
	v_bfe_u32 v29, v16, 24, 2
	v_and_b32_e32 v16, 0x3030303, v16
	v_lshlrev_b16 v22, 8, v22
	s_delay_alu instid0(VALU_DEP_3) | instskip(NEXT) | instid1(VALU_DEP_3)
	v_sub_nc_u16 v29, v29, v30
	v_lshrrev_b32_e32 v30, 16, v16
	s_delay_alu instid0(VALU_DEP_2) | instskip(NEXT) | instid1(VALU_DEP_2)
	v_lshlrev_b16 v29, 8, v29
	v_sub_nc_u16 v30, v30, v145
	v_lshrrev_b16 v145, 8, v16
	v_sub_nc_u16 v16, v16, v23
	v_lshrrev_b16 v23, 8, v23
	s_delay_alu instid0(VALU_DEP_1) | instskip(SKIP_2) | instid1(VALU_DEP_3)
	v_sub_nc_u16 v23, v145, v23
	v_bfe_u32 v145, v18, 24, 2
	v_and_b32_e32 v18, 0x3030303, v18
	v_lshlrev_b16 v23, 8, v23
	s_delay_alu instid0(VALU_DEP_3) | instskip(NEXT) | instid1(VALU_DEP_3)
	v_sub_nc_u16 v145, v145, v150
	v_lshrrev_b32_e32 v150, 16, v18
	s_delay_alu instid0(VALU_DEP_2) | instskip(NEXT) | instid1(VALU_DEP_2)
	v_lshlrev_b16 v145, 8, v145
	v_sub_nc_u16 v150, v150, v152
	v_lshrrev_b16 v152, 8, v18
	v_sub_nc_u16 v18, v18, v24
	v_lshrrev_b16 v24, 8, v24
	s_delay_alu instid0(VALU_DEP_1) | instskip(SKIP_1) | instid1(VALU_DEP_2)
	v_sub_nc_u16 v24, v152, v24
	v_and_b32_e32 v152, 0xff, v26
	v_lshlrev_b16 v24, 8, v24
	s_delay_alu instid0(VALU_DEP_2) | instskip(SKIP_1) | instid1(VALU_DEP_2)
	v_or_b32_e32 v25, v152, v25
	v_and_b32_e32 v152, 0xff, v11
	v_perm_b32 v11, v11, v25, 0x4010c0c
	s_delay_alu instid0(VALU_DEP_2) | instskip(SKIP_2) | instid1(VALU_DEP_3)
	v_or_b32_e32 v20, v152, v20
	v_and_b32_e32 v152, 0xff, v28
	v_lshrrev_b32_e32 v25, 16, v7
	v_perm_b32 v20, v26, v20, 0xc0c0401
	s_delay_alu instid0(VALU_DEP_3) | instskip(SKIP_1) | instid1(VALU_DEP_3)
	v_or_b32_e32 v27, v152, v27
	v_and_b32_e32 v152, 0xff, v13
	v_or_b32_e32 v11, v11, v20
	s_delay_alu instid0(VALU_DEP_3) | instskip(NEXT) | instid1(VALU_DEP_3)
	v_perm_b32 v13, v13, v27, 0x4010c0c
	v_or_b32_e32 v22, v152, v22
	v_and_b32_e32 v152, 0xff, v30
	v_lshrrev_b32_e32 v20, 24, v3
	v_dot4_i32_iu8 v11, v11, v144, v15 neg_lo:[1,1,0]
	s_delay_alu instid0(VALU_DEP_4) | instskip(NEXT) | instid1(VALU_DEP_4)
	v_perm_b32 v22, v28, v22, 0xc0c0401
	v_or_b32_e32 v29, v152, v29
	v_and_b32_e32 v152, 0xff, v16
	s_delay_alu instid0(VALU_DEP_3) | instskip(NEXT) | instid1(VALU_DEP_3)
	v_or_b32_e32 v13, v13, v22
	v_perm_b32 v16, v16, v29, 0x4010c0c
	s_delay_alu instid0(VALU_DEP_3) | instskip(SKIP_1) | instid1(VALU_DEP_4)
	v_or_b32_e32 v23, v152, v23
	v_and_b32_e32 v152, 0xff, v150
	v_dot4_i32_iu8 v13, v13, v144, v17 neg_lo:[1,1,0]
	v_ashrrev_i32_e32 v17, s1, v155
	s_delay_alu instid0(VALU_DEP_4) | instskip(NEXT) | instid1(VALU_DEP_4)
	v_perm_b32 v23, v30, v23, 0xc0c0401
	v_or_b32_e32 v145, v152, v145
	v_and_b32_e32 v152, 0xff, v18
	s_delay_alu instid0(VALU_DEP_4) | instskip(NEXT) | instid1(VALU_DEP_4)
	v_lshlrev_b32_e32 v17, 2, v17
	v_or_b32_e32 v16, v16, v23
	s_delay_alu instid0(VALU_DEP_4) | instskip(NEXT) | instid1(VALU_DEP_4)
	v_perm_b32 v18, v18, v145, 0x4010c0c
	v_or_b32_e32 v24, v152, v24
	s_delay_alu instid0(VALU_DEP_4) | instskip(NEXT) | instid1(VALU_DEP_4)
	v_and_b32_e32 v17, 0x4040404, v17
	v_dot4_i32_iu8 v15, v16, v144, v19 neg_lo:[1,1,0]
	v_bfe_u32 v19, v12, 24, 2
	s_delay_alu instid0(VALU_DEP_4)
	v_perm_b32 v24, v150, v24, 0xc0c0401
	v_and_b32_e32 v12, 0x3030303, v12
	v_lshrrev_b32_e32 v22, 24, v17
	v_lshrrev_b32_e32 v23, 16, v17
	v_sub_nc_u16 v19, v19, v20
	v_or_b32_e32 v18, v18, v24
	v_lshrrev_b32_e32 v20, 16, v12
	v_lshrrev_b32_e32 v24, 24, v7
	s_delay_alu instid0(VALU_DEP_4) | instskip(NEXT) | instid1(VALU_DEP_4)
	v_lshlrev_b16 v19, 8, v19
	v_dot4_i32_iu8 v16, v18, v144, v21 neg_lo:[1,1,0]
	v_lshrrev_b32_e32 v21, 16, v3
	v_ashrrev_i32_e32 v18, s1, v157
	s_add_i32 s1, s1, 1
	s_cmp_lt_u32 s25, 6
	s_delay_alu instid0(VALU_DEP_2) | instskip(SKIP_4) | instid1(VALU_DEP_2)
	v_sub_nc_u16 v20, v20, v21
	v_lshrrev_b16 v21, 8, v12
	v_sub_nc_u16 v12, v12, v3
	v_lshrrev_b16 v3, 8, v3
	v_lshlrev_b32_e32 v18, 2, v18
	v_sub_nc_u16 v3, v21, v3
	v_bfe_u32 v21, v5, 24, 2
	v_and_b32_e32 v5, 0x3030303, v5
	s_delay_alu instid0(VALU_DEP_4) | instskip(NEXT) | instid1(VALU_DEP_4)
	v_and_b32_e32 v18, 0x4040404, v18
	v_lshlrev_b16 v3, 8, v3
	s_delay_alu instid0(VALU_DEP_4) | instskip(NEXT) | instid1(VALU_DEP_4)
	v_sub_nc_u16 v21, v21, v22
	v_lshrrev_b32_e32 v22, 16, v5
	s_delay_alu instid0(VALU_DEP_4) | instskip(SKIP_1) | instid1(VALU_DEP_4)
	v_lshrrev_b32_e32 v26, 24, v18
	v_lshrrev_b32_e32 v27, 16, v18
	v_lshlrev_b16 v21, 8, v21
	s_delay_alu instid0(VALU_DEP_4) | instskip(SKIP_3) | instid1(VALU_DEP_1)
	v_sub_nc_u16 v22, v22, v23
	v_lshrrev_b16 v23, 8, v5
	v_sub_nc_u16 v5, v5, v17
	v_lshrrev_b16 v17, 8, v17
	v_sub_nc_u16 v17, v23, v17
	v_bfe_u32 v23, v1, 24, 2
	v_and_b32_e32 v1, 0x3030303, v1
	s_delay_alu instid0(VALU_DEP_3) | instskip(NEXT) | instid1(VALU_DEP_3)
	v_lshlrev_b16 v17, 8, v17
	v_sub_nc_u16 v23, v23, v24
	s_delay_alu instid0(VALU_DEP_3) | instskip(NEXT) | instid1(VALU_DEP_2)
	v_lshrrev_b32_e32 v24, 16, v1
	v_lshlrev_b16 v23, 8, v23
	s_delay_alu instid0(VALU_DEP_2) | instskip(SKIP_3) | instid1(VALU_DEP_1)
	v_sub_nc_u16 v24, v24, v25
	v_lshrrev_b16 v25, 8, v1
	v_sub_nc_u16 v1, v1, v7
	v_lshrrev_b16 v7, 8, v7
	v_sub_nc_u16 v7, v25, v7
	v_bfe_u32 v25, v14, 24, 2
	v_and_b32_e32 v14, 0x3030303, v14
	s_delay_alu instid0(VALU_DEP_3) | instskip(NEXT) | instid1(VALU_DEP_3)
	v_lshlrev_b16 v7, 8, v7
	v_sub_nc_u16 v25, v25, v26
	s_delay_alu instid0(VALU_DEP_3) | instskip(NEXT) | instid1(VALU_DEP_2)
	v_lshrrev_b32_e32 v26, 16, v14
	v_lshlrev_b16 v25, 8, v25
	s_delay_alu instid0(VALU_DEP_2) | instskip(SKIP_3) | instid1(VALU_DEP_1)
	v_sub_nc_u16 v26, v26, v27
	v_lshrrev_b16 v27, 8, v14
	v_sub_nc_u16 v14, v14, v18
	v_lshrrev_b16 v18, 8, v18
	v_sub_nc_u16 v18, v27, v18
	v_and_b32_e32 v27, 0xff, v20
	s_delay_alu instid0(VALU_DEP_2) | instskip(NEXT) | instid1(VALU_DEP_2)
	v_lshlrev_b16 v18, 8, v18
	v_or_b32_e32 v19, v27, v19
	v_and_b32_e32 v27, 0xff, v12
	s_delay_alu instid0(VALU_DEP_2) | instskip(NEXT) | instid1(VALU_DEP_2)
	v_perm_b32 v12, v12, v19, 0x4010c0c
	v_or_b32_e32 v3, v27, v3
	v_and_b32_e32 v27, 0xff, v22
	s_delay_alu instid0(VALU_DEP_2) | instskip(NEXT) | instid1(VALU_DEP_2)
	v_perm_b32 v3, v20, v3, 0xc0c0401
	v_or_b32_e32 v21, v27, v21
	v_and_b32_e32 v27, 0xff, v5
	s_delay_alu instid0(VALU_DEP_3) | instskip(NEXT) | instid1(VALU_DEP_3)
	v_or_b32_e32 v3, v12, v3
	v_perm_b32 v5, v5, v21, 0x4010c0c
	s_delay_alu instid0(VALU_DEP_3) | instskip(SKIP_1) | instid1(VALU_DEP_4)
	v_or_b32_e32 v17, v27, v17
	v_and_b32_e32 v27, 0xff, v24
	v_dot4_i32_iu8 v3, v3, v141, v2 neg_lo:[1,1,0]
	v_add3_u32 v2, v115, s26, v151
	s_delay_alu instid0(VALU_DEP_4) | instskip(NEXT) | instid1(VALU_DEP_4)
	v_perm_b32 v17, v22, v17, 0xc0c0401
	v_or_b32_e32 v23, v27, v23
	v_and_b32_e32 v27, 0xff, v1
	s_delay_alu instid0(VALU_DEP_3) | instskip(NEXT) | instid1(VALU_DEP_3)
	v_or_b32_e32 v5, v5, v17
	v_perm_b32 v1, v1, v23, 0x4010c0c
	s_delay_alu instid0(VALU_DEP_3) | instskip(SKIP_1) | instid1(VALU_DEP_4)
	v_or_b32_e32 v7, v27, v7
	v_and_b32_e32 v27, 0xff, v26
	v_dot4_i32_iu8 v12, v5, v141, v4 neg_lo:[1,1,0]
	v_add3_u32 v4, v113, s26, v151
	ds_load_u16 v2, v2 offset:25346
	ds_load_u16 v4, v4 offset:27394
	v_or_b32_e32 v25, v27, v25
	v_and_b32_e32 v27, 0xff, v14
	v_perm_b32 v7, v24, v7, 0xc0c0401
	s_mov_b32 s26, s25
	s_delay_alu instid0(VALU_DEP_3) | instskip(NEXT) | instid1(VALU_DEP_3)
	v_perm_b32 v14, v14, v25, 0x4010c0c
	v_or_b32_e32 v18, v27, v18
	s_delay_alu instid0(VALU_DEP_3) | instskip(NEXT) | instid1(VALU_DEP_2)
	v_or_b32_e32 v1, v1, v7
	v_perm_b32 v18, v26, v18, 0xc0c0401
	s_delay_alu instid0(VALU_DEP_1) | instskip(NEXT) | instid1(VALU_DEP_3)
	v_or_b32_e32 v7, v14, v18
	v_dot4_i32_iu8 v14, v1, v141, v0 neg_lo:[1,1,0]
	s_waitcnt lgkmcnt(1)
	v_lshrrev_b16 v0, 8, v2
	v_bfe_i32 v1, v2, 0, 8
	s_waitcnt lgkmcnt(0)
	v_lshrrev_b16 v5, 8, v4
	v_dot4_i32_iu8 v17, v7, v141, v6 neg_lo:[1,1,0]
	v_bfe_i32 v7, v148, 0, 8
	v_bfe_i32 v18, v0, 0, 8
	v_mul_lo_u32 v0, v11, v1
	v_lshrrev_b16 v6, 8, v148
	v_bfe_i32 v4, v4, 0, 8
	v_lshrrev_b16 v11, 8, v149
	s_delay_alu instid0(VALU_DEP_3)
	v_bfe_i32 v6, v6, 0, 8
	v_mad_u64_u32 v[1:2], null, v3, v18, v[0:1]
	v_mul_lo_u32 v0, v13, v7
	v_bfe_i32 v3, v149, 0, 8
	v_mul_lo_u32 v2, v15, v4
	v_bfe_i32 v18, v5, 0, 8
	v_bfe_i32 v11, v11, 0, 8
	s_delay_alu instid0(VALU_DEP_4) | instskip(SKIP_3) | instid1(VALU_DEP_4)
	v_mul_lo_u32 v3, v16, v3
	v_mad_u64_u32 v[4:5], null, v12, v6, v[0:1]
	v_mul_f32_e32 v0, v140, v142
	v_cvt_f32_i32_e32 v1, v1
	v_mad_u64_u32 v[5:6], null, v14, v18, v[2:3]
	s_delay_alu instid0(VALU_DEP_4)
	v_mad_u64_u32 v[6:7], null, v17, v11, v[3:4]
	v_mul_f32_e32 v2, v140, v143
	v_mul_f32_e32 v3, v140, v146
	;; [unrolled: 1-line block ×3, first 2 shown]
	v_cvt_f32_i32_e32 v4, v4
	v_cvt_f32_i32_e32 v5, v5
	v_fmac_f32_e32 v33, v0, v1
	v_cvt_f32_i32_e32 v6, v6
	s_delay_alu instid0(VALU_DEP_4) | instskip(NEXT) | instid1(VALU_DEP_4)
	v_fmac_f32_e32 v96, v3, v4
	v_fmac_f32_e32 v90, v2, v5
	s_delay_alu instid0(VALU_DEP_3)
	v_fmac_f32_e32 v8, v7, v6
	s_cbranch_scc1 .LBB229_12
; %bb.13:                               ;   in Loop: Header=BB229_5 Depth=1
	s_or_b32 s1, s18, 0x80
	s_delay_alu instid0(SALU_CYCLE_1)
	s_cmp_ge_i32 s1, s11
	s_barrier
	buffer_gl0_inv
	s_cbranch_scc1 .LBB229_4
; %bb.14:                               ;   in Loop: Header=BB229_5 Depth=1
	v_add_nc_u32_e32 v0, s19, v108
	s_delay_alu instid0(VALU_DEP_1) | instskip(NEXT) | instid1(VALU_DEP_1)
	v_cmp_gt_i32_e64 s1, s5, v0
	s_and_b32 s24, s0, s1
	s_delay_alu instid0(SALU_CYCLE_1)
	s_and_saveexec_b32 s1, s24
	s_cbranch_execz .LBB229_16
; %bb.15:                               ;   in Loop: Header=BB229_5 Depth=1
	v_add_nc_u32_e32 v2, v104, v0
	s_delay_alu instid0(VALU_DEP_1)
	v_mad_i64_i32 v[0:1], null, v2, 36, v[9:10]
	global_load_b32 v0, v[0:1], off offset:4
	s_waitcnt vmcnt(0)
	ds_store_b32 v91, v0
.LBB229_16:                             ;   in Loop: Header=BB229_5 Depth=1
	s_or_b32 exec_lo, exec_lo, s1
	s_and_saveexec_b32 s24, vcc_lo
	s_cbranch_execz .LBB229_19
; %bb.17:                               ;   in Loop: Header=BB229_5 Depth=1
	v_or_b32_e32 v0, s19, v32
	s_delay_alu instid0(VALU_DEP_1) | instskip(NEXT) | instid1(VALU_DEP_1)
	v_or_b32_e32 v1, 4, v0
	v_cmp_gt_i32_e64 s1, s5, v1
	s_delay_alu instid0(VALU_DEP_1) | instskip(NEXT) | instid1(SALU_CYCLE_1)
	s_and_b32 s1, s0, s1
	s_and_b32 exec_lo, exec_lo, s1
	s_cbranch_execz .LBB229_19
; %bb.18:                               ;   in Loop: Header=BB229_5 Depth=1
	v_ashrrev_i32_e32 v1, 31, v0
	v_add_co_u32 v2, s1, v104, v0
	s_delay_alu instid0(VALU_DEP_1) | instskip(NEXT) | instid1(VALU_DEP_2)
	v_add_co_ci_u32_e64 v3, s1, v111, v1, s1
	v_mad_u64_u32 v[0:1], null, v2, 36, s[12:13]
	s_delay_alu instid0(VALU_DEP_1)
	v_mad_i32_i24 v1, v3, 36, v1
	global_load_b32 v0, v[0:1], off
	s_waitcnt vmcnt(0)
	v_cvt_f32_f16_e32 v0, v0
	ds_store_b32 v92, v0
.LBB229_19:                             ;   in Loop: Header=BB229_5 Depth=1
	s_or_b32 exec_lo, exec_lo, s24
	v_dual_mov_b32 v138, v116 :: v_dual_mov_b32 v139, v117
	s_mov_b32 s1, 8
	s_mov_b32 s24, 0
	;; [unrolled: 1-line block ×3, first 2 shown]
	s_waitcnt lgkmcnt(0)
	s_barrier
	buffer_gl0_inv
.LBB229_20:                             ;   Parent Loop BB229_5 Depth=1
                                        ; =>  This Inner Loop Header: Depth=2
	ds_load_b128 v[4:7], v138
	ds_load_b128 v[0:3], v138 offset:16
	s_add_i32 s26, s24, 8
	v_add_nc_u32_e32 v138, 32, v138
	s_and_b32 s28, s26, 0x3ffffff8
	s_lshr_b32 s27, s26, 4
	s_lshl_b32 s28, s28, 2
	s_lshl_b32 s29, s27, 2
	v_add_nc_u32_e32 v147, s28, v95
	v_add_nc_u32_e32 v148, s28, v99
	;; [unrolled: 1-line block ×4, first 2 shown]
	ds_load_2addr_b32 v[13:14], v147 offset1:1
	ds_load_2addr_b32 v[11:12], v147 offset0:6 offset1:7
	ds_load_2addr_b32 v[15:16], v147 offset0:2 offset1:3
	ds_load_2addr_b32 v[17:18], v148 offset0:2 offset1:3
	ds_load_b32 v140, v19
	v_add_nc_u32_e32 v161, s28, v106
	s_lshl_b32 s27, s27, 3
	s_delay_alu instid0(SALU_CYCLE_1)
	v_add_lshl_u32 v164, v94, s27, 2
	v_add_lshl_u32 v167, v98, s27, 2
	s_waitcnt lgkmcnt(6)
	v_perm_b32 v150, v6, v6, 0x30201
	s_waitcnt lgkmcnt(5)
	v_perm_b32 v157, v0, v0, 0x30201
	v_perm_b32 v158, v1, v1, 0x30201
	ds_load_2addr_b32 v[0:1], v148 offset1:1
	v_perm_b32 v144, v2, v2, 0x30201
	v_perm_b32 v141, v3, v3, 0x30201
	v_add_nc_u32_e32 v6, 0x4208, v164
	v_perm_b32 v149, v4, v4, 0x30201
	v_perm_b32 v151, v5, v5, 0x30201
	;; [unrolled: 1-line block ×3, first 2 shown]
	v_add_lshl_u32 v170, v101, s27, 2
	s_waitcnt lgkmcnt(5)
	v_ashrrev_i32_e32 v152, s24, v13
	v_ashrrev_i32_e32 v153, s24, v14
	v_add_lshl_u32 v173, v105, s27, 2
	s_and_b32 s27, s1, -16
	v_add_nc_u32_e32 v27, 0x4208, v170
	v_bfe_u32 v174, v152, 24, 2
	v_and_b32_e32 v152, 0x3030303, v152
	s_waitcnt lgkmcnt(3)
	v_ashrrev_i32_e32 v15, s24, v15
	s_waitcnt lgkmcnt(2)
	v_ashrrev_i32_e32 v17, s24, v17
	v_ashrrev_i32_e32 v11, s24, v11
	;; [unrolled: 1-line block ×3, first 2 shown]
	s_add_i32 s1, s1, 2
	s_waitcnt lgkmcnt(0)
	v_ashrrev_i32_e32 v154, s24, v0
	v_ashrrev_i32_e32 v155, s24, v1
	ds_load_2addr_b32 v[2:3], v156 offset1:1
	ds_load_2addr_b32 v[0:1], v156 offset0:6 offset1:7
	ds_load_2addr_b32 v[19:20], v156 offset0:2 offset1:3
	s_waitcnt lgkmcnt(2)
	v_ashrrev_i32_e32 v159, s24, v2
	v_add_nc_u32_e32 v2, s29, v103
	v_ashrrev_i32_e32 v160, s24, v3
	ds_load_2addr_b32 v[21:22], v161 offset0:2 offset1:3
	ds_load_b32 v142, v2
	ds_load_2addr_b32 v[2:3], v161 offset1:1
	s_waitcnt lgkmcnt(3)
	v_ashrrev_i32_e32 v19, s24, v19
	v_ashrrev_i32_e32 v0, s24, v0
	;; [unrolled: 1-line block ×3, first 2 shown]
	s_waitcnt lgkmcnt(2)
	v_ashrrev_i32_e32 v21, s24, v21
	s_waitcnt lgkmcnt(0)
	v_ashrrev_i32_e32 v162, s24, v2
	v_add_nc_u32_e32 v2, 0x4200, v164
	v_ashrrev_i32_e32 v163, s24, v3
	v_add_nc_u32_e32 v3, 0x4218, v164
	ds_load_2addr_b32 v[4:5], v2 offset1:1
	ds_load_2addr_b32 v[2:3], v3 offset1:1
	ds_load_2addr_b32 v[23:24], v6 offset1:1
	s_waitcnt lgkmcnt(2)
	v_ashrrev_i32_e32 v165, s25, v4
	v_add_nc_u32_e32 v4, 0x4200, v167
	v_ashrrev_i32_e32 v166, s25, v5
	v_add_nc_u32_e32 v5, 0x4208, v167
	ds_load_2addr_b32 v[6:7], v4 offset1:1
	ds_load_2addr_b32 v[25:26], v5 offset1:1
	ds_load_2addr_b32 v[4:5], v148 offset0:6 offset1:7
	v_lshlrev_b32_e32 v165, 2, v165
	v_lshlrev_b32_e32 v166, 2, v166
	s_waitcnt lgkmcnt(3)
	v_ashrrev_i32_e32 v23, s25, v23
	v_ashrrev_i32_e32 v2, s25, v2
	v_ashrrev_i32_e32 v3, s25, v3
	v_and_b32_e32 v165, 0x4040404, v165
	v_and_b32_e32 v166, 0x4040404, v166
	v_lshlrev_b32_e32 v23, 2, v23
	v_lshlrev_b32_e32 v2, 2, v2
	;; [unrolled: 1-line block ×3, first 2 shown]
	v_lshrrev_b32_e32 v175, 24, v165
	v_lshrrev_b32_e32 v176, 16, v165
	;; [unrolled: 1-line block ×4, first 2 shown]
	v_and_b32_e32 v23, 0x4040404, v23
	v_sub_nc_u16 v174, v174, v175
	v_lshrrev_b32_e32 v175, 16, v152
	s_waitcnt lgkmcnt(2)
	v_ashrrev_i32_e32 v168, s25, v6
	v_add_nc_u32_e32 v6, 0x4200, v170
	v_ashrrev_i32_e32 v169, s25, v7
	v_add_nc_u32_e32 v7, 0x4218, v170
	v_sub_nc_u16 v175, v175, v176
	v_lshrrev_b16 v176, 8, v152
	v_sub_nc_u16 v152, v152, v165
	v_lshrrev_b16 v165, 8, v165
	v_lshlrev_b32_e32 v168, 2, v168
	ds_load_2addr_b32 v[13:14], v6 offset1:1
	ds_load_2addr_b32 v[6:7], v7 offset1:1
	;; [unrolled: 1-line block ×3, first 2 shown]
	v_lshlrev_b32_e32 v169, 2, v169
	v_lshlrev_b16 v174, 8, v174
	v_sub_nc_u16 v165, v176, v165
	v_bfe_u32 v176, v153, 24, 2
	v_and_b32_e32 v153, 0x3030303, v153
	v_and_b32_e32 v168, 0x4040404, v168
	;; [unrolled: 1-line block ×3, first 2 shown]
	v_lshlrev_b16 v165, 8, v165
	v_sub_nc_u16 v176, v176, v177
	v_lshrrev_b32_e32 v177, 16, v153
	v_lshrrev_b32_e32 v179, 24, v168
	;; [unrolled: 1-line block ×5, first 2 shown]
	v_sub_nc_u16 v177, v177, v178
	v_lshrrev_b16 v178, 8, v153
	v_sub_nc_u16 v153, v153, v166
	v_lshrrev_b16 v166, 8, v166
	s_waitcnt lgkmcnt(2)
	v_ashrrev_i32_e32 v171, s25, v13
	v_add_nc_u32_e32 v13, 0x4200, v173
	v_ashrrev_i32_e32 v172, s25, v14
	v_add_nc_u32_e32 v14, 0x4208, v173
	v_sub_nc_u16 v166, v178, v166
	v_bfe_u32 v178, v154, 24, 2
	v_and_b32_e32 v154, 0x3030303, v154
	v_lshlrev_b32_e32 v171, 2, v171
	ds_load_2addr_b32 v[145:146], v13 offset1:1
	ds_load_2addr_b32 v[29:30], v14 offset1:1
	ds_load_2addr_b32 v[13:14], v161 offset0:6 offset1:7
	v_lshlrev_b32_e32 v172, 2, v172
	v_sub_nc_u16 v178, v178, v179
	v_lshrrev_b32_e32 v179, 16, v154
	v_and_b32_e32 v171, 0x4040404, v171
	v_lshlrev_b16 v176, 8, v176
	v_and_b32_e32 v172, 0x4040404, v172
	v_lshlrev_b16 v166, 8, v166
	v_sub_nc_u16 v179, v179, v180
	v_lshrrev_b16 v180, 8, v154
	v_sub_nc_u16 v154, v154, v168
	v_lshrrev_b16 v168, 8, v168
	v_lshrrev_b32_e32 v183, 24, v171
	v_lshrrev_b32_e32 v184, 16, v171
	;; [unrolled: 1-line block ×4, first 2 shown]
	v_sub_nc_u16 v168, v180, v168
	v_bfe_u32 v180, v155, 24, 2
	v_and_b32_e32 v155, 0x3030303, v155
	s_waitcnt lgkmcnt(2)
	v_ashrrev_i32_e32 v145, s25, v145
	v_ashrrev_i32_e32 v146, s25, v146
	v_lshlrev_b16 v178, 8, v178
	v_sub_nc_u16 v180, v180, v181
	v_lshrrev_b32_e32 v181, 16, v155
	v_lshlrev_b32_e32 v145, 2, v145
	v_lshlrev_b32_e32 v146, 2, v146
	v_lshlrev_b16 v168, 8, v168
	v_lshlrev_b16 v180, 8, v180
	v_sub_nc_u16 v181, v181, v182
	v_lshrrev_b16 v182, 8, v155
	v_sub_nc_u16 v155, v155, v169
	v_lshrrev_b16 v169, 8, v169
	v_and_b32_e32 v145, 0x4040404, v145
	v_and_b32_e32 v146, 0x4040404, v146
	v_ashrrev_i32_e32 v25, s25, v25
	v_ashrrev_i32_e32 v27, s25, v27
	v_sub_nc_u16 v169, v182, v169
	v_bfe_u32 v182, v159, 24, 2
	v_and_b32_e32 v159, 0x3030303, v159
	v_lshrrev_b32_e32 v187, 24, v145
	v_lshrrev_b32_e32 v188, 16, v145
	;; [unrolled: 1-line block ×3, first 2 shown]
	v_sub_nc_u16 v182, v182, v183
	v_lshrrev_b32_e32 v183, 16, v159
	v_lshrrev_b32_e32 v190, 16, v146
	v_lshlrev_b16 v169, 8, v169
	v_lshlrev_b32_e32 v25, 2, v25
	v_lshlrev_b16 v182, 8, v182
	v_sub_nc_u16 v183, v183, v184
	v_lshrrev_b16 v184, 8, v159
	v_sub_nc_u16 v159, v159, v171
	v_lshrrev_b16 v171, 8, v171
	v_and_b32_e32 v25, 0x4040404, v25
	v_lshlrev_b32_e32 v27, 2, v27
	s_waitcnt lgkmcnt(1)
	v_ashrrev_i32_e32 v29, s25, v29
	v_and_b32_e32 v2, 0x4040404, v2
	v_sub_nc_u16 v171, v184, v171
	v_bfe_u32 v184, v160, 24, 2
	v_and_b32_e32 v160, 0x3030303, v160
	v_and_b32_e32 v27, 0x4040404, v27
	v_lshlrev_b32_e32 v29, 2, v29
	v_lshlrev_b16 v171, 8, v171
	v_sub_nc_u16 v184, v184, v185
	v_lshrrev_b32_e32 v185, 16, v160
	v_ashrrev_i32_e32 v4, s24, v4
	v_and_b32_e32 v29, 0x4040404, v29
	v_ashrrev_i32_e32 v6, s25, v6
	v_lshlrev_b16 v184, 8, v184
	v_sub_nc_u16 v185, v185, v186
	v_lshrrev_b16 v186, 8, v160
	v_sub_nc_u16 v160, v160, v172
	v_lshrrev_b16 v172, 8, v172
	v_lshlrev_b32_e32 v6, 2, v6
	s_waitcnt lgkmcnt(0)
	v_ashrrev_i32_e32 v13, s24, v13
	v_and_b32_e32 v3, 0x4040404, v3
	v_ashrrev_i32_e32 v5, s24, v5
	v_sub_nc_u16 v172, v186, v172
	v_bfe_u32 v186, v162, 24, 2
	v_and_b32_e32 v162, 0x3030303, v162
	v_and_b32_e32 v6, 0x4040404, v6
	v_ashrrev_i32_e32 v7, s25, v7
	v_lshlrev_b16 v172, 8, v172
	v_sub_nc_u16 v186, v186, v187
	v_lshrrev_b32_e32 v187, 16, v162
	v_ashrrev_i32_e32 v14, s24, v14
	v_lshlrev_b32_e32 v7, 2, v7
	s_delay_alu instid0(VALU_DEP_4) | instskip(NEXT) | instid1(VALU_DEP_4)
	v_lshlrev_b16 v186, 8, v186
	v_sub_nc_u16 v187, v187, v188
	v_lshrrev_b16 v188, 8, v162
	v_sub_nc_u16 v162, v162, v145
	v_lshrrev_b16 v145, 8, v145
	v_and_b32_e32 v7, 0x4040404, v7
	s_delay_alu instid0(VALU_DEP_2) | instskip(SKIP_2) | instid1(VALU_DEP_3)
	v_sub_nc_u16 v145, v188, v145
	v_bfe_u32 v188, v163, 24, 2
	v_and_b32_e32 v163, 0x3030303, v163
	v_lshlrev_b16 v145, 8, v145
	s_delay_alu instid0(VALU_DEP_3) | instskip(NEXT) | instid1(VALU_DEP_3)
	v_sub_nc_u16 v188, v188, v189
	v_lshrrev_b32_e32 v189, 16, v163
	s_delay_alu instid0(VALU_DEP_2) | instskip(NEXT) | instid1(VALU_DEP_2)
	v_lshlrev_b16 v188, 8, v188
	v_sub_nc_u16 v189, v189, v190
	v_lshrrev_b16 v190, 8, v163
	v_sub_nc_u16 v163, v163, v146
	v_lshrrev_b16 v146, 8, v146
	s_delay_alu instid0(VALU_DEP_1) | instskip(SKIP_1) | instid1(VALU_DEP_2)
	v_sub_nc_u16 v146, v190, v146
	v_and_b32_e32 v190, 0xff, v175
	v_lshlrev_b16 v146, 8, v146
	s_delay_alu instid0(VALU_DEP_2) | instskip(SKIP_1) | instid1(VALU_DEP_2)
	v_or_b32_e32 v174, v190, v174
	v_and_b32_e32 v190, 0xff, v152
	v_perm_b32 v152, v152, v174, 0x4010c0c
	s_delay_alu instid0(VALU_DEP_2) | instskip(SKIP_1) | instid1(VALU_DEP_2)
	v_or_b32_e32 v165, v190, v165
	v_and_b32_e32 v190, 0xff, v177
	v_perm_b32 v165, v175, v165, 0xc0c0401
	s_delay_alu instid0(VALU_DEP_2) | instskip(SKIP_1) | instid1(VALU_DEP_3)
	v_or_b32_e32 v176, v190, v176
	v_and_b32_e32 v190, 0xff, v153
	v_or_b32_e32 v152, v152, v165
	s_delay_alu instid0(VALU_DEP_3) | instskip(NEXT) | instid1(VALU_DEP_3)
	v_perm_b32 v153, v153, v176, 0x4010c0c
	v_or_b32_e32 v166, v190, v166
	v_and_b32_e32 v190, 0xff, v179
	s_delay_alu instid0(VALU_DEP_4) | instskip(NEXT) | instid1(VALU_DEP_3)
	v_dot4_i32_iu8 v152, v152, v149, 0 neg_lo:[1,1,0]
	v_perm_b32 v166, v177, v166, 0xc0c0401
	s_delay_alu instid0(VALU_DEP_3) | instskip(SKIP_1) | instid1(VALU_DEP_3)
	v_or_b32_e32 v178, v190, v178
	v_and_b32_e32 v190, 0xff, v154
	v_or_b32_e32 v153, v153, v166
	s_delay_alu instid0(VALU_DEP_3) | instskip(NEXT) | instid1(VALU_DEP_3)
	v_perm_b32 v154, v154, v178, 0x4010c0c
	v_or_b32_e32 v168, v190, v168
	v_and_b32_e32 v190, 0xff, v181
	s_delay_alu instid0(VALU_DEP_2) | instskip(NEXT) | instid1(VALU_DEP_2)
	v_perm_b32 v168, v179, v168, 0xc0c0401
	v_or_b32_e32 v180, v190, v180
	v_and_b32_e32 v190, 0xff, v155
	s_delay_alu instid0(VALU_DEP_3) | instskip(NEXT) | instid1(VALU_DEP_3)
	v_or_b32_e32 v154, v154, v168
	v_perm_b32 v155, v155, v180, 0x4010c0c
	s_delay_alu instid0(VALU_DEP_3) | instskip(SKIP_1) | instid1(VALU_DEP_4)
	v_or_b32_e32 v169, v190, v169
	v_and_b32_e32 v190, 0xff, v183
	v_dot4_i32_iu8 v154, v154, v149, 0 neg_lo:[1,1,0]
	s_delay_alu instid0(VALU_DEP_3) | instskip(NEXT) | instid1(VALU_DEP_3)
	v_perm_b32 v169, v181, v169, 0xc0c0401
	v_or_b32_e32 v182, v190, v182
	v_and_b32_e32 v190, 0xff, v159
	s_delay_alu instid0(VALU_DEP_3) | instskip(NEXT) | instid1(VALU_DEP_3)
	v_or_b32_e32 v155, v155, v169
	v_perm_b32 v159, v159, v182, 0x4010c0c
	s_delay_alu instid0(VALU_DEP_3) | instskip(SKIP_1) | instid1(VALU_DEP_2)
	v_or_b32_e32 v171, v190, v171
	v_and_b32_e32 v190, 0xff, v185
	v_perm_b32 v171, v183, v171, 0xc0c0401
	s_delay_alu instid0(VALU_DEP_2) | instskip(SKIP_1) | instid1(VALU_DEP_3)
	v_or_b32_e32 v184, v190, v184
	v_and_b32_e32 v190, 0xff, v160
	v_or_b32_e32 v159, v159, v171
	s_delay_alu instid0(VALU_DEP_3) | instskip(NEXT) | instid1(VALU_DEP_3)
	v_perm_b32 v160, v160, v184, 0x4010c0c
	v_or_b32_e32 v172, v190, v172
	v_and_b32_e32 v190, 0xff, v187
	s_delay_alu instid0(VALU_DEP_4) | instskip(NEXT) | instid1(VALU_DEP_3)
	v_dot4_i32_iu8 v159, v159, v149, 0 neg_lo:[1,1,0]
	v_perm_b32 v172, v185, v172, 0xc0c0401
	s_delay_alu instid0(VALU_DEP_3) | instskip(SKIP_1) | instid1(VALU_DEP_3)
	v_or_b32_e32 v186, v190, v186
	v_and_b32_e32 v190, 0xff, v162
	v_or_b32_e32 v160, v160, v172
	s_delay_alu instid0(VALU_DEP_3) | instskip(NEXT) | instid1(VALU_DEP_3)
	v_perm_b32 v162, v162, v186, 0x4010c0c
	v_or_b32_e32 v145, v190, v145
	v_and_b32_e32 v190, 0xff, v189
	s_delay_alu instid0(VALU_DEP_4) | instskip(NEXT) | instid1(VALU_DEP_3)
	v_dot4_i32_iu8 v159, v160, v151, v159 neg_lo:[1,1,0]
	v_perm_b32 v145, v187, v145, 0xc0c0401
	s_delay_alu instid0(VALU_DEP_3) | instskip(SKIP_1) | instid1(VALU_DEP_3)
	v_or_b32_e32 v188, v190, v188
	v_and_b32_e32 v190, 0xff, v163
	v_or_b32_e32 v145, v162, v145
	s_delay_alu instid0(VALU_DEP_3) | instskip(NEXT) | instid1(VALU_DEP_3)
	v_perm_b32 v163, v163, v188, 0x4010c0c
	v_or_b32_e32 v146, v190, v146
	v_dot4_i32_iu8 v162, v153, v151, v152 neg_lo:[1,1,0]
	v_add_nc_u32_e32 v153, 0x4210, v173
	v_dot4_i32_iu8 v145, v145, v149, 0 neg_lo:[1,1,0]
	v_add_nc_u32_e32 v149, s24, v93
	v_perm_b32 v146, v189, v146, 0xc0c0401
	s_delay_alu instid0(VALU_DEP_1) | instskip(SKIP_2) | instid1(VALU_DEP_3)
	v_or_b32_e32 v146, v163, v146
	v_dot4_i32_iu8 v163, v155, v151, v154 neg_lo:[1,1,0]
	v_add_nc_u32_e32 v155, 0x4218, v173
	v_dot4_i32_iu8 v160, v146, v151, v145 neg_lo:[1,1,0]
	ds_load_2addr_b32 v[145:146], v147 offset0:4 offset1:5
	v_add_nc_u32_e32 v147, 0x4210, v167
	v_add_nc_u32_e32 v151, 0x4218, v167
	s_waitcnt lgkmcnt(0)
	v_ashrrev_i32_e32 v165, s24, v145
	v_ashrrev_i32_e32 v166, s24, v146
	ds_load_2addr_b32 v[145:146], v148 offset0:4 offset1:5
	v_bfe_u32 v173, v165, 24, 2
	v_and_b32_e32 v165, 0x3030303, v165
	s_waitcnt lgkmcnt(0)
	v_ashrrev_i32_e32 v168, s24, v145
	v_ashrrev_i32_e32 v169, s24, v146
	ds_load_2addr_b32 v[145:146], v156 offset0:4 offset1:5
	s_waitcnt lgkmcnt(0)
	v_ashrrev_i32_e32 v171, s24, v145
	v_ashrrev_i32_e32 v172, s24, v146
	ds_load_2addr_b32 v[145:146], v161 offset0:4 offset1:5
	s_waitcnt lgkmcnt(0)
	v_ashrrev_i32_e32 v161, s24, v145
	v_add_nc_u32_e32 v145, 0x4210, v164
	v_ashrrev_i32_e32 v174, s24, v146
	ds_load_2addr_b32 v[145:146], v145 offset1:1
	s_waitcnt lgkmcnt(0)
	v_ashrrev_i32_e32 v164, s25, v145
	v_add3_u32 v145, v120, s27, v149
	v_ashrrev_i32_e32 v175, s25, v146
	s_delay_alu instid0(VALU_DEP_3)
	v_lshlrev_b32_e32 v164, 2, v164
	ds_load_u16 v146, v145
	v_add_nc_u32_e32 v145, s29, v100
	ds_load_b32 v145, v145
	ds_load_2addr_b32 v[147:148], v147 offset1:1
	ds_load_2addr_b32 v[151:152], v151 offset1:1
	v_and_b32_e32 v164, 0x4040404, v164
	v_lshlrev_b32_e32 v175, 2, v175
	s_delay_alu instid0(VALU_DEP_2) | instskip(SKIP_1) | instid1(VALU_DEP_3)
	v_lshrrev_b32_e32 v178, 24, v164
	v_lshrrev_b32_e32 v179, 16, v164
	v_and_b32_e32 v175, 0x4040404, v175
	s_delay_alu instid0(VALU_DEP_3) | instskip(SKIP_1) | instid1(VALU_DEP_3)
	v_sub_nc_u16 v173, v173, v178
	v_lshrrev_b32_e32 v178, 16, v165
	v_lshrrev_b32_e32 v180, 24, v175
	;; [unrolled: 1-line block ×3, first 2 shown]
	s_delay_alu instid0(VALU_DEP_4) | instskip(NEXT) | instid1(VALU_DEP_4)
	v_lshlrev_b16 v173, 8, v173
	v_sub_nc_u16 v178, v178, v179
	v_lshrrev_b16 v179, 8, v165
	v_sub_nc_u16 v165, v165, v164
	v_lshrrev_b16 v164, 8, v164
	s_waitcnt lgkmcnt(1)
	v_ashrrev_i32_e32 v167, s25, v147
	v_add_nc_u32_e32 v147, 0x4210, v170
	v_ashrrev_i32_e32 v176, s25, v148
	v_sub_nc_u16 v164, v179, v164
	v_bfe_u32 v179, v166, 24, 2
	v_and_b32_e32 v166, 0x3030303, v166
	v_lshlrev_b32_e32 v167, 2, v167
	ds_load_2addr_b32 v[147:148], v147 offset1:1
	v_lshlrev_b32_e32 v176, 2, v176
	v_sub_nc_u16 v179, v179, v180
	v_lshrrev_b32_e32 v180, 16, v166
	v_and_b32_e32 v167, 0x4040404, v167
	v_lshlrev_b16 v164, 8, v164
	v_and_b32_e32 v176, 0x4040404, v176
	v_lshlrev_b16 v179, 8, v179
	v_sub_nc_u16 v180, v180, v181
	v_lshrrev_b16 v181, 8, v166
	v_sub_nc_u16 v166, v166, v175
	v_lshrrev_b16 v175, 8, v175
	v_lshrrev_b32_e32 v182, 24, v167
	v_lshrrev_b32_e32 v183, 16, v167
	;; [unrolled: 1-line block ×4, first 2 shown]
	v_sub_nc_u16 v175, v181, v175
	v_bfe_u32 v181, v168, 24, 2
	v_and_b32_e32 v168, 0x3030303, v168
	s_waitcnt lgkmcnt(0)
	v_ashrrev_i32_e32 v170, s25, v147
	v_add3_u32 v147, v118, s27, v149
	v_sub_nc_u16 v181, v181, v182
	v_lshrrev_b32_e32 v182, 16, v168
	v_ashrrev_i32_e32 v177, s25, v148
	v_lshlrev_b32_e32 v170, 2, v170
	ds_load_u16 v148, v147
	v_add_nc_u32_e32 v147, s29, v107
	v_sub_nc_u16 v182, v182, v183
	v_lshrrev_b16 v183, 8, v168
	v_sub_nc_u16 v168, v168, v167
	v_lshrrev_b16 v167, 8, v167
	v_and_b32_e32 v170, 0x4040404, v170
	ds_load_b32 v147, v147
	ds_load_2addr_b32 v[153:154], v153 offset1:1
	ds_load_2addr_b32 v[155:156], v155 offset1:1
	v_lshlrev_b32_e32 v177, 2, v177
	v_lshlrev_b16 v175, 8, v175
	v_sub_nc_u16 v167, v183, v167
	v_bfe_u32 v183, v169, 24, 2
	v_and_b32_e32 v169, 0x3030303, v169
	v_lshrrev_b32_e32 v186, 24, v170
	v_lshrrev_b32_e32 v187, 16, v170
	v_and_b32_e32 v177, 0x4040404, v177
	v_sub_nc_u16 v183, v183, v184
	v_lshrrev_b32_e32 v184, 16, v169
	v_lshlrev_b16 v181, 8, v181
	v_lshlrev_b16 v167, 8, v167
	v_lshrrev_b32_e32 v188, 24, v177
	v_lshrrev_b32_e32 v189, 16, v177
	v_sub_nc_u16 v184, v184, v185
	v_lshrrev_b16 v185, 8, v169
	v_sub_nc_u16 v169, v169, v176
	v_lshrrev_b16 v176, 8, v176
	s_waitcnt lgkmcnt(1)
	v_ashrrev_i32_e32 v153, s25, v153
	v_ashrrev_i32_e32 v154, s25, v154
	v_lshlrev_b16 v183, 8, v183
	s_waitcnt lgkmcnt(0)
	v_ashrrev_i32_e32 v155, s25, v155
	v_sub_nc_u16 v176, v185, v176
	v_bfe_u32 v185, v171, 24, 2
	v_and_b32_e32 v171, 0x3030303, v171
	v_lshlrev_b32_e32 v153, 2, v153
	v_lshlrev_b32_e32 v154, 2, v154
	v_lshlrev_b16 v176, 8, v176
	v_sub_nc_u16 v185, v185, v186
	v_lshrrev_b32_e32 v186, 16, v171
	v_and_b32_e32 v153, 0x4040404, v153
	v_and_b32_e32 v154, 0x4040404, v154
	v_lshlrev_b32_e32 v155, 2, v155
	v_lshlrev_b16 v185, 8, v185
	v_sub_nc_u16 v186, v186, v187
	v_lshrrev_b16 v187, 8, v171
	v_sub_nc_u16 v171, v171, v170
	v_lshrrev_b16 v170, 8, v170
	v_lshrrev_b32_e32 v190, 24, v153
	v_lshrrev_b32_e32 v191, 16, v153
	;; [unrolled: 1-line block ×4, first 2 shown]
	v_sub_nc_u16 v170, v187, v170
	v_bfe_u32 v187, v172, 24, 2
	v_and_b32_e32 v172, 0x3030303, v172
	v_and_b32_e32 v155, 0x4040404, v155
	s_delay_alu instid0(VALU_DEP_4) | instskip(NEXT) | instid1(VALU_DEP_4)
	v_lshlrev_b16 v170, 8, v170
	v_sub_nc_u16 v187, v187, v188
	s_delay_alu instid0(VALU_DEP_4) | instskip(NEXT) | instid1(VALU_DEP_2)
	v_lshrrev_b32_e32 v188, 16, v172
	v_lshlrev_b16 v187, 8, v187
	s_delay_alu instid0(VALU_DEP_2) | instskip(SKIP_3) | instid1(VALU_DEP_1)
	v_sub_nc_u16 v188, v188, v189
	v_lshrrev_b16 v189, 8, v172
	v_sub_nc_u16 v172, v172, v177
	v_lshrrev_b16 v177, 8, v177
	v_sub_nc_u16 v177, v189, v177
	v_bfe_u32 v189, v161, 24, 2
	v_and_b32_e32 v161, 0x3030303, v161
	s_delay_alu instid0(VALU_DEP_3) | instskip(NEXT) | instid1(VALU_DEP_3)
	v_lshlrev_b16 v177, 8, v177
	v_sub_nc_u16 v189, v189, v190
	s_delay_alu instid0(VALU_DEP_3) | instskip(NEXT) | instid1(VALU_DEP_2)
	v_lshrrev_b32_e32 v190, 16, v161
	v_lshlrev_b16 v189, 8, v189
	s_delay_alu instid0(VALU_DEP_2) | instskip(SKIP_3) | instid1(VALU_DEP_1)
	v_sub_nc_u16 v190, v190, v191
	v_lshrrev_b16 v191, 8, v161
	v_sub_nc_u16 v161, v161, v153
	v_lshrrev_b16 v153, 8, v153
	v_sub_nc_u16 v153, v191, v153
	v_bfe_u32 v191, v174, 24, 2
	v_and_b32_e32 v174, 0x3030303, v174
	s_delay_alu instid0(VALU_DEP_3) | instskip(NEXT) | instid1(VALU_DEP_3)
	v_lshlrev_b16 v153, 8, v153
	v_sub_nc_u16 v191, v191, v192
	s_delay_alu instid0(VALU_DEP_3) | instskip(NEXT) | instid1(VALU_DEP_2)
	v_lshrrev_b32_e32 v192, 16, v174
	v_lshlrev_b16 v191, 8, v191
	s_delay_alu instid0(VALU_DEP_2) | instskip(SKIP_3) | instid1(VALU_DEP_1)
	v_sub_nc_u16 v192, v192, v193
	v_lshrrev_b16 v193, 8, v174
	v_sub_nc_u16 v174, v174, v154
	v_lshrrev_b16 v154, 8, v154
	v_sub_nc_u16 v154, v193, v154
	v_and_b32_e32 v193, 0xff, v178
	s_delay_alu instid0(VALU_DEP_2) | instskip(NEXT) | instid1(VALU_DEP_2)
	v_lshlrev_b16 v154, 8, v154
	v_or_b32_e32 v173, v193, v173
	v_and_b32_e32 v193, 0xff, v165
	s_delay_alu instid0(VALU_DEP_2) | instskip(NEXT) | instid1(VALU_DEP_2)
	v_perm_b32 v165, v165, v173, 0x4010c0c
	v_or_b32_e32 v164, v193, v164
	v_and_b32_e32 v193, 0xff, v180
	s_delay_alu instid0(VALU_DEP_2) | instskip(NEXT) | instid1(VALU_DEP_2)
	v_perm_b32 v164, v178, v164, 0xc0c0401
	v_or_b32_e32 v179, v193, v179
	v_and_b32_e32 v193, 0xff, v166
	s_delay_alu instid0(VALU_DEP_3) | instskip(NEXT) | instid1(VALU_DEP_3)
	v_or_b32_e32 v164, v165, v164
	v_perm_b32 v166, v166, v179, 0x4010c0c
	s_delay_alu instid0(VALU_DEP_3) | instskip(SKIP_1) | instid1(VALU_DEP_2)
	v_or_b32_e32 v175, v193, v175
	v_and_b32_e32 v193, 0xff, v182
	v_perm_b32 v173, v180, v175, 0xc0c0401
	s_delay_alu instid0(VALU_DEP_2) | instskip(SKIP_1) | instid1(VALU_DEP_3)
	v_or_b32_e32 v181, v193, v181
	v_and_b32_e32 v193, 0xff, v168
	v_or_b32_e32 v165, v166, v173
	s_delay_alu instid0(VALU_DEP_3) | instskip(NEXT) | instid1(VALU_DEP_3)
	v_perm_b32 v168, v168, v181, 0x4010c0c
	v_or_b32_e32 v167, v193, v167
	v_and_b32_e32 v193, 0xff, v184
	s_delay_alu instid0(VALU_DEP_2) | instskip(NEXT) | instid1(VALU_DEP_2)
	v_perm_b32 v167, v182, v167, 0xc0c0401
	v_or_b32_e32 v183, v193, v183
	v_and_b32_e32 v193, 0xff, v169
	s_delay_alu instid0(VALU_DEP_3) | instskip(NEXT) | instid1(VALU_DEP_3)
	v_or_b32_e32 v166, v168, v167
	v_perm_b32 v169, v169, v183, 0x4010c0c
	s_delay_alu instid0(VALU_DEP_3) | instskip(SKIP_1) | instid1(VALU_DEP_2)
	v_or_b32_e32 v176, v193, v176
	v_and_b32_e32 v193, 0xff, v186
	v_perm_b32 v175, v184, v176, 0xc0c0401
	s_delay_alu instid0(VALU_DEP_2) | instskip(SKIP_1) | instid1(VALU_DEP_3)
	v_or_b32_e32 v185, v193, v185
	v_and_b32_e32 v193, 0xff, v171
	v_or_b32_e32 v167, v169, v175
	s_delay_alu instid0(VALU_DEP_3) | instskip(NEXT) | instid1(VALU_DEP_3)
	v_perm_b32 v171, v171, v185, 0x4010c0c
	v_or_b32_e32 v170, v193, v170
	v_and_b32_e32 v193, 0xff, v188
	s_delay_alu instid0(VALU_DEP_2) | instskip(NEXT) | instid1(VALU_DEP_2)
	v_perm_b32 v170, v186, v170, 0xc0c0401
	v_or_b32_e32 v187, v193, v187
	v_and_b32_e32 v193, 0xff, v172
	s_delay_alu instid0(VALU_DEP_3) | instskip(NEXT) | instid1(VALU_DEP_3)
	v_or_b32_e32 v168, v171, v170
	v_perm_b32 v172, v172, v187, 0x4010c0c
	s_delay_alu instid0(VALU_DEP_3) | instskip(SKIP_3) | instid1(VALU_DEP_4)
	v_or_b32_e32 v177, v193, v177
	v_and_b32_e32 v193, 0xff, v190
	v_lshrrev_b32_e32 v170, 24, v29
	v_lshrrev_b32_e32 v171, 16, v29
	v_perm_b32 v176, v188, v177, 0xc0c0401
	s_delay_alu instid0(VALU_DEP_4) | instskip(SKIP_1) | instid1(VALU_DEP_3)
	v_or_b32_e32 v189, v193, v189
	v_and_b32_e32 v193, 0xff, v161
	v_or_b32_e32 v169, v172, v176
	s_delay_alu instid0(VALU_DEP_3) | instskip(NEXT) | instid1(VALU_DEP_3)
	v_perm_b32 v161, v161, v189, 0x4010c0c
	v_or_b32_e32 v153, v193, v153
	v_and_b32_e32 v193, 0xff, v192
	s_delay_alu instid0(VALU_DEP_2) | instskip(NEXT) | instid1(VALU_DEP_2)
	v_perm_b32 v153, v190, v153, 0xc0c0401
	v_or_b32_e32 v191, v193, v191
	v_and_b32_e32 v193, 0xff, v174
	s_delay_alu instid0(VALU_DEP_3) | instskip(NEXT) | instid1(VALU_DEP_3)
	v_or_b32_e32 v153, v161, v153
	v_perm_b32 v174, v174, v191, 0x4010c0c
	s_delay_alu instid0(VALU_DEP_3)
	v_or_b32_e32 v154, v193, v154
	v_dot4_i32_iu8 v161, v164, v157, 0 neg_lo:[1,1,0]
	v_dot4_i32_iu8 v164, v166, v157, 0 neg_lo:[1,1,0]
	;; [unrolled: 1-line block ×4, first 2 shown]
	v_perm_b32 v154, v192, v154, 0xc0c0401
	v_dot4_i32_iu8 v157, v165, v158, v161 neg_lo:[1,1,0]
	v_dot4_i32_iu8 v161, v167, v158, v164 neg_lo:[1,1,0]
	;; [unrolled: 1-line block ×3, first 2 shown]
	v_lshrrev_b32_e32 v165, 16, v23
	v_or_b32_e32 v154, v174, v154
	v_lshrrev_b32_e32 v166, 24, v25
	v_lshrrev_b32_e32 v167, 16, v25
	;; [unrolled: 1-line block ×4, first 2 shown]
	v_dot4_i32_iu8 v153, v154, v158, v153 neg_lo:[1,1,0]
	v_bfe_u32 v154, v15, 24, 2
	v_lshrrev_b32_e32 v158, 24, v23
	v_and_b32_e32 v15, 0x3030303, v15
	s_delay_alu instid0(VALU_DEP_2) | instskip(NEXT) | instid1(VALU_DEP_2)
	v_sub_nc_u16 v154, v154, v158
	v_lshrrev_b32_e32 v158, 16, v15
	s_delay_alu instid0(VALU_DEP_2) | instskip(NEXT) | instid1(VALU_DEP_2)
	v_lshlrev_b16 v154, 8, v154
	v_sub_nc_u16 v158, v158, v165
	v_lshrrev_b16 v165, 8, v15
	v_sub_nc_u16 v15, v15, v23
	v_lshrrev_b16 v23, 8, v23
	s_delay_alu instid0(VALU_DEP_1) | instskip(SKIP_2) | instid1(VALU_DEP_3)
	v_sub_nc_u16 v23, v165, v23
	v_bfe_u32 v165, v17, 24, 2
	v_and_b32_e32 v17, 0x3030303, v17
	v_lshlrev_b16 v23, 8, v23
	s_delay_alu instid0(VALU_DEP_3) | instskip(NEXT) | instid1(VALU_DEP_3)
	v_sub_nc_u16 v165, v165, v166
	v_lshrrev_b32_e32 v166, 16, v17
	s_delay_alu instid0(VALU_DEP_2) | instskip(NEXT) | instid1(VALU_DEP_2)
	v_lshlrev_b16 v165, 8, v165
	v_sub_nc_u16 v166, v166, v167
	v_lshrrev_b16 v167, 8, v17
	v_sub_nc_u16 v17, v17, v25
	v_lshrrev_b16 v25, 8, v25
	s_delay_alu instid0(VALU_DEP_1) | instskip(SKIP_2) | instid1(VALU_DEP_3)
	v_sub_nc_u16 v25, v167, v25
	v_bfe_u32 v167, v19, 24, 2
	v_and_b32_e32 v19, 0x3030303, v19
	v_lshlrev_b16 v25, 8, v25
	s_delay_alu instid0(VALU_DEP_3) | instskip(NEXT) | instid1(VALU_DEP_3)
	;; [unrolled: 14-line block ×3, first 2 shown]
	v_sub_nc_u16 v169, v169, v170
	v_lshrrev_b32_e32 v170, 16, v21
	s_delay_alu instid0(VALU_DEP_2) | instskip(NEXT) | instid1(VALU_DEP_2)
	v_lshlrev_b16 v169, 8, v169
	v_sub_nc_u16 v170, v170, v171
	v_lshrrev_b16 v171, 8, v21
	v_sub_nc_u16 v21, v21, v29
	v_lshrrev_b16 v29, 8, v29
	s_delay_alu instid0(VALU_DEP_1) | instskip(SKIP_1) | instid1(VALU_DEP_2)
	v_sub_nc_u16 v29, v171, v29
	v_and_b32_e32 v171, 0xff, v158
	v_lshlrev_b16 v29, 8, v29
	s_delay_alu instid0(VALU_DEP_2) | instskip(SKIP_1) | instid1(VALU_DEP_2)
	v_or_b32_e32 v154, v171, v154
	v_and_b32_e32 v171, 0xff, v15
	v_perm_b32 v15, v15, v154, 0x4010c0c
	s_delay_alu instid0(VALU_DEP_2) | instskip(SKIP_2) | instid1(VALU_DEP_3)
	v_or_b32_e32 v23, v171, v23
	v_and_b32_e32 v171, 0xff, v166
	v_lshrrev_b32_e32 v154, 24, v6
	v_perm_b32 v23, v158, v23, 0xc0c0401
	s_delay_alu instid0(VALU_DEP_3) | instskip(SKIP_2) | instid1(VALU_DEP_4)
	v_or_b32_e32 v165, v171, v165
	v_and_b32_e32 v171, 0xff, v17
	v_lshrrev_b32_e32 v158, 16, v6
	v_or_b32_e32 v15, v15, v23
	s_delay_alu instid0(VALU_DEP_4) | instskip(NEXT) | instid1(VALU_DEP_4)
	v_perm_b32 v17, v17, v165, 0x4010c0c
	v_or_b32_e32 v25, v171, v25
	v_and_b32_e32 v171, 0xff, v168
	v_bfe_u32 v23, v11, 24, 2
	v_and_b32_e32 v11, 0x3030303, v11
	v_dot4_i32_iu8 v15, v15, v150, v162 neg_lo:[1,1,0]
	v_perm_b32 v25, v166, v25, 0xc0c0401
	v_or_b32_e32 v167, v171, v167
	v_and_b32_e32 v171, 0xff, v19
	s_delay_alu instid0(VALU_DEP_3) | instskip(NEXT) | instid1(VALU_DEP_3)
	v_or_b32_e32 v17, v17, v25
	v_perm_b32 v19, v19, v167, 0x4010c0c
	s_delay_alu instid0(VALU_DEP_3) | instskip(SKIP_3) | instid1(VALU_DEP_4)
	v_or_b32_e32 v27, v171, v27
	v_lshrrev_b32_e32 v25, 24, v2
	v_and_b32_e32 v171, 0xff, v170
	v_dot4_i32_iu8 v17, v17, v150, v163 neg_lo:[1,1,0]
	v_perm_b32 v27, v168, v27, 0xc0c0401
	s_delay_alu instid0(VALU_DEP_4)
	v_sub_nc_u16 v23, v23, v25
	v_lshrrev_b32_e32 v25, 16, v11
	v_or_b32_e32 v169, v171, v169
	v_and_b32_e32 v171, 0xff, v21
	v_or_b32_e32 v19, v19, v27
	v_lshrrev_b32_e32 v27, 16, v2
	v_lshlrev_b16 v23, 8, v23
	v_perm_b32 v21, v21, v169, 0x4010c0c
	v_or_b32_e32 v29, v171, v29
	v_dot4_i32_iu8 v19, v19, v150, v159 neg_lo:[1,1,0]
	v_sub_nc_u16 v25, v25, v27
	v_lshrrev_b16 v27, 8, v11
	v_sub_nc_u16 v11, v11, v2
	v_lshrrev_b16 v2, 8, v2
	v_perm_b32 v29, v170, v29, 0xc0c0401
	v_lshrrev_b32_e32 v159, 24, v155
	s_delay_alu instid0(VALU_DEP_3) | instskip(SKIP_1) | instid1(VALU_DEP_4)
	v_sub_nc_u16 v2, v27, v2
	v_ashrrev_i32_e32 v27, s25, v151
	v_or_b32_e32 v21, v21, v29
	v_bfe_u32 v29, v4, 24, 2
	v_and_b32_e32 v4, 0x3030303, v4
	v_lshlrev_b16 v2, 8, v2
	v_lshlrev_b32_e32 v27, 2, v27
	v_dot4_i32_iu8 v21, v21, v150, v160 neg_lo:[1,1,0]
	v_lshrrev_b32_e32 v160, 16, v155
	s_delay_alu instid0(VALU_DEP_3) | instskip(NEXT) | instid1(VALU_DEP_1)
	v_and_b32_e32 v27, 0x4040404, v27
	v_lshrrev_b32_e32 v150, 24, v27
	v_lshrrev_b32_e32 v151, 16, v27
	s_delay_alu instid0(VALU_DEP_2) | instskip(SKIP_1) | instid1(VALU_DEP_2)
	v_sub_nc_u16 v29, v29, v150
	v_lshrrev_b32_e32 v150, 16, v4
	v_lshlrev_b16 v29, 8, v29
	s_delay_alu instid0(VALU_DEP_2) | instskip(SKIP_3) | instid1(VALU_DEP_1)
	v_sub_nc_u16 v150, v150, v151
	v_lshrrev_b16 v151, 8, v4
	v_sub_nc_u16 v4, v4, v27
	v_lshrrev_b16 v27, 8, v27
	v_sub_nc_u16 v27, v151, v27
	v_bfe_u32 v151, v0, 24, 2
	v_and_b32_e32 v0, 0x3030303, v0
	s_delay_alu instid0(VALU_DEP_3) | instskip(NEXT) | instid1(VALU_DEP_3)
	v_lshlrev_b16 v27, 8, v27
	v_sub_nc_u16 v151, v151, v154
	s_delay_alu instid0(VALU_DEP_3) | instskip(NEXT) | instid1(VALU_DEP_2)
	v_lshrrev_b32_e32 v154, 16, v0
	v_lshlrev_b16 v151, 8, v151
	s_delay_alu instid0(VALU_DEP_2) | instskip(SKIP_3) | instid1(VALU_DEP_1)
	v_sub_nc_u16 v154, v154, v158
	v_lshrrev_b16 v158, 8, v0
	v_sub_nc_u16 v0, v0, v6
	v_lshrrev_b16 v6, 8, v6
	v_sub_nc_u16 v6, v158, v6
	v_bfe_u32 v158, v13, 24, 2
	v_and_b32_e32 v13, 0x3030303, v13
	s_delay_alu instid0(VALU_DEP_3) | instskip(NEXT) | instid1(VALU_DEP_3)
	v_lshlrev_b16 v6, 8, v6
	v_sub_nc_u16 v158, v158, v159
	s_delay_alu instid0(VALU_DEP_3) | instskip(NEXT) | instid1(VALU_DEP_2)
	v_lshrrev_b32_e32 v159, 16, v13
	v_lshlrev_b16 v158, 8, v158
	s_delay_alu instid0(VALU_DEP_2) | instskip(SKIP_3) | instid1(VALU_DEP_1)
	v_sub_nc_u16 v159, v159, v160
	v_lshrrev_b16 v160, 8, v13
	v_sub_nc_u16 v13, v13, v155
	v_lshrrev_b16 v155, 8, v155
	v_sub_nc_u16 v155, v160, v155
	v_and_b32_e32 v160, 0xff, v25
	s_delay_alu instid0(VALU_DEP_2) | instskip(NEXT) | instid1(VALU_DEP_2)
	v_lshlrev_b16 v155, 8, v155
	v_or_b32_e32 v23, v160, v23
	v_and_b32_e32 v160, 0xff, v11
	s_delay_alu instid0(VALU_DEP_2) | instskip(NEXT) | instid1(VALU_DEP_2)
	v_perm_b32 v11, v11, v23, 0x4010c0c
	v_or_b32_e32 v2, v160, v2
	v_and_b32_e32 v160, 0xff, v150
	s_delay_alu instid0(VALU_DEP_2) | instskip(NEXT) | instid1(VALU_DEP_2)
	v_perm_b32 v2, v25, v2, 0xc0c0401
	v_or_b32_e32 v29, v160, v29
	v_and_b32_e32 v160, 0xff, v4
	s_delay_alu instid0(VALU_DEP_3) | instskip(SKIP_1) | instid1(VALU_DEP_3)
	v_or_b32_e32 v2, v11, v2
	v_ashrrev_i32_e32 v11, s24, v16
	v_or_b32_e32 v27, v160, v27
	v_and_b32_e32 v160, 0xff, v154
	v_ashrrev_i32_e32 v16, s24, v20
	v_ashrrev_i32_e32 v20, s25, v24
	v_perm_b32 v4, v4, v29, 0x4010c0c
	v_perm_b32 v23, v150, v27, 0xc0c0401
	v_or_b32_e32 v151, v160, v151
	v_and_b32_e32 v160, 0xff, v0
	v_lshlrev_b32_e32 v20, 2, v20
	v_ashrrev_i32_e32 v24, s25, v30
	v_or_b32_e32 v4, v4, v23
	v_perm_b32 v0, v0, v151, 0x4010c0c
	v_or_b32_e32 v6, v160, v6
	v_and_b32_e32 v160, 0xff, v159
	v_and_b32_e32 v20, 0x4040404, v20
	v_ashrrev_i32_e32 v23, s25, v28
	v_dot4_i32_iu8 v2, v2, v144, v157 neg_lo:[1,1,0]
	v_perm_b32 v6, v154, v6, 0xc0c0401
	v_or_b32_e32 v158, v160, v158
	v_and_b32_e32 v160, 0xff, v13
	v_lshrrev_b32_e32 v27, 16, v20
	v_lshlrev_b32_e32 v23, 2, v23
	v_or_b32_e32 v0, v0, v6
	v_perm_b32 v13, v13, v158, 0x4010c0c
	v_or_b32_e32 v155, v160, v155
	v_dot4_i32_iu8 v4, v4, v144, v161 neg_lo:[1,1,0]
	v_and_b32_e32 v23, 0x4040404, v23
	v_dot4_i32_iu8 v0, v0, v144, v164 neg_lo:[1,1,0]
	v_lshlrev_b32_e32 v24, 2, v24
	v_perm_b32 v25, v159, v155, 0xc0c0401
	s_delay_alu instid0(VALU_DEP_4) | instskip(NEXT) | instid1(VALU_DEP_3)
	v_lshrrev_b32_e32 v30, 24, v23
	v_and_b32_e32 v24, 0x4040404, v24
	s_delay_alu instid0(VALU_DEP_3)
	v_or_b32_e32 v6, v13, v25
	v_ashrrev_i32_e32 v13, s24, v18
	v_ashrrev_i32_e32 v18, s24, v22
	;; [unrolled: 1-line block ×3, first 2 shown]
	v_bfe_u32 v25, v11, 24, 2
	v_lshrrev_b32_e32 v26, 24, v20
	v_and_b32_e32 v11, 0x3030303, v11
	v_dot4_i32_iu8 v6, v6, v144, v153 neg_lo:[1,1,0]
	v_lshlrev_b32_e32 v22, 2, v22
	v_lshrrev_b32_e32 v144, 16, v23
	v_sub_nc_u16 v25, v25, v26
	v_lshrrev_b32_e32 v26, 16, v11
	v_lshrrev_b32_e32 v150, 24, v24
	v_and_b32_e32 v22, 0x4040404, v22
	v_lshrrev_b32_e32 v151, 16, v24
	v_lshlrev_b16 v25, 8, v25
	v_sub_nc_u16 v26, v26, v27
	v_lshrrev_b16 v27, 8, v11
	v_sub_nc_u16 v11, v11, v20
	v_lshrrev_b16 v20, 8, v20
	v_lshrrev_b32_e32 v28, 24, v22
	v_lshrrev_b32_e32 v29, 16, v22
	s_add_i32 s24, s24, 2
	s_delay_alu instid0(VALU_DEP_3) | instskip(SKIP_2) | instid1(VALU_DEP_3)
	v_sub_nc_u16 v20, v27, v20
	v_bfe_u32 v27, v13, 24, 2
	v_and_b32_e32 v13, 0x3030303, v13
	v_lshlrev_b16 v20, 8, v20
	s_delay_alu instid0(VALU_DEP_3) | instskip(NEXT) | instid1(VALU_DEP_3)
	v_sub_nc_u16 v27, v27, v28
	v_lshrrev_b32_e32 v28, 16, v13
	s_delay_alu instid0(VALU_DEP_2) | instskip(NEXT) | instid1(VALU_DEP_2)
	v_lshlrev_b16 v27, 8, v27
	v_sub_nc_u16 v28, v28, v29
	v_lshrrev_b16 v29, 8, v13
	v_sub_nc_u16 v13, v13, v22
	v_lshrrev_b16 v22, 8, v22
	s_delay_alu instid0(VALU_DEP_1) | instskip(SKIP_2) | instid1(VALU_DEP_3)
	v_sub_nc_u16 v22, v29, v22
	v_bfe_u32 v29, v16, 24, 2
	v_and_b32_e32 v16, 0x3030303, v16
	v_lshlrev_b16 v22, 8, v22
	s_delay_alu instid0(VALU_DEP_3) | instskip(NEXT) | instid1(VALU_DEP_3)
	v_sub_nc_u16 v29, v29, v30
	v_lshrrev_b32_e32 v30, 16, v16
	s_delay_alu instid0(VALU_DEP_2) | instskip(NEXT) | instid1(VALU_DEP_2)
	v_lshlrev_b16 v29, 8, v29
	v_sub_nc_u16 v30, v30, v144
	v_lshrrev_b16 v144, 8, v16
	v_sub_nc_u16 v16, v16, v23
	v_lshrrev_b16 v23, 8, v23
	s_delay_alu instid0(VALU_DEP_1) | instskip(SKIP_2) | instid1(VALU_DEP_3)
	v_sub_nc_u16 v23, v144, v23
	v_bfe_u32 v144, v18, 24, 2
	v_and_b32_e32 v18, 0x3030303, v18
	v_lshlrev_b16 v23, 8, v23
	s_delay_alu instid0(VALU_DEP_3) | instskip(NEXT) | instid1(VALU_DEP_3)
	v_sub_nc_u16 v144, v144, v150
	v_lshrrev_b32_e32 v150, 16, v18
	s_delay_alu instid0(VALU_DEP_2) | instskip(NEXT) | instid1(VALU_DEP_2)
	v_lshlrev_b16 v144, 8, v144
	v_sub_nc_u16 v150, v150, v151
	v_lshrrev_b16 v151, 8, v18
	v_sub_nc_u16 v18, v18, v24
	v_lshrrev_b16 v24, 8, v24
	s_delay_alu instid0(VALU_DEP_1) | instskip(SKIP_1) | instid1(VALU_DEP_2)
	v_sub_nc_u16 v24, v151, v24
	v_and_b32_e32 v151, 0xff, v26
	v_lshlrev_b16 v24, 8, v24
	s_delay_alu instid0(VALU_DEP_2) | instskip(SKIP_1) | instid1(VALU_DEP_2)
	v_or_b32_e32 v25, v151, v25
	v_and_b32_e32 v151, 0xff, v11
	v_perm_b32 v11, v11, v25, 0x4010c0c
	s_delay_alu instid0(VALU_DEP_2) | instskip(SKIP_2) | instid1(VALU_DEP_3)
	v_or_b32_e32 v20, v151, v20
	v_and_b32_e32 v151, 0xff, v28
	v_lshrrev_b32_e32 v25, 16, v7
	v_perm_b32 v20, v26, v20, 0xc0c0401
	s_delay_alu instid0(VALU_DEP_3) | instskip(SKIP_1) | instid1(VALU_DEP_3)
	v_or_b32_e32 v27, v151, v27
	v_and_b32_e32 v151, 0xff, v13
	v_or_b32_e32 v11, v11, v20
	s_delay_alu instid0(VALU_DEP_3) | instskip(NEXT) | instid1(VALU_DEP_3)
	v_perm_b32 v13, v13, v27, 0x4010c0c
	v_or_b32_e32 v22, v151, v22
	v_and_b32_e32 v151, 0xff, v30
	v_lshrrev_b32_e32 v20, 24, v3
	v_dot4_i32_iu8 v11, v11, v143, v15 neg_lo:[1,1,0]
	s_delay_alu instid0(VALU_DEP_4) | instskip(NEXT) | instid1(VALU_DEP_4)
	v_perm_b32 v22, v28, v22, 0xc0c0401
	v_or_b32_e32 v29, v151, v29
	v_and_b32_e32 v151, 0xff, v16
	s_delay_alu instid0(VALU_DEP_3) | instskip(NEXT) | instid1(VALU_DEP_3)
	v_or_b32_e32 v13, v13, v22
	v_perm_b32 v16, v16, v29, 0x4010c0c
	s_delay_alu instid0(VALU_DEP_3) | instskip(SKIP_1) | instid1(VALU_DEP_4)
	v_or_b32_e32 v23, v151, v23
	v_and_b32_e32 v151, 0xff, v150
	v_dot4_i32_iu8 v13, v13, v143, v17 neg_lo:[1,1,0]
	v_ashrrev_i32_e32 v17, s25, v152
	s_delay_alu instid0(VALU_DEP_4) | instskip(NEXT) | instid1(VALU_DEP_4)
	v_perm_b32 v23, v30, v23, 0xc0c0401
	v_or_b32_e32 v144, v151, v144
	v_and_b32_e32 v151, 0xff, v18
	s_delay_alu instid0(VALU_DEP_4) | instskip(NEXT) | instid1(VALU_DEP_4)
	v_lshlrev_b32_e32 v17, 2, v17
	v_or_b32_e32 v16, v16, v23
	s_delay_alu instid0(VALU_DEP_4) | instskip(NEXT) | instid1(VALU_DEP_4)
	v_perm_b32 v18, v18, v144, 0x4010c0c
	v_or_b32_e32 v24, v151, v24
	s_delay_alu instid0(VALU_DEP_4) | instskip(NEXT) | instid1(VALU_DEP_4)
	v_and_b32_e32 v17, 0x4040404, v17
	v_dot4_i32_iu8 v15, v16, v143, v19 neg_lo:[1,1,0]
	v_bfe_u32 v19, v12, 24, 2
	s_delay_alu instid0(VALU_DEP_4)
	v_perm_b32 v24, v150, v24, 0xc0c0401
	v_and_b32_e32 v12, 0x3030303, v12
	v_lshrrev_b32_e32 v22, 24, v17
	v_lshrrev_b32_e32 v23, 16, v17
	v_sub_nc_u16 v19, v19, v20
	v_or_b32_e32 v18, v18, v24
	v_lshrrev_b32_e32 v20, 16, v12
	v_lshrrev_b32_e32 v24, 24, v7
	s_delay_alu instid0(VALU_DEP_4) | instskip(NEXT) | instid1(VALU_DEP_4)
	v_lshlrev_b16 v19, 8, v19
	v_dot4_i32_iu8 v16, v18, v143, v21 neg_lo:[1,1,0]
	v_lshrrev_b32_e32 v21, 16, v3
	v_ashrrev_i32_e32 v18, s25, v156
	s_add_i32 s25, s25, 1
	s_cmp_lt_u32 s26, 14
	s_delay_alu instid0(VALU_DEP_2) | instskip(SKIP_4) | instid1(VALU_DEP_2)
	v_sub_nc_u16 v20, v20, v21
	v_lshrrev_b16 v21, 8, v12
	v_sub_nc_u16 v12, v12, v3
	v_lshrrev_b16 v3, 8, v3
	v_lshlrev_b32_e32 v18, 2, v18
	v_sub_nc_u16 v3, v21, v3
	v_bfe_u32 v21, v5, 24, 2
	v_and_b32_e32 v5, 0x3030303, v5
	s_delay_alu instid0(VALU_DEP_4) | instskip(NEXT) | instid1(VALU_DEP_4)
	v_and_b32_e32 v18, 0x4040404, v18
	v_lshlrev_b16 v3, 8, v3
	s_delay_alu instid0(VALU_DEP_4) | instskip(NEXT) | instid1(VALU_DEP_4)
	v_sub_nc_u16 v21, v21, v22
	v_lshrrev_b32_e32 v22, 16, v5
	s_delay_alu instid0(VALU_DEP_4) | instskip(SKIP_1) | instid1(VALU_DEP_4)
	v_lshrrev_b32_e32 v26, 24, v18
	v_lshrrev_b32_e32 v27, 16, v18
	v_lshlrev_b16 v21, 8, v21
	s_delay_alu instid0(VALU_DEP_4) | instskip(SKIP_3) | instid1(VALU_DEP_1)
	v_sub_nc_u16 v22, v22, v23
	v_lshrrev_b16 v23, 8, v5
	v_sub_nc_u16 v5, v5, v17
	v_lshrrev_b16 v17, 8, v17
	v_sub_nc_u16 v17, v23, v17
	v_bfe_u32 v23, v1, 24, 2
	v_and_b32_e32 v1, 0x3030303, v1
	s_delay_alu instid0(VALU_DEP_3) | instskip(NEXT) | instid1(VALU_DEP_3)
	v_lshlrev_b16 v17, 8, v17
	v_sub_nc_u16 v23, v23, v24
	s_delay_alu instid0(VALU_DEP_3) | instskip(NEXT) | instid1(VALU_DEP_2)
	v_lshrrev_b32_e32 v24, 16, v1
	v_lshlrev_b16 v23, 8, v23
	s_delay_alu instid0(VALU_DEP_2) | instskip(SKIP_3) | instid1(VALU_DEP_1)
	v_sub_nc_u16 v24, v24, v25
	v_lshrrev_b16 v25, 8, v1
	v_sub_nc_u16 v1, v1, v7
	v_lshrrev_b16 v7, 8, v7
	v_sub_nc_u16 v7, v25, v7
	v_bfe_u32 v25, v14, 24, 2
	v_and_b32_e32 v14, 0x3030303, v14
	s_delay_alu instid0(VALU_DEP_3) | instskip(NEXT) | instid1(VALU_DEP_3)
	v_lshlrev_b16 v7, 8, v7
	v_sub_nc_u16 v25, v25, v26
	s_delay_alu instid0(VALU_DEP_3) | instskip(NEXT) | instid1(VALU_DEP_2)
	v_lshrrev_b32_e32 v26, 16, v14
	v_lshlrev_b16 v25, 8, v25
	s_delay_alu instid0(VALU_DEP_2) | instskip(SKIP_3) | instid1(VALU_DEP_1)
	v_sub_nc_u16 v26, v26, v27
	v_lshrrev_b16 v27, 8, v14
	v_sub_nc_u16 v14, v14, v18
	v_lshrrev_b16 v18, 8, v18
	v_sub_nc_u16 v18, v27, v18
	v_and_b32_e32 v27, 0xff, v20
	s_delay_alu instid0(VALU_DEP_2) | instskip(NEXT) | instid1(VALU_DEP_2)
	v_lshlrev_b16 v18, 8, v18
	v_or_b32_e32 v19, v27, v19
	v_and_b32_e32 v27, 0xff, v12
	s_delay_alu instid0(VALU_DEP_2) | instskip(NEXT) | instid1(VALU_DEP_2)
	v_perm_b32 v12, v12, v19, 0x4010c0c
	v_or_b32_e32 v3, v27, v3
	v_and_b32_e32 v27, 0xff, v22
	s_delay_alu instid0(VALU_DEP_2) | instskip(NEXT) | instid1(VALU_DEP_2)
	v_perm_b32 v3, v20, v3, 0xc0c0401
	v_or_b32_e32 v21, v27, v21
	v_and_b32_e32 v27, 0xff, v5
	s_delay_alu instid0(VALU_DEP_3) | instskip(SKIP_1) | instid1(VALU_DEP_3)
	v_or_b32_e32 v3, v12, v3
	v_add3_u32 v12, v119, s27, v149
	v_or_b32_e32 v17, v27, v17
	v_and_b32_e32 v27, 0xff, v24
	v_perm_b32 v5, v5, v21, 0x4010c0c
	v_dot4_i32_iu8 v3, v3, v141, v2 neg_lo:[1,1,0]
	v_add3_u32 v2, v121, s27, v149
	ds_load_u16 v2, v2
	ds_load_u16 v12, v12
	v_or_b32_e32 v23, v27, v23
	v_and_b32_e32 v27, 0xff, v1
	v_perm_b32 v17, v22, v17, 0xc0c0401
	s_delay_alu instid0(VALU_DEP_3) | instskip(NEXT) | instid1(VALU_DEP_3)
	v_perm_b32 v1, v1, v23, 0x4010c0c
	v_or_b32_e32 v7, v27, v7
	v_and_b32_e32 v27, 0xff, v26
	s_delay_alu instid0(VALU_DEP_4)
	v_or_b32_e32 v5, v5, v17
	ds_load_b32 v17, v139
	v_add_nc_u32_e32 v139, 4, v139
	v_perm_b32 v7, v24, v7, 0xc0c0401
	v_or_b32_e32 v25, v27, v25
	v_and_b32_e32 v27, 0xff, v14
	s_delay_alu instid0(VALU_DEP_3) | instskip(NEXT) | instid1(VALU_DEP_3)
	v_or_b32_e32 v1, v1, v7
	v_perm_b32 v14, v14, v25, 0x4010c0c
	s_delay_alu instid0(VALU_DEP_3) | instskip(NEXT) | instid1(VALU_DEP_1)
	v_or_b32_e32 v18, v27, v18
	v_perm_b32 v18, v26, v18, 0xc0c0401
	s_delay_alu instid0(VALU_DEP_1)
	v_or_b32_e32 v7, v14, v18
	v_dot4_i32_iu8 v18, v1, v141, v0 neg_lo:[1,1,0]
	s_waitcnt lgkmcnt(2)
	v_lshrrev_b16 v0, 8, v2
	v_bfe_i32 v2, v2, 0, 8
	v_dot4_i32_iu8 v14, v5, v141, v4 neg_lo:[1,1,0]
	s_waitcnt lgkmcnt(1)
	v_lshrrev_b16 v1, 8, v12
	v_dot4_i32_iu8 v19, v7, v141, v6 neg_lo:[1,1,0]
	v_bfe_i32 v5, v0, 0, 8
	v_mul_lo_u32 v0, v11, v2
	v_bfe_i32 v6, v146, 0, 8
	v_bfe_i32 v7, v1, 0, 8
	;; [unrolled: 1-line block ×3, first 2 shown]
	v_lshrrev_b16 v11, 8, v148
	v_mad_u64_u32 v[1:2], null, v3, v5, v[0:1]
	v_lshrrev_b16 v5, 8, v146
	v_mul_lo_u32 v0, v13, v6
	v_bfe_i32 v3, v148, 0, 8
	v_mul_lo_u32 v2, v15, v4
	v_bfe_i32 v11, v11, 0, 8
	v_bfe_i32 v6, v5, 0, 8
	s_delay_alu instid0(VALU_DEP_4) | instskip(NEXT) | instid1(VALU_DEP_2)
	v_mul_lo_u32 v3, v16, v3
	v_mad_u64_u32 v[4:5], null, v14, v6, v[0:1]
	s_waitcnt lgkmcnt(0)
	v_mul_f32_e32 v0, v17, v140
	v_cvt_f32_i32_e32 v1, v1
	s_delay_alu instid0(VALU_DEP_4)
	v_mad_u64_u32 v[5:6], null, v18, v7, v[2:3]
	v_mul_f32_e32 v2, v17, v142
	v_mad_u64_u32 v[6:7], null, v19, v11, v[3:4]
	v_mul_f32_e32 v3, v17, v145
	v_mul_f32_e32 v7, v17, v147
	v_cvt_f32_i32_e32 v4, v4
	v_cvt_f32_i32_e32 v5, v5
	v_fmac_f32_e32 v33, v0, v1
	v_cvt_f32_i32_e32 v6, v6
	s_delay_alu instid0(VALU_DEP_4) | instskip(NEXT) | instid1(VALU_DEP_4)
	v_fmac_f32_e32 v96, v3, v4
	v_fmac_f32_e32 v90, v2, v5
	s_delay_alu instid0(VALU_DEP_3)
	v_fmac_f32_e32 v8, v7, v6
	s_cbranch_scc1 .LBB229_20
; %bb.21:                               ;   in Loop: Header=BB229_5 Depth=1
	s_or_b32 s1, s18, 0x100
	s_delay_alu instid0(SALU_CYCLE_1)
	s_cmp_ge_i32 s1, s11
	s_barrier
	buffer_gl0_inv
	s_cbranch_scc1 .LBB229_4
; %bb.22:                               ;   in Loop: Header=BB229_5 Depth=1
	v_add_nc_u32_e32 v0, s19, v109
	s_delay_alu instid0(VALU_DEP_1) | instskip(NEXT) | instid1(VALU_DEP_1)
	v_cmp_gt_i32_e64 s1, s5, v0
	s_and_b32 s24, s0, s1
	s_delay_alu instid0(SALU_CYCLE_1)
	s_and_saveexec_b32 s1, s24
	s_cbranch_execz .LBB229_24
; %bb.23:                               ;   in Loop: Header=BB229_5 Depth=1
	v_add_nc_u32_e32 v2, v104, v0
	s_delay_alu instid0(VALU_DEP_1)
	v_mad_i64_i32 v[0:1], null, v2, 36, v[9:10]
	global_load_b32 v0, v[0:1], off offset:4
	s_waitcnt vmcnt(0)
	ds_store_b32 v91, v0
.LBB229_24:                             ;   in Loop: Header=BB229_5 Depth=1
	s_or_b32 exec_lo, exec_lo, s1
	s_and_saveexec_b32 s24, vcc_lo
	s_cbranch_execz .LBB229_27
; %bb.25:                               ;   in Loop: Header=BB229_5 Depth=1
	v_or_b32_e32 v0, s19, v32
	s_delay_alu instid0(VALU_DEP_1) | instskip(NEXT) | instid1(VALU_DEP_1)
	v_or_b32_e32 v1, 8, v0
	v_cmp_gt_i32_e64 s1, s5, v1
	s_delay_alu instid0(VALU_DEP_1) | instskip(NEXT) | instid1(SALU_CYCLE_1)
	s_and_b32 s1, s0, s1
	s_and_b32 exec_lo, exec_lo, s1
	s_cbranch_execz .LBB229_27
; %bb.26:                               ;   in Loop: Header=BB229_5 Depth=1
	v_ashrrev_i32_e32 v1, 31, v0
	v_add_co_u32 v2, s1, v104, v0
	s_delay_alu instid0(VALU_DEP_1) | instskip(NEXT) | instid1(VALU_DEP_2)
	v_add_co_ci_u32_e64 v3, s1, v111, v1, s1
	v_mad_u64_u32 v[0:1], null, v2, 36, s[14:15]
	s_delay_alu instid0(VALU_DEP_1)
	v_mad_i32_i24 v1, v3, 36, v1
	global_load_b32 v0, v[0:1], off
	s_waitcnt vmcnt(0)
	v_cvt_f32_f16_e32 v0, v0
	ds_store_b32 v92, v0
.LBB229_27:                             ;   in Loop: Header=BB229_5 Depth=1
	s_or_b32 exec_lo, exec_lo, s24
	v_dual_mov_b32 v138, v116 :: v_dual_mov_b32 v139, v117
	s_mov_b32 s1, 16
	s_mov_b32 s27, 14
	s_mov_b32 s24, 0
	s_waitcnt lgkmcnt(0)
	s_barrier
	buffer_gl0_inv
.LBB229_28:                             ;   Parent Loop BB229_5 Depth=1
                                        ; =>  This Inner Loop Header: Depth=2
	s_add_i32 s25, s27, 2
	ds_load_b128 v[4:7], v138
	ds_load_b128 v[0:3], v138 offset:16
	s_and_b32 s29, s25, 0x3ffffff8
	s_lshr_b32 s28, s25, 4
	s_lshl_b32 s29, s29, 2
	s_lshl_b32 s30, s28, 2
	v_add_nc_u32_e32 v147, s29, v95
	v_add_nc_u32_e32 v148, s29, v99
	;; [unrolled: 1-line block ×4, first 2 shown]
	s_add_i32 s26, s27, -14
	ds_load_2addr_b32 v[13:14], v147 offset1:1
	ds_load_2addr_b32 v[19:20], v148 offset1:1
	ds_load_2addr_b32 v[11:12], v147 offset0:6 offset1:7
	ds_load_2addr_b32 v[15:16], v147 offset0:2 offset1:3
	;; [unrolled: 1-line block ×3, first 2 shown]
	ds_load_b32 v141, v21
	v_add_nc_u32_e32 v161, s29, v106
	s_lshl_b32 s28, s28, 3
	v_add_nc_u32_e32 v138, 32, v138
	v_add_lshl_u32 v164, v94, s28, 2
	v_add_lshl_u32 v167, v98, s28, 2
	;; [unrolled: 1-line block ×3, first 2 shown]
	s_waitcnt lgkmcnt(7)
	v_perm_b32 v149, v6, v6, 0x30201
	s_waitcnt lgkmcnt(6)
	v_perm_b32 v156, v0, v0, 0x30201
	v_perm_b32 v157, v1, v1, 0x30201
	;; [unrolled: 1-line block ×4, first 2 shown]
	v_add_nc_u32_e32 v6, 0x4208, v164
	v_perm_b32 v150, v4, v4, 0x30201
	v_perm_b32 v151, v5, v5, 0x30201
	;; [unrolled: 1-line block ×3, first 2 shown]
	s_waitcnt lgkmcnt(5)
	v_ashrrev_i32_e32 v152, s26, v13
	s_waitcnt lgkmcnt(4)
	v_ashrrev_i32_e32 v154, s26, v19
	v_ashrrev_i32_e32 v155, s26, v20
	ds_load_2addr_b32 v[2:3], v158 offset1:1
	ds_load_2addr_b32 v[0:1], v158 offset0:6 offset1:7
	ds_load_2addr_b32 v[19:20], v158 offset0:2 offset1:3
	v_ashrrev_i32_e32 v153, s26, v14
	v_bfe_u32 v174, v152, 24, 2
	v_and_b32_e32 v152, 0x3030303, v152
	v_add_nc_u32_e32 v27, 0x4208, v170
	v_add_lshl_u32 v173, v105, s28, 2
	s_and_b32 s28, s1, -16
	s_waitcnt lgkmcnt(5)
	v_ashrrev_i32_e32 v15, s26, v15
	s_add_i32 s27, s27, s28
	s_waitcnt lgkmcnt(4)
	v_ashrrev_i32_e32 v17, s26, v17
	v_ashrrev_i32_e32 v11, s26, v11
	;; [unrolled: 1-line block ×3, first 2 shown]
	s_add_i32 s1, s1, 2
	s_waitcnt lgkmcnt(2)
	v_ashrrev_i32_e32 v159, s26, v2
	v_add_nc_u32_e32 v2, s30, v103
	v_ashrrev_i32_e32 v160, s26, v3
	ds_load_2addr_b32 v[21:22], v161 offset0:2 offset1:3
	ds_load_b32 v142, v2
	ds_load_2addr_b32 v[2:3], v161 offset1:1
	s_waitcnt lgkmcnt(3)
	v_ashrrev_i32_e32 v19, s26, v19
	v_ashrrev_i32_e32 v0, s26, v0
	;; [unrolled: 1-line block ×3, first 2 shown]
	s_waitcnt lgkmcnt(2)
	v_ashrrev_i32_e32 v21, s26, v21
	s_waitcnt lgkmcnt(0)
	v_ashrrev_i32_e32 v162, s26, v2
	v_add_nc_u32_e32 v2, 0x4200, v164
	v_ashrrev_i32_e32 v163, s26, v3
	v_add_nc_u32_e32 v3, 0x4218, v164
	ds_load_2addr_b32 v[4:5], v2 offset1:1
	ds_load_2addr_b32 v[2:3], v3 offset1:1
	;; [unrolled: 1-line block ×3, first 2 shown]
	s_waitcnt lgkmcnt(2)
	v_ashrrev_i32_e32 v165, s24, v4
	v_add_nc_u32_e32 v4, 0x4200, v167
	v_ashrrev_i32_e32 v166, s24, v5
	v_add_nc_u32_e32 v5, 0x4208, v167
	ds_load_2addr_b32 v[6:7], v4 offset1:1
	ds_load_2addr_b32 v[25:26], v5 offset1:1
	ds_load_2addr_b32 v[4:5], v148 offset0:6 offset1:7
	v_lshlrev_b32_e32 v165, 2, v165
	v_lshlrev_b32_e32 v166, 2, v166
	s_waitcnt lgkmcnt(3)
	v_ashrrev_i32_e32 v23, s24, v23
	v_ashrrev_i32_e32 v2, s24, v2
	;; [unrolled: 1-line block ×3, first 2 shown]
	v_and_b32_e32 v165, 0x4040404, v165
	v_and_b32_e32 v166, 0x4040404, v166
	v_lshlrev_b32_e32 v23, 2, v23
	v_lshlrev_b32_e32 v2, 2, v2
	;; [unrolled: 1-line block ×3, first 2 shown]
	v_lshrrev_b32_e32 v175, 24, v165
	v_lshrrev_b32_e32 v176, 16, v165
	;; [unrolled: 1-line block ×4, first 2 shown]
	v_and_b32_e32 v23, 0x4040404, v23
	v_sub_nc_u16 v174, v174, v175
	v_lshrrev_b32_e32 v175, 16, v152
	s_waitcnt lgkmcnt(2)
	v_ashrrev_i32_e32 v168, s24, v6
	v_add_nc_u32_e32 v6, 0x4200, v170
	v_ashrrev_i32_e32 v169, s24, v7
	v_add_nc_u32_e32 v7, 0x4218, v170
	v_sub_nc_u16 v175, v175, v176
	v_lshrrev_b16 v176, 8, v152
	v_sub_nc_u16 v152, v152, v165
	v_lshrrev_b16 v165, 8, v165
	v_lshlrev_b32_e32 v168, 2, v168
	ds_load_2addr_b32 v[13:14], v6 offset1:1
	ds_load_2addr_b32 v[6:7], v7 offset1:1
	;; [unrolled: 1-line block ×3, first 2 shown]
	v_lshlrev_b32_e32 v169, 2, v169
	v_lshlrev_b16 v174, 8, v174
	v_sub_nc_u16 v165, v176, v165
	v_bfe_u32 v176, v153, 24, 2
	v_and_b32_e32 v153, 0x3030303, v153
	v_and_b32_e32 v168, 0x4040404, v168
	;; [unrolled: 1-line block ×3, first 2 shown]
	v_lshlrev_b16 v165, 8, v165
	v_sub_nc_u16 v176, v176, v177
	v_lshrrev_b32_e32 v177, 16, v153
	v_lshrrev_b32_e32 v179, 24, v168
	;; [unrolled: 1-line block ×5, first 2 shown]
	v_sub_nc_u16 v177, v177, v178
	v_lshrrev_b16 v178, 8, v153
	v_sub_nc_u16 v153, v153, v166
	v_lshrrev_b16 v166, 8, v166
	s_waitcnt lgkmcnt(2)
	v_ashrrev_i32_e32 v171, s24, v13
	v_add_nc_u32_e32 v13, 0x4200, v173
	v_ashrrev_i32_e32 v172, s24, v14
	v_add_nc_u32_e32 v14, 0x4208, v173
	v_sub_nc_u16 v166, v178, v166
	v_bfe_u32 v178, v154, 24, 2
	v_and_b32_e32 v154, 0x3030303, v154
	v_lshlrev_b32_e32 v171, 2, v171
	ds_load_2addr_b32 v[145:146], v13 offset1:1
	ds_load_2addr_b32 v[29:30], v14 offset1:1
	ds_load_2addr_b32 v[13:14], v161 offset0:6 offset1:7
	v_lshlrev_b32_e32 v172, 2, v172
	v_sub_nc_u16 v178, v178, v179
	v_lshrrev_b32_e32 v179, 16, v154
	v_and_b32_e32 v171, 0x4040404, v171
	v_lshlrev_b16 v176, 8, v176
	v_and_b32_e32 v172, 0x4040404, v172
	v_lshlrev_b16 v166, 8, v166
	v_sub_nc_u16 v179, v179, v180
	v_lshrrev_b16 v180, 8, v154
	v_sub_nc_u16 v154, v154, v168
	v_lshrrev_b16 v168, 8, v168
	v_lshrrev_b32_e32 v183, 24, v171
	v_lshrrev_b32_e32 v184, 16, v171
	;; [unrolled: 1-line block ×4, first 2 shown]
	v_sub_nc_u16 v168, v180, v168
	v_bfe_u32 v180, v155, 24, 2
	v_and_b32_e32 v155, 0x3030303, v155
	s_waitcnt lgkmcnt(2)
	v_ashrrev_i32_e32 v145, s24, v145
	v_ashrrev_i32_e32 v146, s24, v146
	v_lshlrev_b16 v178, 8, v178
	v_sub_nc_u16 v180, v180, v181
	v_lshrrev_b32_e32 v181, 16, v155
	v_lshlrev_b32_e32 v145, 2, v145
	v_lshlrev_b32_e32 v146, 2, v146
	v_lshlrev_b16 v168, 8, v168
	v_lshlrev_b16 v180, 8, v180
	v_sub_nc_u16 v181, v181, v182
	v_lshrrev_b16 v182, 8, v155
	v_sub_nc_u16 v155, v155, v169
	v_lshrrev_b16 v169, 8, v169
	v_and_b32_e32 v145, 0x4040404, v145
	v_and_b32_e32 v146, 0x4040404, v146
	v_ashrrev_i32_e32 v25, s24, v25
	v_ashrrev_i32_e32 v27, s24, v27
	v_sub_nc_u16 v169, v182, v169
	v_bfe_u32 v182, v159, 24, 2
	v_and_b32_e32 v159, 0x3030303, v159
	v_lshrrev_b32_e32 v187, 24, v145
	v_lshrrev_b32_e32 v188, 16, v145
	;; [unrolled: 1-line block ×3, first 2 shown]
	v_sub_nc_u16 v182, v182, v183
	v_lshrrev_b32_e32 v183, 16, v159
	v_lshrrev_b32_e32 v190, 16, v146
	v_lshlrev_b16 v169, 8, v169
	v_lshlrev_b32_e32 v25, 2, v25
	v_lshlrev_b16 v182, 8, v182
	v_sub_nc_u16 v183, v183, v184
	v_lshrrev_b16 v184, 8, v159
	v_sub_nc_u16 v159, v159, v171
	v_lshrrev_b16 v171, 8, v171
	v_and_b32_e32 v25, 0x4040404, v25
	v_lshlrev_b32_e32 v27, 2, v27
	s_waitcnt lgkmcnt(1)
	v_ashrrev_i32_e32 v29, s24, v29
	v_and_b32_e32 v2, 0x4040404, v2
	v_sub_nc_u16 v171, v184, v171
	v_bfe_u32 v184, v160, 24, 2
	v_and_b32_e32 v160, 0x3030303, v160
	v_and_b32_e32 v27, 0x4040404, v27
	v_lshlrev_b32_e32 v29, 2, v29
	v_lshlrev_b16 v171, 8, v171
	v_sub_nc_u16 v184, v184, v185
	v_lshrrev_b32_e32 v185, 16, v160
	v_ashrrev_i32_e32 v4, s26, v4
	v_and_b32_e32 v29, 0x4040404, v29
	v_ashrrev_i32_e32 v6, s24, v6
	v_lshlrev_b16 v184, 8, v184
	v_sub_nc_u16 v185, v185, v186
	v_lshrrev_b16 v186, 8, v160
	v_sub_nc_u16 v160, v160, v172
	v_lshrrev_b16 v172, 8, v172
	v_lshlrev_b32_e32 v6, 2, v6
	s_waitcnt lgkmcnt(0)
	v_ashrrev_i32_e32 v13, s26, v13
	v_and_b32_e32 v3, 0x4040404, v3
	v_ashrrev_i32_e32 v5, s26, v5
	v_sub_nc_u16 v172, v186, v172
	v_bfe_u32 v186, v162, 24, 2
	v_and_b32_e32 v162, 0x3030303, v162
	v_and_b32_e32 v6, 0x4040404, v6
	v_ashrrev_i32_e32 v7, s24, v7
	v_lshlrev_b16 v172, 8, v172
	v_sub_nc_u16 v186, v186, v187
	v_lshrrev_b32_e32 v187, 16, v162
	v_ashrrev_i32_e32 v14, s26, v14
	v_lshlrev_b32_e32 v7, 2, v7
	s_delay_alu instid0(VALU_DEP_4) | instskip(NEXT) | instid1(VALU_DEP_4)
	v_lshlrev_b16 v186, 8, v186
	v_sub_nc_u16 v187, v187, v188
	v_lshrrev_b16 v188, 8, v162
	v_sub_nc_u16 v162, v162, v145
	v_lshrrev_b16 v145, 8, v145
	v_and_b32_e32 v7, 0x4040404, v7
	s_delay_alu instid0(VALU_DEP_2) | instskip(SKIP_2) | instid1(VALU_DEP_3)
	v_sub_nc_u16 v145, v188, v145
	v_bfe_u32 v188, v163, 24, 2
	v_and_b32_e32 v163, 0x3030303, v163
	v_lshlrev_b16 v145, 8, v145
	s_delay_alu instid0(VALU_DEP_3) | instskip(NEXT) | instid1(VALU_DEP_3)
	v_sub_nc_u16 v188, v188, v189
	v_lshrrev_b32_e32 v189, 16, v163
	s_delay_alu instid0(VALU_DEP_2) | instskip(NEXT) | instid1(VALU_DEP_2)
	v_lshlrev_b16 v188, 8, v188
	v_sub_nc_u16 v189, v189, v190
	v_lshrrev_b16 v190, 8, v163
	v_sub_nc_u16 v163, v163, v146
	v_lshrrev_b16 v146, 8, v146
	s_delay_alu instid0(VALU_DEP_1) | instskip(SKIP_1) | instid1(VALU_DEP_2)
	v_sub_nc_u16 v146, v190, v146
	v_and_b32_e32 v190, 0xff, v175
	v_lshlrev_b16 v146, 8, v146
	s_delay_alu instid0(VALU_DEP_2) | instskip(SKIP_1) | instid1(VALU_DEP_2)
	v_or_b32_e32 v174, v190, v174
	v_and_b32_e32 v190, 0xff, v152
	v_perm_b32 v152, v152, v174, 0x4010c0c
	s_delay_alu instid0(VALU_DEP_2) | instskip(SKIP_1) | instid1(VALU_DEP_2)
	v_or_b32_e32 v165, v190, v165
	v_and_b32_e32 v190, 0xff, v177
	v_perm_b32 v165, v175, v165, 0xc0c0401
	s_delay_alu instid0(VALU_DEP_2) | instskip(SKIP_1) | instid1(VALU_DEP_3)
	v_or_b32_e32 v176, v190, v176
	v_and_b32_e32 v190, 0xff, v153
	v_or_b32_e32 v152, v152, v165
	s_delay_alu instid0(VALU_DEP_3) | instskip(NEXT) | instid1(VALU_DEP_3)
	v_perm_b32 v153, v153, v176, 0x4010c0c
	v_or_b32_e32 v166, v190, v166
	v_and_b32_e32 v190, 0xff, v179
	s_delay_alu instid0(VALU_DEP_4) | instskip(NEXT) | instid1(VALU_DEP_3)
	v_dot4_i32_iu8 v152, v152, v150, 0 neg_lo:[1,1,0]
	v_perm_b32 v166, v177, v166, 0xc0c0401
	s_delay_alu instid0(VALU_DEP_3) | instskip(SKIP_1) | instid1(VALU_DEP_3)
	v_or_b32_e32 v178, v190, v178
	v_and_b32_e32 v190, 0xff, v154
	v_or_b32_e32 v153, v153, v166
	s_delay_alu instid0(VALU_DEP_3) | instskip(NEXT) | instid1(VALU_DEP_3)
	v_perm_b32 v154, v154, v178, 0x4010c0c
	v_or_b32_e32 v168, v190, v168
	v_and_b32_e32 v190, 0xff, v181
	s_delay_alu instid0(VALU_DEP_2) | instskip(NEXT) | instid1(VALU_DEP_2)
	v_perm_b32 v168, v179, v168, 0xc0c0401
	v_or_b32_e32 v180, v190, v180
	v_and_b32_e32 v190, 0xff, v155
	s_delay_alu instid0(VALU_DEP_3) | instskip(NEXT) | instid1(VALU_DEP_3)
	v_or_b32_e32 v154, v154, v168
	v_perm_b32 v155, v155, v180, 0x4010c0c
	s_delay_alu instid0(VALU_DEP_3) | instskip(SKIP_1) | instid1(VALU_DEP_4)
	v_or_b32_e32 v169, v190, v169
	v_and_b32_e32 v190, 0xff, v183
	v_dot4_i32_iu8 v154, v154, v150, 0 neg_lo:[1,1,0]
	s_delay_alu instid0(VALU_DEP_3) | instskip(NEXT) | instid1(VALU_DEP_3)
	v_perm_b32 v169, v181, v169, 0xc0c0401
	v_or_b32_e32 v182, v190, v182
	v_and_b32_e32 v190, 0xff, v159
	s_delay_alu instid0(VALU_DEP_3) | instskip(NEXT) | instid1(VALU_DEP_3)
	v_or_b32_e32 v155, v155, v169
	v_perm_b32 v159, v159, v182, 0x4010c0c
	s_delay_alu instid0(VALU_DEP_3) | instskip(SKIP_1) | instid1(VALU_DEP_2)
	v_or_b32_e32 v171, v190, v171
	v_and_b32_e32 v190, 0xff, v185
	v_perm_b32 v171, v183, v171, 0xc0c0401
	s_delay_alu instid0(VALU_DEP_2) | instskip(SKIP_1) | instid1(VALU_DEP_3)
	v_or_b32_e32 v184, v190, v184
	v_and_b32_e32 v190, 0xff, v160
	v_or_b32_e32 v159, v159, v171
	s_delay_alu instid0(VALU_DEP_3) | instskip(NEXT) | instid1(VALU_DEP_3)
	v_perm_b32 v160, v160, v184, 0x4010c0c
	v_or_b32_e32 v172, v190, v172
	v_and_b32_e32 v190, 0xff, v187
	s_delay_alu instid0(VALU_DEP_4) | instskip(NEXT) | instid1(VALU_DEP_3)
	v_dot4_i32_iu8 v159, v159, v150, 0 neg_lo:[1,1,0]
	v_perm_b32 v172, v185, v172, 0xc0c0401
	s_delay_alu instid0(VALU_DEP_3) | instskip(SKIP_1) | instid1(VALU_DEP_3)
	v_or_b32_e32 v186, v190, v186
	v_and_b32_e32 v190, 0xff, v162
	v_or_b32_e32 v160, v160, v172
	s_delay_alu instid0(VALU_DEP_3) | instskip(NEXT) | instid1(VALU_DEP_3)
	v_perm_b32 v162, v162, v186, 0x4010c0c
	v_or_b32_e32 v145, v190, v145
	v_and_b32_e32 v190, 0xff, v189
	s_delay_alu instid0(VALU_DEP_4) | instskip(NEXT) | instid1(VALU_DEP_3)
	v_dot4_i32_iu8 v159, v160, v151, v159 neg_lo:[1,1,0]
	v_perm_b32 v145, v187, v145, 0xc0c0401
	s_delay_alu instid0(VALU_DEP_3) | instskip(SKIP_1) | instid1(VALU_DEP_3)
	v_or_b32_e32 v188, v190, v188
	v_and_b32_e32 v190, 0xff, v163
	v_or_b32_e32 v145, v162, v145
	s_delay_alu instid0(VALU_DEP_3) | instskip(NEXT) | instid1(VALU_DEP_3)
	v_perm_b32 v163, v163, v188, 0x4010c0c
	v_or_b32_e32 v146, v190, v146
	v_dot4_i32_iu8 v162, v153, v151, v152 neg_lo:[1,1,0]
	v_add_nc_u32_e32 v152, 0x4210, v173
	v_dot4_i32_iu8 v145, v145, v150, 0 neg_lo:[1,1,0]
	v_add_nc_u32_e32 v150, 0x4218, v167
	v_perm_b32 v146, v189, v146, 0xc0c0401
	s_delay_alu instid0(VALU_DEP_1) | instskip(SKIP_2) | instid1(VALU_DEP_3)
	v_or_b32_e32 v146, v163, v146
	v_dot4_i32_iu8 v163, v155, v151, v154 neg_lo:[1,1,0]
	v_add_nc_u32_e32 v154, 0x4218, v173
	v_dot4_i32_iu8 v160, v146, v151, v145 neg_lo:[1,1,0]
	ds_load_2addr_b32 v[145:146], v147 offset0:4 offset1:5
	v_add_nc_u32_e32 v147, 0x4210, v167
	s_waitcnt lgkmcnt(0)
	v_ashrrev_i32_e32 v165, s26, v145
	v_ashrrev_i32_e32 v166, s26, v146
	ds_load_2addr_b32 v[145:146], v148 offset0:4 offset1:5
	v_bfe_u32 v173, v165, 24, 2
	v_and_b32_e32 v165, 0x3030303, v165
	s_waitcnt lgkmcnt(0)
	v_ashrrev_i32_e32 v168, s26, v145
	v_ashrrev_i32_e32 v169, s26, v146
	ds_load_2addr_b32 v[145:146], v158 offset0:4 offset1:5
	s_waitcnt lgkmcnt(0)
	v_ashrrev_i32_e32 v158, s26, v145
	v_ashrrev_i32_e32 v171, s26, v146
	ds_load_2addr_b32 v[145:146], v161 offset0:4 offset1:5
	s_waitcnt lgkmcnt(0)
	v_ashrrev_i32_e32 v161, s26, v145
	v_add_nc_u32_e32 v145, 0x4210, v164
	v_ashrrev_i32_e32 v172, s26, v146
	ds_load_2addr_b32 v[145:146], v145 offset1:1
	s_waitcnt lgkmcnt(0)
	v_ashrrev_i32_e32 v164, s24, v145
	v_add_nc_u32_e32 v145, s27, v124
	v_ashrrev_i32_e32 v174, s24, v146
	s_delay_alu instid0(VALU_DEP_3)
	v_lshlrev_b32_e32 v164, 2, v164
	ds_load_u16 v146, v145 offset:26354
	v_add_nc_u32_e32 v145, s30, v100
	ds_load_b32 v145, v145
	ds_load_2addr_b32 v[147:148], v147 offset1:1
	ds_load_2addr_b32 v[150:151], v150 offset1:1
	v_and_b32_e32 v164, 0x4040404, v164
	v_lshlrev_b32_e32 v174, 2, v174
	s_delay_alu instid0(VALU_DEP_2) | instskip(SKIP_1) | instid1(VALU_DEP_3)
	v_lshrrev_b32_e32 v177, 24, v164
	v_lshrrev_b32_e32 v178, 16, v164
	v_and_b32_e32 v174, 0x4040404, v174
	s_delay_alu instid0(VALU_DEP_3) | instskip(SKIP_1) | instid1(VALU_DEP_3)
	v_sub_nc_u16 v173, v173, v177
	v_lshrrev_b32_e32 v177, 16, v165
	v_lshrrev_b32_e32 v179, 24, v174
	;; [unrolled: 1-line block ×3, first 2 shown]
	s_delay_alu instid0(VALU_DEP_4) | instskip(NEXT) | instid1(VALU_DEP_4)
	v_lshlrev_b16 v173, 8, v173
	v_sub_nc_u16 v177, v177, v178
	v_lshrrev_b16 v178, 8, v165
	v_sub_nc_u16 v165, v165, v164
	v_lshrrev_b16 v164, 8, v164
	s_waitcnt lgkmcnt(1)
	v_ashrrev_i32_e32 v167, s24, v147
	v_add_nc_u32_e32 v147, 0x4210, v170
	v_ashrrev_i32_e32 v175, s24, v148
	v_sub_nc_u16 v164, v178, v164
	v_bfe_u32 v178, v166, 24, 2
	v_and_b32_e32 v166, 0x3030303, v166
	v_lshlrev_b32_e32 v167, 2, v167
	ds_load_2addr_b32 v[147:148], v147 offset1:1
	v_lshlrev_b32_e32 v175, 2, v175
	v_sub_nc_u16 v178, v178, v179
	v_lshrrev_b32_e32 v179, 16, v166
	v_and_b32_e32 v167, 0x4040404, v167
	v_lshlrev_b16 v164, 8, v164
	v_and_b32_e32 v175, 0x4040404, v175
	v_lshlrev_b16 v178, 8, v178
	v_sub_nc_u16 v179, v179, v180
	v_lshrrev_b16 v180, 8, v166
	v_sub_nc_u16 v166, v166, v174
	v_lshrrev_b16 v174, 8, v174
	v_lshrrev_b32_e32 v181, 24, v167
	v_lshrrev_b32_e32 v182, 16, v167
	;; [unrolled: 1-line block ×4, first 2 shown]
	v_sub_nc_u16 v174, v180, v174
	v_bfe_u32 v180, v168, 24, 2
	v_and_b32_e32 v168, 0x3030303, v168
	s_waitcnt lgkmcnt(0)
	v_ashrrev_i32_e32 v170, s24, v147
	v_add_nc_u32_e32 v147, s27, v122
	v_sub_nc_u16 v180, v180, v181
	v_lshrrev_b32_e32 v181, 16, v168
	v_ashrrev_i32_e32 v176, s24, v148
	v_lshlrev_b32_e32 v170, 2, v170
	ds_load_u16 v148, v147 offset:28402
	v_add_nc_u32_e32 v147, s30, v107
	v_sub_nc_u16 v181, v181, v182
	v_lshrrev_b16 v182, 8, v168
	v_sub_nc_u16 v168, v168, v167
	v_lshrrev_b16 v167, 8, v167
	v_and_b32_e32 v170, 0x4040404, v170
	ds_load_b32 v147, v147
	ds_load_2addr_b32 v[152:153], v152 offset1:1
	ds_load_2addr_b32 v[154:155], v154 offset1:1
	v_lshlrev_b32_e32 v176, 2, v176
	v_lshlrev_b16 v174, 8, v174
	v_sub_nc_u16 v167, v182, v167
	v_bfe_u32 v182, v169, 24, 2
	v_and_b32_e32 v169, 0x3030303, v169
	v_lshrrev_b32_e32 v185, 24, v170
	v_lshrrev_b32_e32 v186, 16, v170
	v_and_b32_e32 v176, 0x4040404, v176
	v_sub_nc_u16 v182, v182, v183
	v_lshrrev_b32_e32 v183, 16, v169
	v_lshlrev_b16 v180, 8, v180
	v_lshlrev_b16 v167, 8, v167
	v_lshrrev_b32_e32 v187, 24, v176
	v_lshrrev_b32_e32 v188, 16, v176
	v_sub_nc_u16 v183, v183, v184
	v_lshrrev_b16 v184, 8, v169
	v_sub_nc_u16 v169, v169, v175
	v_lshrrev_b16 v175, 8, v175
	s_waitcnt lgkmcnt(1)
	v_ashrrev_i32_e32 v152, s24, v152
	v_ashrrev_i32_e32 v153, s24, v153
	v_lshlrev_b16 v182, 8, v182
	s_waitcnt lgkmcnt(0)
	v_ashrrev_i32_e32 v154, s24, v154
	v_sub_nc_u16 v175, v184, v175
	v_bfe_u32 v184, v158, 24, 2
	v_and_b32_e32 v158, 0x3030303, v158
	v_lshlrev_b32_e32 v152, 2, v152
	v_lshlrev_b32_e32 v153, 2, v153
	v_lshlrev_b16 v175, 8, v175
	v_sub_nc_u16 v184, v184, v185
	v_lshrrev_b32_e32 v185, 16, v158
	v_and_b32_e32 v152, 0x4040404, v152
	v_and_b32_e32 v153, 0x4040404, v153
	v_lshlrev_b32_e32 v154, 2, v154
	v_lshlrev_b16 v184, 8, v184
	v_sub_nc_u16 v185, v185, v186
	v_lshrrev_b16 v186, 8, v158
	v_sub_nc_u16 v158, v158, v170
	v_lshrrev_b16 v170, 8, v170
	v_lshrrev_b32_e32 v189, 24, v152
	v_lshrrev_b32_e32 v190, 16, v152
	;; [unrolled: 1-line block ×4, first 2 shown]
	v_sub_nc_u16 v170, v186, v170
	v_bfe_u32 v186, v171, 24, 2
	v_and_b32_e32 v171, 0x3030303, v171
	v_and_b32_e32 v154, 0x4040404, v154
	s_delay_alu instid0(VALU_DEP_4) | instskip(NEXT) | instid1(VALU_DEP_4)
	v_lshlrev_b16 v170, 8, v170
	v_sub_nc_u16 v186, v186, v187
	s_delay_alu instid0(VALU_DEP_4) | instskip(NEXT) | instid1(VALU_DEP_2)
	v_lshrrev_b32_e32 v187, 16, v171
	v_lshlrev_b16 v186, 8, v186
	s_delay_alu instid0(VALU_DEP_2) | instskip(SKIP_3) | instid1(VALU_DEP_1)
	v_sub_nc_u16 v187, v187, v188
	v_lshrrev_b16 v188, 8, v171
	v_sub_nc_u16 v171, v171, v176
	v_lshrrev_b16 v176, 8, v176
	v_sub_nc_u16 v176, v188, v176
	v_bfe_u32 v188, v161, 24, 2
	v_and_b32_e32 v161, 0x3030303, v161
	s_delay_alu instid0(VALU_DEP_3) | instskip(NEXT) | instid1(VALU_DEP_3)
	v_lshlrev_b16 v176, 8, v176
	v_sub_nc_u16 v188, v188, v189
	s_delay_alu instid0(VALU_DEP_3) | instskip(NEXT) | instid1(VALU_DEP_2)
	v_lshrrev_b32_e32 v189, 16, v161
	v_lshlrev_b16 v188, 8, v188
	s_delay_alu instid0(VALU_DEP_2) | instskip(SKIP_3) | instid1(VALU_DEP_1)
	v_sub_nc_u16 v189, v189, v190
	v_lshrrev_b16 v190, 8, v161
	v_sub_nc_u16 v161, v161, v152
	v_lshrrev_b16 v152, 8, v152
	v_sub_nc_u16 v152, v190, v152
	v_bfe_u32 v190, v172, 24, 2
	v_and_b32_e32 v172, 0x3030303, v172
	s_delay_alu instid0(VALU_DEP_3) | instskip(NEXT) | instid1(VALU_DEP_3)
	v_lshlrev_b16 v152, 8, v152
	v_sub_nc_u16 v190, v190, v191
	s_delay_alu instid0(VALU_DEP_3) | instskip(NEXT) | instid1(VALU_DEP_2)
	v_lshrrev_b32_e32 v191, 16, v172
	v_lshlrev_b16 v190, 8, v190
	s_delay_alu instid0(VALU_DEP_2) | instskip(SKIP_3) | instid1(VALU_DEP_1)
	v_sub_nc_u16 v191, v191, v192
	v_lshrrev_b16 v192, 8, v172
	v_sub_nc_u16 v172, v172, v153
	v_lshrrev_b16 v153, 8, v153
	v_sub_nc_u16 v153, v192, v153
	v_and_b32_e32 v192, 0xff, v177
	s_delay_alu instid0(VALU_DEP_2) | instskip(NEXT) | instid1(VALU_DEP_2)
	v_lshlrev_b16 v153, 8, v153
	v_or_b32_e32 v173, v192, v173
	v_and_b32_e32 v192, 0xff, v165
	s_delay_alu instid0(VALU_DEP_2) | instskip(NEXT) | instid1(VALU_DEP_2)
	v_perm_b32 v165, v165, v173, 0x4010c0c
	v_or_b32_e32 v164, v192, v164
	v_and_b32_e32 v192, 0xff, v179
	s_delay_alu instid0(VALU_DEP_2) | instskip(NEXT) | instid1(VALU_DEP_2)
	v_perm_b32 v164, v177, v164, 0xc0c0401
	v_or_b32_e32 v178, v192, v178
	v_and_b32_e32 v192, 0xff, v166
	s_delay_alu instid0(VALU_DEP_3) | instskip(NEXT) | instid1(VALU_DEP_3)
	v_or_b32_e32 v164, v165, v164
	v_perm_b32 v166, v166, v178, 0x4010c0c
	s_delay_alu instid0(VALU_DEP_3) | instskip(SKIP_1) | instid1(VALU_DEP_2)
	v_or_b32_e32 v174, v192, v174
	v_and_b32_e32 v192, 0xff, v181
	v_perm_b32 v173, v179, v174, 0xc0c0401
	s_delay_alu instid0(VALU_DEP_2) | instskip(SKIP_1) | instid1(VALU_DEP_3)
	v_or_b32_e32 v180, v192, v180
	v_and_b32_e32 v192, 0xff, v168
	v_or_b32_e32 v165, v166, v173
	s_delay_alu instid0(VALU_DEP_3) | instskip(NEXT) | instid1(VALU_DEP_3)
	v_perm_b32 v168, v168, v180, 0x4010c0c
	v_or_b32_e32 v167, v192, v167
	v_and_b32_e32 v192, 0xff, v183
	s_delay_alu instid0(VALU_DEP_2) | instskip(NEXT) | instid1(VALU_DEP_2)
	v_perm_b32 v167, v181, v167, 0xc0c0401
	v_or_b32_e32 v182, v192, v182
	v_and_b32_e32 v192, 0xff, v169
	s_delay_alu instid0(VALU_DEP_3) | instskip(NEXT) | instid1(VALU_DEP_3)
	v_or_b32_e32 v166, v168, v167
	v_perm_b32 v169, v169, v182, 0x4010c0c
	s_delay_alu instid0(VALU_DEP_3) | instskip(SKIP_1) | instid1(VALU_DEP_2)
	v_or_b32_e32 v175, v192, v175
	v_and_b32_e32 v192, 0xff, v185
	v_perm_b32 v174, v183, v175, 0xc0c0401
	s_delay_alu instid0(VALU_DEP_2) | instskip(SKIP_1) | instid1(VALU_DEP_3)
	v_or_b32_e32 v184, v192, v184
	v_and_b32_e32 v192, 0xff, v158
	v_or_b32_e32 v167, v169, v174
	s_delay_alu instid0(VALU_DEP_3) | instskip(NEXT) | instid1(VALU_DEP_3)
	v_perm_b32 v158, v158, v184, 0x4010c0c
	v_or_b32_e32 v170, v192, v170
	v_and_b32_e32 v192, 0xff, v187
	v_lshrrev_b32_e32 v169, 24, v29
	s_delay_alu instid0(VALU_DEP_3) | instskip(NEXT) | instid1(VALU_DEP_3)
	v_perm_b32 v170, v185, v170, 0xc0c0401
	v_or_b32_e32 v186, v192, v186
	v_and_b32_e32 v192, 0xff, v171
	s_delay_alu instid0(VALU_DEP_3) | instskip(NEXT) | instid1(VALU_DEP_3)
	v_or_b32_e32 v158, v158, v170
	v_perm_b32 v171, v171, v186, 0x4010c0c
	s_delay_alu instid0(VALU_DEP_3) | instskip(SKIP_3) | instid1(VALU_DEP_4)
	v_or_b32_e32 v176, v192, v176
	v_and_b32_e32 v192, 0xff, v189
	v_lshrrev_b32_e32 v170, 16, v29
	v_dot4_i32_iu8 v158, v158, v156, 0 neg_lo:[1,1,0]
	v_perm_b32 v175, v187, v176, 0xc0c0401
	s_delay_alu instid0(VALU_DEP_4) | instskip(SKIP_1) | instid1(VALU_DEP_3)
	v_or_b32_e32 v188, v192, v188
	v_and_b32_e32 v192, 0xff, v161
	v_or_b32_e32 v168, v171, v175
	s_delay_alu instid0(VALU_DEP_3) | instskip(NEXT) | instid1(VALU_DEP_3)
	v_perm_b32 v161, v161, v188, 0x4010c0c
	v_or_b32_e32 v152, v192, v152
	v_and_b32_e32 v192, 0xff, v191
	s_delay_alu instid0(VALU_DEP_4) | instskip(SKIP_1) | instid1(VALU_DEP_4)
	v_dot4_i32_iu8 v158, v168, v157, v158 neg_lo:[1,1,0]
	v_lshrrev_b32_e32 v168, 16, v27
	v_perm_b32 v152, v189, v152, 0xc0c0401
	s_delay_alu instid0(VALU_DEP_4) | instskip(SKIP_1) | instid1(VALU_DEP_3)
	v_or_b32_e32 v190, v192, v190
	v_and_b32_e32 v192, 0xff, v172
	v_or_b32_e32 v152, v161, v152
	s_delay_alu instid0(VALU_DEP_3) | instskip(NEXT) | instid1(VALU_DEP_3)
	v_perm_b32 v172, v172, v190, 0x4010c0c
	v_or_b32_e32 v153, v192, v153
	v_dot4_i32_iu8 v161, v164, v156, 0 neg_lo:[1,1,0]
	v_dot4_i32_iu8 v164, v166, v156, 0 neg_lo:[1,1,0]
	;; [unrolled: 1-line block ×3, first 2 shown]
	v_lshrrev_b32_e32 v166, 16, v25
	v_perm_b32 v153, v191, v153, 0xc0c0401
	v_dot4_i32_iu8 v156, v165, v157, v161 neg_lo:[1,1,0]
	v_dot4_i32_iu8 v161, v167, v157, v164 neg_lo:[1,1,0]
	v_lshrrev_b32_e32 v164, 16, v23
	v_lshrrev_b32_e32 v165, 24, v25
	v_or_b32_e32 v153, v172, v153
	v_lshrrev_b32_e32 v167, 24, v27
	s_delay_alu instid0(VALU_DEP_2) | instskip(SKIP_3) | instid1(VALU_DEP_2)
	v_dot4_i32_iu8 v152, v153, v157, v152 neg_lo:[1,1,0]
	v_bfe_u32 v153, v15, 24, 2
	v_lshrrev_b32_e32 v157, 24, v23
	v_and_b32_e32 v15, 0x3030303, v15
	v_sub_nc_u16 v153, v153, v157
	s_delay_alu instid0(VALU_DEP_2) | instskip(NEXT) | instid1(VALU_DEP_2)
	v_lshrrev_b32_e32 v157, 16, v15
	v_lshlrev_b16 v153, 8, v153
	s_delay_alu instid0(VALU_DEP_2) | instskip(SKIP_3) | instid1(VALU_DEP_1)
	v_sub_nc_u16 v157, v157, v164
	v_lshrrev_b16 v164, 8, v15
	v_sub_nc_u16 v15, v15, v23
	v_lshrrev_b16 v23, 8, v23
	v_sub_nc_u16 v23, v164, v23
	v_bfe_u32 v164, v17, 24, 2
	v_and_b32_e32 v17, 0x3030303, v17
	s_delay_alu instid0(VALU_DEP_3) | instskip(NEXT) | instid1(VALU_DEP_3)
	v_lshlrev_b16 v23, 8, v23
	v_sub_nc_u16 v164, v164, v165
	s_delay_alu instid0(VALU_DEP_3) | instskip(NEXT) | instid1(VALU_DEP_2)
	v_lshrrev_b32_e32 v165, 16, v17
	v_lshlrev_b16 v164, 8, v164
	s_delay_alu instid0(VALU_DEP_2) | instskip(SKIP_3) | instid1(VALU_DEP_1)
	v_sub_nc_u16 v165, v165, v166
	v_lshrrev_b16 v166, 8, v17
	v_sub_nc_u16 v17, v17, v25
	v_lshrrev_b16 v25, 8, v25
	v_sub_nc_u16 v25, v166, v25
	v_bfe_u32 v166, v19, 24, 2
	v_and_b32_e32 v19, 0x3030303, v19
	s_delay_alu instid0(VALU_DEP_3) | instskip(NEXT) | instid1(VALU_DEP_3)
	v_lshlrev_b16 v25, 8, v25
	v_sub_nc_u16 v166, v166, v167
	s_delay_alu instid0(VALU_DEP_3) | instskip(NEXT) | instid1(VALU_DEP_2)
	;; [unrolled: 14-line block ×3, first 2 shown]
	v_lshrrev_b32_e32 v169, 16, v21
	v_lshlrev_b16 v168, 8, v168
	s_delay_alu instid0(VALU_DEP_2) | instskip(SKIP_3) | instid1(VALU_DEP_1)
	v_sub_nc_u16 v169, v169, v170
	v_lshrrev_b16 v170, 8, v21
	v_sub_nc_u16 v21, v21, v29
	v_lshrrev_b16 v29, 8, v29
	v_sub_nc_u16 v29, v170, v29
	v_and_b32_e32 v170, 0xff, v157
	s_delay_alu instid0(VALU_DEP_2) | instskip(NEXT) | instid1(VALU_DEP_2)
	v_lshlrev_b16 v29, 8, v29
	v_or_b32_e32 v153, v170, v153
	v_and_b32_e32 v170, 0xff, v15
	s_delay_alu instid0(VALU_DEP_2) | instskip(NEXT) | instid1(VALU_DEP_2)
	v_perm_b32 v15, v15, v153, 0x4010c0c
	v_or_b32_e32 v23, v170, v23
	v_and_b32_e32 v170, 0xff, v165
	v_lshrrev_b32_e32 v153, 24, v6
	s_delay_alu instid0(VALU_DEP_3) | instskip(NEXT) | instid1(VALU_DEP_3)
	v_perm_b32 v23, v157, v23, 0xc0c0401
	v_or_b32_e32 v164, v170, v164
	v_and_b32_e32 v170, 0xff, v17
	v_lshrrev_b32_e32 v157, 16, v6
	s_delay_alu instid0(VALU_DEP_4) | instskip(NEXT) | instid1(VALU_DEP_4)
	v_or_b32_e32 v15, v15, v23
	v_perm_b32 v17, v17, v164, 0x4010c0c
	s_delay_alu instid0(VALU_DEP_4)
	v_or_b32_e32 v25, v170, v25
	v_and_b32_e32 v170, 0xff, v167
	v_bfe_u32 v23, v11, 24, 2
	v_and_b32_e32 v11, 0x3030303, v11
	v_dot4_i32_iu8 v15, v15, v149, v162 neg_lo:[1,1,0]
	v_perm_b32 v25, v165, v25, 0xc0c0401
	v_or_b32_e32 v166, v170, v166
	v_and_b32_e32 v170, 0xff, v19
	s_delay_alu instid0(VALU_DEP_3) | instskip(NEXT) | instid1(VALU_DEP_3)
	v_or_b32_e32 v17, v17, v25
	v_perm_b32 v19, v19, v166, 0x4010c0c
	s_delay_alu instid0(VALU_DEP_3) | instskip(SKIP_3) | instid1(VALU_DEP_4)
	v_or_b32_e32 v27, v170, v27
	v_lshrrev_b32_e32 v25, 24, v2
	v_and_b32_e32 v170, 0xff, v169
	v_dot4_i32_iu8 v17, v17, v149, v163 neg_lo:[1,1,0]
	v_perm_b32 v27, v167, v27, 0xc0c0401
	s_delay_alu instid0(VALU_DEP_4)
	v_sub_nc_u16 v23, v23, v25
	v_lshrrev_b32_e32 v25, 16, v11
	v_or_b32_e32 v168, v170, v168
	v_and_b32_e32 v170, 0xff, v21
	v_or_b32_e32 v19, v19, v27
	v_lshrrev_b32_e32 v27, 16, v2
	v_lshlrev_b16 v23, 8, v23
	v_perm_b32 v21, v21, v168, 0x4010c0c
	v_or_b32_e32 v29, v170, v29
	v_dot4_i32_iu8 v19, v19, v149, v159 neg_lo:[1,1,0]
	v_sub_nc_u16 v25, v25, v27
	v_lshrrev_b16 v27, 8, v11
	v_sub_nc_u16 v11, v11, v2
	v_lshrrev_b16 v2, 8, v2
	v_perm_b32 v29, v169, v29, 0xc0c0401
	v_lshrrev_b32_e32 v159, 24, v154
	s_delay_alu instid0(VALU_DEP_3) | instskip(SKIP_1) | instid1(VALU_DEP_4)
	v_sub_nc_u16 v2, v27, v2
	v_ashrrev_i32_e32 v27, s24, v150
	v_or_b32_e32 v21, v21, v29
	v_bfe_u32 v29, v4, 24, 2
	v_and_b32_e32 v4, 0x3030303, v4
	v_lshlrev_b16 v2, 8, v2
	v_lshlrev_b32_e32 v27, 2, v27
	v_dot4_i32_iu8 v21, v21, v149, v160 neg_lo:[1,1,0]
	v_lshrrev_b32_e32 v160, 16, v154
	s_delay_alu instid0(VALU_DEP_3) | instskip(NEXT) | instid1(VALU_DEP_1)
	v_and_b32_e32 v27, 0x4040404, v27
	v_lshrrev_b32_e32 v149, 24, v27
	v_lshrrev_b32_e32 v150, 16, v27
	s_delay_alu instid0(VALU_DEP_2) | instskip(SKIP_1) | instid1(VALU_DEP_2)
	v_sub_nc_u16 v29, v29, v149
	v_lshrrev_b32_e32 v149, 16, v4
	v_lshlrev_b16 v29, 8, v29
	s_delay_alu instid0(VALU_DEP_2) | instskip(SKIP_3) | instid1(VALU_DEP_1)
	v_sub_nc_u16 v149, v149, v150
	v_lshrrev_b16 v150, 8, v4
	v_sub_nc_u16 v4, v4, v27
	v_lshrrev_b16 v27, 8, v27
	v_sub_nc_u16 v27, v150, v27
	v_bfe_u32 v150, v0, 24, 2
	v_and_b32_e32 v0, 0x3030303, v0
	s_delay_alu instid0(VALU_DEP_3) | instskip(NEXT) | instid1(VALU_DEP_3)
	v_lshlrev_b16 v27, 8, v27
	v_sub_nc_u16 v150, v150, v153
	s_delay_alu instid0(VALU_DEP_3) | instskip(NEXT) | instid1(VALU_DEP_2)
	v_lshrrev_b32_e32 v153, 16, v0
	v_lshlrev_b16 v150, 8, v150
	s_delay_alu instid0(VALU_DEP_2) | instskip(SKIP_3) | instid1(VALU_DEP_1)
	v_sub_nc_u16 v153, v153, v157
	v_lshrrev_b16 v157, 8, v0
	v_sub_nc_u16 v0, v0, v6
	v_lshrrev_b16 v6, 8, v6
	v_sub_nc_u16 v6, v157, v6
	v_bfe_u32 v157, v13, 24, 2
	v_and_b32_e32 v13, 0x3030303, v13
	s_delay_alu instid0(VALU_DEP_3) | instskip(NEXT) | instid1(VALU_DEP_3)
	v_lshlrev_b16 v6, 8, v6
	v_sub_nc_u16 v157, v157, v159
	s_delay_alu instid0(VALU_DEP_3) | instskip(NEXT) | instid1(VALU_DEP_2)
	v_lshrrev_b32_e32 v159, 16, v13
	v_lshlrev_b16 v157, 8, v157
	s_delay_alu instid0(VALU_DEP_2) | instskip(SKIP_3) | instid1(VALU_DEP_1)
	v_sub_nc_u16 v159, v159, v160
	v_lshrrev_b16 v160, 8, v13
	v_sub_nc_u16 v13, v13, v154
	v_lshrrev_b16 v154, 8, v154
	v_sub_nc_u16 v154, v160, v154
	v_and_b32_e32 v160, 0xff, v25
	s_delay_alu instid0(VALU_DEP_2) | instskip(NEXT) | instid1(VALU_DEP_2)
	v_lshlrev_b16 v154, 8, v154
	v_or_b32_e32 v23, v160, v23
	v_and_b32_e32 v160, 0xff, v11
	s_delay_alu instid0(VALU_DEP_2) | instskip(NEXT) | instid1(VALU_DEP_2)
	v_perm_b32 v11, v11, v23, 0x4010c0c
	v_or_b32_e32 v2, v160, v2
	v_and_b32_e32 v160, 0xff, v149
	s_delay_alu instid0(VALU_DEP_2) | instskip(NEXT) | instid1(VALU_DEP_2)
	v_perm_b32 v2, v25, v2, 0xc0c0401
	v_or_b32_e32 v29, v160, v29
	v_and_b32_e32 v160, 0xff, v4
	s_delay_alu instid0(VALU_DEP_3) | instskip(SKIP_1) | instid1(VALU_DEP_3)
	v_or_b32_e32 v2, v11, v2
	v_ashrrev_i32_e32 v11, s26, v16
	v_or_b32_e32 v27, v160, v27
	v_and_b32_e32 v160, 0xff, v153
	v_ashrrev_i32_e32 v16, s26, v20
	v_ashrrev_i32_e32 v20, s24, v24
	v_perm_b32 v4, v4, v29, 0x4010c0c
	v_perm_b32 v23, v149, v27, 0xc0c0401
	v_or_b32_e32 v150, v160, v150
	v_and_b32_e32 v160, 0xff, v0
	v_lshlrev_b32_e32 v20, 2, v20
	v_ashrrev_i32_e32 v24, s24, v30
	v_or_b32_e32 v4, v4, v23
	v_perm_b32 v0, v0, v150, 0x4010c0c
	v_or_b32_e32 v6, v160, v6
	v_and_b32_e32 v160, 0xff, v159
	v_and_b32_e32 v20, 0x4040404, v20
	v_ashrrev_i32_e32 v23, s24, v28
	v_dot4_i32_iu8 v2, v2, v144, v156 neg_lo:[1,1,0]
	v_perm_b32 v6, v153, v6, 0xc0c0401
	v_or_b32_e32 v157, v160, v157
	v_and_b32_e32 v160, 0xff, v13
	v_lshrrev_b32_e32 v27, 16, v20
	v_lshlrev_b32_e32 v23, 2, v23
	v_or_b32_e32 v0, v0, v6
	v_perm_b32 v13, v13, v157, 0x4010c0c
	v_or_b32_e32 v154, v160, v154
	v_dot4_i32_iu8 v4, v4, v144, v161 neg_lo:[1,1,0]
	v_and_b32_e32 v23, 0x4040404, v23
	v_dot4_i32_iu8 v0, v0, v144, v158 neg_lo:[1,1,0]
	v_lshlrev_b32_e32 v24, 2, v24
	v_perm_b32 v25, v159, v154, 0xc0c0401
	s_delay_alu instid0(VALU_DEP_4) | instskip(NEXT) | instid1(VALU_DEP_3)
	v_lshrrev_b32_e32 v30, 24, v23
	v_and_b32_e32 v24, 0x4040404, v24
	s_delay_alu instid0(VALU_DEP_3)
	v_or_b32_e32 v6, v13, v25
	v_ashrrev_i32_e32 v13, s26, v18
	v_ashrrev_i32_e32 v18, s26, v22
	;; [unrolled: 1-line block ×3, first 2 shown]
	v_bfe_u32 v25, v11, 24, 2
	v_lshrrev_b32_e32 v26, 24, v20
	v_and_b32_e32 v11, 0x3030303, v11
	v_dot4_i32_iu8 v6, v6, v144, v152 neg_lo:[1,1,0]
	v_lshlrev_b32_e32 v22, 2, v22
	v_lshrrev_b32_e32 v144, 16, v23
	v_sub_nc_u16 v25, v25, v26
	v_lshrrev_b32_e32 v26, 16, v11
	v_lshrrev_b32_e32 v149, 24, v24
	v_and_b32_e32 v22, 0x4040404, v22
	v_lshrrev_b32_e32 v150, 16, v24
	v_lshlrev_b16 v25, 8, v25
	v_sub_nc_u16 v26, v26, v27
	v_lshrrev_b16 v27, 8, v11
	v_sub_nc_u16 v11, v11, v20
	v_lshrrev_b16 v20, 8, v20
	v_lshrrev_b32_e32 v28, 24, v22
	v_lshrrev_b32_e32 v29, 16, v22
	s_delay_alu instid0(VALU_DEP_3) | instskip(SKIP_2) | instid1(VALU_DEP_3)
	v_sub_nc_u16 v20, v27, v20
	v_bfe_u32 v27, v13, 24, 2
	v_and_b32_e32 v13, 0x3030303, v13
	v_lshlrev_b16 v20, 8, v20
	s_delay_alu instid0(VALU_DEP_3) | instskip(NEXT) | instid1(VALU_DEP_3)
	v_sub_nc_u16 v27, v27, v28
	v_lshrrev_b32_e32 v28, 16, v13
	s_delay_alu instid0(VALU_DEP_2) | instskip(NEXT) | instid1(VALU_DEP_2)
	v_lshlrev_b16 v27, 8, v27
	v_sub_nc_u16 v28, v28, v29
	v_lshrrev_b16 v29, 8, v13
	v_sub_nc_u16 v13, v13, v22
	v_lshrrev_b16 v22, 8, v22
	s_delay_alu instid0(VALU_DEP_1) | instskip(SKIP_2) | instid1(VALU_DEP_3)
	v_sub_nc_u16 v22, v29, v22
	v_bfe_u32 v29, v16, 24, 2
	v_and_b32_e32 v16, 0x3030303, v16
	v_lshlrev_b16 v22, 8, v22
	s_delay_alu instid0(VALU_DEP_3) | instskip(NEXT) | instid1(VALU_DEP_3)
	v_sub_nc_u16 v29, v29, v30
	v_lshrrev_b32_e32 v30, 16, v16
	s_delay_alu instid0(VALU_DEP_2) | instskip(NEXT) | instid1(VALU_DEP_2)
	v_lshlrev_b16 v29, 8, v29
	v_sub_nc_u16 v30, v30, v144
	v_lshrrev_b16 v144, 8, v16
	v_sub_nc_u16 v16, v16, v23
	v_lshrrev_b16 v23, 8, v23
	s_delay_alu instid0(VALU_DEP_1) | instskip(SKIP_2) | instid1(VALU_DEP_3)
	v_sub_nc_u16 v23, v144, v23
	v_bfe_u32 v144, v18, 24, 2
	v_and_b32_e32 v18, 0x3030303, v18
	v_lshlrev_b16 v23, 8, v23
	s_delay_alu instid0(VALU_DEP_3) | instskip(NEXT) | instid1(VALU_DEP_3)
	v_sub_nc_u16 v144, v144, v149
	v_lshrrev_b32_e32 v149, 16, v18
	s_delay_alu instid0(VALU_DEP_2) | instskip(NEXT) | instid1(VALU_DEP_2)
	v_lshlrev_b16 v144, 8, v144
	v_sub_nc_u16 v149, v149, v150
	v_lshrrev_b16 v150, 8, v18
	v_sub_nc_u16 v18, v18, v24
	v_lshrrev_b16 v24, 8, v24
	s_delay_alu instid0(VALU_DEP_1) | instskip(SKIP_1) | instid1(VALU_DEP_2)
	v_sub_nc_u16 v24, v150, v24
	v_and_b32_e32 v150, 0xff, v26
	v_lshlrev_b16 v24, 8, v24
	s_delay_alu instid0(VALU_DEP_2) | instskip(SKIP_1) | instid1(VALU_DEP_2)
	v_or_b32_e32 v25, v150, v25
	v_and_b32_e32 v150, 0xff, v11
	v_perm_b32 v11, v11, v25, 0x4010c0c
	s_delay_alu instid0(VALU_DEP_2) | instskip(SKIP_2) | instid1(VALU_DEP_3)
	v_or_b32_e32 v20, v150, v20
	v_and_b32_e32 v150, 0xff, v28
	v_lshrrev_b32_e32 v25, 16, v7
	v_perm_b32 v20, v26, v20, 0xc0c0401
	s_delay_alu instid0(VALU_DEP_3) | instskip(SKIP_1) | instid1(VALU_DEP_3)
	v_or_b32_e32 v27, v150, v27
	v_and_b32_e32 v150, 0xff, v13
	v_or_b32_e32 v11, v11, v20
	s_delay_alu instid0(VALU_DEP_3) | instskip(NEXT) | instid1(VALU_DEP_3)
	v_perm_b32 v13, v13, v27, 0x4010c0c
	v_or_b32_e32 v22, v150, v22
	v_and_b32_e32 v150, 0xff, v30
	v_lshrrev_b32_e32 v20, 24, v3
	v_dot4_i32_iu8 v11, v11, v143, v15 neg_lo:[1,1,0]
	s_delay_alu instid0(VALU_DEP_4) | instskip(NEXT) | instid1(VALU_DEP_4)
	v_perm_b32 v22, v28, v22, 0xc0c0401
	v_or_b32_e32 v29, v150, v29
	v_and_b32_e32 v150, 0xff, v16
	s_delay_alu instid0(VALU_DEP_3) | instskip(NEXT) | instid1(VALU_DEP_3)
	v_or_b32_e32 v13, v13, v22
	v_perm_b32 v16, v16, v29, 0x4010c0c
	s_delay_alu instid0(VALU_DEP_3) | instskip(SKIP_1) | instid1(VALU_DEP_4)
	v_or_b32_e32 v23, v150, v23
	v_and_b32_e32 v150, 0xff, v149
	v_dot4_i32_iu8 v13, v13, v143, v17 neg_lo:[1,1,0]
	v_ashrrev_i32_e32 v17, s24, v151
	s_delay_alu instid0(VALU_DEP_4) | instskip(NEXT) | instid1(VALU_DEP_4)
	v_perm_b32 v23, v30, v23, 0xc0c0401
	v_or_b32_e32 v144, v150, v144
	v_and_b32_e32 v150, 0xff, v18
	s_delay_alu instid0(VALU_DEP_4) | instskip(NEXT) | instid1(VALU_DEP_4)
	v_lshlrev_b32_e32 v17, 2, v17
	v_or_b32_e32 v16, v16, v23
	s_delay_alu instid0(VALU_DEP_4) | instskip(NEXT) | instid1(VALU_DEP_4)
	v_perm_b32 v18, v18, v144, 0x4010c0c
	v_or_b32_e32 v24, v150, v24
	s_delay_alu instid0(VALU_DEP_4) | instskip(NEXT) | instid1(VALU_DEP_4)
	v_and_b32_e32 v17, 0x4040404, v17
	v_dot4_i32_iu8 v15, v16, v143, v19 neg_lo:[1,1,0]
	v_bfe_u32 v19, v12, 24, 2
	s_delay_alu instid0(VALU_DEP_4)
	v_perm_b32 v24, v149, v24, 0xc0c0401
	v_and_b32_e32 v12, 0x3030303, v12
	v_lshrrev_b32_e32 v22, 24, v17
	v_lshrrev_b32_e32 v23, 16, v17
	v_sub_nc_u16 v19, v19, v20
	v_or_b32_e32 v18, v18, v24
	v_lshrrev_b32_e32 v20, 16, v12
	v_lshrrev_b32_e32 v24, 24, v7
	s_delay_alu instid0(VALU_DEP_4) | instskip(NEXT) | instid1(VALU_DEP_4)
	v_lshlrev_b16 v19, 8, v19
	v_dot4_i32_iu8 v16, v18, v143, v21 neg_lo:[1,1,0]
	v_lshrrev_b32_e32 v21, 16, v3
	v_ashrrev_i32_e32 v18, s24, v155
	s_add_i32 s24, s24, 1
	s_cmp_lt_u32 s25, 22
	s_delay_alu instid0(VALU_DEP_2) | instskip(SKIP_4) | instid1(VALU_DEP_2)
	v_sub_nc_u16 v20, v20, v21
	v_lshrrev_b16 v21, 8, v12
	v_sub_nc_u16 v12, v12, v3
	v_lshrrev_b16 v3, 8, v3
	v_lshlrev_b32_e32 v18, 2, v18
	v_sub_nc_u16 v3, v21, v3
	v_bfe_u32 v21, v5, 24, 2
	v_and_b32_e32 v5, 0x3030303, v5
	s_delay_alu instid0(VALU_DEP_4) | instskip(NEXT) | instid1(VALU_DEP_4)
	v_and_b32_e32 v18, 0x4040404, v18
	v_lshlrev_b16 v3, 8, v3
	s_delay_alu instid0(VALU_DEP_4) | instskip(NEXT) | instid1(VALU_DEP_4)
	v_sub_nc_u16 v21, v21, v22
	v_lshrrev_b32_e32 v22, 16, v5
	s_delay_alu instid0(VALU_DEP_4) | instskip(SKIP_1) | instid1(VALU_DEP_4)
	v_lshrrev_b32_e32 v26, 24, v18
	v_lshrrev_b32_e32 v27, 16, v18
	v_lshlrev_b16 v21, 8, v21
	s_delay_alu instid0(VALU_DEP_4) | instskip(SKIP_3) | instid1(VALU_DEP_1)
	v_sub_nc_u16 v22, v22, v23
	v_lshrrev_b16 v23, 8, v5
	v_sub_nc_u16 v5, v5, v17
	v_lshrrev_b16 v17, 8, v17
	v_sub_nc_u16 v17, v23, v17
	v_bfe_u32 v23, v1, 24, 2
	v_and_b32_e32 v1, 0x3030303, v1
	s_delay_alu instid0(VALU_DEP_3) | instskip(NEXT) | instid1(VALU_DEP_3)
	v_lshlrev_b16 v17, 8, v17
	v_sub_nc_u16 v23, v23, v24
	s_delay_alu instid0(VALU_DEP_3) | instskip(NEXT) | instid1(VALU_DEP_2)
	v_lshrrev_b32_e32 v24, 16, v1
	v_lshlrev_b16 v23, 8, v23
	s_delay_alu instid0(VALU_DEP_2) | instskip(SKIP_3) | instid1(VALU_DEP_1)
	v_sub_nc_u16 v24, v24, v25
	v_lshrrev_b16 v25, 8, v1
	v_sub_nc_u16 v1, v1, v7
	v_lshrrev_b16 v7, 8, v7
	v_sub_nc_u16 v7, v25, v7
	v_bfe_u32 v25, v14, 24, 2
	v_and_b32_e32 v14, 0x3030303, v14
	s_delay_alu instid0(VALU_DEP_3) | instskip(NEXT) | instid1(VALU_DEP_3)
	v_lshlrev_b16 v7, 8, v7
	v_sub_nc_u16 v25, v25, v26
	s_delay_alu instid0(VALU_DEP_3) | instskip(NEXT) | instid1(VALU_DEP_2)
	v_lshrrev_b32_e32 v26, 16, v14
	v_lshlrev_b16 v25, 8, v25
	s_delay_alu instid0(VALU_DEP_2) | instskip(SKIP_3) | instid1(VALU_DEP_1)
	v_sub_nc_u16 v26, v26, v27
	v_lshrrev_b16 v27, 8, v14
	v_sub_nc_u16 v14, v14, v18
	v_lshrrev_b16 v18, 8, v18
	v_sub_nc_u16 v18, v27, v18
	v_and_b32_e32 v27, 0xff, v20
	s_delay_alu instid0(VALU_DEP_2) | instskip(NEXT) | instid1(VALU_DEP_2)
	v_lshlrev_b16 v18, 8, v18
	v_or_b32_e32 v19, v27, v19
	v_and_b32_e32 v27, 0xff, v12
	s_delay_alu instid0(VALU_DEP_2) | instskip(NEXT) | instid1(VALU_DEP_2)
	v_perm_b32 v12, v12, v19, 0x4010c0c
	v_or_b32_e32 v3, v27, v3
	v_and_b32_e32 v27, 0xff, v22
	s_delay_alu instid0(VALU_DEP_2) | instskip(NEXT) | instid1(VALU_DEP_2)
	v_perm_b32 v3, v20, v3, 0xc0c0401
	v_or_b32_e32 v21, v27, v21
	v_and_b32_e32 v27, 0xff, v5
	s_delay_alu instid0(VALU_DEP_3) | instskip(NEXT) | instid1(VALU_DEP_3)
	v_or_b32_e32 v3, v12, v3
	v_perm_b32 v5, v5, v21, 0x4010c0c
	s_delay_alu instid0(VALU_DEP_3) | instskip(SKIP_1) | instid1(VALU_DEP_2)
	v_or_b32_e32 v17, v27, v17
	v_and_b32_e32 v27, 0xff, v24
	v_perm_b32 v17, v22, v17, 0xc0c0401
	s_delay_alu instid0(VALU_DEP_2) | instskip(SKIP_1) | instid1(VALU_DEP_3)
	v_or_b32_e32 v23, v27, v23
	v_and_b32_e32 v27, 0xff, v1
	v_or_b32_e32 v5, v5, v17
	s_delay_alu instid0(VALU_DEP_3) | instskip(NEXT) | instid1(VALU_DEP_3)
	v_perm_b32 v1, v1, v23, 0x4010c0c
	v_or_b32_e32 v7, v27, v7
	v_and_b32_e32 v27, 0xff, v26
	v_dot4_i32_iu8 v17, v3, v140, v2 neg_lo:[1,1,0]
	v_dot4_i32_iu8 v19, v5, v140, v4 neg_lo:[1,1,0]
	v_bfe_i32 v4, v146, 0, 8
	v_perm_b32 v7, v24, v7, 0xc0c0401
	v_or_b32_e32 v25, v27, v25
	v_and_b32_e32 v27, 0xff, v14
	v_bfe_i32 v5, v148, 0, 8
	s_delay_alu instid0(VALU_DEP_4) | instskip(NEXT) | instid1(VALU_DEP_4)
	v_or_b32_e32 v1, v1, v7
	v_perm_b32 v14, v14, v25, 0x4010c0c
	s_delay_alu instid0(VALU_DEP_4) | instskip(SKIP_1) | instid1(VALU_DEP_4)
	v_or_b32_e32 v18, v27, v18
	v_add_nc_u32_e32 v7, s27, v125
	v_dot4_i32_iu8 v20, v1, v140, v0 neg_lo:[1,1,0]
	s_delay_alu instid0(VALU_DEP_3) | instskip(NEXT) | instid1(VALU_DEP_1)
	v_perm_b32 v18, v26, v18, 0xc0c0401
	v_or_b32_e32 v12, v14, v18
	v_add_nc_u32_e32 v14, s27, v123
	ds_load_u16 v7, v7 offset:25330
	ds_load_u16 v14, v14 offset:27378
	ds_load_b32 v18, v139
	v_dot4_i32_iu8 v12, v12, v140, v6 neg_lo:[1,1,0]
	v_add_nc_u32_e32 v139, 4, v139
	s_mov_b32 s27, s25
	s_waitcnt lgkmcnt(2)
	v_bfe_i32 v1, v7, 0, 8
	s_waitcnt lgkmcnt(1)
	v_lshrrev_b16 v0, 8, v14
	v_bfe_i32 v3, v14, 0, 8
	v_lshrrev_b16 v2, 8, v7
	s_delay_alu instid0(VALU_DEP_3) | instskip(SKIP_1) | instid1(VALU_DEP_3)
	v_bfe_i32 v14, v0, 0, 8
	v_lshrrev_b16 v0, 8, v146
	v_bfe_i32 v7, v2, 0, 8
	v_lshrrev_b16 v2, 8, v148
	s_delay_alu instid0(VALU_DEP_3) | instskip(SKIP_2) | instid1(VALU_DEP_4)
	v_bfe_i32 v21, v0, 0, 8
	v_mul_lo_u32 v0, v11, v1
	v_mul_lo_u32 v1, v13, v4
	v_bfe_i32 v22, v2, 0, 8
	v_mul_lo_u32 v2, v15, v3
	v_mul_lo_u32 v3, v16, v5
	s_delay_alu instid0(VALU_DEP_4) | instskip(NEXT) | instid1(VALU_DEP_3)
	v_mad_u64_u32 v[4:5], null, v17, v7, v[0:1]
	v_mad_u64_u32 v[5:6], null, v19, v21, v[1:2]
	s_delay_alu instid0(VALU_DEP_3)
	v_mad_u64_u32 v[0:1], null, v20, v14, v[2:3]
	s_waitcnt lgkmcnt(0)
	v_mul_f32_e32 v6, v18, v145
	v_mul_f32_e32 v7, v18, v147
	v_mad_u64_u32 v[1:2], null, v12, v22, v[3:4]
	v_mul_f32_e32 v2, v18, v141
	v_mul_f32_e32 v3, v18, v142
	v_cvt_f32_i32_e32 v4, v4
	v_cvt_f32_i32_e32 v5, v5
	;; [unrolled: 1-line block ×4, first 2 shown]
	s_delay_alu instid0(VALU_DEP_4) | instskip(NEXT) | instid1(VALU_DEP_4)
	v_fmac_f32_e32 v33, v2, v4
	v_fmac_f32_e32 v96, v6, v5
	s_delay_alu instid0(VALU_DEP_4) | instskip(NEXT) | instid1(VALU_DEP_4)
	v_fmac_f32_e32 v90, v3, v0
	v_fmac_f32_e32 v8, v7, v1
	s_cbranch_scc1 .LBB229_28
; %bb.29:                               ;   in Loop: Header=BB229_5 Depth=1
	s_or_b32 s1, s18, 0x180
	s_delay_alu instid0(SALU_CYCLE_1)
	s_cmp_ge_i32 s1, s11
	s_barrier
	buffer_gl0_inv
	s_cbranch_scc1 .LBB229_4
; %bb.30:                               ;   in Loop: Header=BB229_5 Depth=1
	v_add_nc_u32_e32 v0, s19, v110
	s_delay_alu instid0(VALU_DEP_1) | instskip(NEXT) | instid1(VALU_DEP_1)
	v_cmp_gt_i32_e64 s1, s5, v0
	s_and_b32 s18, s0, s1
	s_delay_alu instid0(SALU_CYCLE_1)
	s_and_saveexec_b32 s1, s18
	s_cbranch_execz .LBB229_32
; %bb.31:                               ;   in Loop: Header=BB229_5 Depth=1
	v_add_nc_u32_e32 v2, v104, v0
	s_delay_alu instid0(VALU_DEP_1)
	v_mad_i64_i32 v[0:1], null, v2, 36, v[9:10]
	global_load_b32 v0, v[0:1], off offset:4
	s_waitcnt vmcnt(0)
	ds_store_b32 v91, v0
.LBB229_32:                             ;   in Loop: Header=BB229_5 Depth=1
	s_or_b32 exec_lo, exec_lo, s1
	s_and_saveexec_b32 s18, vcc_lo
	s_cbranch_execz .LBB229_35
; %bb.33:                               ;   in Loop: Header=BB229_5 Depth=1
	v_or_b32_e32 v0, s19, v32
	s_delay_alu instid0(VALU_DEP_1) | instskip(NEXT) | instid1(VALU_DEP_1)
	v_or_b32_e32 v1, 12, v0
	v_cmp_gt_i32_e64 s1, s5, v1
	s_delay_alu instid0(VALU_DEP_1) | instskip(NEXT) | instid1(SALU_CYCLE_1)
	s_and_b32 s1, s0, s1
	s_and_b32 exec_lo, exec_lo, s1
	s_cbranch_execz .LBB229_35
; %bb.34:                               ;   in Loop: Header=BB229_5 Depth=1
	v_ashrrev_i32_e32 v1, 31, v0
	v_add_co_u32 v2, s1, v104, v0
	s_delay_alu instid0(VALU_DEP_1) | instskip(NEXT) | instid1(VALU_DEP_2)
	v_add_co_ci_u32_e64 v3, s1, v111, v1, s1
	v_mad_u64_u32 v[0:1], null, v2, 36, s[16:17]
	s_delay_alu instid0(VALU_DEP_1)
	v_mad_i32_i24 v1, v3, 36, v1
	global_load_b32 v0, v[0:1], off
	s_waitcnt vmcnt(0)
	v_cvt_f32_f16_e32 v0, v0
	ds_store_b32 v92, v0
.LBB229_35:                             ;   in Loop: Header=BB229_5 Depth=1
	s_or_b32 exec_lo, exec_lo, s18
	v_dual_mov_b32 v138, v116 :: v_dual_mov_b32 v139, v117
	s_mov_b32 s1, 24
	s_mov_b32 s25, 22
	;; [unrolled: 1-line block ×3, first 2 shown]
	s_waitcnt lgkmcnt(0)
	s_barrier
	buffer_gl0_inv
.LBB229_36:                             ;   Parent Loop BB229_5 Depth=1
                                        ; =>  This Inner Loop Header: Depth=2
	s_add_i32 s19, s25, 2
	ds_load_b128 v[4:7], v138
	ds_load_b128 v[0:3], v138 offset:16
	s_and_b32 s27, s19, 0x3ffffff8
	s_lshr_b32 s26, s19, 4
	s_lshl_b32 s27, s27, 2
	s_lshl_b32 s28, s26, 2
	v_add_nc_u32_e32 v147, s27, v95
	v_add_nc_u32_e32 v148, s27, v99
	;; [unrolled: 1-line block ×4, first 2 shown]
	s_sub_i32 s24, s25, 22
	ds_load_2addr_b32 v[13:14], v147 offset1:1
	ds_load_2addr_b32 v[19:20], v148 offset1:1
	ds_load_2addr_b32 v[11:12], v147 offset0:6 offset1:7
	ds_load_2addr_b32 v[15:16], v147 offset0:2 offset1:3
	;; [unrolled: 1-line block ×3, first 2 shown]
	ds_load_b32 v141, v21
	v_add_nc_u32_e32 v161, s27, v106
	s_lshl_b32 s26, s26, 3
	v_add_nc_u32_e32 v138, 32, v138
	v_add_lshl_u32 v164, v94, s26, 2
	v_add_lshl_u32 v167, v98, s26, 2
	;; [unrolled: 1-line block ×3, first 2 shown]
	s_waitcnt lgkmcnt(7)
	v_perm_b32 v149, v6, v6, 0x30201
	s_waitcnt lgkmcnt(6)
	v_perm_b32 v156, v0, v0, 0x30201
	v_perm_b32 v157, v1, v1, 0x30201
	;; [unrolled: 1-line block ×4, first 2 shown]
	v_add_nc_u32_e32 v6, 0x4208, v164
	v_perm_b32 v150, v4, v4, 0x30201
	v_perm_b32 v151, v5, v5, 0x30201
	;; [unrolled: 1-line block ×3, first 2 shown]
	s_waitcnt lgkmcnt(5)
	v_ashrrev_i32_e32 v152, s24, v13
	s_waitcnt lgkmcnt(4)
	v_ashrrev_i32_e32 v154, s24, v19
	v_ashrrev_i32_e32 v155, s24, v20
	ds_load_2addr_b32 v[2:3], v158 offset1:1
	ds_load_2addr_b32 v[0:1], v158 offset0:6 offset1:7
	ds_load_2addr_b32 v[19:20], v158 offset0:2 offset1:3
	v_ashrrev_i32_e32 v153, s24, v14
	v_bfe_u32 v174, v152, 24, 2
	v_and_b32_e32 v152, 0x3030303, v152
	v_add_nc_u32_e32 v27, 0x4208, v170
	v_add_lshl_u32 v173, v105, s26, 2
	s_and_b32 s26, s1, -16
	s_waitcnt lgkmcnt(5)
	v_ashrrev_i32_e32 v15, s24, v15
	s_add_i32 s25, s25, s26
	s_waitcnt lgkmcnt(4)
	v_ashrrev_i32_e32 v17, s24, v17
	v_ashrrev_i32_e32 v11, s24, v11
	;; [unrolled: 1-line block ×3, first 2 shown]
	s_add_i32 s1, s1, 2
	s_waitcnt lgkmcnt(2)
	v_ashrrev_i32_e32 v159, s24, v2
	v_add_nc_u32_e32 v2, s28, v103
	v_ashrrev_i32_e32 v160, s24, v3
	ds_load_2addr_b32 v[21:22], v161 offset0:2 offset1:3
	ds_load_b32 v142, v2
	ds_load_2addr_b32 v[2:3], v161 offset1:1
	s_waitcnt lgkmcnt(3)
	v_ashrrev_i32_e32 v19, s24, v19
	v_ashrrev_i32_e32 v0, s24, v0
	;; [unrolled: 1-line block ×3, first 2 shown]
	s_waitcnt lgkmcnt(2)
	v_ashrrev_i32_e32 v21, s24, v21
	s_waitcnt lgkmcnt(0)
	v_ashrrev_i32_e32 v162, s24, v2
	v_add_nc_u32_e32 v2, 0x4200, v164
	v_ashrrev_i32_e32 v163, s24, v3
	v_add_nc_u32_e32 v3, 0x4218, v164
	ds_load_2addr_b32 v[4:5], v2 offset1:1
	ds_load_2addr_b32 v[2:3], v3 offset1:1
	;; [unrolled: 1-line block ×3, first 2 shown]
	s_waitcnt lgkmcnt(2)
	v_ashrrev_i32_e32 v165, s18, v4
	v_add_nc_u32_e32 v4, 0x4200, v167
	v_ashrrev_i32_e32 v166, s18, v5
	v_add_nc_u32_e32 v5, 0x4208, v167
	ds_load_2addr_b32 v[6:7], v4 offset1:1
	ds_load_2addr_b32 v[25:26], v5 offset1:1
	ds_load_2addr_b32 v[4:5], v148 offset0:6 offset1:7
	v_lshlrev_b32_e32 v165, 2, v165
	v_lshlrev_b32_e32 v166, 2, v166
	s_waitcnt lgkmcnt(3)
	v_ashrrev_i32_e32 v23, s18, v23
	v_ashrrev_i32_e32 v2, s18, v2
	;; [unrolled: 1-line block ×3, first 2 shown]
	v_and_b32_e32 v165, 0x4040404, v165
	v_and_b32_e32 v166, 0x4040404, v166
	v_lshlrev_b32_e32 v23, 2, v23
	v_lshlrev_b32_e32 v2, 2, v2
	;; [unrolled: 1-line block ×3, first 2 shown]
	v_lshrrev_b32_e32 v175, 24, v165
	v_lshrrev_b32_e32 v176, 16, v165
	;; [unrolled: 1-line block ×4, first 2 shown]
	v_and_b32_e32 v23, 0x4040404, v23
	v_sub_nc_u16 v174, v174, v175
	v_lshrrev_b32_e32 v175, 16, v152
	s_waitcnt lgkmcnt(2)
	v_ashrrev_i32_e32 v168, s18, v6
	v_add_nc_u32_e32 v6, 0x4200, v170
	v_ashrrev_i32_e32 v169, s18, v7
	v_add_nc_u32_e32 v7, 0x4218, v170
	v_sub_nc_u16 v175, v175, v176
	v_lshrrev_b16 v176, 8, v152
	v_sub_nc_u16 v152, v152, v165
	v_lshrrev_b16 v165, 8, v165
	v_lshlrev_b32_e32 v168, 2, v168
	ds_load_2addr_b32 v[13:14], v6 offset1:1
	ds_load_2addr_b32 v[6:7], v7 offset1:1
	ds_load_2addr_b32 v[27:28], v27 offset1:1
	v_lshlrev_b32_e32 v169, 2, v169
	v_lshlrev_b16 v174, 8, v174
	v_sub_nc_u16 v165, v176, v165
	v_bfe_u32 v176, v153, 24, 2
	v_and_b32_e32 v153, 0x3030303, v153
	v_and_b32_e32 v168, 0x4040404, v168
	;; [unrolled: 1-line block ×3, first 2 shown]
	v_lshlrev_b16 v165, 8, v165
	v_sub_nc_u16 v176, v176, v177
	v_lshrrev_b32_e32 v177, 16, v153
	v_lshrrev_b32_e32 v179, 24, v168
	;; [unrolled: 1-line block ×5, first 2 shown]
	v_sub_nc_u16 v177, v177, v178
	v_lshrrev_b16 v178, 8, v153
	v_sub_nc_u16 v153, v153, v166
	v_lshrrev_b16 v166, 8, v166
	s_waitcnt lgkmcnt(2)
	v_ashrrev_i32_e32 v171, s18, v13
	v_add_nc_u32_e32 v13, 0x4200, v173
	v_ashrrev_i32_e32 v172, s18, v14
	v_add_nc_u32_e32 v14, 0x4208, v173
	v_sub_nc_u16 v166, v178, v166
	v_bfe_u32 v178, v154, 24, 2
	v_and_b32_e32 v154, 0x3030303, v154
	v_lshlrev_b32_e32 v171, 2, v171
	ds_load_2addr_b32 v[145:146], v13 offset1:1
	ds_load_2addr_b32 v[29:30], v14 offset1:1
	ds_load_2addr_b32 v[13:14], v161 offset0:6 offset1:7
	v_lshlrev_b32_e32 v172, 2, v172
	v_sub_nc_u16 v178, v178, v179
	v_lshrrev_b32_e32 v179, 16, v154
	v_and_b32_e32 v171, 0x4040404, v171
	v_lshlrev_b16 v176, 8, v176
	v_and_b32_e32 v172, 0x4040404, v172
	v_lshlrev_b16 v166, 8, v166
	v_sub_nc_u16 v179, v179, v180
	v_lshrrev_b16 v180, 8, v154
	v_sub_nc_u16 v154, v154, v168
	v_lshrrev_b16 v168, 8, v168
	v_lshrrev_b32_e32 v183, 24, v171
	v_lshrrev_b32_e32 v184, 16, v171
	;; [unrolled: 1-line block ×4, first 2 shown]
	v_sub_nc_u16 v168, v180, v168
	v_bfe_u32 v180, v155, 24, 2
	v_and_b32_e32 v155, 0x3030303, v155
	s_waitcnt lgkmcnt(2)
	v_ashrrev_i32_e32 v145, s18, v145
	v_ashrrev_i32_e32 v146, s18, v146
	v_lshlrev_b16 v178, 8, v178
	v_sub_nc_u16 v180, v180, v181
	v_lshrrev_b32_e32 v181, 16, v155
	v_lshlrev_b32_e32 v145, 2, v145
	v_lshlrev_b32_e32 v146, 2, v146
	v_lshlrev_b16 v168, 8, v168
	v_lshlrev_b16 v180, 8, v180
	v_sub_nc_u16 v181, v181, v182
	v_lshrrev_b16 v182, 8, v155
	v_sub_nc_u16 v155, v155, v169
	v_lshrrev_b16 v169, 8, v169
	v_and_b32_e32 v145, 0x4040404, v145
	v_and_b32_e32 v146, 0x4040404, v146
	v_ashrrev_i32_e32 v25, s18, v25
	v_ashrrev_i32_e32 v27, s18, v27
	v_sub_nc_u16 v169, v182, v169
	v_bfe_u32 v182, v159, 24, 2
	v_and_b32_e32 v159, 0x3030303, v159
	v_lshrrev_b32_e32 v187, 24, v145
	v_lshrrev_b32_e32 v188, 16, v145
	;; [unrolled: 1-line block ×3, first 2 shown]
	v_sub_nc_u16 v182, v182, v183
	v_lshrrev_b32_e32 v183, 16, v159
	v_lshrrev_b32_e32 v190, 16, v146
	v_lshlrev_b16 v169, 8, v169
	v_lshlrev_b32_e32 v25, 2, v25
	v_lshlrev_b16 v182, 8, v182
	v_sub_nc_u16 v183, v183, v184
	v_lshrrev_b16 v184, 8, v159
	v_sub_nc_u16 v159, v159, v171
	v_lshrrev_b16 v171, 8, v171
	v_and_b32_e32 v25, 0x4040404, v25
	v_lshlrev_b32_e32 v27, 2, v27
	s_waitcnt lgkmcnt(1)
	v_ashrrev_i32_e32 v29, s18, v29
	v_and_b32_e32 v2, 0x4040404, v2
	v_sub_nc_u16 v171, v184, v171
	v_bfe_u32 v184, v160, 24, 2
	v_and_b32_e32 v160, 0x3030303, v160
	v_and_b32_e32 v27, 0x4040404, v27
	v_lshlrev_b32_e32 v29, 2, v29
	v_lshlrev_b16 v171, 8, v171
	v_sub_nc_u16 v184, v184, v185
	v_lshrrev_b32_e32 v185, 16, v160
	v_ashrrev_i32_e32 v4, s24, v4
	v_and_b32_e32 v29, 0x4040404, v29
	v_ashrrev_i32_e32 v6, s18, v6
	v_lshlrev_b16 v184, 8, v184
	v_sub_nc_u16 v185, v185, v186
	v_lshrrev_b16 v186, 8, v160
	v_sub_nc_u16 v160, v160, v172
	v_lshrrev_b16 v172, 8, v172
	v_lshlrev_b32_e32 v6, 2, v6
	s_waitcnt lgkmcnt(0)
	v_ashrrev_i32_e32 v13, s24, v13
	v_and_b32_e32 v3, 0x4040404, v3
	v_ashrrev_i32_e32 v5, s24, v5
	v_sub_nc_u16 v172, v186, v172
	v_bfe_u32 v186, v162, 24, 2
	v_and_b32_e32 v162, 0x3030303, v162
	v_and_b32_e32 v6, 0x4040404, v6
	v_ashrrev_i32_e32 v7, s18, v7
	v_lshlrev_b16 v172, 8, v172
	v_sub_nc_u16 v186, v186, v187
	v_lshrrev_b32_e32 v187, 16, v162
	v_ashrrev_i32_e32 v14, s24, v14
	v_lshlrev_b32_e32 v7, 2, v7
	s_delay_alu instid0(VALU_DEP_4) | instskip(NEXT) | instid1(VALU_DEP_4)
	v_lshlrev_b16 v186, 8, v186
	v_sub_nc_u16 v187, v187, v188
	v_lshrrev_b16 v188, 8, v162
	v_sub_nc_u16 v162, v162, v145
	v_lshrrev_b16 v145, 8, v145
	v_and_b32_e32 v7, 0x4040404, v7
	s_delay_alu instid0(VALU_DEP_2) | instskip(SKIP_2) | instid1(VALU_DEP_3)
	v_sub_nc_u16 v145, v188, v145
	v_bfe_u32 v188, v163, 24, 2
	v_and_b32_e32 v163, 0x3030303, v163
	v_lshlrev_b16 v145, 8, v145
	s_delay_alu instid0(VALU_DEP_3) | instskip(NEXT) | instid1(VALU_DEP_3)
	v_sub_nc_u16 v188, v188, v189
	v_lshrrev_b32_e32 v189, 16, v163
	s_delay_alu instid0(VALU_DEP_2) | instskip(NEXT) | instid1(VALU_DEP_2)
	v_lshlrev_b16 v188, 8, v188
	v_sub_nc_u16 v189, v189, v190
	v_lshrrev_b16 v190, 8, v163
	v_sub_nc_u16 v163, v163, v146
	v_lshrrev_b16 v146, 8, v146
	s_delay_alu instid0(VALU_DEP_1) | instskip(SKIP_1) | instid1(VALU_DEP_2)
	v_sub_nc_u16 v146, v190, v146
	v_and_b32_e32 v190, 0xff, v175
	v_lshlrev_b16 v146, 8, v146
	s_delay_alu instid0(VALU_DEP_2) | instskip(SKIP_1) | instid1(VALU_DEP_2)
	v_or_b32_e32 v174, v190, v174
	v_and_b32_e32 v190, 0xff, v152
	v_perm_b32 v152, v152, v174, 0x4010c0c
	s_delay_alu instid0(VALU_DEP_2) | instskip(SKIP_1) | instid1(VALU_DEP_2)
	v_or_b32_e32 v165, v190, v165
	v_and_b32_e32 v190, 0xff, v177
	v_perm_b32 v165, v175, v165, 0xc0c0401
	s_delay_alu instid0(VALU_DEP_2) | instskip(SKIP_1) | instid1(VALU_DEP_3)
	v_or_b32_e32 v176, v190, v176
	v_and_b32_e32 v190, 0xff, v153
	v_or_b32_e32 v152, v152, v165
	s_delay_alu instid0(VALU_DEP_3) | instskip(NEXT) | instid1(VALU_DEP_3)
	v_perm_b32 v153, v153, v176, 0x4010c0c
	v_or_b32_e32 v166, v190, v166
	v_and_b32_e32 v190, 0xff, v179
	s_delay_alu instid0(VALU_DEP_4) | instskip(NEXT) | instid1(VALU_DEP_3)
	v_dot4_i32_iu8 v152, v152, v150, 0 neg_lo:[1,1,0]
	v_perm_b32 v166, v177, v166, 0xc0c0401
	s_delay_alu instid0(VALU_DEP_3) | instskip(SKIP_1) | instid1(VALU_DEP_3)
	v_or_b32_e32 v178, v190, v178
	v_and_b32_e32 v190, 0xff, v154
	v_or_b32_e32 v153, v153, v166
	s_delay_alu instid0(VALU_DEP_3) | instskip(NEXT) | instid1(VALU_DEP_3)
	v_perm_b32 v154, v154, v178, 0x4010c0c
	v_or_b32_e32 v168, v190, v168
	v_and_b32_e32 v190, 0xff, v181
	s_delay_alu instid0(VALU_DEP_2) | instskip(NEXT) | instid1(VALU_DEP_2)
	v_perm_b32 v168, v179, v168, 0xc0c0401
	v_or_b32_e32 v180, v190, v180
	v_and_b32_e32 v190, 0xff, v155
	s_delay_alu instid0(VALU_DEP_3) | instskip(NEXT) | instid1(VALU_DEP_3)
	v_or_b32_e32 v154, v154, v168
	v_perm_b32 v155, v155, v180, 0x4010c0c
	s_delay_alu instid0(VALU_DEP_3) | instskip(SKIP_1) | instid1(VALU_DEP_4)
	v_or_b32_e32 v169, v190, v169
	v_and_b32_e32 v190, 0xff, v183
	v_dot4_i32_iu8 v154, v154, v150, 0 neg_lo:[1,1,0]
	s_delay_alu instid0(VALU_DEP_3) | instskip(NEXT) | instid1(VALU_DEP_3)
	v_perm_b32 v169, v181, v169, 0xc0c0401
	v_or_b32_e32 v182, v190, v182
	v_and_b32_e32 v190, 0xff, v159
	s_delay_alu instid0(VALU_DEP_3) | instskip(NEXT) | instid1(VALU_DEP_3)
	v_or_b32_e32 v155, v155, v169
	v_perm_b32 v159, v159, v182, 0x4010c0c
	s_delay_alu instid0(VALU_DEP_3) | instskip(SKIP_1) | instid1(VALU_DEP_2)
	v_or_b32_e32 v171, v190, v171
	v_and_b32_e32 v190, 0xff, v185
	v_perm_b32 v171, v183, v171, 0xc0c0401
	s_delay_alu instid0(VALU_DEP_2) | instskip(SKIP_1) | instid1(VALU_DEP_3)
	v_or_b32_e32 v184, v190, v184
	v_and_b32_e32 v190, 0xff, v160
	v_or_b32_e32 v159, v159, v171
	s_delay_alu instid0(VALU_DEP_3) | instskip(NEXT) | instid1(VALU_DEP_3)
	v_perm_b32 v160, v160, v184, 0x4010c0c
	v_or_b32_e32 v172, v190, v172
	v_and_b32_e32 v190, 0xff, v187
	s_delay_alu instid0(VALU_DEP_4) | instskip(NEXT) | instid1(VALU_DEP_3)
	v_dot4_i32_iu8 v159, v159, v150, 0 neg_lo:[1,1,0]
	v_perm_b32 v172, v185, v172, 0xc0c0401
	s_delay_alu instid0(VALU_DEP_3) | instskip(SKIP_1) | instid1(VALU_DEP_3)
	v_or_b32_e32 v186, v190, v186
	v_and_b32_e32 v190, 0xff, v162
	v_or_b32_e32 v160, v160, v172
	s_delay_alu instid0(VALU_DEP_3) | instskip(NEXT) | instid1(VALU_DEP_3)
	v_perm_b32 v162, v162, v186, 0x4010c0c
	v_or_b32_e32 v145, v190, v145
	v_and_b32_e32 v190, 0xff, v189
	s_delay_alu instid0(VALU_DEP_4) | instskip(NEXT) | instid1(VALU_DEP_3)
	v_dot4_i32_iu8 v159, v160, v151, v159 neg_lo:[1,1,0]
	v_perm_b32 v145, v187, v145, 0xc0c0401
	s_delay_alu instid0(VALU_DEP_3) | instskip(SKIP_1) | instid1(VALU_DEP_3)
	v_or_b32_e32 v188, v190, v188
	v_and_b32_e32 v190, 0xff, v163
	v_or_b32_e32 v145, v162, v145
	s_delay_alu instid0(VALU_DEP_3) | instskip(NEXT) | instid1(VALU_DEP_3)
	v_perm_b32 v163, v163, v188, 0x4010c0c
	v_or_b32_e32 v146, v190, v146
	v_dot4_i32_iu8 v162, v153, v151, v152 neg_lo:[1,1,0]
	v_add_nc_u32_e32 v152, 0x4210, v173
	v_dot4_i32_iu8 v145, v145, v150, 0 neg_lo:[1,1,0]
	v_add_nc_u32_e32 v150, 0x4218, v167
	v_perm_b32 v146, v189, v146, 0xc0c0401
	s_delay_alu instid0(VALU_DEP_1) | instskip(SKIP_2) | instid1(VALU_DEP_3)
	v_or_b32_e32 v146, v163, v146
	v_dot4_i32_iu8 v163, v155, v151, v154 neg_lo:[1,1,0]
	v_add_nc_u32_e32 v154, 0x4218, v173
	v_dot4_i32_iu8 v160, v146, v151, v145 neg_lo:[1,1,0]
	ds_load_2addr_b32 v[145:146], v147 offset0:4 offset1:5
	v_add_nc_u32_e32 v147, 0x4210, v167
	s_waitcnt lgkmcnt(0)
	v_ashrrev_i32_e32 v165, s24, v145
	v_ashrrev_i32_e32 v166, s24, v146
	ds_load_2addr_b32 v[145:146], v148 offset0:4 offset1:5
	v_bfe_u32 v173, v165, 24, 2
	v_and_b32_e32 v165, 0x3030303, v165
	s_waitcnt lgkmcnt(0)
	v_ashrrev_i32_e32 v168, s24, v145
	v_ashrrev_i32_e32 v169, s24, v146
	ds_load_2addr_b32 v[145:146], v158 offset0:4 offset1:5
	s_waitcnt lgkmcnt(0)
	v_ashrrev_i32_e32 v158, s24, v145
	v_ashrrev_i32_e32 v171, s24, v146
	ds_load_2addr_b32 v[145:146], v161 offset0:4 offset1:5
	s_waitcnt lgkmcnt(0)
	v_ashrrev_i32_e32 v161, s24, v145
	v_add_nc_u32_e32 v145, 0x4210, v164
	v_ashrrev_i32_e32 v172, s24, v146
	ds_load_2addr_b32 v[145:146], v145 offset1:1
	s_waitcnt lgkmcnt(0)
	v_ashrrev_i32_e32 v164, s18, v145
	v_add_nc_u32_e32 v145, s25, v124
	v_ashrrev_i32_e32 v174, s18, v146
	s_delay_alu instid0(VALU_DEP_3)
	v_lshlrev_b32_e32 v164, 2, v164
	ds_load_u16 v146, v145 offset:26354
	v_add_nc_u32_e32 v145, s28, v100
	ds_load_b32 v145, v145
	ds_load_2addr_b32 v[147:148], v147 offset1:1
	ds_load_2addr_b32 v[150:151], v150 offset1:1
	v_and_b32_e32 v164, 0x4040404, v164
	v_lshlrev_b32_e32 v174, 2, v174
	s_delay_alu instid0(VALU_DEP_2) | instskip(SKIP_1) | instid1(VALU_DEP_3)
	v_lshrrev_b32_e32 v177, 24, v164
	v_lshrrev_b32_e32 v178, 16, v164
	v_and_b32_e32 v174, 0x4040404, v174
	s_delay_alu instid0(VALU_DEP_3) | instskip(SKIP_1) | instid1(VALU_DEP_3)
	v_sub_nc_u16 v173, v173, v177
	v_lshrrev_b32_e32 v177, 16, v165
	v_lshrrev_b32_e32 v179, 24, v174
	;; [unrolled: 1-line block ×3, first 2 shown]
	s_delay_alu instid0(VALU_DEP_4) | instskip(NEXT) | instid1(VALU_DEP_4)
	v_lshlrev_b16 v173, 8, v173
	v_sub_nc_u16 v177, v177, v178
	v_lshrrev_b16 v178, 8, v165
	v_sub_nc_u16 v165, v165, v164
	v_lshrrev_b16 v164, 8, v164
	s_waitcnt lgkmcnt(1)
	v_ashrrev_i32_e32 v167, s18, v147
	v_add_nc_u32_e32 v147, 0x4210, v170
	v_ashrrev_i32_e32 v175, s18, v148
	v_sub_nc_u16 v164, v178, v164
	v_bfe_u32 v178, v166, 24, 2
	v_and_b32_e32 v166, 0x3030303, v166
	v_lshlrev_b32_e32 v167, 2, v167
	ds_load_2addr_b32 v[147:148], v147 offset1:1
	v_lshlrev_b32_e32 v175, 2, v175
	v_sub_nc_u16 v178, v178, v179
	v_lshrrev_b32_e32 v179, 16, v166
	v_and_b32_e32 v167, 0x4040404, v167
	v_lshlrev_b16 v164, 8, v164
	v_and_b32_e32 v175, 0x4040404, v175
	v_lshlrev_b16 v178, 8, v178
	v_sub_nc_u16 v179, v179, v180
	v_lshrrev_b16 v180, 8, v166
	v_sub_nc_u16 v166, v166, v174
	v_lshrrev_b16 v174, 8, v174
	v_lshrrev_b32_e32 v181, 24, v167
	v_lshrrev_b32_e32 v182, 16, v167
	v_lshrrev_b32_e32 v183, 24, v175
	v_lshrrev_b32_e32 v184, 16, v175
	v_sub_nc_u16 v174, v180, v174
	v_bfe_u32 v180, v168, 24, 2
	v_and_b32_e32 v168, 0x3030303, v168
	s_waitcnt lgkmcnt(0)
	v_ashrrev_i32_e32 v170, s18, v147
	v_add_nc_u32_e32 v147, s25, v122
	v_sub_nc_u16 v180, v180, v181
	v_lshrrev_b32_e32 v181, 16, v168
	v_ashrrev_i32_e32 v176, s18, v148
	v_lshlrev_b32_e32 v170, 2, v170
	ds_load_u16 v148, v147 offset:28402
	v_add_nc_u32_e32 v147, s28, v107
	v_sub_nc_u16 v181, v181, v182
	v_lshrrev_b16 v182, 8, v168
	v_sub_nc_u16 v168, v168, v167
	v_lshrrev_b16 v167, 8, v167
	v_and_b32_e32 v170, 0x4040404, v170
	ds_load_b32 v147, v147
	ds_load_2addr_b32 v[152:153], v152 offset1:1
	ds_load_2addr_b32 v[154:155], v154 offset1:1
	v_lshlrev_b32_e32 v176, 2, v176
	v_lshlrev_b16 v174, 8, v174
	v_sub_nc_u16 v167, v182, v167
	v_bfe_u32 v182, v169, 24, 2
	v_and_b32_e32 v169, 0x3030303, v169
	v_lshrrev_b32_e32 v185, 24, v170
	v_lshrrev_b32_e32 v186, 16, v170
	v_and_b32_e32 v176, 0x4040404, v176
	v_sub_nc_u16 v182, v182, v183
	v_lshrrev_b32_e32 v183, 16, v169
	v_lshlrev_b16 v180, 8, v180
	v_lshlrev_b16 v167, 8, v167
	v_lshrrev_b32_e32 v187, 24, v176
	v_lshrrev_b32_e32 v188, 16, v176
	v_sub_nc_u16 v183, v183, v184
	v_lshrrev_b16 v184, 8, v169
	v_sub_nc_u16 v169, v169, v175
	v_lshrrev_b16 v175, 8, v175
	s_waitcnt lgkmcnt(1)
	v_ashrrev_i32_e32 v152, s18, v152
	v_ashrrev_i32_e32 v153, s18, v153
	v_lshlrev_b16 v182, 8, v182
	s_waitcnt lgkmcnt(0)
	v_ashrrev_i32_e32 v154, s18, v154
	v_sub_nc_u16 v175, v184, v175
	v_bfe_u32 v184, v158, 24, 2
	v_and_b32_e32 v158, 0x3030303, v158
	v_lshlrev_b32_e32 v152, 2, v152
	v_lshlrev_b32_e32 v153, 2, v153
	v_lshlrev_b16 v175, 8, v175
	v_sub_nc_u16 v184, v184, v185
	v_lshrrev_b32_e32 v185, 16, v158
	v_and_b32_e32 v152, 0x4040404, v152
	v_and_b32_e32 v153, 0x4040404, v153
	v_lshlrev_b32_e32 v154, 2, v154
	v_lshlrev_b16 v184, 8, v184
	v_sub_nc_u16 v185, v185, v186
	v_lshrrev_b16 v186, 8, v158
	v_sub_nc_u16 v158, v158, v170
	v_lshrrev_b16 v170, 8, v170
	v_lshrrev_b32_e32 v189, 24, v152
	v_lshrrev_b32_e32 v190, 16, v152
	;; [unrolled: 1-line block ×4, first 2 shown]
	v_sub_nc_u16 v170, v186, v170
	v_bfe_u32 v186, v171, 24, 2
	v_and_b32_e32 v171, 0x3030303, v171
	v_and_b32_e32 v154, 0x4040404, v154
	s_delay_alu instid0(VALU_DEP_4) | instskip(NEXT) | instid1(VALU_DEP_4)
	v_lshlrev_b16 v170, 8, v170
	v_sub_nc_u16 v186, v186, v187
	s_delay_alu instid0(VALU_DEP_4) | instskip(NEXT) | instid1(VALU_DEP_2)
	v_lshrrev_b32_e32 v187, 16, v171
	v_lshlrev_b16 v186, 8, v186
	s_delay_alu instid0(VALU_DEP_2) | instskip(SKIP_3) | instid1(VALU_DEP_1)
	v_sub_nc_u16 v187, v187, v188
	v_lshrrev_b16 v188, 8, v171
	v_sub_nc_u16 v171, v171, v176
	v_lshrrev_b16 v176, 8, v176
	v_sub_nc_u16 v176, v188, v176
	v_bfe_u32 v188, v161, 24, 2
	v_and_b32_e32 v161, 0x3030303, v161
	s_delay_alu instid0(VALU_DEP_3) | instskip(NEXT) | instid1(VALU_DEP_3)
	v_lshlrev_b16 v176, 8, v176
	v_sub_nc_u16 v188, v188, v189
	s_delay_alu instid0(VALU_DEP_3) | instskip(NEXT) | instid1(VALU_DEP_2)
	v_lshrrev_b32_e32 v189, 16, v161
	v_lshlrev_b16 v188, 8, v188
	s_delay_alu instid0(VALU_DEP_2) | instskip(SKIP_3) | instid1(VALU_DEP_1)
	v_sub_nc_u16 v189, v189, v190
	v_lshrrev_b16 v190, 8, v161
	v_sub_nc_u16 v161, v161, v152
	v_lshrrev_b16 v152, 8, v152
	v_sub_nc_u16 v152, v190, v152
	v_bfe_u32 v190, v172, 24, 2
	v_and_b32_e32 v172, 0x3030303, v172
	s_delay_alu instid0(VALU_DEP_3) | instskip(NEXT) | instid1(VALU_DEP_3)
	v_lshlrev_b16 v152, 8, v152
	v_sub_nc_u16 v190, v190, v191
	s_delay_alu instid0(VALU_DEP_3) | instskip(NEXT) | instid1(VALU_DEP_2)
	v_lshrrev_b32_e32 v191, 16, v172
	v_lshlrev_b16 v190, 8, v190
	s_delay_alu instid0(VALU_DEP_2) | instskip(SKIP_3) | instid1(VALU_DEP_1)
	v_sub_nc_u16 v191, v191, v192
	v_lshrrev_b16 v192, 8, v172
	v_sub_nc_u16 v172, v172, v153
	v_lshrrev_b16 v153, 8, v153
	v_sub_nc_u16 v153, v192, v153
	v_and_b32_e32 v192, 0xff, v177
	s_delay_alu instid0(VALU_DEP_2) | instskip(NEXT) | instid1(VALU_DEP_2)
	v_lshlrev_b16 v153, 8, v153
	v_or_b32_e32 v173, v192, v173
	v_and_b32_e32 v192, 0xff, v165
	s_delay_alu instid0(VALU_DEP_2) | instskip(NEXT) | instid1(VALU_DEP_2)
	v_perm_b32 v165, v165, v173, 0x4010c0c
	v_or_b32_e32 v164, v192, v164
	v_and_b32_e32 v192, 0xff, v179
	s_delay_alu instid0(VALU_DEP_2) | instskip(NEXT) | instid1(VALU_DEP_2)
	v_perm_b32 v164, v177, v164, 0xc0c0401
	v_or_b32_e32 v178, v192, v178
	v_and_b32_e32 v192, 0xff, v166
	s_delay_alu instid0(VALU_DEP_3) | instskip(NEXT) | instid1(VALU_DEP_3)
	v_or_b32_e32 v164, v165, v164
	v_perm_b32 v166, v166, v178, 0x4010c0c
	s_delay_alu instid0(VALU_DEP_3) | instskip(SKIP_1) | instid1(VALU_DEP_2)
	v_or_b32_e32 v174, v192, v174
	v_and_b32_e32 v192, 0xff, v181
	v_perm_b32 v173, v179, v174, 0xc0c0401
	s_delay_alu instid0(VALU_DEP_2) | instskip(SKIP_1) | instid1(VALU_DEP_3)
	v_or_b32_e32 v180, v192, v180
	v_and_b32_e32 v192, 0xff, v168
	v_or_b32_e32 v165, v166, v173
	s_delay_alu instid0(VALU_DEP_3) | instskip(NEXT) | instid1(VALU_DEP_3)
	v_perm_b32 v168, v168, v180, 0x4010c0c
	v_or_b32_e32 v167, v192, v167
	v_and_b32_e32 v192, 0xff, v183
	s_delay_alu instid0(VALU_DEP_2) | instskip(NEXT) | instid1(VALU_DEP_2)
	v_perm_b32 v167, v181, v167, 0xc0c0401
	v_or_b32_e32 v182, v192, v182
	v_and_b32_e32 v192, 0xff, v169
	s_delay_alu instid0(VALU_DEP_3) | instskip(NEXT) | instid1(VALU_DEP_3)
	v_or_b32_e32 v166, v168, v167
	v_perm_b32 v169, v169, v182, 0x4010c0c
	s_delay_alu instid0(VALU_DEP_3) | instskip(SKIP_1) | instid1(VALU_DEP_2)
	v_or_b32_e32 v175, v192, v175
	v_and_b32_e32 v192, 0xff, v185
	v_perm_b32 v174, v183, v175, 0xc0c0401
	s_delay_alu instid0(VALU_DEP_2) | instskip(SKIP_1) | instid1(VALU_DEP_3)
	v_or_b32_e32 v184, v192, v184
	v_and_b32_e32 v192, 0xff, v158
	v_or_b32_e32 v167, v169, v174
	s_delay_alu instid0(VALU_DEP_3) | instskip(NEXT) | instid1(VALU_DEP_3)
	v_perm_b32 v158, v158, v184, 0x4010c0c
	v_or_b32_e32 v170, v192, v170
	v_and_b32_e32 v192, 0xff, v187
	v_lshrrev_b32_e32 v169, 24, v29
	s_delay_alu instid0(VALU_DEP_3) | instskip(NEXT) | instid1(VALU_DEP_3)
	v_perm_b32 v170, v185, v170, 0xc0c0401
	v_or_b32_e32 v186, v192, v186
	v_and_b32_e32 v192, 0xff, v171
	s_delay_alu instid0(VALU_DEP_3) | instskip(NEXT) | instid1(VALU_DEP_3)
	v_or_b32_e32 v158, v158, v170
	v_perm_b32 v171, v171, v186, 0x4010c0c
	s_delay_alu instid0(VALU_DEP_3) | instskip(SKIP_3) | instid1(VALU_DEP_4)
	v_or_b32_e32 v176, v192, v176
	v_and_b32_e32 v192, 0xff, v189
	v_lshrrev_b32_e32 v170, 16, v29
	v_dot4_i32_iu8 v158, v158, v156, 0 neg_lo:[1,1,0]
	v_perm_b32 v175, v187, v176, 0xc0c0401
	s_delay_alu instid0(VALU_DEP_4) | instskip(SKIP_1) | instid1(VALU_DEP_3)
	v_or_b32_e32 v188, v192, v188
	v_and_b32_e32 v192, 0xff, v161
	v_or_b32_e32 v168, v171, v175
	s_delay_alu instid0(VALU_DEP_3) | instskip(NEXT) | instid1(VALU_DEP_3)
	v_perm_b32 v161, v161, v188, 0x4010c0c
	v_or_b32_e32 v152, v192, v152
	v_and_b32_e32 v192, 0xff, v191
	s_delay_alu instid0(VALU_DEP_4) | instskip(SKIP_1) | instid1(VALU_DEP_4)
	v_dot4_i32_iu8 v158, v168, v157, v158 neg_lo:[1,1,0]
	v_lshrrev_b32_e32 v168, 16, v27
	v_perm_b32 v152, v189, v152, 0xc0c0401
	s_delay_alu instid0(VALU_DEP_4) | instskip(SKIP_1) | instid1(VALU_DEP_3)
	v_or_b32_e32 v190, v192, v190
	v_and_b32_e32 v192, 0xff, v172
	v_or_b32_e32 v152, v161, v152
	s_delay_alu instid0(VALU_DEP_3) | instskip(NEXT) | instid1(VALU_DEP_3)
	v_perm_b32 v172, v172, v190, 0x4010c0c
	v_or_b32_e32 v153, v192, v153
	v_dot4_i32_iu8 v161, v164, v156, 0 neg_lo:[1,1,0]
	v_dot4_i32_iu8 v164, v166, v156, 0 neg_lo:[1,1,0]
	;; [unrolled: 1-line block ×3, first 2 shown]
	v_lshrrev_b32_e32 v166, 16, v25
	v_perm_b32 v153, v191, v153, 0xc0c0401
	v_dot4_i32_iu8 v156, v165, v157, v161 neg_lo:[1,1,0]
	v_dot4_i32_iu8 v161, v167, v157, v164 neg_lo:[1,1,0]
	v_lshrrev_b32_e32 v164, 16, v23
	v_lshrrev_b32_e32 v165, 24, v25
	v_or_b32_e32 v153, v172, v153
	v_lshrrev_b32_e32 v167, 24, v27
	s_delay_alu instid0(VALU_DEP_2) | instskip(SKIP_3) | instid1(VALU_DEP_2)
	v_dot4_i32_iu8 v152, v153, v157, v152 neg_lo:[1,1,0]
	v_bfe_u32 v153, v15, 24, 2
	v_lshrrev_b32_e32 v157, 24, v23
	v_and_b32_e32 v15, 0x3030303, v15
	v_sub_nc_u16 v153, v153, v157
	s_delay_alu instid0(VALU_DEP_2) | instskip(NEXT) | instid1(VALU_DEP_2)
	v_lshrrev_b32_e32 v157, 16, v15
	v_lshlrev_b16 v153, 8, v153
	s_delay_alu instid0(VALU_DEP_2) | instskip(SKIP_3) | instid1(VALU_DEP_1)
	v_sub_nc_u16 v157, v157, v164
	v_lshrrev_b16 v164, 8, v15
	v_sub_nc_u16 v15, v15, v23
	v_lshrrev_b16 v23, 8, v23
	v_sub_nc_u16 v23, v164, v23
	v_bfe_u32 v164, v17, 24, 2
	v_and_b32_e32 v17, 0x3030303, v17
	s_delay_alu instid0(VALU_DEP_3) | instskip(NEXT) | instid1(VALU_DEP_3)
	v_lshlrev_b16 v23, 8, v23
	v_sub_nc_u16 v164, v164, v165
	s_delay_alu instid0(VALU_DEP_3) | instskip(NEXT) | instid1(VALU_DEP_2)
	v_lshrrev_b32_e32 v165, 16, v17
	v_lshlrev_b16 v164, 8, v164
	s_delay_alu instid0(VALU_DEP_2) | instskip(SKIP_3) | instid1(VALU_DEP_1)
	v_sub_nc_u16 v165, v165, v166
	v_lshrrev_b16 v166, 8, v17
	v_sub_nc_u16 v17, v17, v25
	v_lshrrev_b16 v25, 8, v25
	v_sub_nc_u16 v25, v166, v25
	v_bfe_u32 v166, v19, 24, 2
	v_and_b32_e32 v19, 0x3030303, v19
	s_delay_alu instid0(VALU_DEP_3) | instskip(NEXT) | instid1(VALU_DEP_3)
	v_lshlrev_b16 v25, 8, v25
	v_sub_nc_u16 v166, v166, v167
	s_delay_alu instid0(VALU_DEP_3) | instskip(NEXT) | instid1(VALU_DEP_2)
	;; [unrolled: 14-line block ×3, first 2 shown]
	v_lshrrev_b32_e32 v169, 16, v21
	v_lshlrev_b16 v168, 8, v168
	s_delay_alu instid0(VALU_DEP_2) | instskip(SKIP_3) | instid1(VALU_DEP_1)
	v_sub_nc_u16 v169, v169, v170
	v_lshrrev_b16 v170, 8, v21
	v_sub_nc_u16 v21, v21, v29
	v_lshrrev_b16 v29, 8, v29
	v_sub_nc_u16 v29, v170, v29
	v_and_b32_e32 v170, 0xff, v157
	s_delay_alu instid0(VALU_DEP_2) | instskip(NEXT) | instid1(VALU_DEP_2)
	v_lshlrev_b16 v29, 8, v29
	v_or_b32_e32 v153, v170, v153
	v_and_b32_e32 v170, 0xff, v15
	s_delay_alu instid0(VALU_DEP_2) | instskip(NEXT) | instid1(VALU_DEP_2)
	v_perm_b32 v15, v15, v153, 0x4010c0c
	v_or_b32_e32 v23, v170, v23
	v_and_b32_e32 v170, 0xff, v165
	v_lshrrev_b32_e32 v153, 24, v6
	s_delay_alu instid0(VALU_DEP_3) | instskip(NEXT) | instid1(VALU_DEP_3)
	v_perm_b32 v23, v157, v23, 0xc0c0401
	v_or_b32_e32 v164, v170, v164
	v_and_b32_e32 v170, 0xff, v17
	v_lshrrev_b32_e32 v157, 16, v6
	s_delay_alu instid0(VALU_DEP_4) | instskip(NEXT) | instid1(VALU_DEP_4)
	v_or_b32_e32 v15, v15, v23
	v_perm_b32 v17, v17, v164, 0x4010c0c
	s_delay_alu instid0(VALU_DEP_4)
	v_or_b32_e32 v25, v170, v25
	v_and_b32_e32 v170, 0xff, v167
	v_bfe_u32 v23, v11, 24, 2
	v_and_b32_e32 v11, 0x3030303, v11
	v_dot4_i32_iu8 v15, v15, v149, v162 neg_lo:[1,1,0]
	v_perm_b32 v25, v165, v25, 0xc0c0401
	v_or_b32_e32 v166, v170, v166
	v_and_b32_e32 v170, 0xff, v19
	s_delay_alu instid0(VALU_DEP_3) | instskip(NEXT) | instid1(VALU_DEP_3)
	v_or_b32_e32 v17, v17, v25
	v_perm_b32 v19, v19, v166, 0x4010c0c
	s_delay_alu instid0(VALU_DEP_3) | instskip(SKIP_3) | instid1(VALU_DEP_4)
	v_or_b32_e32 v27, v170, v27
	v_lshrrev_b32_e32 v25, 24, v2
	v_and_b32_e32 v170, 0xff, v169
	v_dot4_i32_iu8 v17, v17, v149, v163 neg_lo:[1,1,0]
	v_perm_b32 v27, v167, v27, 0xc0c0401
	s_delay_alu instid0(VALU_DEP_4)
	v_sub_nc_u16 v23, v23, v25
	v_lshrrev_b32_e32 v25, 16, v11
	v_or_b32_e32 v168, v170, v168
	v_and_b32_e32 v170, 0xff, v21
	v_or_b32_e32 v19, v19, v27
	v_lshrrev_b32_e32 v27, 16, v2
	v_lshlrev_b16 v23, 8, v23
	v_perm_b32 v21, v21, v168, 0x4010c0c
	v_or_b32_e32 v29, v170, v29
	v_dot4_i32_iu8 v19, v19, v149, v159 neg_lo:[1,1,0]
	v_sub_nc_u16 v25, v25, v27
	v_lshrrev_b16 v27, 8, v11
	v_sub_nc_u16 v11, v11, v2
	v_lshrrev_b16 v2, 8, v2
	v_perm_b32 v29, v169, v29, 0xc0c0401
	v_lshrrev_b32_e32 v159, 24, v154
	s_delay_alu instid0(VALU_DEP_3) | instskip(SKIP_1) | instid1(VALU_DEP_4)
	v_sub_nc_u16 v2, v27, v2
	v_ashrrev_i32_e32 v27, s18, v150
	v_or_b32_e32 v21, v21, v29
	v_bfe_u32 v29, v4, 24, 2
	v_and_b32_e32 v4, 0x3030303, v4
	v_lshlrev_b16 v2, 8, v2
	v_lshlrev_b32_e32 v27, 2, v27
	v_dot4_i32_iu8 v21, v21, v149, v160 neg_lo:[1,1,0]
	v_lshrrev_b32_e32 v160, 16, v154
	s_delay_alu instid0(VALU_DEP_3) | instskip(NEXT) | instid1(VALU_DEP_1)
	v_and_b32_e32 v27, 0x4040404, v27
	v_lshrrev_b32_e32 v149, 24, v27
	v_lshrrev_b32_e32 v150, 16, v27
	s_delay_alu instid0(VALU_DEP_2) | instskip(SKIP_1) | instid1(VALU_DEP_2)
	v_sub_nc_u16 v29, v29, v149
	v_lshrrev_b32_e32 v149, 16, v4
	v_lshlrev_b16 v29, 8, v29
	s_delay_alu instid0(VALU_DEP_2) | instskip(SKIP_3) | instid1(VALU_DEP_1)
	v_sub_nc_u16 v149, v149, v150
	v_lshrrev_b16 v150, 8, v4
	v_sub_nc_u16 v4, v4, v27
	v_lshrrev_b16 v27, 8, v27
	v_sub_nc_u16 v27, v150, v27
	v_bfe_u32 v150, v0, 24, 2
	v_and_b32_e32 v0, 0x3030303, v0
	s_delay_alu instid0(VALU_DEP_3) | instskip(NEXT) | instid1(VALU_DEP_3)
	v_lshlrev_b16 v27, 8, v27
	v_sub_nc_u16 v150, v150, v153
	s_delay_alu instid0(VALU_DEP_3) | instskip(NEXT) | instid1(VALU_DEP_2)
	v_lshrrev_b32_e32 v153, 16, v0
	v_lshlrev_b16 v150, 8, v150
	s_delay_alu instid0(VALU_DEP_2) | instskip(SKIP_3) | instid1(VALU_DEP_1)
	v_sub_nc_u16 v153, v153, v157
	v_lshrrev_b16 v157, 8, v0
	v_sub_nc_u16 v0, v0, v6
	v_lshrrev_b16 v6, 8, v6
	v_sub_nc_u16 v6, v157, v6
	v_bfe_u32 v157, v13, 24, 2
	v_and_b32_e32 v13, 0x3030303, v13
	s_delay_alu instid0(VALU_DEP_3) | instskip(NEXT) | instid1(VALU_DEP_3)
	v_lshlrev_b16 v6, 8, v6
	v_sub_nc_u16 v157, v157, v159
	s_delay_alu instid0(VALU_DEP_3) | instskip(NEXT) | instid1(VALU_DEP_2)
	v_lshrrev_b32_e32 v159, 16, v13
	v_lshlrev_b16 v157, 8, v157
	s_delay_alu instid0(VALU_DEP_2) | instskip(SKIP_3) | instid1(VALU_DEP_1)
	v_sub_nc_u16 v159, v159, v160
	v_lshrrev_b16 v160, 8, v13
	v_sub_nc_u16 v13, v13, v154
	v_lshrrev_b16 v154, 8, v154
	v_sub_nc_u16 v154, v160, v154
	v_and_b32_e32 v160, 0xff, v25
	s_delay_alu instid0(VALU_DEP_2) | instskip(NEXT) | instid1(VALU_DEP_2)
	v_lshlrev_b16 v154, 8, v154
	v_or_b32_e32 v23, v160, v23
	v_and_b32_e32 v160, 0xff, v11
	s_delay_alu instid0(VALU_DEP_2) | instskip(NEXT) | instid1(VALU_DEP_2)
	v_perm_b32 v11, v11, v23, 0x4010c0c
	v_or_b32_e32 v2, v160, v2
	v_and_b32_e32 v160, 0xff, v149
	s_delay_alu instid0(VALU_DEP_2) | instskip(NEXT) | instid1(VALU_DEP_2)
	v_perm_b32 v2, v25, v2, 0xc0c0401
	v_or_b32_e32 v29, v160, v29
	v_and_b32_e32 v160, 0xff, v4
	s_delay_alu instid0(VALU_DEP_3) | instskip(SKIP_1) | instid1(VALU_DEP_3)
	v_or_b32_e32 v2, v11, v2
	v_ashrrev_i32_e32 v11, s24, v16
	v_or_b32_e32 v27, v160, v27
	v_and_b32_e32 v160, 0xff, v153
	v_ashrrev_i32_e32 v16, s24, v20
	v_ashrrev_i32_e32 v20, s18, v24
	v_perm_b32 v4, v4, v29, 0x4010c0c
	v_perm_b32 v23, v149, v27, 0xc0c0401
	v_or_b32_e32 v150, v160, v150
	v_and_b32_e32 v160, 0xff, v0
	v_lshlrev_b32_e32 v20, 2, v20
	v_ashrrev_i32_e32 v24, s18, v30
	v_or_b32_e32 v4, v4, v23
	v_perm_b32 v0, v0, v150, 0x4010c0c
	v_or_b32_e32 v6, v160, v6
	v_and_b32_e32 v160, 0xff, v159
	v_and_b32_e32 v20, 0x4040404, v20
	v_ashrrev_i32_e32 v23, s18, v28
	v_dot4_i32_iu8 v2, v2, v144, v156 neg_lo:[1,1,0]
	v_perm_b32 v6, v153, v6, 0xc0c0401
	v_or_b32_e32 v157, v160, v157
	v_and_b32_e32 v160, 0xff, v13
	v_lshrrev_b32_e32 v27, 16, v20
	v_lshlrev_b32_e32 v23, 2, v23
	v_or_b32_e32 v0, v0, v6
	v_perm_b32 v13, v13, v157, 0x4010c0c
	v_or_b32_e32 v154, v160, v154
	v_dot4_i32_iu8 v4, v4, v144, v161 neg_lo:[1,1,0]
	v_and_b32_e32 v23, 0x4040404, v23
	v_dot4_i32_iu8 v0, v0, v144, v158 neg_lo:[1,1,0]
	v_lshlrev_b32_e32 v24, 2, v24
	v_perm_b32 v25, v159, v154, 0xc0c0401
	s_delay_alu instid0(VALU_DEP_4) | instskip(NEXT) | instid1(VALU_DEP_3)
	v_lshrrev_b32_e32 v30, 24, v23
	v_and_b32_e32 v24, 0x4040404, v24
	s_delay_alu instid0(VALU_DEP_3)
	v_or_b32_e32 v6, v13, v25
	v_ashrrev_i32_e32 v13, s24, v18
	v_ashrrev_i32_e32 v18, s24, v22
	v_ashrrev_i32_e32 v22, s18, v26
	v_bfe_u32 v25, v11, 24, 2
	v_lshrrev_b32_e32 v26, 24, v20
	v_and_b32_e32 v11, 0x3030303, v11
	v_dot4_i32_iu8 v6, v6, v144, v152 neg_lo:[1,1,0]
	v_lshlrev_b32_e32 v22, 2, v22
	v_lshrrev_b32_e32 v144, 16, v23
	v_sub_nc_u16 v25, v25, v26
	v_lshrrev_b32_e32 v26, 16, v11
	v_lshrrev_b32_e32 v149, 24, v24
	v_and_b32_e32 v22, 0x4040404, v22
	v_lshrrev_b32_e32 v150, 16, v24
	v_lshlrev_b16 v25, 8, v25
	v_sub_nc_u16 v26, v26, v27
	v_lshrrev_b16 v27, 8, v11
	v_sub_nc_u16 v11, v11, v20
	v_lshrrev_b16 v20, 8, v20
	v_lshrrev_b32_e32 v28, 24, v22
	v_lshrrev_b32_e32 v29, 16, v22
	s_delay_alu instid0(VALU_DEP_3) | instskip(SKIP_2) | instid1(VALU_DEP_3)
	v_sub_nc_u16 v20, v27, v20
	v_bfe_u32 v27, v13, 24, 2
	v_and_b32_e32 v13, 0x3030303, v13
	v_lshlrev_b16 v20, 8, v20
	s_delay_alu instid0(VALU_DEP_3) | instskip(NEXT) | instid1(VALU_DEP_3)
	v_sub_nc_u16 v27, v27, v28
	v_lshrrev_b32_e32 v28, 16, v13
	s_delay_alu instid0(VALU_DEP_2) | instskip(NEXT) | instid1(VALU_DEP_2)
	v_lshlrev_b16 v27, 8, v27
	v_sub_nc_u16 v28, v28, v29
	v_lshrrev_b16 v29, 8, v13
	v_sub_nc_u16 v13, v13, v22
	v_lshrrev_b16 v22, 8, v22
	s_delay_alu instid0(VALU_DEP_1) | instskip(SKIP_2) | instid1(VALU_DEP_3)
	v_sub_nc_u16 v22, v29, v22
	v_bfe_u32 v29, v16, 24, 2
	v_and_b32_e32 v16, 0x3030303, v16
	v_lshlrev_b16 v22, 8, v22
	s_delay_alu instid0(VALU_DEP_3) | instskip(NEXT) | instid1(VALU_DEP_3)
	v_sub_nc_u16 v29, v29, v30
	v_lshrrev_b32_e32 v30, 16, v16
	s_delay_alu instid0(VALU_DEP_2) | instskip(NEXT) | instid1(VALU_DEP_2)
	v_lshlrev_b16 v29, 8, v29
	v_sub_nc_u16 v30, v30, v144
	v_lshrrev_b16 v144, 8, v16
	v_sub_nc_u16 v16, v16, v23
	v_lshrrev_b16 v23, 8, v23
	s_delay_alu instid0(VALU_DEP_1) | instskip(SKIP_2) | instid1(VALU_DEP_3)
	v_sub_nc_u16 v23, v144, v23
	v_bfe_u32 v144, v18, 24, 2
	v_and_b32_e32 v18, 0x3030303, v18
	v_lshlrev_b16 v23, 8, v23
	s_delay_alu instid0(VALU_DEP_3) | instskip(NEXT) | instid1(VALU_DEP_3)
	v_sub_nc_u16 v144, v144, v149
	v_lshrrev_b32_e32 v149, 16, v18
	s_delay_alu instid0(VALU_DEP_2) | instskip(NEXT) | instid1(VALU_DEP_2)
	v_lshlrev_b16 v144, 8, v144
	v_sub_nc_u16 v149, v149, v150
	v_lshrrev_b16 v150, 8, v18
	v_sub_nc_u16 v18, v18, v24
	v_lshrrev_b16 v24, 8, v24
	s_delay_alu instid0(VALU_DEP_1) | instskip(SKIP_1) | instid1(VALU_DEP_2)
	v_sub_nc_u16 v24, v150, v24
	v_and_b32_e32 v150, 0xff, v26
	v_lshlrev_b16 v24, 8, v24
	s_delay_alu instid0(VALU_DEP_2) | instskip(SKIP_1) | instid1(VALU_DEP_2)
	v_or_b32_e32 v25, v150, v25
	v_and_b32_e32 v150, 0xff, v11
	v_perm_b32 v11, v11, v25, 0x4010c0c
	s_delay_alu instid0(VALU_DEP_2) | instskip(SKIP_2) | instid1(VALU_DEP_3)
	v_or_b32_e32 v20, v150, v20
	v_and_b32_e32 v150, 0xff, v28
	v_lshrrev_b32_e32 v25, 16, v7
	v_perm_b32 v20, v26, v20, 0xc0c0401
	s_delay_alu instid0(VALU_DEP_3) | instskip(SKIP_1) | instid1(VALU_DEP_3)
	v_or_b32_e32 v27, v150, v27
	v_and_b32_e32 v150, 0xff, v13
	v_or_b32_e32 v11, v11, v20
	s_delay_alu instid0(VALU_DEP_3) | instskip(NEXT) | instid1(VALU_DEP_3)
	v_perm_b32 v13, v13, v27, 0x4010c0c
	v_or_b32_e32 v22, v150, v22
	v_and_b32_e32 v150, 0xff, v30
	v_lshrrev_b32_e32 v20, 24, v3
	v_dot4_i32_iu8 v11, v11, v143, v15 neg_lo:[1,1,0]
	s_delay_alu instid0(VALU_DEP_4) | instskip(NEXT) | instid1(VALU_DEP_4)
	v_perm_b32 v22, v28, v22, 0xc0c0401
	v_or_b32_e32 v29, v150, v29
	v_and_b32_e32 v150, 0xff, v16
	s_delay_alu instid0(VALU_DEP_3) | instskip(NEXT) | instid1(VALU_DEP_3)
	v_or_b32_e32 v13, v13, v22
	v_perm_b32 v16, v16, v29, 0x4010c0c
	s_delay_alu instid0(VALU_DEP_3) | instskip(SKIP_1) | instid1(VALU_DEP_4)
	v_or_b32_e32 v23, v150, v23
	v_and_b32_e32 v150, 0xff, v149
	v_dot4_i32_iu8 v13, v13, v143, v17 neg_lo:[1,1,0]
	v_ashrrev_i32_e32 v17, s18, v151
	s_delay_alu instid0(VALU_DEP_4) | instskip(NEXT) | instid1(VALU_DEP_4)
	v_perm_b32 v23, v30, v23, 0xc0c0401
	v_or_b32_e32 v144, v150, v144
	v_and_b32_e32 v150, 0xff, v18
	s_delay_alu instid0(VALU_DEP_4) | instskip(NEXT) | instid1(VALU_DEP_4)
	v_lshlrev_b32_e32 v17, 2, v17
	v_or_b32_e32 v16, v16, v23
	s_delay_alu instid0(VALU_DEP_4) | instskip(NEXT) | instid1(VALU_DEP_4)
	v_perm_b32 v18, v18, v144, 0x4010c0c
	v_or_b32_e32 v24, v150, v24
	s_delay_alu instid0(VALU_DEP_4) | instskip(NEXT) | instid1(VALU_DEP_4)
	v_and_b32_e32 v17, 0x4040404, v17
	v_dot4_i32_iu8 v15, v16, v143, v19 neg_lo:[1,1,0]
	v_bfe_u32 v19, v12, 24, 2
	s_delay_alu instid0(VALU_DEP_4)
	v_perm_b32 v24, v149, v24, 0xc0c0401
	v_and_b32_e32 v12, 0x3030303, v12
	v_lshrrev_b32_e32 v22, 24, v17
	v_lshrrev_b32_e32 v23, 16, v17
	v_sub_nc_u16 v19, v19, v20
	v_or_b32_e32 v18, v18, v24
	v_lshrrev_b32_e32 v20, 16, v12
	v_lshrrev_b32_e32 v24, 24, v7
	s_delay_alu instid0(VALU_DEP_4) | instskip(NEXT) | instid1(VALU_DEP_4)
	v_lshlrev_b16 v19, 8, v19
	v_dot4_i32_iu8 v16, v18, v143, v21 neg_lo:[1,1,0]
	v_lshrrev_b32_e32 v21, 16, v3
	v_ashrrev_i32_e32 v18, s18, v155
	s_add_i32 s18, s18, 1
	s_cmp_lt_u32 s19, 30
	s_delay_alu instid0(VALU_DEP_2) | instskip(SKIP_4) | instid1(VALU_DEP_2)
	v_sub_nc_u16 v20, v20, v21
	v_lshrrev_b16 v21, 8, v12
	v_sub_nc_u16 v12, v12, v3
	v_lshrrev_b16 v3, 8, v3
	v_lshlrev_b32_e32 v18, 2, v18
	v_sub_nc_u16 v3, v21, v3
	v_bfe_u32 v21, v5, 24, 2
	v_and_b32_e32 v5, 0x3030303, v5
	s_delay_alu instid0(VALU_DEP_4) | instskip(NEXT) | instid1(VALU_DEP_4)
	v_and_b32_e32 v18, 0x4040404, v18
	v_lshlrev_b16 v3, 8, v3
	s_delay_alu instid0(VALU_DEP_4) | instskip(NEXT) | instid1(VALU_DEP_4)
	v_sub_nc_u16 v21, v21, v22
	v_lshrrev_b32_e32 v22, 16, v5
	s_delay_alu instid0(VALU_DEP_4) | instskip(SKIP_1) | instid1(VALU_DEP_4)
	v_lshrrev_b32_e32 v26, 24, v18
	v_lshrrev_b32_e32 v27, 16, v18
	v_lshlrev_b16 v21, 8, v21
	s_delay_alu instid0(VALU_DEP_4) | instskip(SKIP_3) | instid1(VALU_DEP_1)
	v_sub_nc_u16 v22, v22, v23
	v_lshrrev_b16 v23, 8, v5
	v_sub_nc_u16 v5, v5, v17
	v_lshrrev_b16 v17, 8, v17
	v_sub_nc_u16 v17, v23, v17
	v_bfe_u32 v23, v1, 24, 2
	v_and_b32_e32 v1, 0x3030303, v1
	s_delay_alu instid0(VALU_DEP_3) | instskip(NEXT) | instid1(VALU_DEP_3)
	v_lshlrev_b16 v17, 8, v17
	v_sub_nc_u16 v23, v23, v24
	s_delay_alu instid0(VALU_DEP_3) | instskip(NEXT) | instid1(VALU_DEP_2)
	v_lshrrev_b32_e32 v24, 16, v1
	v_lshlrev_b16 v23, 8, v23
	s_delay_alu instid0(VALU_DEP_2) | instskip(SKIP_3) | instid1(VALU_DEP_1)
	v_sub_nc_u16 v24, v24, v25
	v_lshrrev_b16 v25, 8, v1
	v_sub_nc_u16 v1, v1, v7
	v_lshrrev_b16 v7, 8, v7
	v_sub_nc_u16 v7, v25, v7
	v_bfe_u32 v25, v14, 24, 2
	v_and_b32_e32 v14, 0x3030303, v14
	s_delay_alu instid0(VALU_DEP_3) | instskip(NEXT) | instid1(VALU_DEP_3)
	v_lshlrev_b16 v7, 8, v7
	v_sub_nc_u16 v25, v25, v26
	s_delay_alu instid0(VALU_DEP_3) | instskip(NEXT) | instid1(VALU_DEP_2)
	v_lshrrev_b32_e32 v26, 16, v14
	v_lshlrev_b16 v25, 8, v25
	s_delay_alu instid0(VALU_DEP_2) | instskip(SKIP_3) | instid1(VALU_DEP_1)
	v_sub_nc_u16 v26, v26, v27
	v_lshrrev_b16 v27, 8, v14
	v_sub_nc_u16 v14, v14, v18
	v_lshrrev_b16 v18, 8, v18
	v_sub_nc_u16 v18, v27, v18
	v_and_b32_e32 v27, 0xff, v20
	s_delay_alu instid0(VALU_DEP_2) | instskip(NEXT) | instid1(VALU_DEP_2)
	v_lshlrev_b16 v18, 8, v18
	v_or_b32_e32 v19, v27, v19
	v_and_b32_e32 v27, 0xff, v12
	s_delay_alu instid0(VALU_DEP_2) | instskip(NEXT) | instid1(VALU_DEP_2)
	v_perm_b32 v12, v12, v19, 0x4010c0c
	v_or_b32_e32 v3, v27, v3
	v_and_b32_e32 v27, 0xff, v22
	s_delay_alu instid0(VALU_DEP_2) | instskip(NEXT) | instid1(VALU_DEP_2)
	v_perm_b32 v3, v20, v3, 0xc0c0401
	v_or_b32_e32 v21, v27, v21
	v_and_b32_e32 v27, 0xff, v5
	s_delay_alu instid0(VALU_DEP_3) | instskip(NEXT) | instid1(VALU_DEP_3)
	v_or_b32_e32 v3, v12, v3
	v_perm_b32 v5, v5, v21, 0x4010c0c
	s_delay_alu instid0(VALU_DEP_3) | instskip(SKIP_1) | instid1(VALU_DEP_2)
	v_or_b32_e32 v17, v27, v17
	v_and_b32_e32 v27, 0xff, v24
	v_perm_b32 v17, v22, v17, 0xc0c0401
	s_delay_alu instid0(VALU_DEP_2) | instskip(SKIP_1) | instid1(VALU_DEP_3)
	v_or_b32_e32 v23, v27, v23
	v_and_b32_e32 v27, 0xff, v1
	v_or_b32_e32 v5, v5, v17
	s_delay_alu instid0(VALU_DEP_3) | instskip(NEXT) | instid1(VALU_DEP_3)
	v_perm_b32 v1, v1, v23, 0x4010c0c
	v_or_b32_e32 v7, v27, v7
	v_and_b32_e32 v27, 0xff, v26
	v_dot4_i32_iu8 v17, v3, v140, v2 neg_lo:[1,1,0]
	v_dot4_i32_iu8 v19, v5, v140, v4 neg_lo:[1,1,0]
	v_bfe_i32 v4, v146, 0, 8
	v_perm_b32 v7, v24, v7, 0xc0c0401
	v_or_b32_e32 v25, v27, v25
	v_and_b32_e32 v27, 0xff, v14
	v_bfe_i32 v5, v148, 0, 8
	s_delay_alu instid0(VALU_DEP_4) | instskip(NEXT) | instid1(VALU_DEP_4)
	v_or_b32_e32 v1, v1, v7
	v_perm_b32 v14, v14, v25, 0x4010c0c
	s_delay_alu instid0(VALU_DEP_4) | instskip(SKIP_1) | instid1(VALU_DEP_4)
	v_or_b32_e32 v18, v27, v18
	v_add_nc_u32_e32 v7, s25, v125
	v_dot4_i32_iu8 v20, v1, v140, v0 neg_lo:[1,1,0]
	s_delay_alu instid0(VALU_DEP_3) | instskip(NEXT) | instid1(VALU_DEP_1)
	v_perm_b32 v18, v26, v18, 0xc0c0401
	v_or_b32_e32 v12, v14, v18
	v_add_nc_u32_e32 v14, s25, v123
	ds_load_u16 v7, v7 offset:25330
	ds_load_u16 v14, v14 offset:27378
	ds_load_b32 v18, v139
	v_dot4_i32_iu8 v12, v12, v140, v6 neg_lo:[1,1,0]
	v_add_nc_u32_e32 v139, 4, v139
	s_mov_b32 s25, s19
	s_waitcnt lgkmcnt(2)
	v_bfe_i32 v1, v7, 0, 8
	s_waitcnt lgkmcnt(1)
	v_lshrrev_b16 v0, 8, v14
	v_bfe_i32 v3, v14, 0, 8
	v_lshrrev_b16 v2, 8, v7
	s_delay_alu instid0(VALU_DEP_3) | instskip(SKIP_1) | instid1(VALU_DEP_3)
	v_bfe_i32 v14, v0, 0, 8
	v_lshrrev_b16 v0, 8, v146
	v_bfe_i32 v7, v2, 0, 8
	v_lshrrev_b16 v2, 8, v148
	s_delay_alu instid0(VALU_DEP_3) | instskip(SKIP_2) | instid1(VALU_DEP_4)
	v_bfe_i32 v21, v0, 0, 8
	v_mul_lo_u32 v0, v11, v1
	v_mul_lo_u32 v1, v13, v4
	v_bfe_i32 v22, v2, 0, 8
	v_mul_lo_u32 v2, v15, v3
	v_mul_lo_u32 v3, v16, v5
	s_delay_alu instid0(VALU_DEP_4) | instskip(NEXT) | instid1(VALU_DEP_3)
	v_mad_u64_u32 v[4:5], null, v17, v7, v[0:1]
	v_mad_u64_u32 v[5:6], null, v19, v21, v[1:2]
	s_delay_alu instid0(VALU_DEP_3)
	v_mad_u64_u32 v[0:1], null, v20, v14, v[2:3]
	s_waitcnt lgkmcnt(0)
	v_mul_f32_e32 v6, v18, v145
	v_mul_f32_e32 v7, v18, v147
	v_mad_u64_u32 v[1:2], null, v12, v22, v[3:4]
	v_mul_f32_e32 v2, v18, v141
	v_mul_f32_e32 v3, v18, v142
	v_cvt_f32_i32_e32 v4, v4
	v_cvt_f32_i32_e32 v5, v5
	;; [unrolled: 1-line block ×4, first 2 shown]
	s_delay_alu instid0(VALU_DEP_4) | instskip(NEXT) | instid1(VALU_DEP_4)
	v_fmac_f32_e32 v33, v2, v4
	v_fmac_f32_e32 v96, v6, v5
	s_delay_alu instid0(VALU_DEP_4) | instskip(NEXT) | instid1(VALU_DEP_4)
	v_fmac_f32_e32 v90, v3, v0
	v_fmac_f32_e32 v8, v7, v1
	s_cbranch_scc1 .LBB229_36
; %bb.37:                               ;   in Loop: Header=BB229_5 Depth=1
	s_barrier
	buffer_gl0_inv
	s_branch .LBB229_4
.LBB229_38:
	s_mul_i32 s0, s7, s4
	s_waitcnt vmcnt(0)
	v_cmp_gt_i32_e32 vcc_lo, s0, v31
	s_and_saveexec_b32 s0, vcc_lo
	s_cbranch_execz .LBB229_47
; %bb.39:
	v_mul_lo_u32 v0, v31, s6
	v_add_nc_u32_e32 v1, s20, v32
	s_mov_b32 s0, exec_lo
	s_delay_alu instid0(VALU_DEP_1)
	v_cmpx_gt_u32_e64 s6, v1
	s_cbranch_execz .LBB229_41
; %bb.40:
	v_bfe_u32 v3, v33, 16, 1
	s_delay_alu instid0(VALU_DEP_4) | instskip(SKIP_1) | instid1(VALU_DEP_3)
	v_add_nc_u32_e32 v2, v0, v1
	v_cmp_o_f32_e32 vcc_lo, v33, v33
	v_add3_u32 v4, v33, v3, 0x7fff
	v_mov_b32_e32 v3, 0
	s_delay_alu instid0(VALU_DEP_2) | instskip(NEXT) | instid1(VALU_DEP_2)
	v_lshrrev_b32_e32 v4, 16, v4
	v_lshlrev_b64 v[2:3], 1, v[2:3]
	s_delay_alu instid0(VALU_DEP_2) | instskip(NEXT) | instid1(VALU_DEP_2)
	v_cndmask_b32_e32 v4, 0x7fc0, v4, vcc_lo
	v_add_co_u32 v2, vcc_lo, s8, v2
	s_delay_alu instid0(VALU_DEP_3)
	v_add_co_ci_u32_e32 v3, vcc_lo, s9, v3, vcc_lo
	global_store_b16 v[2:3], v4, off
.LBB229_41:
	s_or_b32 exec_lo, exec_lo, s0
	v_add_nc_u32_e32 v2, 32, v1
	s_mov_b32 s0, exec_lo
	s_delay_alu instid0(VALU_DEP_1)
	v_cmpx_gt_u32_e64 s6, v2
	s_cbranch_execz .LBB229_43
; %bb.42:
	v_bfe_u32 v3, v96, 16, 1
	v_add_nc_u32_e32 v2, v0, v2
	v_cmp_o_f32_e32 vcc_lo, v96, v96
	s_delay_alu instid0(VALU_DEP_3) | instskip(SKIP_1) | instid1(VALU_DEP_2)
	v_add3_u32 v4, v96, v3, 0x7fff
	v_mov_b32_e32 v3, 0
	v_lshrrev_b32_e32 v4, 16, v4
	s_delay_alu instid0(VALU_DEP_2) | instskip(NEXT) | instid1(VALU_DEP_2)
	v_lshlrev_b64 v[2:3], 1, v[2:3]
	v_cndmask_b32_e32 v4, 0x7fc0, v4, vcc_lo
	s_delay_alu instid0(VALU_DEP_2) | instskip(NEXT) | instid1(VALU_DEP_3)
	v_add_co_u32 v2, vcc_lo, s8, v2
	v_add_co_ci_u32_e32 v3, vcc_lo, s9, v3, vcc_lo
	global_store_b16 v[2:3], v4, off
.LBB229_43:
	s_or_b32 exec_lo, exec_lo, s0
	v_add_nc_u32_e32 v2, 64, v1
	s_mov_b32 s0, exec_lo
	s_delay_alu instid0(VALU_DEP_1)
	v_cmpx_gt_u32_e64 s6, v2
	s_cbranch_execz .LBB229_45
; %bb.44:
	v_bfe_u32 v3, v90, 16, 1
	v_add_nc_u32_e32 v2, v0, v2
	v_cmp_o_f32_e32 vcc_lo, v90, v90
	s_delay_alu instid0(VALU_DEP_3) | instskip(SKIP_1) | instid1(VALU_DEP_2)
	v_add3_u32 v4, v90, v3, 0x7fff
	v_mov_b32_e32 v3, 0
	v_lshrrev_b32_e32 v4, 16, v4
	s_delay_alu instid0(VALU_DEP_2) | instskip(NEXT) | instid1(VALU_DEP_2)
	v_lshlrev_b64 v[2:3], 1, v[2:3]
	v_cndmask_b32_e32 v4, 0x7fc0, v4, vcc_lo
	s_delay_alu instid0(VALU_DEP_2) | instskip(NEXT) | instid1(VALU_DEP_3)
	v_add_co_u32 v2, vcc_lo, s8, v2
	v_add_co_ci_u32_e32 v3, vcc_lo, s9, v3, vcc_lo
	global_store_b16 v[2:3], v4, off
.LBB229_45:
	s_or_b32 exec_lo, exec_lo, s0
	v_add_nc_u32_e32 v1, 0x60, v1
	s_delay_alu instid0(VALU_DEP_1)
	v_cmp_gt_u32_e32 vcc_lo, s6, v1
	s_and_b32 exec_lo, exec_lo, vcc_lo
	s_cbranch_execz .LBB229_47
; %bb.46:
	v_bfe_u32 v2, v8, 16, 1
	v_dual_mov_b32 v1, 0 :: v_dual_add_nc_u32 v0, v0, v1
	v_cmp_o_f32_e32 vcc_lo, v8, v8
	s_delay_alu instid0(VALU_DEP_3) | instskip(NEXT) | instid1(VALU_DEP_3)
	v_add3_u32 v2, v8, v2, 0x7fff
	v_lshlrev_b64 v[0:1], 1, v[0:1]
	s_delay_alu instid0(VALU_DEP_2) | instskip(NEXT) | instid1(VALU_DEP_1)
	v_lshrrev_b32_e32 v2, 16, v2
	v_cndmask_b32_e32 v2, 0x7fc0, v2, vcc_lo
	s_delay_alu instid0(VALU_DEP_3) | instskip(NEXT) | instid1(VALU_DEP_4)
	v_add_co_u32 v0, vcc_lo, s8, v0
	v_add_co_ci_u32_e32 v1, vcc_lo, s9, v1, vcc_lo
	global_store_b16 v[0:1], v2, off
.LBB229_47:
	s_nop 0
	s_sendmsg sendmsg(MSG_DEALLOC_VGPRS)
	s_endpgm
	.section	.rodata,"a",@progbits
	.p2align	6, 0x0
	.amdhsa_kernel _ZL8moe_q3_KIN3c108BFloat16ELb0EEvPKvS3_PT_PKiS7_S7_iiiiiii
		.amdhsa_group_segment_fixed_size 31776
		.amdhsa_private_segment_fixed_size 0
		.amdhsa_kernarg_size 76
		.amdhsa_user_sgpr_count 14
		.amdhsa_user_sgpr_dispatch_ptr 0
		.amdhsa_user_sgpr_queue_ptr 0
		.amdhsa_user_sgpr_kernarg_segment_ptr 1
		.amdhsa_user_sgpr_dispatch_id 0
		.amdhsa_user_sgpr_private_segment_size 0
		.amdhsa_wavefront_size32 1
		.amdhsa_uses_dynamic_stack 0
		.amdhsa_enable_private_segment 0
		.amdhsa_system_sgpr_workgroup_id_x 1
		.amdhsa_system_sgpr_workgroup_id_y 1
		.amdhsa_system_sgpr_workgroup_id_z 0
		.amdhsa_system_sgpr_workgroup_info 0
		.amdhsa_system_vgpr_workitem_id 1
		.amdhsa_next_free_vgpr 195
		.amdhsa_next_free_sgpr 31
		.amdhsa_reserve_vcc 1
		.amdhsa_float_round_mode_32 0
		.amdhsa_float_round_mode_16_64 0
		.amdhsa_float_denorm_mode_32 3
		.amdhsa_float_denorm_mode_16_64 3
		.amdhsa_dx10_clamp 1
		.amdhsa_ieee_mode 1
		.amdhsa_fp16_overflow 0
		.amdhsa_workgroup_processor_mode 1
		.amdhsa_memory_ordered 1
		.amdhsa_forward_progress 0
		.amdhsa_shared_vgpr_count 0
		.amdhsa_exception_fp_ieee_invalid_op 0
		.amdhsa_exception_fp_denorm_src 0
		.amdhsa_exception_fp_ieee_div_zero 0
		.amdhsa_exception_fp_ieee_overflow 0
		.amdhsa_exception_fp_ieee_underflow 0
		.amdhsa_exception_fp_ieee_inexact 0
		.amdhsa_exception_int_div_zero 0
	.end_amdhsa_kernel
	.section	.text._ZL8moe_q3_KIN3c108BFloat16ELb0EEvPKvS3_PT_PKiS7_S7_iiiiiii,"axG",@progbits,_ZL8moe_q3_KIN3c108BFloat16ELb0EEvPKvS3_PT_PKiS7_S7_iiiiiii,comdat
.Lfunc_end229:
	.size	_ZL8moe_q3_KIN3c108BFloat16ELb0EEvPKvS3_PT_PKiS7_S7_iiiiiii, .Lfunc_end229-_ZL8moe_q3_KIN3c108BFloat16ELb0EEvPKvS3_PT_PKiS7_S7_iiiiiii
                                        ; -- End function
	.section	.AMDGPU.csdata,"",@progbits
; Kernel info:
; codeLenInByte = 33720
; NumSgprs: 33
; NumVgprs: 195
; ScratchSize: 0
; MemoryBound: 0
; FloatMode: 240
; IeeeMode: 1
; LDSByteSize: 31776 bytes/workgroup (compile time only)
; SGPRBlocks: 4
; VGPRBlocks: 24
; NumSGPRsForWavesPerEU: 33
; NumVGPRsForWavesPerEU: 195
; Occupancy: 7
; WaveLimiterHint : 1
; COMPUTE_PGM_RSRC2:SCRATCH_EN: 0
; COMPUTE_PGM_RSRC2:USER_SGPR: 14
; COMPUTE_PGM_RSRC2:TRAP_HANDLER: 0
; COMPUTE_PGM_RSRC2:TGID_X_EN: 1
; COMPUTE_PGM_RSRC2:TGID_Y_EN: 1
; COMPUTE_PGM_RSRC2:TGID_Z_EN: 0
; COMPUTE_PGM_RSRC2:TIDIG_COMP_CNT: 1
	.section	.text._ZL8moe_q3_KIN3c108BFloat16ELb1EEvPKvS3_PT_PKiS7_S7_iiiiiii,"axG",@progbits,_ZL8moe_q3_KIN3c108BFloat16ELb1EEvPKvS3_PT_PKiS7_S7_iiiiiii,comdat
	.globl	_ZL8moe_q3_KIN3c108BFloat16ELb1EEvPKvS3_PT_PKiS7_S7_iiiiiii ; -- Begin function _ZL8moe_q3_KIN3c108BFloat16ELb1EEvPKvS3_PT_PKiS7_S7_iiiiiii
	.p2align	8
	.type	_ZL8moe_q3_KIN3c108BFloat16ELb1EEvPKvS3_PT_PKiS7_S7_iiiiiii,@function
_ZL8moe_q3_KIN3c108BFloat16ELb1EEvPKvS3_PT_PKiS7_S7_iiiiiii: ; @_ZL8moe_q3_KIN3c108BFloat16ELb1EEvPKvS3_PT_PKiS7_S7_iiiiiii
; %bb.0:
	s_load_b128 s[4:7], s[0:1], 0x18
	s_mov_b32 s2, s15
	s_mov_b32 s3, 0
	s_delay_alu instid0(SALU_CYCLE_1)
	s_lshl_b64 s[8:9], s[2:3], 2
	s_waitcnt lgkmcnt(0)
	s_add_u32 s6, s6, s8
	s_addc_u32 s7, s7, s9
	s_load_b32 s15, s[6:7], 0x0
	s_waitcnt lgkmcnt(0)
	s_cmpk_gt_u32 s15, 0xff
	s_cbranch_scc1 .LBB230_47
; %bb.1:
	s_load_b64 s[6:7], s[0:1], 0x28
	s_lshl_b32 s2, s2, 3
	s_waitcnt lgkmcnt(0)
	s_load_b32 s3, s[6:7], 0x0
	s_waitcnt lgkmcnt(0)
	s_cmp_gt_u32 s2, s3
	s_cbranch_scc1 .LBB230_47
; %bb.2:
	v_bfe_u32 v1, v0, 10, 10
	v_mov_b32_e32 v24, 0
	s_mov_b32 s22, 0
	s_delay_alu instid0(VALU_DEP_2) | instskip(NEXT) | instid1(VALU_DEP_2)
	v_add_nc_u32_e32 v23, s2, v1
	v_dual_mov_b32 v89, v24 :: v_dual_and_b32 v48, 0x3ff, v0
	v_mov_b32_e32 v97, v24
	v_mov_b32_e32 v49, v24
	s_delay_alu instid0(VALU_DEP_4) | instskip(NEXT) | instid1(VALU_DEP_1)
	v_lshlrev_b64 v[2:3], 2, v[23:24]
	v_add_co_u32 v2, vcc_lo, s4, v2
	s_delay_alu instid0(VALU_DEP_2)
	v_add_co_ci_u32_e32 v3, vcc_lo, s5, v3, vcc_lo
	global_load_b32 v47, v[2:3], off
	s_clause 0x1
	s_load_b256 s[4:11], s[0:1], 0x30
	s_load_b64 s[12:13], s[0:1], 0x10
	s_waitcnt lgkmcnt(0)
	s_lshl_b32 s11, s14, 7
	s_cmpk_lt_i32 s5, 0x100
	s_cbranch_scc1 .LBB230_38
; %bb.3:
	s_load_b128 s[0:3], s[0:1], 0x0
	s_ashr_i32 s14, s5, 31
	s_mul_i32 s15, s15, s4
	s_lshr_b32 s4, s14, 24
	s_ashr_i32 s16, s8, 31
	s_add_i32 s4, s5, s4
	s_lshr_b32 s14, s16, 27
	s_ashr_i32 s4, s4, 8
	v_dual_mov_b32 v49, 0 :: v_dual_and_b32 v2, 15, v48
	s_add_i32 s8, s8, s14
	s_mul_i32 s14, s4, s11
	s_ashr_i32 s16, s15, 31
	s_ashr_i32 s8, s8, 5
	s_mul_hi_i32 s17, s14, 0x6e
	s_mulk_i32 s14, 0x6e
	v_cmp_lt_u32_e32 vcc_lo, 7, v2
	v_and_b32_e32 v40, 3, v48
	v_lshlrev_b32_e32 v0, 2, v48
	v_add_nc_u32_e32 v5, 16, v1
	s_waitcnt lgkmcnt(0)
	s_add_u32 s0, s0, s15
	s_addc_u32 s1, s1, s16
	s_add_u32 s23, s0, s14
	s_addc_u32 s24, s1, s17
	s_not_b32 s0, s11
	v_cndmask_b32_e64 v70, 0, 1, vcc_lo
	s_add_i32 s0, s0, s6
	v_add_nc_u16 v42, v40, -2
	v_min_i32_e32 v4, s0, v1
	v_cmp_gt_u32_e32 vcc_lo, 2, v40
	v_add_nc_u32_e32 v3, 8, v1
	v_lshlrev_b32_e32 v6, 4, v1
	v_lshrrev_b32_e32 v7, 1, v48
	v_mul_lo_u32 v52, v4, s4
	v_mad_u64_u32 v[8:9], null, 0x84, v4, v[0:1]
	v_min_i32_e32 v3, s0, v3
	v_min_i32_e32 v4, s0, v5
	v_add_nc_u32_e32 v5, 24, v1
	v_add_nc_u32_e32 v18, v7, v6
	v_lshrrev_b32_e32 v50, 4, v48
	v_mul_lo_u32 v53, v3, s4
	v_mad_u64_u32 v[9:10], null, 0x84, v3, v[0:1]
	v_add_nc_u32_e32 v3, 32, v1
	v_min_i32_e32 v5, s0, v5
	v_mul_lo_u32 v54, v4, s4
	v_mad_u64_u32 v[10:11], null, 0x84, v4, v[0:1]
	v_add_nc_u32_e32 v4, 40, v1
	v_min_i32_e32 v3, s0, v3
	;; [unrolled: 4-line block ×4, first 2 shown]
	v_mad_u64_u32 v[13:14], null, 0x84, v4, v[0:1]
	v_mul_lo_u32 v57, v4, s4
	s_delay_alu instid0(VALU_DEP_4)
	v_min_i32_e32 v3, s0, v3
	v_add_nc_u32_e32 v4, 64, v1
	v_mul_lo_u32 v58, v5, s4
	v_mad_u64_u32 v[14:15], null, 0x84, v5, v[0:1]
	v_add_nc_u32_e32 v5, 0x48, v1
	v_mul_lo_u32 v59, v3, s4
	v_min_i32_e32 v4, s0, v4
	v_mad_u64_u32 v[15:16], null, 0x84, v3, v[0:1]
	s_delay_alu instid0(VALU_DEP_4) | instskip(SKIP_1) | instid1(VALU_DEP_4)
	v_min_i32_e32 v3, s0, v5
	v_add_nc_u32_e32 v5, 0x50, v1
	v_mul_lo_u32 v60, v4, s4
	v_mad_u64_u32 v[16:17], null, 0x84, v4, v[0:1]
	v_and_b32_e32 v19, 0x7f, v18
	s_delay_alu instid0(VALU_DEP_4) | instskip(SKIP_4) | instid1(VALU_DEP_4)
	v_min_i32_e32 v4, s0, v5
	v_add_nc_u32_e32 v5, 0x58, v1
	v_mul_lo_u32 v61, v3, s4
	v_mad_u64_u32 v[17:18], null, 0x84, v3, v[0:1]
	v_min_i32_e32 v25, s0, v19
	v_min_i32_e32 v3, s0, v5
	v_add_nc_u32_e32 v5, 0x60, v1
	v_mul_lo_u32 v62, v4, s4
	v_mad_u64_u32 v[18:19], null, 0x84, v4, v[0:1]
	v_ashrrev_i32_e32 v21, 31, v25
	s_delay_alu instid0(VALU_DEP_4) | instskip(SKIP_4) | instid1(VALU_DEP_4)
	v_min_i32_e32 v4, s0, v5
	v_add_nc_u32_e32 v5, 0x68, v1
	v_mul_lo_u32 v63, v3, s4
	v_mad_u64_u32 v[19:20], null, 0x84, v3, v[0:1]
	v_lshrrev_b32_e32 v22, 28, v21
	v_min_i32_e32 v3, s0, v5
	v_add_nc_u32_e32 v5, 0x70, v1
	v_mul_lo_u32 v64, v4, s4
	v_mad_u64_u32 v[20:21], null, 0x84, v4, v[0:1]
	v_lshl_add_u32 v26, v1, 1, v50
	s_delay_alu instid0(VALU_DEP_4) | instskip(SKIP_4) | instid1(VALU_DEP_4)
	v_min_i32_e32 v4, s0, v5
	v_add_nc_u32_e32 v5, 0x78, v1
	v_add_nc_u32_e32 v23, v25, v22
	v_mul_lo_u32 v65, v3, s4
	v_mad_u64_u32 v[21:22], null, 0x84, v3, v[0:1]
	v_min_i32_e32 v3, s0, v5
	v_min_i32_e32 v27, s0, v26
	v_ashrrev_i32_e32 v5, 4, v23
	v_mad_u64_u32 v[22:23], null, 0x84, v4, v[0:1]
	s_delay_alu instid0(VALU_DEP_4)
	v_mul_lo_u32 v68, v3, s4
	v_mad_u64_u32 v[23:24], null, 0x84, v3, v[0:1]
	v_lshrrev_b32_e32 v3, 31, v27
	v_add_nc_u32_e32 v29, 32, v26
	v_lshlrev_b32_e32 v51, 2, v2
	v_add_nc_u32_e32 v28, 16, v26
	v_add_nc_u32_e32 v31, 64, v26
	v_add_lshl_u32 v3, v27, v3, 1
	v_add_nc_u32_e32 v33, 0x50, v26
	v_add_nc_u32_e32 v35, 0x60, v26
	v_lshlrev_b32_e32 v39, 2, v1
	v_lshrrev_b32_e32 v78, 3, v48
	v_and_b32_e32 v2, -4, v3
	v_min_i32_e32 v3, s0, v29
	v_add_nc_u32_e32 v29, 48, v26
	v_add_nc_u32_e32 v26, 0x70, v26
	;; [unrolled: 1-line block ×3, first 2 shown]
	v_and_b32_e32 v67, 1, v48
	v_mul_lo_u32 v66, v4, s4
	v_lshlrev_b32_e32 v4, 2, v5
	v_min_i32_e32 v26, s0, v26
	v_min_i32_e32 v43, s0, v41
	v_lshlrev_b32_e32 v5, 2, v67
	v_add_nc_u32_e32 v45, 32, v41
	v_mul_lo_u32 v69, v25, s4
	v_lshrrev_b32_e32 v38, 31, v26
	v_mul_lo_u32 v80, v26, s4
	v_lshlrev_b32_e32 v44, 6, v26
	v_add3_u32 v4, v4, v5, 0x7380
	v_lshlrev_b32_e32 v5, 3, v25
	v_add_lshl_u32 v38, v26, v38, 1
	v_cndmask_b32_e32 v26, v42, v40, vcc_lo
	v_ashrrev_i32_e32 v42, 31, v43
	v_and_b32_e32 v25, 7, v48
	v_cmp_lt_u32_e32 vcc_lo, 1, v40
	v_min_i32_e32 v45, s0, v45
	v_and_b32_e32 v26, 0xff, v26
	v_lshrrev_b32_e32 v42, 30, v42
	s_abs_i32 s1, s10
	v_lshlrev_b32_e32 v84, 1, v40
	v_cvt_f32_u32_e32 v40, s1
	v_lshlrev_b32_e32 v71, 2, v25
	v_cndmask_b32_e64 v46, 0, 1, vcc_lo
	v_cmp_lt_u32_e32 vcc_lo, 3, v25
	v_lshlrev_b32_e32 v83, 2, v26
	v_add_nc_u32_e32 v25, v43, v42
	v_ashrrev_i32_e32 v26, 31, v45
	v_add_nc_u32_e32 v42, 64, v41
	v_rcp_iflag_f32_e32 v40, v40
	v_add_nc_u32_e32 v41, 0x60, v41
	v_lshlrev_b32_e32 v82, 2, v46
	v_lshrrev_b32_e32 v26, 30, v26
	v_min_i32_e32 v42, s0, v42
	v_and_b32_e32 v25, -4, v25
	v_min_i32_e32 v41, s0, v41
	v_min_i32_e32 v24, s0, v28
	v_add_nc_u32_e32 v26, v45, v26
	v_ashrrev_i32_e32 v46, 31, v42
	v_mul_f32_e32 v40, 0x4f7ffffe, v40
	v_add3_u32 v89, v25, v71, 0x6300
	v_min_i32_e32 v29, s0, v29
	v_and_b32_e32 v26, -4, v26
	v_lshrrev_b32_e32 v25, 30, v46
	v_ashrrev_i32_e32 v46, 31, v41
	v_cvt_u32_f32_e32 v40, v40
	v_min_i32_e32 v31, s0, v31
	v_add3_u32 v97, v26, v71, 0x6300
	v_add_nc_u32_e32 v25, v42, v25
	v_lshrrev_b32_e32 v26, 30, v46
	v_min_i32_e32 v33, s0, v33
	v_min_i32_e32 v35, s0, v35
	s_sub_i32 s0, 0, s1
	v_and_b32_e32 v25, -4, v25
	v_mul_lo_u32 v46, s0, v40
	v_add_nc_u32_e32 v26, v41, v26
	v_mul_lo_u32 v86, v45, s4
	v_lshlrev_b32_e32 v45, 5, v45
	v_add3_u32 v136, v25, v71, 0x6300
	v_or_b32_e32 v39, v39, v48
	v_and_b32_e32 v25, -4, v26
	v_and_b32_e32 v26, 31, v48
	v_mul_hi_u32 v46, v40, v46
	v_add_nc_u32_e32 v135, v97, v45
	v_mov_b32_e32 v97, 0
	v_add3_u32 v137, v25, v71, 0x6300
	s_waitcnt vmcnt(0)
	v_sub_nc_u32_e32 v25, 0, v47
	v_and_b32_e32 v0, 28, v0
	v_lshlrev_b32_e32 v1, 7, v1
	v_lshl_add_u32 v91, v39, 2, 0x7ba0
	v_add_nc_u32_e32 v40, v40, v46
	v_max_i32_e32 v95, v47, v25
	v_add_co_u32 v25, s0, s2, v0
	v_add_nc_u32_e32 v39, 32, v48
	v_lshlrev_b32_e32 v99, 2, v50
	s_delay_alu instid0(VALU_DEP_4)
	v_mul_hi_u32 v0, v95, v40
	v_lshlrev_b32_e32 v101, 3, v48
	v_lshl_add_u32 v93, v48, 4, v7
	v_lshl_or_b32 v90, v26, 2, v1
	v_add_co_ci_u32_e64 v26, null, s3, 0, s0
	v_lshrrev_b32_e32 v98, 1, v39
	v_lshrrev_b32_e32 v28, 31, v24
	v_mul_lo_u32 v96, v0, s1
	v_add_nc_u32_e32 v40, 64, v48
	v_lshrrev_b32_e32 v30, 31, v3
	v_lshrrev_b32_e32 v32, 31, v29
	v_add_lshl_u32 v28, v24, v28, 1
	v_lshrrev_b32_e32 v34, 31, v31
	v_lshrrev_b32_e32 v36, 31, v33
	;; [unrolled: 1-line block ×3, first 2 shown]
	v_sub_nc_u32_e32 v7, v95, v96
	v_add3_u32 v95, v99, v101, 0x7380
	v_add_nc_u32_e32 v99, 1, v0
	v_lshl_add_u32 v96, v39, 4, v98
	v_lshrrev_b32_e32 v98, 2, v39
	v_subrev_nc_u32_e32 v101, s1, v7
	v_cmp_le_u32_e64 s0, s1, v7
	v_add_nc_u32_e32 v46, 0x60, v48
	v_lshlrev_b32_e32 v102, 3, v39
	v_lshrrev_b32_e32 v103, 2, v40
	v_and_b32_e32 v28, -4, v28
	v_cndmask_b32_e64 v0, v0, v99, s0
	v_cndmask_b32_e64 v7, v7, v101, s0
	v_and_b32_e32 v99, 0x7c, v98
	v_xor_b32_e32 v98, s10, v47
	v_add_lshl_u32 v30, v3, v30, 1
	v_add_nc_u32_e32 v101, 1, v0
	v_cmp_le_u32_e64 s0, s1, v7
	v_add_lshl_u32 v32, v29, v32, 1
	v_ashrrev_i32_e32 v105, 31, v98
	v_add_lshl_u32 v34, v31, v34, 1
	v_add_lshl_u32 v36, v33, v36, 1
	v_cndmask_b32_e64 v0, v0, v101, s0
	v_add_lshl_u32 v37, v35, v37, 1
	v_add3_u32 v99, v102, v99, 0x7380
	v_and_b32_e32 v7, 0x7c, v103
	v_lshlrev_b32_e32 v102, 3, v40
	v_xor_b32_e32 v0, v0, v105
	v_lshrrev_b32_e32 v103, 2, v46
	v_mul_lo_u32 v73, v24, s4
	v_add3_u32 v28, v28, v51, 0x4200
	v_lshlrev_b32_e32 v24, 6, v24
	v_sub_nc_u32_e32 v0, v0, v105
	v_and_b32_e32 v30, -4, v30
	v_and_b32_e32 v32, -4, v32
	;; [unrolled: 1-line block ×6, first 2 shown]
	v_add3_u32 v102, v102, v7, 0x7380
	v_and_b32_e32 v7, 0x7c, v103
	v_mul_lo_u32 v103, v0, s8
	v_mul_lo_u32 v72, v27, s4
	v_lshlrev_b32_e32 v27, 6, v27
	v_mul_lo_u32 v74, v3, s4
	v_lshlrev_b32_e32 v3, 6, v3
	;; [unrolled: 2-line block ×9, first 2 shown]
	v_lshlrev_b32_e32 v92, 5, v48
	v_lshrrev_b32_e32 v100, 1, v40
	v_lshrrev_b32_e32 v104, 1, v46
	v_lshlrev_b32_e32 v106, 3, v46
	v_and_b32_e32 v111, 0x1fc, v46
	v_and_b32_e32 v112, 0x1fc, v40
	;; [unrolled: 1-line block ×4, first 2 shown]
	v_dual_mov_b32 v24, 0 :: v_dual_add_nc_u32 v127, v28, v24
	v_add3_u32 v2, v2, v51, 0x4200
	v_add3_u32 v30, v30, v51, 0x4200
	;; [unrolled: 1-line block ×7, first 2 shown]
	s_movk_i32 s0, 0x2100
	s_movk_i32 s6, 0x1080
	v_mad_u32_u24 v101, 0x84, v48, s0
	s_movk_i32 s0, 0x3180
	s_add_u32 s14, s2, 0x90
	s_addc_u32 s15, s3, 0
	v_cndmask_b32_e64 v81, 0, 1, vcc_lo
	v_add_nc_u32_e32 v90, 0x77a0, v90
	v_cmp_gt_u32_e32 vcc_lo, 4, v48
	v_mul_u32_u24_e32 v94, 0x84, v48
	v_mad_u32_u24 v98, 0x84, v48, s6
	v_lshl_add_u32 v100, v40, 4, v100
	v_lshl_add_u32 v104, v46, 4, v104
	v_mad_u32_u24 v105, 0x84, v48, s0
	v_add3_u32 v106, v106, v7, 0x7380
	v_lshrrev_b32_e32 v107, 3, v39
	v_lshrrev_b32_e32 v108, 3, v40
	;; [unrolled: 1-line block ×3, first 2 shown]
	v_cmp_gt_i32_e64 s0, s7, v0
	v_ashrrev_i32_e32 v110, 31, v103
	s_add_u32 s16, s2, 0x120
	v_add_nc_u32_e32 v115, 0x77a0, v1
	v_add_nc_u32_e32 v116, 0x7ba0, v6
	;; [unrolled: 1-line block ×21, first 2 shown]
	v_mov_b32_e32 v89, 0
	s_addc_u32 s17, s3, 0
	s_add_u32 s18, s2, 0x1b0
	s_addc_u32 s19, s3, 0
	s_branch .LBB230_5
.LBB230_4:                              ;   in Loop: Header=BB230_5 Depth=1
	s_add_i32 s22, s22, 2
	s_delay_alu instid0(SALU_CYCLE_1)
	s_cmp_ge_i32 s22, s4
	s_cbranch_scc1 .LBB230_38
.LBB230_5:                              ; =>This Loop Header: Depth=1
                                        ;     Child Loop BB230_12 Depth 2
                                        ;     Child Loop BB230_20 Depth 2
	;; [unrolled: 1-line block ×4, first 2 shown]
	s_mul_i32 s1, s22, 0x6e
	s_mul_hi_u32 s6, s22, 0x6e
	s_add_u32 s20, s23, s1
	s_addc_u32 s21, s24, s6
	s_lshl_b32 s6, s22, 8
	v_mad_u64_u32 v[0:1], null, 0x6e, v50, s[20:21]
	v_mad_u64_u32 v[45:46], null, 0x6e, v81, s[20:21]
	v_mad_i64_i32 v[37:38], null, 0x6e, v69, s[20:21]
	s_cmp_lt_i32 s6, s5
	s_delay_alu instid0(VALU_DEP_3) | instskip(NEXT) | instid1(VALU_DEP_1)
	v_add_co_u32 v0, s1, v0, v51
	v_add_co_ci_u32_e64 v1, s1, 0, v1, s1
	s_delay_alu instid0(VALU_DEP_2) | instskip(NEXT) | instid1(VALU_DEP_1)
	v_add_co_u32 v0, s1, v0, 32
	v_add_co_ci_u32_e64 v1, s1, 0, v1, s1
	s_delay_alu instid0(VALU_DEP_1)
	v_mad_i64_i32 v[2:3], null, 0x6e, v52, v[0:1]
	v_mad_i64_i32 v[4:5], null, 0x6e, v53, v[0:1]
	;; [unrolled: 1-line block ×8, first 2 shown]
	s_clause 0x7
	global_load_b32 v148, v[2:3], off
	global_load_b32 v149, v[4:5], off
	;; [unrolled: 1-line block ×8, first 2 shown]
	v_mad_u64_u32 v[31:32], null, 0x6e, v70, s[20:21]
	v_mad_i64_i32 v[2:3], null, 0x6e, v60, v[0:1]
	v_mad_i64_i32 v[4:5], null, 0x6e, v61, v[0:1]
	;; [unrolled: 1-line block ×3, first 2 shown]
	s_delay_alu instid0(VALU_DEP_4) | instskip(NEXT) | instid1(VALU_DEP_1)
	v_add_co_u32 v31, s1, v31, v71
	v_add_co_ci_u32_e64 v32, s1, 0, v32, s1
	v_add_co_u32 v45, s1, 0x60, v45
	v_mad_i64_i32 v[27:28], null, 0x6e, v63, v[0:1]
	v_mad_i64_i32 v[29:30], null, 0x6e, v64, v[0:1]
	;; [unrolled: 1-line block ×5, first 2 shown]
	v_mad_u64_u32 v[0:1], null, 0x6e, v67, v[37:38]
	v_add_co_ci_u32_e64 v46, s1, 0, v46, s1
	v_mad_i64_i32 v[37:38], null, 0x6e, v72, v[31:32]
	v_mad_i64_i32 v[41:42], null, 0x6e, v73, v[31:32]
	;; [unrolled: 1-line block ×9, first 2 shown]
	s_clause 0x8
	global_load_u16 v156, v[0:1], off offset:108
	global_load_b32 v157, v[37:38], off
	global_load_b32 v158, v[41:42], off
	;; [unrolled: 1-line block ×8, first 2 shown]
	v_mad_i64_i32 v[37:38], null, 0x6e, v86, v[45:46]
	v_mad_i64_i32 v[41:42], null, 0x6e, v87, v[45:46]
	v_mad_i64_i32 v[43:44], null, 0x6e, v88, v[45:46]
	v_add_co_u32 v0, s1, v31, v83
	s_delay_alu instid0(VALU_DEP_1)
	v_add_co_ci_u32_e64 v1, s1, 0, v32, s1
	s_clause 0xc
	global_load_b32 v45, v[2:3], off
	global_load_b32 v46, v[4:5], off
	;; [unrolled: 1-line block ×8, first 2 shown]
	global_load_b32 v33, v[43:44], off offset:8
	global_load_b32 v34, v[41:42], off offset:8
	;; [unrolled: 1-line block ×3, first 2 shown]
	global_load_b32 v36, v[0:1], off
	global_load_b32 v31, v[31:32], off offset:8
	v_add_co_u32 v0, s1, v37, v83
	s_delay_alu instid0(VALU_DEP_1) | instskip(SKIP_1) | instid1(VALU_DEP_1)
	v_add_co_ci_u32_e64 v1, s1, 0, v38, s1
	v_add_co_u32 v2, s1, v41, v83
	v_add_co_ci_u32_e64 v3, s1, 0, v42, s1
	v_add_co_u32 v4, s1, v43, v83
	s_delay_alu instid0(VALU_DEP_1)
	v_add_co_ci_u32_e64 v5, s1, 0, v44, s1
	s_clause 0x2
	global_load_b32 v0, v[0:1], off
	global_load_b32 v1, v[2:3], off
	;; [unrolled: 1-line block ×3, first 2 shown]
	s_waitcnt vmcnt(24)
	v_cvt_f32_f16_e64 v3, v156
	s_waitcnt vmcnt(23)
	v_not_b32_e32 v4, v157
	s_waitcnt vmcnt(22)
	v_not_b32_e32 v5, v158
	;; [unrolled: 2-line block ×5, first 2 shown]
	ds_store_b32 v8, v148
	ds_store_b32 v9, v149
	;; [unrolled: 1-line block ×8, first 2 shown]
	s_waitcnt vmcnt(15)
	ds_store_b32 v16, v45
	s_waitcnt vmcnt(14)
	ds_store_b32 v17, v46
	;; [unrolled: 2-line block ×8, first 2 shown]
	ds_store_b32 v125, v3
	ds_store_b32 v126, v4
	;; [unrolled: 1-line block ×6, first 2 shown]
	s_waitcnt vmcnt(7)
	v_ashrrev_i32_e32 v7, v84, v33
	s_waitcnt vmcnt(6)
	v_ashrrev_i32_e32 v6, v84, v34
	;; [unrolled: 2-line block ×5, first 2 shown]
	v_lshlrev_b32_e32 v7, 4, v7
	v_lshlrev_b32_e32 v6, 4, v6
	v_lshlrev_b32_e32 v5, 4, v5
	v_and_b32_e32 v3, 0xf0f0f0f, v3
	v_lshlrev_b32_e32 v4, 4, v4
	v_not_b32_e32 v39, v140
	v_not_b32_e32 v40, v141
	;; [unrolled: 1-line block ×3, first 2 shown]
	s_delay_alu instid0(VALU_DEP_4)
	v_and_or_b32 v3, 0x30303030, v4, v3
	ds_store_b32 v131, v39
	s_waitcnt vmcnt(2)
	v_ashrrev_i32_e32 v0, v82, v0
	s_waitcnt vmcnt(1)
	v_ashrrev_i32_e32 v1, v82, v1
	;; [unrolled: 2-line block ×3, first 2 shown]
	v_lshrrev_b32_e32 v4, 16, v3
	ds_store_b32 v132, v40
	v_and_b32_e32 v0, 0xf0f0f0f, v0
	v_and_b32_e32 v1, 0xf0f0f0f, v1
	;; [unrolled: 1-line block ×4, first 2 shown]
	v_lshlrev_b16 v4, 8, v4
	v_and_or_b32 v0, 0x30303030, v5, v0
	v_and_or_b32 v1, 0x30303030, v6, v1
	;; [unrolled: 1-line block ×3, first 2 shown]
	v_and_b32_e32 v5, 0x3f00, v3
	v_lshlrev_b16 v3, 8, v3
	v_lshrrev_b32_e32 v6, 16, v0
	v_lshrrev_b32_e32 v27, 16, v1
	v_and_b32_e32 v7, 0x3f00, v0
	v_lshlrev_b16 v0, 8, v0
	v_lshrrev_b32_e32 v29, 16, v2
	v_add_nc_u16 v3, v3, 0xe000
	v_and_b32_e32 v32, 0x3f00, v6
	v_lshlrev_b16 v6, 8, v6
	v_and_b32_e32 v28, 0x3f00, v1
	v_lshlrev_b16 v1, 8, v1
	;; [unrolled: 2-line block ×4, first 2 shown]
	v_add_nc_u16 v0, v0, 0xe000
	v_and_b32_e32 v34, 0x3f00, v29
	v_lshlrev_b16 v29, 8, v29
	v_add_nc_u16 v4, v4, 0xe000
	v_lshrrev_b16 v3, 8, v3
	v_add_nc_u16 v6, v6, 0xe000
	v_add_nc_u16 v1, v1, 0xe000
	;; [unrolled: 1-line block ×4, first 2 shown]
	v_lshrrev_b16 v0, 8, v0
	v_add_nc_u16 v29, v29, 0xe000
	v_lshrrev_b16 v4, 8, v4
	v_or_b32_e32 v3, v5, v3
	v_lshrrev_b16 v5, 8, v6
	v_lshrrev_b16 v1, 8, v1
	;; [unrolled: 1-line block ×4, first 2 shown]
	v_or_b32_e32 v0, v7, v0
	v_lshrrev_b16 v7, 8, v29
	v_or_b32_e32 v4, v31, v4
	v_or_b32_e32 v5, v32, v5
	;; [unrolled: 1-line block ×6, first 2 shown]
	v_add_nc_u16 v3, v3, 0xe000
	v_add_nc_u16 v4, v4, 0xe000
	;; [unrolled: 1-line block ×8, first 2 shown]
	v_and_b32_e32 v3, 0xffff, v3
	v_lshlrev_b32_e32 v4, 16, v4
	v_and_b32_e32 v0, 0xffff, v0
	v_lshlrev_b32_e32 v5, 16, v5
	;; [unrolled: 2-line block ×4, first 2 shown]
	v_or_b32_e32 v3, v3, v4
	v_or_b32_e32 v0, v0, v5
	;; [unrolled: 1-line block ×3, first 2 shown]
	s_delay_alu instid0(VALU_DEP_4)
	v_or_b32_e32 v2, v2, v7
	ds_store_b32 v133, v41
	ds_store_b32 v134, v3
	;; [unrolled: 1-line block ×5, first 2 shown]
	s_cbranch_scc0 .LBB230_4
; %bb.6:                                ;   in Loop: Header=BB230_5 Depth=1
	s_lshl_b32 s20, s22, 3
	s_delay_alu instid0(SALU_CYCLE_1) | instskip(NEXT) | instid1(VALU_DEP_1)
	v_add_nc_u32_e32 v0, s20, v78
	v_cmp_gt_i32_e64 s1, s8, v0
	s_delay_alu instid0(VALU_DEP_1) | instskip(NEXT) | instid1(SALU_CYCLE_1)
	s_and_b32 s21, s0, s1
	s_and_saveexec_b32 s1, s21
	s_cbranch_execz .LBB230_8
; %bb.7:                                ;   in Loop: Header=BB230_5 Depth=1
	v_add_nc_u32_e32 v2, v103, v0
	s_delay_alu instid0(VALU_DEP_1)
	v_mad_i64_i32 v[0:1], null, v2, 36, v[25:26]
	global_load_b32 v0, v[0:1], off offset:4
	s_waitcnt vmcnt(0)
	ds_store_b32 v90, v0
.LBB230_8:                              ;   in Loop: Header=BB230_5 Depth=1
	s_or_b32 exec_lo, exec_lo, s1
	s_and_saveexec_b32 s21, vcc_lo
	s_cbranch_execz .LBB230_11
; %bb.9:                                ;   in Loop: Header=BB230_5 Depth=1
	v_or_b32_e32 v0, s20, v48
	s_delay_alu instid0(VALU_DEP_1) | instskip(NEXT) | instid1(VALU_DEP_1)
	v_cmp_gt_i32_e64 s1, s8, v0
	s_and_b32 s1, s0, s1
	s_delay_alu instid0(SALU_CYCLE_1)
	s_and_b32 exec_lo, exec_lo, s1
	s_cbranch_execz .LBB230_11
; %bb.10:                               ;   in Loop: Header=BB230_5 Depth=1
	v_add_nc_u32_e32 v2, v103, v0
	s_delay_alu instid0(VALU_DEP_1)
	v_mad_i64_i32 v[0:1], null, v2, 36, s[2:3]
	global_load_b32 v0, v[0:1], off
	s_waitcnt vmcnt(0)
	v_cvt_f32_f16_e32 v0, v0
	ds_store_b32 v91, v0
.LBB230_11:                             ;   in Loop: Header=BB230_5 Depth=1
	s_or_b32 exec_lo, exec_lo, s21
	v_dual_mov_b32 v138, v116 :: v_dual_mov_b32 v139, v115
	s_mov_b32 s26, -2
	s_mov_b32 s1, 0
	s_mov_b32 s21, 0
	s_waitcnt lgkmcnt(0)
	s_barrier
	buffer_gl0_inv
.LBB230_12:                             ;   Parent Loop BB230_5 Depth=1
                                        ; =>  This Inner Loop Header: Depth=2
	ds_load_b128 v[0:3], v139 offset:16
	s_add_i32 s25, s26, 2
	ds_load_b128 v[4:7], v139
	ds_load_b32 v140, v138
	s_and_b32 s27, s25, 0x3ffffff8
	s_lshr_b32 s28, s25, 4
	s_lshl_b32 s29, s27, 2
	s_lshl_b32 s27, s28, 2
	v_add_nc_u32_e32 v148, s29, v94
	v_add_nc_u32_e32 v149, s29, v98
	;; [unrolled: 1-line block ×4, first 2 shown]
	ds_load_2addr_b32 v[29:30], v148 offset1:1
	ds_load_2addr_b32 v[27:28], v148 offset0:6 offset1:7
	ds_load_2addr_b32 v[31:32], v148 offset0:2 offset1:3
	v_add_nc_u32_e32 v162, s29, v105
	s_lshl_b32 s28, s28, 3
	v_add_nc_u32_e32 v139, 32, v139
	v_add_lshl_u32 v165, v93, s28, 2
	v_add_lshl_u32 v168, v96, s28, 2
	;; [unrolled: 1-line block ×3, first 2 shown]
	s_waitcnt lgkmcnt(5)
	v_perm_b32 v158, v0, v0, 0x30201
	v_perm_b32 v159, v1, v1, 0x30201
	ds_load_2addr_b32 v[33:34], v149 offset0:2 offset1:3
	ds_load_b32 v142, v35
	ds_load_2addr_b32 v[0:1], v149 offset1:1
	v_perm_b32 v145, v2, v2, 0x30201
	v_perm_b32 v141, v3, v3, 0x30201
	s_waitcnt lgkmcnt(7)
	v_perm_b32 v150, v6, v6, 0x30201
	v_add_nc_u32_e32 v6, 0x4208, v165
	v_perm_b32 v151, v4, v4, 0x30201
	v_perm_b32 v152, v5, v5, 0x30201
	v_perm_b32 v144, v7, v7, 0x30201
	v_add_nc_u32_e32 v43, 0x4208, v171
	s_waitcnt lgkmcnt(5)
	v_ashrrev_i32_e32 v153, s25, v29
	v_ashrrev_i32_e32 v154, s25, v30
	v_add_lshl_u32 v174, v104, s28, 2
	s_and_b32 s28, s21, -16
	s_waitcnt lgkmcnt(3)
	v_ashrrev_i32_e32 v31, s25, v31
	v_bfe_u32 v175, v153, 24, 2
	v_and_b32_e32 v153, 0x3030303, v153
	v_ashrrev_i32_e32 v27, s25, v27
	v_ashrrev_i32_e32 v28, s25, v28
	s_waitcnt lgkmcnt(2)
	v_ashrrev_i32_e32 v33, s25, v33
	v_add_nc_u32_e32 v138, 4, v138
	s_waitcnt lgkmcnt(0)
	v_ashrrev_i32_e32 v155, s25, v0
	v_ashrrev_i32_e32 v156, s25, v1
	ds_load_2addr_b32 v[2:3], v157 offset1:1
	ds_load_2addr_b32 v[0:1], v157 offset0:6 offset1:7
	ds_load_2addr_b32 v[35:36], v157 offset0:2 offset1:3
	s_add_i32 s21, s21, 2
	s_waitcnt lgkmcnt(2)
	v_ashrrev_i32_e32 v160, s25, v2
	v_add_nc_u32_e32 v2, s27, v102
	v_ashrrev_i32_e32 v161, s25, v3
	ds_load_2addr_b32 v[37:38], v162 offset0:2 offset1:3
	ds_load_b32 v143, v2
	ds_load_2addr_b32 v[2:3], v162 offset1:1
	s_waitcnt lgkmcnt(3)
	v_ashrrev_i32_e32 v35, s25, v35
	v_ashrrev_i32_e32 v0, s25, v0
	v_ashrrev_i32_e32 v1, s25, v1
	s_waitcnt lgkmcnt(2)
	v_ashrrev_i32_e32 v37, s25, v37
	s_waitcnt lgkmcnt(0)
	v_ashrrev_i32_e32 v163, s25, v2
	v_add_nc_u32_e32 v2, 0x4200, v165
	v_ashrrev_i32_e32 v164, s25, v3
	v_add_nc_u32_e32 v3, 0x4218, v165
	ds_load_2addr_b32 v[4:5], v2 offset1:1
	ds_load_2addr_b32 v[2:3], v3 offset1:1
	;; [unrolled: 1-line block ×3, first 2 shown]
	s_waitcnt lgkmcnt(2)
	v_ashrrev_i32_e32 v166, s1, v4
	v_add_nc_u32_e32 v4, 0x4200, v168
	v_ashrrev_i32_e32 v167, s1, v5
	v_add_nc_u32_e32 v5, 0x4208, v168
	ds_load_2addr_b32 v[6:7], v4 offset1:1
	ds_load_2addr_b32 v[41:42], v5 offset1:1
	ds_load_2addr_b32 v[4:5], v149 offset0:6 offset1:7
	v_lshlrev_b32_e32 v166, 2, v166
	v_lshlrev_b32_e32 v167, 2, v167
	s_waitcnt lgkmcnt(3)
	v_ashrrev_i32_e32 v39, s1, v39
	v_ashrrev_i32_e32 v2, s1, v2
	;; [unrolled: 1-line block ×3, first 2 shown]
	v_and_b32_e32 v166, 0x4040404, v166
	v_and_b32_e32 v167, 0x4040404, v167
	v_lshlrev_b32_e32 v39, 2, v39
	v_lshlrev_b32_e32 v2, 2, v2
	;; [unrolled: 1-line block ×3, first 2 shown]
	v_lshrrev_b32_e32 v176, 24, v166
	v_lshrrev_b32_e32 v177, 16, v166
	v_lshrrev_b32_e32 v178, 24, v167
	v_lshrrev_b32_e32 v179, 16, v167
	v_and_b32_e32 v39, 0x4040404, v39
	v_sub_nc_u16 v175, v175, v176
	v_lshrrev_b32_e32 v176, 16, v153
	s_waitcnt lgkmcnt(2)
	v_ashrrev_i32_e32 v169, s1, v6
	v_add_nc_u32_e32 v6, 0x4200, v171
	v_ashrrev_i32_e32 v170, s1, v7
	v_add_nc_u32_e32 v7, 0x4218, v171
	v_sub_nc_u16 v176, v176, v177
	v_lshrrev_b16 v177, 8, v153
	v_sub_nc_u16 v153, v153, v166
	v_lshrrev_b16 v166, 8, v166
	v_lshlrev_b32_e32 v169, 2, v169
	ds_load_2addr_b32 v[29:30], v6 offset1:1
	ds_load_2addr_b32 v[6:7], v7 offset1:1
	;; [unrolled: 1-line block ×3, first 2 shown]
	v_lshlrev_b32_e32 v170, 2, v170
	v_lshlrev_b16 v175, 8, v175
	v_sub_nc_u16 v166, v177, v166
	v_bfe_u32 v177, v154, 24, 2
	v_and_b32_e32 v154, 0x3030303, v154
	v_and_b32_e32 v169, 0x4040404, v169
	;; [unrolled: 1-line block ×3, first 2 shown]
	v_lshlrev_b16 v166, 8, v166
	v_sub_nc_u16 v177, v177, v178
	v_lshrrev_b32_e32 v178, 16, v154
	v_lshrrev_b32_e32 v180, 24, v169
	v_lshrrev_b32_e32 v181, 16, v169
	v_lshrrev_b32_e32 v182, 24, v170
	v_lshrrev_b32_e32 v183, 16, v170
	v_sub_nc_u16 v178, v178, v179
	v_lshrrev_b16 v179, 8, v154
	v_sub_nc_u16 v154, v154, v167
	v_lshrrev_b16 v167, 8, v167
	s_waitcnt lgkmcnt(2)
	v_ashrrev_i32_e32 v172, s1, v29
	v_add_nc_u32_e32 v29, 0x4200, v174
	v_ashrrev_i32_e32 v173, s1, v30
	v_add_nc_u32_e32 v30, 0x4208, v174
	v_sub_nc_u16 v167, v179, v167
	v_bfe_u32 v179, v155, 24, 2
	v_and_b32_e32 v155, 0x3030303, v155
	v_lshlrev_b32_e32 v172, 2, v172
	ds_load_2addr_b32 v[146:147], v29 offset1:1
	ds_load_2addr_b32 v[45:46], v30 offset1:1
	ds_load_2addr_b32 v[29:30], v162 offset0:6 offset1:7
	v_lshlrev_b32_e32 v173, 2, v173
	v_sub_nc_u16 v179, v179, v180
	v_lshrrev_b32_e32 v180, 16, v155
	v_and_b32_e32 v172, 0x4040404, v172
	v_lshlrev_b16 v177, 8, v177
	v_and_b32_e32 v173, 0x4040404, v173
	v_lshlrev_b16 v167, 8, v167
	v_sub_nc_u16 v180, v180, v181
	v_lshrrev_b16 v181, 8, v155
	v_sub_nc_u16 v155, v155, v169
	v_lshrrev_b16 v169, 8, v169
	v_lshrrev_b32_e32 v184, 24, v172
	v_lshrrev_b32_e32 v185, 16, v172
	;; [unrolled: 1-line block ×4, first 2 shown]
	v_sub_nc_u16 v169, v181, v169
	v_bfe_u32 v181, v156, 24, 2
	v_and_b32_e32 v156, 0x3030303, v156
	s_waitcnt lgkmcnt(2)
	v_ashrrev_i32_e32 v146, s1, v146
	v_ashrrev_i32_e32 v147, s1, v147
	v_lshlrev_b16 v179, 8, v179
	v_sub_nc_u16 v181, v181, v182
	v_lshrrev_b32_e32 v182, 16, v156
	v_lshlrev_b32_e32 v146, 2, v146
	v_lshlrev_b32_e32 v147, 2, v147
	v_lshlrev_b16 v169, 8, v169
	v_lshlrev_b16 v181, 8, v181
	v_sub_nc_u16 v182, v182, v183
	v_lshrrev_b16 v183, 8, v156
	v_sub_nc_u16 v156, v156, v170
	v_lshrrev_b16 v170, 8, v170
	v_and_b32_e32 v146, 0x4040404, v146
	v_and_b32_e32 v147, 0x4040404, v147
	v_ashrrev_i32_e32 v41, s1, v41
	v_ashrrev_i32_e32 v43, s1, v43
	v_sub_nc_u16 v170, v183, v170
	v_bfe_u32 v183, v160, 24, 2
	v_and_b32_e32 v160, 0x3030303, v160
	v_lshrrev_b32_e32 v188, 24, v146
	v_lshrrev_b32_e32 v189, 16, v146
	;; [unrolled: 1-line block ×3, first 2 shown]
	v_sub_nc_u16 v183, v183, v184
	v_lshrrev_b32_e32 v184, 16, v160
	v_lshrrev_b32_e32 v191, 16, v147
	v_lshlrev_b16 v170, 8, v170
	v_lshlrev_b32_e32 v41, 2, v41
	v_lshlrev_b16 v183, 8, v183
	v_sub_nc_u16 v184, v184, v185
	v_lshrrev_b16 v185, 8, v160
	v_sub_nc_u16 v160, v160, v172
	v_lshrrev_b16 v172, 8, v172
	v_and_b32_e32 v41, 0x4040404, v41
	v_lshlrev_b32_e32 v43, 2, v43
	s_waitcnt lgkmcnt(1)
	v_ashrrev_i32_e32 v45, s1, v45
	v_and_b32_e32 v2, 0x4040404, v2
	v_sub_nc_u16 v172, v185, v172
	v_bfe_u32 v185, v161, 24, 2
	v_and_b32_e32 v161, 0x3030303, v161
	v_and_b32_e32 v43, 0x4040404, v43
	v_lshlrev_b32_e32 v45, 2, v45
	v_lshlrev_b16 v172, 8, v172
	v_sub_nc_u16 v185, v185, v186
	v_lshrrev_b32_e32 v186, 16, v161
	v_ashrrev_i32_e32 v4, s25, v4
	v_and_b32_e32 v45, 0x4040404, v45
	v_ashrrev_i32_e32 v6, s1, v6
	v_lshlrev_b16 v185, 8, v185
	v_sub_nc_u16 v186, v186, v187
	v_lshrrev_b16 v187, 8, v161
	v_sub_nc_u16 v161, v161, v173
	v_lshrrev_b16 v173, 8, v173
	v_lshlrev_b32_e32 v6, 2, v6
	s_waitcnt lgkmcnt(0)
	v_ashrrev_i32_e32 v29, s25, v29
	v_and_b32_e32 v3, 0x4040404, v3
	v_ashrrev_i32_e32 v5, s25, v5
	v_sub_nc_u16 v173, v187, v173
	v_bfe_u32 v187, v163, 24, 2
	v_and_b32_e32 v163, 0x3030303, v163
	v_and_b32_e32 v6, 0x4040404, v6
	v_ashrrev_i32_e32 v7, s1, v7
	v_lshlrev_b16 v173, 8, v173
	v_sub_nc_u16 v187, v187, v188
	v_lshrrev_b32_e32 v188, 16, v163
	v_ashrrev_i32_e32 v30, s25, v30
	v_lshlrev_b32_e32 v7, 2, v7
	s_delay_alu instid0(VALU_DEP_4) | instskip(NEXT) | instid1(VALU_DEP_4)
	v_lshlrev_b16 v187, 8, v187
	v_sub_nc_u16 v188, v188, v189
	v_lshrrev_b16 v189, 8, v163
	v_sub_nc_u16 v163, v163, v146
	v_lshrrev_b16 v146, 8, v146
	v_and_b32_e32 v7, 0x4040404, v7
	s_delay_alu instid0(VALU_DEP_2) | instskip(SKIP_2) | instid1(VALU_DEP_3)
	v_sub_nc_u16 v146, v189, v146
	v_bfe_u32 v189, v164, 24, 2
	v_and_b32_e32 v164, 0x3030303, v164
	v_lshlrev_b16 v146, 8, v146
	s_delay_alu instid0(VALU_DEP_3) | instskip(NEXT) | instid1(VALU_DEP_3)
	v_sub_nc_u16 v189, v189, v190
	v_lshrrev_b32_e32 v190, 16, v164
	s_delay_alu instid0(VALU_DEP_2) | instskip(NEXT) | instid1(VALU_DEP_2)
	v_lshlrev_b16 v189, 8, v189
	v_sub_nc_u16 v190, v190, v191
	v_lshrrev_b16 v191, 8, v164
	v_sub_nc_u16 v164, v164, v147
	v_lshrrev_b16 v147, 8, v147
	s_delay_alu instid0(VALU_DEP_1) | instskip(SKIP_1) | instid1(VALU_DEP_2)
	v_sub_nc_u16 v147, v191, v147
	v_and_b32_e32 v191, 0xff, v176
	v_lshlrev_b16 v147, 8, v147
	s_delay_alu instid0(VALU_DEP_2) | instskip(SKIP_1) | instid1(VALU_DEP_2)
	v_or_b32_e32 v175, v191, v175
	v_and_b32_e32 v191, 0xff, v153
	v_perm_b32 v153, v153, v175, 0x4010c0c
	s_delay_alu instid0(VALU_DEP_2) | instskip(SKIP_1) | instid1(VALU_DEP_2)
	v_or_b32_e32 v166, v191, v166
	v_and_b32_e32 v191, 0xff, v178
	v_perm_b32 v166, v176, v166, 0xc0c0401
	s_delay_alu instid0(VALU_DEP_2) | instskip(SKIP_1) | instid1(VALU_DEP_3)
	v_or_b32_e32 v177, v191, v177
	v_and_b32_e32 v191, 0xff, v154
	v_or_b32_e32 v153, v153, v166
	s_delay_alu instid0(VALU_DEP_3) | instskip(NEXT) | instid1(VALU_DEP_3)
	v_perm_b32 v154, v154, v177, 0x4010c0c
	v_or_b32_e32 v167, v191, v167
	v_and_b32_e32 v191, 0xff, v180
	s_delay_alu instid0(VALU_DEP_4) | instskip(NEXT) | instid1(VALU_DEP_3)
	v_dot4_i32_iu8 v153, v153, v151, 0 neg_lo:[1,1,0]
	v_perm_b32 v167, v178, v167, 0xc0c0401
	s_delay_alu instid0(VALU_DEP_3) | instskip(SKIP_1) | instid1(VALU_DEP_3)
	v_or_b32_e32 v179, v191, v179
	v_and_b32_e32 v191, 0xff, v155
	v_or_b32_e32 v154, v154, v167
	s_delay_alu instid0(VALU_DEP_3) | instskip(NEXT) | instid1(VALU_DEP_3)
	v_perm_b32 v155, v155, v179, 0x4010c0c
	v_or_b32_e32 v169, v191, v169
	v_and_b32_e32 v191, 0xff, v182
	s_delay_alu instid0(VALU_DEP_2) | instskip(NEXT) | instid1(VALU_DEP_2)
	v_perm_b32 v169, v180, v169, 0xc0c0401
	v_or_b32_e32 v181, v191, v181
	v_and_b32_e32 v191, 0xff, v156
	s_delay_alu instid0(VALU_DEP_3) | instskip(NEXT) | instid1(VALU_DEP_3)
	v_or_b32_e32 v155, v155, v169
	v_perm_b32 v156, v156, v181, 0x4010c0c
	s_delay_alu instid0(VALU_DEP_3) | instskip(SKIP_1) | instid1(VALU_DEP_4)
	v_or_b32_e32 v170, v191, v170
	v_and_b32_e32 v191, 0xff, v184
	v_dot4_i32_iu8 v155, v155, v151, 0 neg_lo:[1,1,0]
	s_delay_alu instid0(VALU_DEP_3) | instskip(NEXT) | instid1(VALU_DEP_3)
	v_perm_b32 v170, v182, v170, 0xc0c0401
	v_or_b32_e32 v183, v191, v183
	v_and_b32_e32 v191, 0xff, v160
	s_delay_alu instid0(VALU_DEP_3) | instskip(NEXT) | instid1(VALU_DEP_3)
	v_or_b32_e32 v156, v156, v170
	v_perm_b32 v160, v160, v183, 0x4010c0c
	s_delay_alu instid0(VALU_DEP_3) | instskip(SKIP_1) | instid1(VALU_DEP_2)
	v_or_b32_e32 v172, v191, v172
	v_and_b32_e32 v191, 0xff, v186
	v_perm_b32 v172, v184, v172, 0xc0c0401
	s_delay_alu instid0(VALU_DEP_2) | instskip(SKIP_1) | instid1(VALU_DEP_3)
	v_or_b32_e32 v185, v191, v185
	v_and_b32_e32 v191, 0xff, v161
	v_or_b32_e32 v160, v160, v172
	s_delay_alu instid0(VALU_DEP_3) | instskip(NEXT) | instid1(VALU_DEP_3)
	v_perm_b32 v161, v161, v185, 0x4010c0c
	v_or_b32_e32 v173, v191, v173
	v_and_b32_e32 v191, 0xff, v188
	s_delay_alu instid0(VALU_DEP_4) | instskip(NEXT) | instid1(VALU_DEP_3)
	v_dot4_i32_iu8 v160, v160, v151, 0 neg_lo:[1,1,0]
	v_perm_b32 v173, v186, v173, 0xc0c0401
	s_delay_alu instid0(VALU_DEP_3) | instskip(SKIP_1) | instid1(VALU_DEP_3)
	v_or_b32_e32 v187, v191, v187
	v_and_b32_e32 v191, 0xff, v163
	v_or_b32_e32 v161, v161, v173
	s_delay_alu instid0(VALU_DEP_3) | instskip(NEXT) | instid1(VALU_DEP_3)
	v_perm_b32 v163, v163, v187, 0x4010c0c
	v_or_b32_e32 v146, v191, v146
	v_and_b32_e32 v191, 0xff, v190
	s_delay_alu instid0(VALU_DEP_4) | instskip(NEXT) | instid1(VALU_DEP_3)
	v_dot4_i32_iu8 v160, v161, v152, v160 neg_lo:[1,1,0]
	v_perm_b32 v146, v188, v146, 0xc0c0401
	s_delay_alu instid0(VALU_DEP_3) | instskip(SKIP_1) | instid1(VALU_DEP_3)
	v_or_b32_e32 v189, v191, v189
	v_and_b32_e32 v191, 0xff, v164
	v_or_b32_e32 v146, v163, v146
	s_delay_alu instid0(VALU_DEP_3) | instskip(NEXT) | instid1(VALU_DEP_3)
	v_perm_b32 v164, v164, v189, 0x4010c0c
	v_or_b32_e32 v147, v191, v147
	v_dot4_i32_iu8 v163, v154, v152, v153 neg_lo:[1,1,0]
	s_delay_alu instid0(VALU_DEP_4) | instskip(SKIP_1) | instid1(VALU_DEP_4)
	v_dot4_i32_iu8 v146, v146, v151, 0 neg_lo:[1,1,0]
	v_add_nc_u32_e32 v151, s28, v92
	v_perm_b32 v147, v190, v147, 0xc0c0401
	s_delay_alu instid0(VALU_DEP_1) | instskip(SKIP_2) | instid1(VALU_DEP_3)
	v_or_b32_e32 v147, v164, v147
	v_dot4_i32_iu8 v164, v156, v152, v155 neg_lo:[1,1,0]
	v_add_nc_u32_e32 v156, 0x4218, v174
	v_dot4_i32_iu8 v161, v147, v152, v146 neg_lo:[1,1,0]
	ds_load_2addr_b32 v[146:147], v148 offset0:4 offset1:5
	s_waitcnt lgkmcnt(0)
	v_ashrrev_i32_e32 v166, s25, v146
	v_ashrrev_i32_e32 v167, s25, v147
	ds_load_2addr_b32 v[146:147], v149 offset0:4 offset1:5
	v_add_nc_u32_e32 v149, 0x4218, v168
	s_waitcnt lgkmcnt(0)
	v_ashrrev_i32_e32 v169, s25, v146
	v_ashrrev_i32_e32 v170, s25, v147
	ds_load_2addr_b32 v[146:147], v157 offset0:4 offset1:5
	s_waitcnt lgkmcnt(0)
	v_ashrrev_i32_e32 v172, s25, v146
	v_ashrrev_i32_e32 v173, s25, v147
	ds_load_2addr_b32 v[146:147], v162 offset0:4 offset1:5
	s_waitcnt lgkmcnt(0)
	v_ashrrev_i32_e32 v162, s25, v146
	v_add_nc_u32_e32 v146, 0x4210, v165
	v_ashrrev_i32_e32 v175, s25, v147
	ds_load_2addr_b32 v[146:147], v146 offset1:1
	s_waitcnt lgkmcnt(0)
	v_ashrrev_i32_e32 v165, s1, v146
	v_add3_u32 v146, v113, s26, v151
	v_ashrrev_i32_e32 v176, s1, v147
	v_add_nc_u32_e32 v147, 0x4210, v168
	s_delay_alu instid0(VALU_DEP_4)
	v_lshlrev_b32_e32 v165, 2, v165
	ds_load_u16 v148, v146 offset:26370
	v_add_nc_u32_e32 v146, s27, v99
	ds_load_b32 v146, v146
	ds_load_2addr_b32 v[152:153], v147 offset1:1
	ds_load_2addr_b32 v[154:155], v149 offset1:1
	v_add_nc_u32_e32 v147, 0x4210, v171
	v_and_b32_e32 v165, 0x4040404, v165
	v_lshlrev_b32_e32 v176, 2, v176
	s_delay_alu instid0(VALU_DEP_2) | instskip(SKIP_1) | instid1(VALU_DEP_3)
	v_lshrrev_b32_e32 v179, 24, v165
	v_lshrrev_b32_e32 v180, 16, v165
	v_and_b32_e32 v176, 0x4040404, v176
	s_delay_alu instid0(VALU_DEP_1)
	v_lshrrev_b32_e32 v181, 24, v176
	v_lshrrev_b32_e32 v182, 16, v176
	s_waitcnt lgkmcnt(1)
	v_ashrrev_i32_e32 v168, s1, v152
	v_ashrrev_i32_e32 v177, s1, v153
	ds_load_2addr_b32 v[152:153], v147 offset1:1
	v_add3_u32 v147, v111, s26, v151
	v_lshlrev_b32_e32 v168, 2, v168
	v_lshlrev_b32_e32 v177, 2, v177
	ds_load_u16 v149, v147 offset:28418
	v_add_nc_u32_e32 v147, s27, v106
	v_and_b32_e32 v168, 0x4040404, v168
	v_and_b32_e32 v177, 0x4040404, v177
	s_delay_alu instid0(VALU_DEP_2) | instskip(SKIP_1) | instid1(VALU_DEP_3)
	v_lshrrev_b32_e32 v183, 24, v168
	v_lshrrev_b32_e32 v184, 16, v168
	;; [unrolled: 1-line block ×4, first 2 shown]
	s_waitcnt lgkmcnt(1)
	v_ashrrev_i32_e32 v171, s1, v152
	v_add_nc_u32_e32 v152, 0x4210, v174
	v_bfe_u32 v174, v166, 24, 2
	v_and_b32_e32 v166, 0x3030303, v166
	v_ashrrev_i32_e32 v178, s1, v153
	v_lshlrev_b32_e32 v171, 2, v171
	ds_load_b32 v147, v147
	ds_load_2addr_b32 v[152:153], v152 offset1:1
	ds_load_2addr_b32 v[156:157], v156 offset1:1
	v_sub_nc_u16 v174, v174, v179
	v_lshrrev_b32_e32 v179, 16, v166
	v_lshlrev_b32_e32 v178, 2, v178
	v_and_b32_e32 v171, 0x4040404, v171
	s_delay_alu instid0(VALU_DEP_4) | instskip(NEXT) | instid1(VALU_DEP_4)
	v_lshlrev_b16 v174, 8, v174
	v_sub_nc_u16 v179, v179, v180
	v_lshrrev_b16 v180, 8, v166
	v_sub_nc_u16 v166, v166, v165
	v_lshrrev_b16 v165, 8, v165
	v_lshrrev_b32_e32 v187, 24, v171
	v_lshrrev_b32_e32 v188, 16, v171
	v_and_b32_e32 v178, 0x4040404, v178
	s_delay_alu instid0(VALU_DEP_4) | instskip(SKIP_2) | instid1(VALU_DEP_4)
	v_sub_nc_u16 v165, v180, v165
	v_bfe_u32 v180, v167, 24, 2
	v_and_b32_e32 v167, 0x3030303, v167
	v_lshrrev_b32_e32 v189, 24, v178
	s_waitcnt lgkmcnt(1)
	v_ashrrev_i32_e32 v152, s1, v152
	v_lshrrev_b32_e32 v190, 16, v178
	v_sub_nc_u16 v180, v180, v181
	v_lshrrev_b32_e32 v181, 16, v167
	v_ashrrev_i32_e32 v153, s1, v153
	v_lshlrev_b32_e32 v152, 2, v152
	v_lshlrev_b16 v165, 8, v165
	v_lshlrev_b16 v180, 8, v180
	v_sub_nc_u16 v181, v181, v182
	v_lshrrev_b16 v182, 8, v167
	v_sub_nc_u16 v167, v167, v176
	v_lshrrev_b16 v176, 8, v176
	v_and_b32_e32 v152, 0x4040404, v152
	v_lshlrev_b32_e32 v153, 2, v153
	s_waitcnt lgkmcnt(0)
	v_ashrrev_i32_e32 v156, s1, v156
	v_sub_nc_u16 v176, v182, v176
	v_bfe_u32 v182, v169, 24, 2
	v_and_b32_e32 v169, 0x3030303, v169
	v_lshrrev_b32_e32 v191, 24, v152
	v_lshrrev_b32_e32 v192, 16, v152
	v_and_b32_e32 v153, 0x4040404, v153
	v_sub_nc_u16 v182, v182, v183
	v_lshrrev_b32_e32 v183, 16, v169
	v_lshlrev_b16 v176, 8, v176
	v_lshlrev_b32_e32 v156, 2, v156
	v_lshrrev_b32_e32 v193, 24, v153
	v_lshrrev_b32_e32 v194, 16, v153
	v_sub_nc_u16 v183, v183, v184
	v_lshrrev_b16 v184, 8, v169
	v_sub_nc_u16 v169, v169, v168
	v_lshrrev_b16 v168, 8, v168
	v_lshlrev_b16 v182, 8, v182
	v_and_b32_e32 v156, 0x4040404, v156
	s_delay_alu instid0(VALU_DEP_3) | instskip(SKIP_2) | instid1(VALU_DEP_3)
	v_sub_nc_u16 v168, v184, v168
	v_bfe_u32 v184, v170, 24, 2
	v_and_b32_e32 v170, 0x3030303, v170
	v_lshlrev_b16 v168, 8, v168
	s_delay_alu instid0(VALU_DEP_3) | instskip(NEXT) | instid1(VALU_DEP_3)
	v_sub_nc_u16 v184, v184, v185
	v_lshrrev_b32_e32 v185, 16, v170
	s_delay_alu instid0(VALU_DEP_2) | instskip(NEXT) | instid1(VALU_DEP_2)
	v_lshlrev_b16 v184, 8, v184
	v_sub_nc_u16 v185, v185, v186
	v_lshrrev_b16 v186, 8, v170
	v_sub_nc_u16 v170, v170, v177
	v_lshrrev_b16 v177, 8, v177
	s_delay_alu instid0(VALU_DEP_1) | instskip(SKIP_2) | instid1(VALU_DEP_3)
	v_sub_nc_u16 v177, v186, v177
	v_bfe_u32 v186, v172, 24, 2
	v_and_b32_e32 v172, 0x3030303, v172
	v_lshlrev_b16 v177, 8, v177
	s_delay_alu instid0(VALU_DEP_3) | instskip(NEXT) | instid1(VALU_DEP_3)
	v_sub_nc_u16 v186, v186, v187
	v_lshrrev_b32_e32 v187, 16, v172
	s_delay_alu instid0(VALU_DEP_2) | instskip(NEXT) | instid1(VALU_DEP_2)
	v_lshlrev_b16 v186, 8, v186
	v_sub_nc_u16 v187, v187, v188
	v_lshrrev_b16 v188, 8, v172
	v_sub_nc_u16 v172, v172, v171
	v_lshrrev_b16 v171, 8, v171
	s_delay_alu instid0(VALU_DEP_1) | instskip(SKIP_2) | instid1(VALU_DEP_3)
	;; [unrolled: 14-line block ×4, first 2 shown]
	v_sub_nc_u16 v152, v192, v152
	v_bfe_u32 v192, v175, 24, 2
	v_and_b32_e32 v175, 0x3030303, v175
	v_lshlrev_b16 v152, 8, v152
	s_delay_alu instid0(VALU_DEP_3) | instskip(NEXT) | instid1(VALU_DEP_3)
	v_sub_nc_u16 v192, v192, v193
	v_lshrrev_b32_e32 v193, 16, v175
	s_delay_alu instid0(VALU_DEP_2) | instskip(NEXT) | instid1(VALU_DEP_2)
	v_lshlrev_b16 v192, 8, v192
	v_sub_nc_u16 v193, v193, v194
	v_lshrrev_b16 v194, 8, v175
	v_sub_nc_u16 v175, v175, v153
	v_lshrrev_b16 v153, 8, v153
	s_delay_alu instid0(VALU_DEP_1) | instskip(SKIP_1) | instid1(VALU_DEP_2)
	v_sub_nc_u16 v153, v194, v153
	v_and_b32_e32 v194, 0xff, v179
	v_lshlrev_b16 v153, 8, v153
	s_delay_alu instid0(VALU_DEP_2) | instskip(SKIP_1) | instid1(VALU_DEP_2)
	v_or_b32_e32 v174, v194, v174
	v_and_b32_e32 v194, 0xff, v166
	v_perm_b32 v166, v166, v174, 0x4010c0c
	s_delay_alu instid0(VALU_DEP_2) | instskip(SKIP_1) | instid1(VALU_DEP_2)
	v_or_b32_e32 v165, v194, v165
	v_and_b32_e32 v194, 0xff, v181
	v_perm_b32 v165, v179, v165, 0xc0c0401
	s_delay_alu instid0(VALU_DEP_2) | instskip(SKIP_1) | instid1(VALU_DEP_3)
	v_or_b32_e32 v180, v194, v180
	v_and_b32_e32 v194, 0xff, v167
	v_or_b32_e32 v165, v166, v165
	s_delay_alu instid0(VALU_DEP_3) | instskip(NEXT) | instid1(VALU_DEP_3)
	v_perm_b32 v167, v167, v180, 0x4010c0c
	v_or_b32_e32 v176, v194, v176
	v_and_b32_e32 v194, 0xff, v183
	s_delay_alu instid0(VALU_DEP_2) | instskip(NEXT) | instid1(VALU_DEP_2)
	v_perm_b32 v174, v181, v176, 0xc0c0401
	v_or_b32_e32 v182, v194, v182
	v_and_b32_e32 v194, 0xff, v169
	s_delay_alu instid0(VALU_DEP_3) | instskip(NEXT) | instid1(VALU_DEP_3)
	v_or_b32_e32 v166, v167, v174
	v_perm_b32 v169, v169, v182, 0x4010c0c
	s_delay_alu instid0(VALU_DEP_3) | instskip(SKIP_1) | instid1(VALU_DEP_2)
	v_or_b32_e32 v168, v194, v168
	v_and_b32_e32 v194, 0xff, v185
	v_perm_b32 v168, v183, v168, 0xc0c0401
	s_delay_alu instid0(VALU_DEP_2) | instskip(SKIP_1) | instid1(VALU_DEP_3)
	v_or_b32_e32 v184, v194, v184
	v_and_b32_e32 v194, 0xff, v170
	v_or_b32_e32 v167, v169, v168
	s_delay_alu instid0(VALU_DEP_3) | instskip(NEXT) | instid1(VALU_DEP_3)
	v_perm_b32 v170, v170, v184, 0x4010c0c
	v_or_b32_e32 v177, v194, v177
	v_and_b32_e32 v194, 0xff, v187
	s_delay_alu instid0(VALU_DEP_2) | instskip(NEXT) | instid1(VALU_DEP_2)
	v_perm_b32 v176, v185, v177, 0xc0c0401
	v_or_b32_e32 v186, v194, v186
	v_and_b32_e32 v194, 0xff, v172
	s_delay_alu instid0(VALU_DEP_3) | instskip(NEXT) | instid1(VALU_DEP_3)
	v_or_b32_e32 v168, v170, v176
	v_perm_b32 v172, v172, v186, 0x4010c0c
	s_delay_alu instid0(VALU_DEP_3) | instskip(SKIP_1) | instid1(VALU_DEP_2)
	v_or_b32_e32 v171, v194, v171
	v_and_b32_e32 v194, 0xff, v189
	v_perm_b32 v171, v187, v171, 0xc0c0401
	s_delay_alu instid0(VALU_DEP_2) | instskip(SKIP_1) | instid1(VALU_DEP_3)
	v_or_b32_e32 v188, v194, v188
	v_and_b32_e32 v194, 0xff, v173
	v_or_b32_e32 v169, v172, v171
	s_delay_alu instid0(VALU_DEP_3) | instskip(NEXT) | instid1(VALU_DEP_3)
	v_perm_b32 v173, v173, v188, 0x4010c0c
	v_or_b32_e32 v178, v194, v178
	v_and_b32_e32 v194, 0xff, v191
	v_lshrrev_b32_e32 v171, 24, v45
	v_lshrrev_b32_e32 v172, 16, v45
	s_delay_alu instid0(VALU_DEP_4) | instskip(NEXT) | instid1(VALU_DEP_4)
	v_perm_b32 v177, v189, v178, 0xc0c0401
	v_or_b32_e32 v190, v194, v190
	v_and_b32_e32 v194, 0xff, v162
	s_delay_alu instid0(VALU_DEP_3) | instskip(NEXT) | instid1(VALU_DEP_3)
	v_or_b32_e32 v170, v173, v177
	v_perm_b32 v162, v162, v190, 0x4010c0c
	s_delay_alu instid0(VALU_DEP_3) | instskip(SKIP_1) | instid1(VALU_DEP_2)
	v_or_b32_e32 v152, v194, v152
	v_and_b32_e32 v194, 0xff, v193
	v_perm_b32 v152, v191, v152, 0xc0c0401
	s_delay_alu instid0(VALU_DEP_2) | instskip(SKIP_1) | instid1(VALU_DEP_3)
	v_or_b32_e32 v192, v194, v192
	v_and_b32_e32 v194, 0xff, v175
	v_or_b32_e32 v152, v162, v152
	s_delay_alu instid0(VALU_DEP_3) | instskip(NEXT) | instid1(VALU_DEP_3)
	v_perm_b32 v175, v175, v192, 0x4010c0c
	v_or_b32_e32 v153, v194, v153
	v_dot4_i32_iu8 v162, v165, v158, 0 neg_lo:[1,1,0]
	v_dot4_i32_iu8 v165, v167, v158, 0 neg_lo:[1,1,0]
	;; [unrolled: 1-line block ×4, first 2 shown]
	v_perm_b32 v153, v193, v153, 0xc0c0401
	v_dot4_i32_iu8 v158, v166, v159, v162 neg_lo:[1,1,0]
	v_dot4_i32_iu8 v162, v168, v159, v165 neg_lo:[1,1,0]
	v_dot4_i32_iu8 v165, v170, v159, v167 neg_lo:[1,1,0]
	v_lshrrev_b32_e32 v166, 16, v39
	v_or_b32_e32 v153, v175, v153
	v_lshrrev_b32_e32 v167, 24, v41
	v_lshrrev_b32_e32 v168, 16, v41
	v_lshrrev_b32_e32 v169, 24, v43
	v_lshrrev_b32_e32 v170, 16, v43
	v_dot4_i32_iu8 v152, v153, v159, v152 neg_lo:[1,1,0]
	v_bfe_u32 v153, v31, 24, 2
	v_lshrrev_b32_e32 v159, 24, v39
	v_and_b32_e32 v31, 0x3030303, v31
	s_delay_alu instid0(VALU_DEP_2) | instskip(NEXT) | instid1(VALU_DEP_2)
	v_sub_nc_u16 v153, v153, v159
	v_lshrrev_b32_e32 v159, 16, v31
	s_delay_alu instid0(VALU_DEP_2) | instskip(NEXT) | instid1(VALU_DEP_2)
	v_lshlrev_b16 v153, 8, v153
	v_sub_nc_u16 v159, v159, v166
	v_lshrrev_b16 v166, 8, v31
	v_sub_nc_u16 v31, v31, v39
	v_lshrrev_b16 v39, 8, v39
	s_delay_alu instid0(VALU_DEP_1) | instskip(SKIP_2) | instid1(VALU_DEP_3)
	v_sub_nc_u16 v39, v166, v39
	v_bfe_u32 v166, v33, 24, 2
	v_and_b32_e32 v33, 0x3030303, v33
	v_lshlrev_b16 v39, 8, v39
	s_delay_alu instid0(VALU_DEP_3) | instskip(NEXT) | instid1(VALU_DEP_3)
	v_sub_nc_u16 v166, v166, v167
	v_lshrrev_b32_e32 v167, 16, v33
	s_delay_alu instid0(VALU_DEP_2) | instskip(NEXT) | instid1(VALU_DEP_2)
	v_lshlrev_b16 v166, 8, v166
	v_sub_nc_u16 v167, v167, v168
	v_lshrrev_b16 v168, 8, v33
	v_sub_nc_u16 v33, v33, v41
	v_lshrrev_b16 v41, 8, v41
	s_delay_alu instid0(VALU_DEP_1) | instskip(SKIP_2) | instid1(VALU_DEP_3)
	v_sub_nc_u16 v41, v168, v41
	v_bfe_u32 v168, v35, 24, 2
	v_and_b32_e32 v35, 0x3030303, v35
	v_lshlrev_b16 v41, 8, v41
	s_delay_alu instid0(VALU_DEP_3) | instskip(NEXT) | instid1(VALU_DEP_3)
	;; [unrolled: 14-line block ×3, first 2 shown]
	v_sub_nc_u16 v170, v170, v171
	v_lshrrev_b32_e32 v171, 16, v37
	s_delay_alu instid0(VALU_DEP_2) | instskip(NEXT) | instid1(VALU_DEP_2)
	v_lshlrev_b16 v170, 8, v170
	v_sub_nc_u16 v171, v171, v172
	v_lshrrev_b16 v172, 8, v37
	v_sub_nc_u16 v37, v37, v45
	v_lshrrev_b16 v45, 8, v45
	s_delay_alu instid0(VALU_DEP_1) | instskip(SKIP_1) | instid1(VALU_DEP_2)
	v_sub_nc_u16 v45, v172, v45
	v_and_b32_e32 v172, 0xff, v159
	v_lshlrev_b16 v45, 8, v45
	s_delay_alu instid0(VALU_DEP_2) | instskip(SKIP_1) | instid1(VALU_DEP_2)
	v_or_b32_e32 v153, v172, v153
	v_and_b32_e32 v172, 0xff, v31
	v_perm_b32 v31, v31, v153, 0x4010c0c
	s_delay_alu instid0(VALU_DEP_2) | instskip(SKIP_1) | instid1(VALU_DEP_2)
	v_or_b32_e32 v39, v172, v39
	v_and_b32_e32 v172, 0xff, v167
	v_perm_b32 v39, v159, v39, 0xc0c0401
	s_delay_alu instid0(VALU_DEP_2) | instskip(SKIP_2) | instid1(VALU_DEP_4)
	v_or_b32_e32 v166, v172, v166
	v_and_b32_e32 v172, 0xff, v33
	v_lshrrev_b32_e32 v159, 16, v6
	v_or_b32_e32 v31, v31, v39
	s_delay_alu instid0(VALU_DEP_4) | instskip(NEXT) | instid1(VALU_DEP_4)
	v_perm_b32 v33, v33, v166, 0x4010c0c
	v_or_b32_e32 v41, v172, v41
	v_and_b32_e32 v172, 0xff, v169
	v_bfe_u32 v39, v27, 24, 2
	v_and_b32_e32 v27, 0x3030303, v27
	v_dot4_i32_iu8 v31, v31, v150, v163 neg_lo:[1,1,0]
	v_perm_b32 v41, v167, v41, 0xc0c0401
	v_or_b32_e32 v168, v172, v168
	v_and_b32_e32 v172, 0xff, v35
	s_delay_alu instid0(VALU_DEP_3) | instskip(NEXT) | instid1(VALU_DEP_3)
	v_or_b32_e32 v33, v33, v41
	v_perm_b32 v35, v35, v168, 0x4010c0c
	s_delay_alu instid0(VALU_DEP_3) | instskip(SKIP_3) | instid1(VALU_DEP_4)
	v_or_b32_e32 v43, v172, v43
	v_lshrrev_b32_e32 v41, 24, v2
	v_and_b32_e32 v172, 0xff, v171
	v_dot4_i32_iu8 v33, v33, v150, v164 neg_lo:[1,1,0]
	v_perm_b32 v43, v169, v43, 0xc0c0401
	s_delay_alu instid0(VALU_DEP_4)
	v_sub_nc_u16 v39, v39, v41
	v_lshrrev_b32_e32 v41, 16, v27
	v_or_b32_e32 v170, v172, v170
	v_and_b32_e32 v172, 0xff, v37
	v_or_b32_e32 v35, v35, v43
	v_lshrrev_b32_e32 v43, 16, v2
	v_lshlrev_b16 v39, 8, v39
	v_perm_b32 v37, v37, v170, 0x4010c0c
	v_or_b32_e32 v45, v172, v45
	v_dot4_i32_iu8 v35, v35, v150, v160 neg_lo:[1,1,0]
	v_sub_nc_u16 v41, v41, v43
	v_lshrrev_b16 v43, 8, v27
	v_sub_nc_u16 v27, v27, v2
	v_lshrrev_b16 v2, 8, v2
	v_perm_b32 v45, v171, v45, 0xc0c0401
	v_lshrrev_b32_e32 v160, 24, v156
	s_delay_alu instid0(VALU_DEP_3) | instskip(SKIP_1) | instid1(VALU_DEP_4)
	v_sub_nc_u16 v2, v43, v2
	v_ashrrev_i32_e32 v43, s1, v154
	v_or_b32_e32 v37, v37, v45
	v_bfe_u32 v45, v4, 24, 2
	v_and_b32_e32 v4, 0x3030303, v4
	v_lshrrev_b32_e32 v154, 24, v6
	v_lshlrev_b32_e32 v43, 2, v43
	v_dot4_i32_iu8 v37, v37, v150, v161 neg_lo:[1,1,0]
	v_lshrrev_b32_e32 v161, 16, v156
	v_lshlrev_b16 v2, 8, v2
	s_delay_alu instid0(VALU_DEP_4) | instskip(NEXT) | instid1(VALU_DEP_1)
	v_and_b32_e32 v43, 0x4040404, v43
	v_lshrrev_b32_e32 v150, 24, v43
	v_lshrrev_b32_e32 v153, 16, v43
	s_delay_alu instid0(VALU_DEP_2) | instskip(SKIP_1) | instid1(VALU_DEP_2)
	v_sub_nc_u16 v45, v45, v150
	v_lshrrev_b32_e32 v150, 16, v4
	v_lshlrev_b16 v45, 8, v45
	s_delay_alu instid0(VALU_DEP_2) | instskip(SKIP_3) | instid1(VALU_DEP_1)
	v_sub_nc_u16 v150, v150, v153
	v_lshrrev_b16 v153, 8, v4
	v_sub_nc_u16 v4, v4, v43
	v_lshrrev_b16 v43, 8, v43
	v_sub_nc_u16 v43, v153, v43
	v_bfe_u32 v153, v0, 24, 2
	v_and_b32_e32 v0, 0x3030303, v0
	s_delay_alu instid0(VALU_DEP_3) | instskip(NEXT) | instid1(VALU_DEP_3)
	v_lshlrev_b16 v43, 8, v43
	v_sub_nc_u16 v153, v153, v154
	s_delay_alu instid0(VALU_DEP_3) | instskip(NEXT) | instid1(VALU_DEP_2)
	v_lshrrev_b32_e32 v154, 16, v0
	v_lshlrev_b16 v153, 8, v153
	s_delay_alu instid0(VALU_DEP_2) | instskip(SKIP_3) | instid1(VALU_DEP_1)
	v_sub_nc_u16 v154, v154, v159
	v_lshrrev_b16 v159, 8, v0
	v_sub_nc_u16 v0, v0, v6
	v_lshrrev_b16 v6, 8, v6
	v_sub_nc_u16 v6, v159, v6
	v_bfe_u32 v159, v29, 24, 2
	v_and_b32_e32 v29, 0x3030303, v29
	s_delay_alu instid0(VALU_DEP_3) | instskip(NEXT) | instid1(VALU_DEP_3)
	v_lshlrev_b16 v6, 8, v6
	v_sub_nc_u16 v159, v159, v160
	s_delay_alu instid0(VALU_DEP_3) | instskip(NEXT) | instid1(VALU_DEP_2)
	v_lshrrev_b32_e32 v160, 16, v29
	v_lshlrev_b16 v159, 8, v159
	s_delay_alu instid0(VALU_DEP_2) | instskip(SKIP_3) | instid1(VALU_DEP_1)
	v_sub_nc_u16 v160, v160, v161
	v_lshrrev_b16 v161, 8, v29
	v_sub_nc_u16 v29, v29, v156
	v_lshrrev_b16 v156, 8, v156
	v_sub_nc_u16 v156, v161, v156
	v_and_b32_e32 v161, 0xff, v41
	s_delay_alu instid0(VALU_DEP_2) | instskip(NEXT) | instid1(VALU_DEP_2)
	v_lshlrev_b16 v156, 8, v156
	v_or_b32_e32 v39, v161, v39
	v_and_b32_e32 v161, 0xff, v27
	s_delay_alu instid0(VALU_DEP_2) | instskip(NEXT) | instid1(VALU_DEP_2)
	v_perm_b32 v27, v27, v39, 0x4010c0c
	v_or_b32_e32 v2, v161, v2
	v_and_b32_e32 v161, 0xff, v150
	s_delay_alu instid0(VALU_DEP_2) | instskip(NEXT) | instid1(VALU_DEP_2)
	v_perm_b32 v2, v41, v2, 0xc0c0401
	v_or_b32_e32 v45, v161, v45
	v_and_b32_e32 v161, 0xff, v4
	s_delay_alu instid0(VALU_DEP_3) | instskip(SKIP_1) | instid1(VALU_DEP_3)
	v_or_b32_e32 v2, v27, v2
	v_ashrrev_i32_e32 v27, s25, v32
	v_or_b32_e32 v43, v161, v43
	v_and_b32_e32 v161, 0xff, v154
	v_ashrrev_i32_e32 v32, s25, v36
	v_ashrrev_i32_e32 v36, s1, v40
	v_perm_b32 v4, v4, v45, 0x4010c0c
	v_perm_b32 v39, v150, v43, 0xc0c0401
	v_or_b32_e32 v153, v161, v153
	v_and_b32_e32 v161, 0xff, v0
	v_lshlrev_b32_e32 v36, 2, v36
	v_ashrrev_i32_e32 v40, s1, v46
	v_or_b32_e32 v4, v4, v39
	v_perm_b32 v0, v0, v153, 0x4010c0c
	v_or_b32_e32 v6, v161, v6
	v_and_b32_e32 v161, 0xff, v160
	v_and_b32_e32 v36, 0x4040404, v36
	v_ashrrev_i32_e32 v39, s1, v44
	v_dot4_i32_iu8 v2, v2, v145, v158 neg_lo:[1,1,0]
	v_perm_b32 v6, v154, v6, 0xc0c0401
	v_or_b32_e32 v159, v161, v159
	v_and_b32_e32 v161, 0xff, v29
	v_lshrrev_b32_e32 v43, 16, v36
	v_lshlrev_b32_e32 v39, 2, v39
	v_or_b32_e32 v0, v0, v6
	v_perm_b32 v29, v29, v159, 0x4010c0c
	v_or_b32_e32 v156, v161, v156
	v_dot4_i32_iu8 v4, v4, v145, v162 neg_lo:[1,1,0]
	v_and_b32_e32 v39, 0x4040404, v39
	v_dot4_i32_iu8 v0, v0, v145, v165 neg_lo:[1,1,0]
	v_lshlrev_b32_e32 v40, 2, v40
	v_perm_b32 v41, v160, v156, 0xc0c0401
	s_delay_alu instid0(VALU_DEP_4) | instskip(NEXT) | instid1(VALU_DEP_3)
	v_lshrrev_b32_e32 v46, 24, v39
	v_and_b32_e32 v40, 0x4040404, v40
	s_delay_alu instid0(VALU_DEP_3)
	v_or_b32_e32 v6, v29, v41
	v_ashrrev_i32_e32 v29, s25, v34
	v_ashrrev_i32_e32 v34, s25, v38
	v_ashrrev_i32_e32 v38, s1, v42
	v_bfe_u32 v41, v27, 24, 2
	v_lshrrev_b32_e32 v42, 24, v36
	v_and_b32_e32 v27, 0x3030303, v27
	v_dot4_i32_iu8 v6, v6, v145, v152 neg_lo:[1,1,0]
	v_lshlrev_b32_e32 v38, 2, v38
	v_lshrrev_b32_e32 v145, 16, v39
	v_sub_nc_u16 v41, v41, v42
	v_lshrrev_b32_e32 v42, 16, v27
	v_lshrrev_b32_e32 v150, 24, v40
	v_and_b32_e32 v38, 0x4040404, v38
	v_lshrrev_b32_e32 v152, 16, v40
	v_lshlrev_b16 v41, 8, v41
	v_sub_nc_u16 v42, v42, v43
	v_lshrrev_b16 v43, 8, v27
	v_sub_nc_u16 v27, v27, v36
	v_lshrrev_b16 v36, 8, v36
	v_lshrrev_b32_e32 v44, 24, v38
	v_lshrrev_b32_e32 v45, 16, v38
	s_delay_alu instid0(VALU_DEP_3) | instskip(SKIP_2) | instid1(VALU_DEP_3)
	v_sub_nc_u16 v36, v43, v36
	v_bfe_u32 v43, v29, 24, 2
	v_and_b32_e32 v29, 0x3030303, v29
	v_lshlrev_b16 v36, 8, v36
	s_delay_alu instid0(VALU_DEP_3) | instskip(NEXT) | instid1(VALU_DEP_3)
	v_sub_nc_u16 v43, v43, v44
	v_lshrrev_b32_e32 v44, 16, v29
	s_delay_alu instid0(VALU_DEP_2) | instskip(NEXT) | instid1(VALU_DEP_2)
	v_lshlrev_b16 v43, 8, v43
	v_sub_nc_u16 v44, v44, v45
	v_lshrrev_b16 v45, 8, v29
	v_sub_nc_u16 v29, v29, v38
	v_lshrrev_b16 v38, 8, v38
	s_delay_alu instid0(VALU_DEP_1) | instskip(SKIP_2) | instid1(VALU_DEP_3)
	v_sub_nc_u16 v38, v45, v38
	v_bfe_u32 v45, v32, 24, 2
	v_and_b32_e32 v32, 0x3030303, v32
	v_lshlrev_b16 v38, 8, v38
	s_delay_alu instid0(VALU_DEP_3) | instskip(NEXT) | instid1(VALU_DEP_3)
	v_sub_nc_u16 v45, v45, v46
	v_lshrrev_b32_e32 v46, 16, v32
	s_delay_alu instid0(VALU_DEP_2) | instskip(NEXT) | instid1(VALU_DEP_2)
	v_lshlrev_b16 v45, 8, v45
	v_sub_nc_u16 v46, v46, v145
	v_lshrrev_b16 v145, 8, v32
	v_sub_nc_u16 v32, v32, v39
	v_lshrrev_b16 v39, 8, v39
	s_delay_alu instid0(VALU_DEP_1) | instskip(SKIP_2) | instid1(VALU_DEP_3)
	v_sub_nc_u16 v39, v145, v39
	v_bfe_u32 v145, v34, 24, 2
	v_and_b32_e32 v34, 0x3030303, v34
	v_lshlrev_b16 v39, 8, v39
	s_delay_alu instid0(VALU_DEP_3) | instskip(NEXT) | instid1(VALU_DEP_3)
	v_sub_nc_u16 v145, v145, v150
	v_lshrrev_b32_e32 v150, 16, v34
	s_delay_alu instid0(VALU_DEP_2) | instskip(NEXT) | instid1(VALU_DEP_2)
	v_lshlrev_b16 v145, 8, v145
	v_sub_nc_u16 v150, v150, v152
	v_lshrrev_b16 v152, 8, v34
	v_sub_nc_u16 v34, v34, v40
	v_lshrrev_b16 v40, 8, v40
	s_delay_alu instid0(VALU_DEP_1) | instskip(SKIP_1) | instid1(VALU_DEP_2)
	v_sub_nc_u16 v40, v152, v40
	v_and_b32_e32 v152, 0xff, v42
	v_lshlrev_b16 v40, 8, v40
	s_delay_alu instid0(VALU_DEP_2) | instskip(SKIP_1) | instid1(VALU_DEP_2)
	v_or_b32_e32 v41, v152, v41
	v_and_b32_e32 v152, 0xff, v27
	v_perm_b32 v27, v27, v41, 0x4010c0c
	s_delay_alu instid0(VALU_DEP_2) | instskip(SKIP_2) | instid1(VALU_DEP_3)
	v_or_b32_e32 v36, v152, v36
	v_and_b32_e32 v152, 0xff, v44
	v_lshrrev_b32_e32 v41, 16, v7
	v_perm_b32 v36, v42, v36, 0xc0c0401
	s_delay_alu instid0(VALU_DEP_3) | instskip(SKIP_1) | instid1(VALU_DEP_3)
	v_or_b32_e32 v43, v152, v43
	v_and_b32_e32 v152, 0xff, v29
	v_or_b32_e32 v27, v27, v36
	s_delay_alu instid0(VALU_DEP_3) | instskip(NEXT) | instid1(VALU_DEP_3)
	v_perm_b32 v29, v29, v43, 0x4010c0c
	v_or_b32_e32 v38, v152, v38
	v_and_b32_e32 v152, 0xff, v46
	v_lshrrev_b32_e32 v36, 24, v3
	v_dot4_i32_iu8 v27, v27, v144, v31 neg_lo:[1,1,0]
	s_delay_alu instid0(VALU_DEP_4) | instskip(NEXT) | instid1(VALU_DEP_4)
	v_perm_b32 v38, v44, v38, 0xc0c0401
	v_or_b32_e32 v45, v152, v45
	v_and_b32_e32 v152, 0xff, v32
	s_delay_alu instid0(VALU_DEP_3) | instskip(NEXT) | instid1(VALU_DEP_3)
	v_or_b32_e32 v29, v29, v38
	v_perm_b32 v32, v32, v45, 0x4010c0c
	s_delay_alu instid0(VALU_DEP_3) | instskip(SKIP_1) | instid1(VALU_DEP_4)
	v_or_b32_e32 v39, v152, v39
	v_and_b32_e32 v152, 0xff, v150
	v_dot4_i32_iu8 v29, v29, v144, v33 neg_lo:[1,1,0]
	v_ashrrev_i32_e32 v33, s1, v155
	s_delay_alu instid0(VALU_DEP_4) | instskip(NEXT) | instid1(VALU_DEP_4)
	v_perm_b32 v39, v46, v39, 0xc0c0401
	v_or_b32_e32 v145, v152, v145
	v_and_b32_e32 v152, 0xff, v34
	s_delay_alu instid0(VALU_DEP_4) | instskip(NEXT) | instid1(VALU_DEP_4)
	v_lshlrev_b32_e32 v33, 2, v33
	v_or_b32_e32 v32, v32, v39
	s_delay_alu instid0(VALU_DEP_4) | instskip(NEXT) | instid1(VALU_DEP_4)
	v_perm_b32 v34, v34, v145, 0x4010c0c
	v_or_b32_e32 v40, v152, v40
	s_delay_alu instid0(VALU_DEP_4) | instskip(NEXT) | instid1(VALU_DEP_4)
	v_and_b32_e32 v33, 0x4040404, v33
	v_dot4_i32_iu8 v31, v32, v144, v35 neg_lo:[1,1,0]
	v_bfe_u32 v35, v28, 24, 2
	s_delay_alu instid0(VALU_DEP_4)
	v_perm_b32 v40, v150, v40, 0xc0c0401
	v_and_b32_e32 v28, 0x3030303, v28
	v_lshrrev_b32_e32 v38, 24, v33
	v_lshrrev_b32_e32 v39, 16, v33
	v_sub_nc_u16 v35, v35, v36
	v_or_b32_e32 v34, v34, v40
	v_lshrrev_b32_e32 v36, 16, v28
	v_lshrrev_b32_e32 v40, 24, v7
	s_delay_alu instid0(VALU_DEP_4) | instskip(NEXT) | instid1(VALU_DEP_4)
	v_lshlrev_b16 v35, 8, v35
	v_dot4_i32_iu8 v32, v34, v144, v37 neg_lo:[1,1,0]
	v_lshrrev_b32_e32 v37, 16, v3
	v_ashrrev_i32_e32 v34, s1, v157
	s_add_i32 s1, s1, 1
	s_cmp_lt_u32 s25, 6
	s_delay_alu instid0(VALU_DEP_2) | instskip(SKIP_4) | instid1(VALU_DEP_2)
	v_sub_nc_u16 v36, v36, v37
	v_lshrrev_b16 v37, 8, v28
	v_sub_nc_u16 v28, v28, v3
	v_lshrrev_b16 v3, 8, v3
	v_lshlrev_b32_e32 v34, 2, v34
	v_sub_nc_u16 v3, v37, v3
	v_bfe_u32 v37, v5, 24, 2
	v_and_b32_e32 v5, 0x3030303, v5
	s_delay_alu instid0(VALU_DEP_4) | instskip(NEXT) | instid1(VALU_DEP_4)
	v_and_b32_e32 v34, 0x4040404, v34
	v_lshlrev_b16 v3, 8, v3
	s_delay_alu instid0(VALU_DEP_4) | instskip(NEXT) | instid1(VALU_DEP_4)
	v_sub_nc_u16 v37, v37, v38
	v_lshrrev_b32_e32 v38, 16, v5
	s_delay_alu instid0(VALU_DEP_4) | instskip(SKIP_1) | instid1(VALU_DEP_4)
	v_lshrrev_b32_e32 v42, 24, v34
	v_lshrrev_b32_e32 v43, 16, v34
	v_lshlrev_b16 v37, 8, v37
	s_delay_alu instid0(VALU_DEP_4) | instskip(SKIP_3) | instid1(VALU_DEP_1)
	v_sub_nc_u16 v38, v38, v39
	v_lshrrev_b16 v39, 8, v5
	v_sub_nc_u16 v5, v5, v33
	v_lshrrev_b16 v33, 8, v33
	v_sub_nc_u16 v33, v39, v33
	v_bfe_u32 v39, v1, 24, 2
	v_and_b32_e32 v1, 0x3030303, v1
	s_delay_alu instid0(VALU_DEP_3) | instskip(NEXT) | instid1(VALU_DEP_3)
	v_lshlrev_b16 v33, 8, v33
	v_sub_nc_u16 v39, v39, v40
	s_delay_alu instid0(VALU_DEP_3) | instskip(NEXT) | instid1(VALU_DEP_2)
	v_lshrrev_b32_e32 v40, 16, v1
	v_lshlrev_b16 v39, 8, v39
	s_delay_alu instid0(VALU_DEP_2) | instskip(SKIP_3) | instid1(VALU_DEP_1)
	v_sub_nc_u16 v40, v40, v41
	v_lshrrev_b16 v41, 8, v1
	v_sub_nc_u16 v1, v1, v7
	v_lshrrev_b16 v7, 8, v7
	v_sub_nc_u16 v7, v41, v7
	v_bfe_u32 v41, v30, 24, 2
	v_and_b32_e32 v30, 0x3030303, v30
	s_delay_alu instid0(VALU_DEP_3) | instskip(NEXT) | instid1(VALU_DEP_3)
	v_lshlrev_b16 v7, 8, v7
	v_sub_nc_u16 v41, v41, v42
	s_delay_alu instid0(VALU_DEP_3) | instskip(NEXT) | instid1(VALU_DEP_2)
	v_lshrrev_b32_e32 v42, 16, v30
	v_lshlrev_b16 v41, 8, v41
	s_delay_alu instid0(VALU_DEP_2) | instskip(SKIP_3) | instid1(VALU_DEP_1)
	v_sub_nc_u16 v42, v42, v43
	v_lshrrev_b16 v43, 8, v30
	v_sub_nc_u16 v30, v30, v34
	v_lshrrev_b16 v34, 8, v34
	v_sub_nc_u16 v34, v43, v34
	v_and_b32_e32 v43, 0xff, v36
	s_delay_alu instid0(VALU_DEP_2) | instskip(NEXT) | instid1(VALU_DEP_2)
	v_lshlrev_b16 v34, 8, v34
	v_or_b32_e32 v35, v43, v35
	v_and_b32_e32 v43, 0xff, v28
	s_delay_alu instid0(VALU_DEP_2) | instskip(NEXT) | instid1(VALU_DEP_2)
	v_perm_b32 v28, v28, v35, 0x4010c0c
	v_or_b32_e32 v3, v43, v3
	v_and_b32_e32 v43, 0xff, v38
	s_delay_alu instid0(VALU_DEP_2) | instskip(NEXT) | instid1(VALU_DEP_2)
	v_perm_b32 v3, v36, v3, 0xc0c0401
	v_or_b32_e32 v37, v43, v37
	v_and_b32_e32 v43, 0xff, v5
	s_delay_alu instid0(VALU_DEP_3) | instskip(NEXT) | instid1(VALU_DEP_3)
	v_or_b32_e32 v3, v28, v3
	v_perm_b32 v5, v5, v37, 0x4010c0c
	s_delay_alu instid0(VALU_DEP_3) | instskip(SKIP_1) | instid1(VALU_DEP_4)
	v_or_b32_e32 v33, v43, v33
	v_and_b32_e32 v43, 0xff, v40
	v_dot4_i32_iu8 v3, v3, v141, v2 neg_lo:[1,1,0]
	v_add3_u32 v2, v114, s26, v151
	s_delay_alu instid0(VALU_DEP_4) | instskip(NEXT) | instid1(VALU_DEP_4)
	v_perm_b32 v33, v38, v33, 0xc0c0401
	v_or_b32_e32 v39, v43, v39
	v_and_b32_e32 v43, 0xff, v1
	s_delay_alu instid0(VALU_DEP_3) | instskip(NEXT) | instid1(VALU_DEP_3)
	v_or_b32_e32 v5, v5, v33
	v_perm_b32 v1, v1, v39, 0x4010c0c
	s_delay_alu instid0(VALU_DEP_3) | instskip(SKIP_1) | instid1(VALU_DEP_4)
	v_or_b32_e32 v7, v43, v7
	v_and_b32_e32 v43, 0xff, v42
	v_dot4_i32_iu8 v28, v5, v141, v4 neg_lo:[1,1,0]
	v_add3_u32 v4, v112, s26, v151
	ds_load_u16 v2, v2 offset:25346
	ds_load_u16 v4, v4 offset:27394
	v_or_b32_e32 v41, v43, v41
	v_and_b32_e32 v43, 0xff, v30
	v_perm_b32 v7, v40, v7, 0xc0c0401
	s_mov_b32 s26, s25
	s_delay_alu instid0(VALU_DEP_3) | instskip(NEXT) | instid1(VALU_DEP_3)
	v_perm_b32 v30, v30, v41, 0x4010c0c
	v_or_b32_e32 v34, v43, v34
	s_delay_alu instid0(VALU_DEP_3) | instskip(NEXT) | instid1(VALU_DEP_2)
	v_or_b32_e32 v1, v1, v7
	v_perm_b32 v34, v42, v34, 0xc0c0401
	s_delay_alu instid0(VALU_DEP_1) | instskip(NEXT) | instid1(VALU_DEP_3)
	v_or_b32_e32 v7, v30, v34
	v_dot4_i32_iu8 v30, v1, v141, v0 neg_lo:[1,1,0]
	s_waitcnt lgkmcnt(1)
	v_lshrrev_b16 v0, 8, v2
	v_bfe_i32 v1, v2, 0, 8
	s_waitcnt lgkmcnt(0)
	v_lshrrev_b16 v5, 8, v4
	v_dot4_i32_iu8 v33, v7, v141, v6 neg_lo:[1,1,0]
	v_bfe_i32 v7, v148, 0, 8
	v_bfe_i32 v34, v0, 0, 8
	v_mul_lo_u32 v0, v27, v1
	v_lshrrev_b16 v6, 8, v148
	v_bfe_i32 v4, v4, 0, 8
	v_lshrrev_b16 v27, 8, v149
	s_delay_alu instid0(VALU_DEP_3)
	v_bfe_i32 v6, v6, 0, 8
	v_mad_u64_u32 v[1:2], null, v3, v34, v[0:1]
	v_mul_lo_u32 v0, v29, v7
	v_bfe_i32 v3, v149, 0, 8
	v_mul_lo_u32 v2, v31, v4
	v_bfe_i32 v34, v5, 0, 8
	v_bfe_i32 v27, v27, 0, 8
	s_delay_alu instid0(VALU_DEP_4) | instskip(SKIP_3) | instid1(VALU_DEP_4)
	v_mul_lo_u32 v3, v32, v3
	v_mad_u64_u32 v[4:5], null, v28, v6, v[0:1]
	v_mul_f32_e32 v0, v140, v142
	v_cvt_f32_i32_e32 v1, v1
	v_mad_u64_u32 v[5:6], null, v30, v34, v[2:3]
	s_delay_alu instid0(VALU_DEP_4)
	v_mad_u64_u32 v[6:7], null, v33, v27, v[3:4]
	v_mul_f32_e32 v2, v140, v143
	v_mul_f32_e32 v3, v140, v146
	;; [unrolled: 1-line block ×3, first 2 shown]
	v_cvt_f32_i32_e32 v4, v4
	v_cvt_f32_i32_e32 v5, v5
	v_fmac_f32_e32 v49, v0, v1
	v_cvt_f32_i32_e32 v6, v6
	s_delay_alu instid0(VALU_DEP_4) | instskip(NEXT) | instid1(VALU_DEP_2)
	v_fmac_f32_e32 v97, v3, v4
	v_dual_fmac_f32 v89, v2, v5 :: v_dual_fmac_f32 v24, v7, v6
	s_cbranch_scc1 .LBB230_12
; %bb.13:                               ;   in Loop: Header=BB230_5 Depth=1
	s_or_b32 s1, s6, 0x80
	s_delay_alu instid0(SALU_CYCLE_1)
	s_cmp_ge_i32 s1, s5
	s_barrier
	buffer_gl0_inv
	s_cbranch_scc1 .LBB230_4
; %bb.14:                               ;   in Loop: Header=BB230_5 Depth=1
	v_add_nc_u32_e32 v0, s20, v107
	s_delay_alu instid0(VALU_DEP_1) | instskip(NEXT) | instid1(VALU_DEP_1)
	v_cmp_gt_i32_e64 s1, s8, v0
	s_and_b32 s21, s0, s1
	s_delay_alu instid0(SALU_CYCLE_1)
	s_and_saveexec_b32 s1, s21
	s_cbranch_execz .LBB230_16
; %bb.15:                               ;   in Loop: Header=BB230_5 Depth=1
	v_add_nc_u32_e32 v2, v103, v0
	s_delay_alu instid0(VALU_DEP_1)
	v_mad_i64_i32 v[0:1], null, v2, 36, v[25:26]
	global_load_b32 v0, v[0:1], off offset:4
	s_waitcnt vmcnt(0)
	ds_store_b32 v90, v0
.LBB230_16:                             ;   in Loop: Header=BB230_5 Depth=1
	s_or_b32 exec_lo, exec_lo, s1
	s_and_saveexec_b32 s21, vcc_lo
	s_cbranch_execz .LBB230_19
; %bb.17:                               ;   in Loop: Header=BB230_5 Depth=1
	v_or_b32_e32 v0, s20, v48
	s_delay_alu instid0(VALU_DEP_1) | instskip(NEXT) | instid1(VALU_DEP_1)
	v_or_b32_e32 v1, 4, v0
	v_cmp_gt_i32_e64 s1, s8, v1
	s_delay_alu instid0(VALU_DEP_1) | instskip(NEXT) | instid1(SALU_CYCLE_1)
	s_and_b32 s1, s0, s1
	s_and_b32 exec_lo, exec_lo, s1
	s_cbranch_execz .LBB230_19
; %bb.18:                               ;   in Loop: Header=BB230_5 Depth=1
	v_ashrrev_i32_e32 v1, 31, v0
	v_add_co_u32 v2, s1, v103, v0
	s_delay_alu instid0(VALU_DEP_1) | instskip(NEXT) | instid1(VALU_DEP_2)
	v_add_co_ci_u32_e64 v3, s1, v110, v1, s1
	v_mad_u64_u32 v[0:1], null, v2, 36, s[14:15]
	s_delay_alu instid0(VALU_DEP_1)
	v_mad_i32_i24 v1, v3, 36, v1
	global_load_b32 v0, v[0:1], off
	s_waitcnt vmcnt(0)
	v_cvt_f32_f16_e32 v0, v0
	ds_store_b32 v91, v0
.LBB230_19:                             ;   in Loop: Header=BB230_5 Depth=1
	s_or_b32 exec_lo, exec_lo, s21
	v_dual_mov_b32 v138, v115 :: v_dual_mov_b32 v139, v116
	s_mov_b32 s1, 8
	s_mov_b32 s21, 0
	s_mov_b32 s25, 4
	s_waitcnt lgkmcnt(0)
	s_barrier
	buffer_gl0_inv
.LBB230_20:                             ;   Parent Loop BB230_5 Depth=1
                                        ; =>  This Inner Loop Header: Depth=2
	ds_load_b128 v[4:7], v138
	ds_load_b128 v[0:3], v138 offset:16
	s_add_i32 s26, s21, 8
	v_add_nc_u32_e32 v138, 32, v138
	s_and_b32 s28, s26, 0x3ffffff8
	s_lshr_b32 s27, s26, 4
	s_lshl_b32 s28, s28, 2
	s_lshl_b32 s29, s27, 2
	v_add_nc_u32_e32 v147, s28, v94
	v_add_nc_u32_e32 v148, s28, v98
	;; [unrolled: 1-line block ×4, first 2 shown]
	ds_load_2addr_b32 v[29:30], v147 offset1:1
	ds_load_2addr_b32 v[27:28], v147 offset0:6 offset1:7
	ds_load_2addr_b32 v[31:32], v147 offset0:2 offset1:3
	;; [unrolled: 1-line block ×3, first 2 shown]
	ds_load_b32 v140, v35
	v_add_nc_u32_e32 v161, s28, v105
	s_lshl_b32 s27, s27, 3
	s_delay_alu instid0(SALU_CYCLE_1)
	v_add_lshl_u32 v164, v93, s27, 2
	v_add_lshl_u32 v167, v96, s27, 2
	s_waitcnt lgkmcnt(6)
	v_perm_b32 v150, v6, v6, 0x30201
	s_waitcnt lgkmcnt(5)
	v_perm_b32 v157, v0, v0, 0x30201
	v_perm_b32 v158, v1, v1, 0x30201
	ds_load_2addr_b32 v[0:1], v148 offset1:1
	v_perm_b32 v144, v2, v2, 0x30201
	v_perm_b32 v141, v3, v3, 0x30201
	v_add_nc_u32_e32 v6, 0x4208, v164
	v_perm_b32 v149, v4, v4, 0x30201
	v_perm_b32 v151, v5, v5, 0x30201
	v_perm_b32 v143, v7, v7, 0x30201
	v_add_lshl_u32 v170, v100, s27, 2
	s_waitcnt lgkmcnt(5)
	v_ashrrev_i32_e32 v152, s21, v29
	v_ashrrev_i32_e32 v153, s21, v30
	v_add_lshl_u32 v173, v104, s27, 2
	s_and_b32 s27, s1, -16
	v_add_nc_u32_e32 v43, 0x4208, v170
	v_bfe_u32 v174, v152, 24, 2
	v_and_b32_e32 v152, 0x3030303, v152
	s_waitcnt lgkmcnt(3)
	v_ashrrev_i32_e32 v31, s21, v31
	s_waitcnt lgkmcnt(2)
	v_ashrrev_i32_e32 v33, s21, v33
	v_ashrrev_i32_e32 v27, s21, v27
	;; [unrolled: 1-line block ×3, first 2 shown]
	s_add_i32 s1, s1, 2
	s_waitcnt lgkmcnt(0)
	v_ashrrev_i32_e32 v154, s21, v0
	v_ashrrev_i32_e32 v155, s21, v1
	ds_load_2addr_b32 v[2:3], v156 offset1:1
	ds_load_2addr_b32 v[0:1], v156 offset0:6 offset1:7
	ds_load_2addr_b32 v[35:36], v156 offset0:2 offset1:3
	s_waitcnt lgkmcnt(2)
	v_ashrrev_i32_e32 v159, s21, v2
	v_add_nc_u32_e32 v2, s29, v102
	v_ashrrev_i32_e32 v160, s21, v3
	ds_load_2addr_b32 v[37:38], v161 offset0:2 offset1:3
	ds_load_b32 v142, v2
	ds_load_2addr_b32 v[2:3], v161 offset1:1
	s_waitcnt lgkmcnt(3)
	v_ashrrev_i32_e32 v35, s21, v35
	v_ashrrev_i32_e32 v0, s21, v0
	;; [unrolled: 1-line block ×3, first 2 shown]
	s_waitcnt lgkmcnt(2)
	v_ashrrev_i32_e32 v37, s21, v37
	s_waitcnt lgkmcnt(0)
	v_ashrrev_i32_e32 v162, s21, v2
	v_add_nc_u32_e32 v2, 0x4200, v164
	v_ashrrev_i32_e32 v163, s21, v3
	v_add_nc_u32_e32 v3, 0x4218, v164
	ds_load_2addr_b32 v[4:5], v2 offset1:1
	ds_load_2addr_b32 v[2:3], v3 offset1:1
	;; [unrolled: 1-line block ×3, first 2 shown]
	s_waitcnt lgkmcnt(2)
	v_ashrrev_i32_e32 v165, s25, v4
	v_add_nc_u32_e32 v4, 0x4200, v167
	v_ashrrev_i32_e32 v166, s25, v5
	v_add_nc_u32_e32 v5, 0x4208, v167
	ds_load_2addr_b32 v[6:7], v4 offset1:1
	ds_load_2addr_b32 v[41:42], v5 offset1:1
	ds_load_2addr_b32 v[4:5], v148 offset0:6 offset1:7
	v_lshlrev_b32_e32 v165, 2, v165
	v_lshlrev_b32_e32 v166, 2, v166
	s_waitcnt lgkmcnt(3)
	v_ashrrev_i32_e32 v39, s25, v39
	v_ashrrev_i32_e32 v2, s25, v2
	;; [unrolled: 1-line block ×3, first 2 shown]
	v_and_b32_e32 v165, 0x4040404, v165
	v_and_b32_e32 v166, 0x4040404, v166
	v_lshlrev_b32_e32 v39, 2, v39
	v_lshlrev_b32_e32 v2, 2, v2
	;; [unrolled: 1-line block ×3, first 2 shown]
	v_lshrrev_b32_e32 v175, 24, v165
	v_lshrrev_b32_e32 v176, 16, v165
	;; [unrolled: 1-line block ×4, first 2 shown]
	v_and_b32_e32 v39, 0x4040404, v39
	v_sub_nc_u16 v174, v174, v175
	v_lshrrev_b32_e32 v175, 16, v152
	s_waitcnt lgkmcnt(2)
	v_ashrrev_i32_e32 v168, s25, v6
	v_add_nc_u32_e32 v6, 0x4200, v170
	v_ashrrev_i32_e32 v169, s25, v7
	v_add_nc_u32_e32 v7, 0x4218, v170
	v_sub_nc_u16 v175, v175, v176
	v_lshrrev_b16 v176, 8, v152
	v_sub_nc_u16 v152, v152, v165
	v_lshrrev_b16 v165, 8, v165
	v_lshlrev_b32_e32 v168, 2, v168
	ds_load_2addr_b32 v[29:30], v6 offset1:1
	ds_load_2addr_b32 v[6:7], v7 offset1:1
	;; [unrolled: 1-line block ×3, first 2 shown]
	v_lshlrev_b32_e32 v169, 2, v169
	v_lshlrev_b16 v174, 8, v174
	v_sub_nc_u16 v165, v176, v165
	v_bfe_u32 v176, v153, 24, 2
	v_and_b32_e32 v153, 0x3030303, v153
	v_and_b32_e32 v168, 0x4040404, v168
	v_and_b32_e32 v169, 0x4040404, v169
	v_lshlrev_b16 v165, 8, v165
	v_sub_nc_u16 v176, v176, v177
	v_lshrrev_b32_e32 v177, 16, v153
	v_lshrrev_b32_e32 v179, 24, v168
	v_lshrrev_b32_e32 v180, 16, v168
	v_lshrrev_b32_e32 v181, 24, v169
	v_lshrrev_b32_e32 v182, 16, v169
	v_sub_nc_u16 v177, v177, v178
	v_lshrrev_b16 v178, 8, v153
	v_sub_nc_u16 v153, v153, v166
	v_lshrrev_b16 v166, 8, v166
	s_waitcnt lgkmcnt(2)
	v_ashrrev_i32_e32 v171, s25, v29
	v_add_nc_u32_e32 v29, 0x4200, v173
	v_ashrrev_i32_e32 v172, s25, v30
	v_add_nc_u32_e32 v30, 0x4208, v173
	v_sub_nc_u16 v166, v178, v166
	v_bfe_u32 v178, v154, 24, 2
	v_and_b32_e32 v154, 0x3030303, v154
	v_lshlrev_b32_e32 v171, 2, v171
	ds_load_2addr_b32 v[145:146], v29 offset1:1
	ds_load_2addr_b32 v[45:46], v30 offset1:1
	ds_load_2addr_b32 v[29:30], v161 offset0:6 offset1:7
	v_lshlrev_b32_e32 v172, 2, v172
	v_sub_nc_u16 v178, v178, v179
	v_lshrrev_b32_e32 v179, 16, v154
	v_and_b32_e32 v171, 0x4040404, v171
	v_lshlrev_b16 v176, 8, v176
	v_and_b32_e32 v172, 0x4040404, v172
	v_lshlrev_b16 v166, 8, v166
	v_sub_nc_u16 v179, v179, v180
	v_lshrrev_b16 v180, 8, v154
	v_sub_nc_u16 v154, v154, v168
	v_lshrrev_b16 v168, 8, v168
	v_lshrrev_b32_e32 v183, 24, v171
	v_lshrrev_b32_e32 v184, 16, v171
	;; [unrolled: 1-line block ×4, first 2 shown]
	v_sub_nc_u16 v168, v180, v168
	v_bfe_u32 v180, v155, 24, 2
	v_and_b32_e32 v155, 0x3030303, v155
	s_waitcnt lgkmcnt(2)
	v_ashrrev_i32_e32 v145, s25, v145
	v_ashrrev_i32_e32 v146, s25, v146
	v_lshlrev_b16 v178, 8, v178
	v_sub_nc_u16 v180, v180, v181
	v_lshrrev_b32_e32 v181, 16, v155
	v_lshlrev_b32_e32 v145, 2, v145
	v_lshlrev_b32_e32 v146, 2, v146
	v_lshlrev_b16 v168, 8, v168
	v_lshlrev_b16 v180, 8, v180
	v_sub_nc_u16 v181, v181, v182
	v_lshrrev_b16 v182, 8, v155
	v_sub_nc_u16 v155, v155, v169
	v_lshrrev_b16 v169, 8, v169
	v_and_b32_e32 v145, 0x4040404, v145
	v_and_b32_e32 v146, 0x4040404, v146
	v_ashrrev_i32_e32 v41, s25, v41
	v_ashrrev_i32_e32 v43, s25, v43
	v_sub_nc_u16 v169, v182, v169
	v_bfe_u32 v182, v159, 24, 2
	v_and_b32_e32 v159, 0x3030303, v159
	v_lshrrev_b32_e32 v187, 24, v145
	v_lshrrev_b32_e32 v188, 16, v145
	;; [unrolled: 1-line block ×3, first 2 shown]
	v_sub_nc_u16 v182, v182, v183
	v_lshrrev_b32_e32 v183, 16, v159
	v_lshrrev_b32_e32 v190, 16, v146
	v_lshlrev_b16 v169, 8, v169
	v_lshlrev_b32_e32 v41, 2, v41
	v_lshlrev_b16 v182, 8, v182
	v_sub_nc_u16 v183, v183, v184
	v_lshrrev_b16 v184, 8, v159
	v_sub_nc_u16 v159, v159, v171
	v_lshrrev_b16 v171, 8, v171
	v_and_b32_e32 v41, 0x4040404, v41
	v_lshlrev_b32_e32 v43, 2, v43
	s_waitcnt lgkmcnt(1)
	v_ashrrev_i32_e32 v45, s25, v45
	v_and_b32_e32 v2, 0x4040404, v2
	v_sub_nc_u16 v171, v184, v171
	v_bfe_u32 v184, v160, 24, 2
	v_and_b32_e32 v160, 0x3030303, v160
	v_and_b32_e32 v43, 0x4040404, v43
	v_lshlrev_b32_e32 v45, 2, v45
	v_lshlrev_b16 v171, 8, v171
	v_sub_nc_u16 v184, v184, v185
	v_lshrrev_b32_e32 v185, 16, v160
	v_ashrrev_i32_e32 v4, s21, v4
	v_and_b32_e32 v45, 0x4040404, v45
	v_ashrrev_i32_e32 v6, s25, v6
	v_lshlrev_b16 v184, 8, v184
	v_sub_nc_u16 v185, v185, v186
	v_lshrrev_b16 v186, 8, v160
	v_sub_nc_u16 v160, v160, v172
	v_lshrrev_b16 v172, 8, v172
	v_lshlrev_b32_e32 v6, 2, v6
	s_waitcnt lgkmcnt(0)
	v_ashrrev_i32_e32 v29, s21, v29
	v_and_b32_e32 v3, 0x4040404, v3
	v_ashrrev_i32_e32 v5, s21, v5
	v_sub_nc_u16 v172, v186, v172
	v_bfe_u32 v186, v162, 24, 2
	v_and_b32_e32 v162, 0x3030303, v162
	v_and_b32_e32 v6, 0x4040404, v6
	v_ashrrev_i32_e32 v7, s25, v7
	v_lshlrev_b16 v172, 8, v172
	v_sub_nc_u16 v186, v186, v187
	v_lshrrev_b32_e32 v187, 16, v162
	v_ashrrev_i32_e32 v30, s21, v30
	v_lshlrev_b32_e32 v7, 2, v7
	s_delay_alu instid0(VALU_DEP_4) | instskip(NEXT) | instid1(VALU_DEP_4)
	v_lshlrev_b16 v186, 8, v186
	v_sub_nc_u16 v187, v187, v188
	v_lshrrev_b16 v188, 8, v162
	v_sub_nc_u16 v162, v162, v145
	v_lshrrev_b16 v145, 8, v145
	v_and_b32_e32 v7, 0x4040404, v7
	s_delay_alu instid0(VALU_DEP_2) | instskip(SKIP_2) | instid1(VALU_DEP_3)
	v_sub_nc_u16 v145, v188, v145
	v_bfe_u32 v188, v163, 24, 2
	v_and_b32_e32 v163, 0x3030303, v163
	v_lshlrev_b16 v145, 8, v145
	s_delay_alu instid0(VALU_DEP_3) | instskip(NEXT) | instid1(VALU_DEP_3)
	v_sub_nc_u16 v188, v188, v189
	v_lshrrev_b32_e32 v189, 16, v163
	s_delay_alu instid0(VALU_DEP_2) | instskip(NEXT) | instid1(VALU_DEP_2)
	v_lshlrev_b16 v188, 8, v188
	v_sub_nc_u16 v189, v189, v190
	v_lshrrev_b16 v190, 8, v163
	v_sub_nc_u16 v163, v163, v146
	v_lshrrev_b16 v146, 8, v146
	s_delay_alu instid0(VALU_DEP_1) | instskip(SKIP_1) | instid1(VALU_DEP_2)
	v_sub_nc_u16 v146, v190, v146
	v_and_b32_e32 v190, 0xff, v175
	v_lshlrev_b16 v146, 8, v146
	s_delay_alu instid0(VALU_DEP_2) | instskip(SKIP_1) | instid1(VALU_DEP_2)
	v_or_b32_e32 v174, v190, v174
	v_and_b32_e32 v190, 0xff, v152
	v_perm_b32 v152, v152, v174, 0x4010c0c
	s_delay_alu instid0(VALU_DEP_2) | instskip(SKIP_1) | instid1(VALU_DEP_2)
	v_or_b32_e32 v165, v190, v165
	v_and_b32_e32 v190, 0xff, v177
	v_perm_b32 v165, v175, v165, 0xc0c0401
	s_delay_alu instid0(VALU_DEP_2) | instskip(SKIP_1) | instid1(VALU_DEP_3)
	v_or_b32_e32 v176, v190, v176
	v_and_b32_e32 v190, 0xff, v153
	v_or_b32_e32 v152, v152, v165
	s_delay_alu instid0(VALU_DEP_3) | instskip(NEXT) | instid1(VALU_DEP_3)
	v_perm_b32 v153, v153, v176, 0x4010c0c
	v_or_b32_e32 v166, v190, v166
	v_and_b32_e32 v190, 0xff, v179
	s_delay_alu instid0(VALU_DEP_4) | instskip(NEXT) | instid1(VALU_DEP_3)
	v_dot4_i32_iu8 v152, v152, v149, 0 neg_lo:[1,1,0]
	v_perm_b32 v166, v177, v166, 0xc0c0401
	s_delay_alu instid0(VALU_DEP_3) | instskip(SKIP_1) | instid1(VALU_DEP_3)
	v_or_b32_e32 v178, v190, v178
	v_and_b32_e32 v190, 0xff, v154
	v_or_b32_e32 v153, v153, v166
	s_delay_alu instid0(VALU_DEP_3) | instskip(NEXT) | instid1(VALU_DEP_3)
	v_perm_b32 v154, v154, v178, 0x4010c0c
	v_or_b32_e32 v168, v190, v168
	v_and_b32_e32 v190, 0xff, v181
	s_delay_alu instid0(VALU_DEP_2) | instskip(NEXT) | instid1(VALU_DEP_2)
	v_perm_b32 v168, v179, v168, 0xc0c0401
	v_or_b32_e32 v180, v190, v180
	v_and_b32_e32 v190, 0xff, v155
	s_delay_alu instid0(VALU_DEP_3) | instskip(NEXT) | instid1(VALU_DEP_3)
	v_or_b32_e32 v154, v154, v168
	v_perm_b32 v155, v155, v180, 0x4010c0c
	s_delay_alu instid0(VALU_DEP_3) | instskip(SKIP_1) | instid1(VALU_DEP_4)
	v_or_b32_e32 v169, v190, v169
	v_and_b32_e32 v190, 0xff, v183
	v_dot4_i32_iu8 v154, v154, v149, 0 neg_lo:[1,1,0]
	s_delay_alu instid0(VALU_DEP_3) | instskip(NEXT) | instid1(VALU_DEP_3)
	v_perm_b32 v169, v181, v169, 0xc0c0401
	v_or_b32_e32 v182, v190, v182
	v_and_b32_e32 v190, 0xff, v159
	s_delay_alu instid0(VALU_DEP_3) | instskip(NEXT) | instid1(VALU_DEP_3)
	v_or_b32_e32 v155, v155, v169
	v_perm_b32 v159, v159, v182, 0x4010c0c
	s_delay_alu instid0(VALU_DEP_3) | instskip(SKIP_1) | instid1(VALU_DEP_2)
	v_or_b32_e32 v171, v190, v171
	v_and_b32_e32 v190, 0xff, v185
	v_perm_b32 v171, v183, v171, 0xc0c0401
	s_delay_alu instid0(VALU_DEP_2) | instskip(SKIP_1) | instid1(VALU_DEP_3)
	v_or_b32_e32 v184, v190, v184
	v_and_b32_e32 v190, 0xff, v160
	v_or_b32_e32 v159, v159, v171
	s_delay_alu instid0(VALU_DEP_3) | instskip(NEXT) | instid1(VALU_DEP_3)
	v_perm_b32 v160, v160, v184, 0x4010c0c
	v_or_b32_e32 v172, v190, v172
	v_and_b32_e32 v190, 0xff, v187
	s_delay_alu instid0(VALU_DEP_4) | instskip(NEXT) | instid1(VALU_DEP_3)
	v_dot4_i32_iu8 v159, v159, v149, 0 neg_lo:[1,1,0]
	v_perm_b32 v172, v185, v172, 0xc0c0401
	s_delay_alu instid0(VALU_DEP_3) | instskip(SKIP_1) | instid1(VALU_DEP_3)
	v_or_b32_e32 v186, v190, v186
	v_and_b32_e32 v190, 0xff, v162
	v_or_b32_e32 v160, v160, v172
	s_delay_alu instid0(VALU_DEP_3) | instskip(NEXT) | instid1(VALU_DEP_3)
	v_perm_b32 v162, v162, v186, 0x4010c0c
	v_or_b32_e32 v145, v190, v145
	v_and_b32_e32 v190, 0xff, v189
	s_delay_alu instid0(VALU_DEP_4) | instskip(NEXT) | instid1(VALU_DEP_3)
	v_dot4_i32_iu8 v159, v160, v151, v159 neg_lo:[1,1,0]
	v_perm_b32 v145, v187, v145, 0xc0c0401
	s_delay_alu instid0(VALU_DEP_3) | instskip(SKIP_1) | instid1(VALU_DEP_3)
	v_or_b32_e32 v188, v190, v188
	v_and_b32_e32 v190, 0xff, v163
	v_or_b32_e32 v145, v162, v145
	s_delay_alu instid0(VALU_DEP_3) | instskip(NEXT) | instid1(VALU_DEP_3)
	v_perm_b32 v163, v163, v188, 0x4010c0c
	v_or_b32_e32 v146, v190, v146
	v_dot4_i32_iu8 v162, v153, v151, v152 neg_lo:[1,1,0]
	v_add_nc_u32_e32 v153, 0x4210, v173
	v_dot4_i32_iu8 v145, v145, v149, 0 neg_lo:[1,1,0]
	v_add_nc_u32_e32 v149, s21, v92
	v_perm_b32 v146, v189, v146, 0xc0c0401
	s_delay_alu instid0(VALU_DEP_1) | instskip(SKIP_2) | instid1(VALU_DEP_3)
	v_or_b32_e32 v146, v163, v146
	v_dot4_i32_iu8 v163, v155, v151, v154 neg_lo:[1,1,0]
	v_add_nc_u32_e32 v155, 0x4218, v173
	v_dot4_i32_iu8 v160, v146, v151, v145 neg_lo:[1,1,0]
	ds_load_2addr_b32 v[145:146], v147 offset0:4 offset1:5
	v_add_nc_u32_e32 v147, 0x4210, v167
	v_add_nc_u32_e32 v151, 0x4218, v167
	s_waitcnt lgkmcnt(0)
	v_ashrrev_i32_e32 v165, s21, v145
	v_ashrrev_i32_e32 v166, s21, v146
	ds_load_2addr_b32 v[145:146], v148 offset0:4 offset1:5
	v_bfe_u32 v173, v165, 24, 2
	v_and_b32_e32 v165, 0x3030303, v165
	s_waitcnt lgkmcnt(0)
	v_ashrrev_i32_e32 v168, s21, v145
	v_ashrrev_i32_e32 v169, s21, v146
	ds_load_2addr_b32 v[145:146], v156 offset0:4 offset1:5
	s_waitcnt lgkmcnt(0)
	v_ashrrev_i32_e32 v171, s21, v145
	v_ashrrev_i32_e32 v172, s21, v146
	ds_load_2addr_b32 v[145:146], v161 offset0:4 offset1:5
	s_waitcnt lgkmcnt(0)
	v_ashrrev_i32_e32 v161, s21, v145
	v_add_nc_u32_e32 v145, 0x4210, v164
	v_ashrrev_i32_e32 v174, s21, v146
	ds_load_2addr_b32 v[145:146], v145 offset1:1
	s_waitcnt lgkmcnt(0)
	v_ashrrev_i32_e32 v164, s25, v145
	v_add3_u32 v145, v119, s27, v149
	v_ashrrev_i32_e32 v175, s25, v146
	s_delay_alu instid0(VALU_DEP_3)
	v_lshlrev_b32_e32 v164, 2, v164
	ds_load_u16 v146, v145
	v_add_nc_u32_e32 v145, s29, v99
	ds_load_b32 v145, v145
	ds_load_2addr_b32 v[147:148], v147 offset1:1
	ds_load_2addr_b32 v[151:152], v151 offset1:1
	v_and_b32_e32 v164, 0x4040404, v164
	v_lshlrev_b32_e32 v175, 2, v175
	s_delay_alu instid0(VALU_DEP_2) | instskip(SKIP_1) | instid1(VALU_DEP_3)
	v_lshrrev_b32_e32 v178, 24, v164
	v_lshrrev_b32_e32 v179, 16, v164
	v_and_b32_e32 v175, 0x4040404, v175
	s_delay_alu instid0(VALU_DEP_3) | instskip(SKIP_1) | instid1(VALU_DEP_3)
	v_sub_nc_u16 v173, v173, v178
	v_lshrrev_b32_e32 v178, 16, v165
	v_lshrrev_b32_e32 v180, 24, v175
	v_lshrrev_b32_e32 v181, 16, v175
	s_delay_alu instid0(VALU_DEP_4) | instskip(NEXT) | instid1(VALU_DEP_4)
	v_lshlrev_b16 v173, 8, v173
	v_sub_nc_u16 v178, v178, v179
	v_lshrrev_b16 v179, 8, v165
	v_sub_nc_u16 v165, v165, v164
	v_lshrrev_b16 v164, 8, v164
	s_waitcnt lgkmcnt(1)
	v_ashrrev_i32_e32 v167, s25, v147
	v_add_nc_u32_e32 v147, 0x4210, v170
	v_ashrrev_i32_e32 v176, s25, v148
	v_sub_nc_u16 v164, v179, v164
	v_bfe_u32 v179, v166, 24, 2
	v_and_b32_e32 v166, 0x3030303, v166
	v_lshlrev_b32_e32 v167, 2, v167
	ds_load_2addr_b32 v[147:148], v147 offset1:1
	v_lshlrev_b32_e32 v176, 2, v176
	v_sub_nc_u16 v179, v179, v180
	v_lshrrev_b32_e32 v180, 16, v166
	v_and_b32_e32 v167, 0x4040404, v167
	v_lshlrev_b16 v164, 8, v164
	v_and_b32_e32 v176, 0x4040404, v176
	v_lshlrev_b16 v179, 8, v179
	v_sub_nc_u16 v180, v180, v181
	v_lshrrev_b16 v181, 8, v166
	v_sub_nc_u16 v166, v166, v175
	v_lshrrev_b16 v175, 8, v175
	v_lshrrev_b32_e32 v182, 24, v167
	v_lshrrev_b32_e32 v183, 16, v167
	;; [unrolled: 1-line block ×4, first 2 shown]
	v_sub_nc_u16 v175, v181, v175
	v_bfe_u32 v181, v168, 24, 2
	v_and_b32_e32 v168, 0x3030303, v168
	s_waitcnt lgkmcnt(0)
	v_ashrrev_i32_e32 v170, s25, v147
	v_add3_u32 v147, v117, s27, v149
	v_sub_nc_u16 v181, v181, v182
	v_lshrrev_b32_e32 v182, 16, v168
	v_ashrrev_i32_e32 v177, s25, v148
	v_lshlrev_b32_e32 v170, 2, v170
	ds_load_u16 v148, v147
	v_add_nc_u32_e32 v147, s29, v106
	v_sub_nc_u16 v182, v182, v183
	v_lshrrev_b16 v183, 8, v168
	v_sub_nc_u16 v168, v168, v167
	v_lshrrev_b16 v167, 8, v167
	v_and_b32_e32 v170, 0x4040404, v170
	ds_load_b32 v147, v147
	ds_load_2addr_b32 v[153:154], v153 offset1:1
	ds_load_2addr_b32 v[155:156], v155 offset1:1
	v_lshlrev_b32_e32 v177, 2, v177
	v_lshlrev_b16 v175, 8, v175
	v_sub_nc_u16 v167, v183, v167
	v_bfe_u32 v183, v169, 24, 2
	v_and_b32_e32 v169, 0x3030303, v169
	v_lshrrev_b32_e32 v186, 24, v170
	v_lshrrev_b32_e32 v187, 16, v170
	v_and_b32_e32 v177, 0x4040404, v177
	v_sub_nc_u16 v183, v183, v184
	v_lshrrev_b32_e32 v184, 16, v169
	v_lshlrev_b16 v181, 8, v181
	v_lshlrev_b16 v167, 8, v167
	v_lshrrev_b32_e32 v188, 24, v177
	v_lshrrev_b32_e32 v189, 16, v177
	v_sub_nc_u16 v184, v184, v185
	v_lshrrev_b16 v185, 8, v169
	v_sub_nc_u16 v169, v169, v176
	v_lshrrev_b16 v176, 8, v176
	s_waitcnt lgkmcnt(1)
	v_ashrrev_i32_e32 v153, s25, v153
	v_ashrrev_i32_e32 v154, s25, v154
	v_lshlrev_b16 v183, 8, v183
	s_waitcnt lgkmcnt(0)
	v_ashrrev_i32_e32 v155, s25, v155
	v_sub_nc_u16 v176, v185, v176
	v_bfe_u32 v185, v171, 24, 2
	v_and_b32_e32 v171, 0x3030303, v171
	v_lshlrev_b32_e32 v153, 2, v153
	v_lshlrev_b32_e32 v154, 2, v154
	v_lshlrev_b16 v176, 8, v176
	v_sub_nc_u16 v185, v185, v186
	v_lshrrev_b32_e32 v186, 16, v171
	v_and_b32_e32 v153, 0x4040404, v153
	v_and_b32_e32 v154, 0x4040404, v154
	v_lshlrev_b32_e32 v155, 2, v155
	v_lshlrev_b16 v185, 8, v185
	v_sub_nc_u16 v186, v186, v187
	v_lshrrev_b16 v187, 8, v171
	v_sub_nc_u16 v171, v171, v170
	v_lshrrev_b16 v170, 8, v170
	v_lshrrev_b32_e32 v190, 24, v153
	v_lshrrev_b32_e32 v191, 16, v153
	;; [unrolled: 1-line block ×4, first 2 shown]
	v_sub_nc_u16 v170, v187, v170
	v_bfe_u32 v187, v172, 24, 2
	v_and_b32_e32 v172, 0x3030303, v172
	v_and_b32_e32 v155, 0x4040404, v155
	s_delay_alu instid0(VALU_DEP_4) | instskip(NEXT) | instid1(VALU_DEP_4)
	v_lshlrev_b16 v170, 8, v170
	v_sub_nc_u16 v187, v187, v188
	s_delay_alu instid0(VALU_DEP_4) | instskip(NEXT) | instid1(VALU_DEP_2)
	v_lshrrev_b32_e32 v188, 16, v172
	v_lshlrev_b16 v187, 8, v187
	s_delay_alu instid0(VALU_DEP_2) | instskip(SKIP_3) | instid1(VALU_DEP_1)
	v_sub_nc_u16 v188, v188, v189
	v_lshrrev_b16 v189, 8, v172
	v_sub_nc_u16 v172, v172, v177
	v_lshrrev_b16 v177, 8, v177
	v_sub_nc_u16 v177, v189, v177
	v_bfe_u32 v189, v161, 24, 2
	v_and_b32_e32 v161, 0x3030303, v161
	s_delay_alu instid0(VALU_DEP_3) | instskip(NEXT) | instid1(VALU_DEP_3)
	v_lshlrev_b16 v177, 8, v177
	v_sub_nc_u16 v189, v189, v190
	s_delay_alu instid0(VALU_DEP_3) | instskip(NEXT) | instid1(VALU_DEP_2)
	v_lshrrev_b32_e32 v190, 16, v161
	v_lshlrev_b16 v189, 8, v189
	s_delay_alu instid0(VALU_DEP_2) | instskip(SKIP_3) | instid1(VALU_DEP_1)
	v_sub_nc_u16 v190, v190, v191
	v_lshrrev_b16 v191, 8, v161
	v_sub_nc_u16 v161, v161, v153
	v_lshrrev_b16 v153, 8, v153
	v_sub_nc_u16 v153, v191, v153
	v_bfe_u32 v191, v174, 24, 2
	v_and_b32_e32 v174, 0x3030303, v174
	s_delay_alu instid0(VALU_DEP_3) | instskip(NEXT) | instid1(VALU_DEP_3)
	v_lshlrev_b16 v153, 8, v153
	v_sub_nc_u16 v191, v191, v192
	s_delay_alu instid0(VALU_DEP_3) | instskip(NEXT) | instid1(VALU_DEP_2)
	v_lshrrev_b32_e32 v192, 16, v174
	v_lshlrev_b16 v191, 8, v191
	s_delay_alu instid0(VALU_DEP_2) | instskip(SKIP_3) | instid1(VALU_DEP_1)
	v_sub_nc_u16 v192, v192, v193
	v_lshrrev_b16 v193, 8, v174
	v_sub_nc_u16 v174, v174, v154
	v_lshrrev_b16 v154, 8, v154
	v_sub_nc_u16 v154, v193, v154
	v_and_b32_e32 v193, 0xff, v178
	s_delay_alu instid0(VALU_DEP_2) | instskip(NEXT) | instid1(VALU_DEP_2)
	v_lshlrev_b16 v154, 8, v154
	v_or_b32_e32 v173, v193, v173
	v_and_b32_e32 v193, 0xff, v165
	s_delay_alu instid0(VALU_DEP_2) | instskip(NEXT) | instid1(VALU_DEP_2)
	v_perm_b32 v165, v165, v173, 0x4010c0c
	v_or_b32_e32 v164, v193, v164
	v_and_b32_e32 v193, 0xff, v180
	s_delay_alu instid0(VALU_DEP_2) | instskip(NEXT) | instid1(VALU_DEP_2)
	v_perm_b32 v164, v178, v164, 0xc0c0401
	v_or_b32_e32 v179, v193, v179
	v_and_b32_e32 v193, 0xff, v166
	s_delay_alu instid0(VALU_DEP_3) | instskip(NEXT) | instid1(VALU_DEP_3)
	v_or_b32_e32 v164, v165, v164
	v_perm_b32 v166, v166, v179, 0x4010c0c
	s_delay_alu instid0(VALU_DEP_3) | instskip(SKIP_1) | instid1(VALU_DEP_2)
	v_or_b32_e32 v175, v193, v175
	v_and_b32_e32 v193, 0xff, v182
	v_perm_b32 v173, v180, v175, 0xc0c0401
	s_delay_alu instid0(VALU_DEP_2) | instskip(SKIP_1) | instid1(VALU_DEP_3)
	v_or_b32_e32 v181, v193, v181
	v_and_b32_e32 v193, 0xff, v168
	v_or_b32_e32 v165, v166, v173
	s_delay_alu instid0(VALU_DEP_3) | instskip(NEXT) | instid1(VALU_DEP_3)
	v_perm_b32 v168, v168, v181, 0x4010c0c
	v_or_b32_e32 v167, v193, v167
	v_and_b32_e32 v193, 0xff, v184
	s_delay_alu instid0(VALU_DEP_2) | instskip(NEXT) | instid1(VALU_DEP_2)
	v_perm_b32 v167, v182, v167, 0xc0c0401
	v_or_b32_e32 v183, v193, v183
	v_and_b32_e32 v193, 0xff, v169
	s_delay_alu instid0(VALU_DEP_3) | instskip(NEXT) | instid1(VALU_DEP_3)
	v_or_b32_e32 v166, v168, v167
	v_perm_b32 v169, v169, v183, 0x4010c0c
	s_delay_alu instid0(VALU_DEP_3) | instskip(SKIP_1) | instid1(VALU_DEP_2)
	v_or_b32_e32 v176, v193, v176
	v_and_b32_e32 v193, 0xff, v186
	v_perm_b32 v175, v184, v176, 0xc0c0401
	s_delay_alu instid0(VALU_DEP_2) | instskip(SKIP_1) | instid1(VALU_DEP_3)
	v_or_b32_e32 v185, v193, v185
	v_and_b32_e32 v193, 0xff, v171
	v_or_b32_e32 v167, v169, v175
	s_delay_alu instid0(VALU_DEP_3) | instskip(NEXT) | instid1(VALU_DEP_3)
	v_perm_b32 v171, v171, v185, 0x4010c0c
	v_or_b32_e32 v170, v193, v170
	v_and_b32_e32 v193, 0xff, v188
	s_delay_alu instid0(VALU_DEP_2) | instskip(NEXT) | instid1(VALU_DEP_2)
	v_perm_b32 v170, v186, v170, 0xc0c0401
	v_or_b32_e32 v187, v193, v187
	v_and_b32_e32 v193, 0xff, v172
	s_delay_alu instid0(VALU_DEP_3) | instskip(NEXT) | instid1(VALU_DEP_3)
	v_or_b32_e32 v168, v171, v170
	v_perm_b32 v172, v172, v187, 0x4010c0c
	s_delay_alu instid0(VALU_DEP_3) | instskip(SKIP_3) | instid1(VALU_DEP_4)
	v_or_b32_e32 v177, v193, v177
	v_and_b32_e32 v193, 0xff, v190
	v_lshrrev_b32_e32 v170, 24, v45
	v_lshrrev_b32_e32 v171, 16, v45
	v_perm_b32 v176, v188, v177, 0xc0c0401
	s_delay_alu instid0(VALU_DEP_4) | instskip(SKIP_1) | instid1(VALU_DEP_3)
	v_or_b32_e32 v189, v193, v189
	v_and_b32_e32 v193, 0xff, v161
	v_or_b32_e32 v169, v172, v176
	s_delay_alu instid0(VALU_DEP_3) | instskip(NEXT) | instid1(VALU_DEP_3)
	v_perm_b32 v161, v161, v189, 0x4010c0c
	v_or_b32_e32 v153, v193, v153
	v_and_b32_e32 v193, 0xff, v192
	s_delay_alu instid0(VALU_DEP_2) | instskip(NEXT) | instid1(VALU_DEP_2)
	v_perm_b32 v153, v190, v153, 0xc0c0401
	v_or_b32_e32 v191, v193, v191
	v_and_b32_e32 v193, 0xff, v174
	s_delay_alu instid0(VALU_DEP_3) | instskip(NEXT) | instid1(VALU_DEP_3)
	v_or_b32_e32 v153, v161, v153
	v_perm_b32 v174, v174, v191, 0x4010c0c
	s_delay_alu instid0(VALU_DEP_3)
	v_or_b32_e32 v154, v193, v154
	v_dot4_i32_iu8 v161, v164, v157, 0 neg_lo:[1,1,0]
	v_dot4_i32_iu8 v164, v166, v157, 0 neg_lo:[1,1,0]
	;; [unrolled: 1-line block ×4, first 2 shown]
	v_perm_b32 v154, v192, v154, 0xc0c0401
	v_dot4_i32_iu8 v157, v165, v158, v161 neg_lo:[1,1,0]
	v_dot4_i32_iu8 v161, v167, v158, v164 neg_lo:[1,1,0]
	v_dot4_i32_iu8 v164, v169, v158, v166 neg_lo:[1,1,0]
	v_lshrrev_b32_e32 v165, 16, v39
	v_or_b32_e32 v154, v174, v154
	v_lshrrev_b32_e32 v166, 24, v41
	v_lshrrev_b32_e32 v167, 16, v41
	;; [unrolled: 1-line block ×4, first 2 shown]
	v_dot4_i32_iu8 v153, v154, v158, v153 neg_lo:[1,1,0]
	v_bfe_u32 v154, v31, 24, 2
	v_lshrrev_b32_e32 v158, 24, v39
	v_and_b32_e32 v31, 0x3030303, v31
	s_delay_alu instid0(VALU_DEP_2) | instskip(NEXT) | instid1(VALU_DEP_2)
	v_sub_nc_u16 v154, v154, v158
	v_lshrrev_b32_e32 v158, 16, v31
	s_delay_alu instid0(VALU_DEP_2) | instskip(NEXT) | instid1(VALU_DEP_2)
	v_lshlrev_b16 v154, 8, v154
	v_sub_nc_u16 v158, v158, v165
	v_lshrrev_b16 v165, 8, v31
	v_sub_nc_u16 v31, v31, v39
	v_lshrrev_b16 v39, 8, v39
	s_delay_alu instid0(VALU_DEP_1) | instskip(SKIP_2) | instid1(VALU_DEP_3)
	v_sub_nc_u16 v39, v165, v39
	v_bfe_u32 v165, v33, 24, 2
	v_and_b32_e32 v33, 0x3030303, v33
	v_lshlrev_b16 v39, 8, v39
	s_delay_alu instid0(VALU_DEP_3) | instskip(NEXT) | instid1(VALU_DEP_3)
	v_sub_nc_u16 v165, v165, v166
	v_lshrrev_b32_e32 v166, 16, v33
	s_delay_alu instid0(VALU_DEP_2) | instskip(NEXT) | instid1(VALU_DEP_2)
	v_lshlrev_b16 v165, 8, v165
	v_sub_nc_u16 v166, v166, v167
	v_lshrrev_b16 v167, 8, v33
	v_sub_nc_u16 v33, v33, v41
	v_lshrrev_b16 v41, 8, v41
	s_delay_alu instid0(VALU_DEP_1) | instskip(SKIP_2) | instid1(VALU_DEP_3)
	v_sub_nc_u16 v41, v167, v41
	v_bfe_u32 v167, v35, 24, 2
	v_and_b32_e32 v35, 0x3030303, v35
	v_lshlrev_b16 v41, 8, v41
	s_delay_alu instid0(VALU_DEP_3) | instskip(NEXT) | instid1(VALU_DEP_3)
	;; [unrolled: 14-line block ×3, first 2 shown]
	v_sub_nc_u16 v169, v169, v170
	v_lshrrev_b32_e32 v170, 16, v37
	s_delay_alu instid0(VALU_DEP_2) | instskip(NEXT) | instid1(VALU_DEP_2)
	v_lshlrev_b16 v169, 8, v169
	v_sub_nc_u16 v170, v170, v171
	v_lshrrev_b16 v171, 8, v37
	v_sub_nc_u16 v37, v37, v45
	v_lshrrev_b16 v45, 8, v45
	s_delay_alu instid0(VALU_DEP_1) | instskip(SKIP_1) | instid1(VALU_DEP_2)
	v_sub_nc_u16 v45, v171, v45
	v_and_b32_e32 v171, 0xff, v158
	v_lshlrev_b16 v45, 8, v45
	s_delay_alu instid0(VALU_DEP_2) | instskip(SKIP_1) | instid1(VALU_DEP_2)
	v_or_b32_e32 v154, v171, v154
	v_and_b32_e32 v171, 0xff, v31
	v_perm_b32 v31, v31, v154, 0x4010c0c
	s_delay_alu instid0(VALU_DEP_2) | instskip(SKIP_2) | instid1(VALU_DEP_3)
	v_or_b32_e32 v39, v171, v39
	v_and_b32_e32 v171, 0xff, v166
	v_lshrrev_b32_e32 v154, 24, v6
	v_perm_b32 v39, v158, v39, 0xc0c0401
	s_delay_alu instid0(VALU_DEP_3) | instskip(SKIP_2) | instid1(VALU_DEP_4)
	v_or_b32_e32 v165, v171, v165
	v_and_b32_e32 v171, 0xff, v33
	v_lshrrev_b32_e32 v158, 16, v6
	v_or_b32_e32 v31, v31, v39
	s_delay_alu instid0(VALU_DEP_4) | instskip(NEXT) | instid1(VALU_DEP_4)
	v_perm_b32 v33, v33, v165, 0x4010c0c
	v_or_b32_e32 v41, v171, v41
	v_and_b32_e32 v171, 0xff, v168
	v_bfe_u32 v39, v27, 24, 2
	v_and_b32_e32 v27, 0x3030303, v27
	v_dot4_i32_iu8 v31, v31, v150, v162 neg_lo:[1,1,0]
	v_perm_b32 v41, v166, v41, 0xc0c0401
	v_or_b32_e32 v167, v171, v167
	v_and_b32_e32 v171, 0xff, v35
	s_delay_alu instid0(VALU_DEP_3) | instskip(NEXT) | instid1(VALU_DEP_3)
	v_or_b32_e32 v33, v33, v41
	v_perm_b32 v35, v35, v167, 0x4010c0c
	s_delay_alu instid0(VALU_DEP_3) | instskip(SKIP_3) | instid1(VALU_DEP_4)
	v_or_b32_e32 v43, v171, v43
	v_lshrrev_b32_e32 v41, 24, v2
	v_and_b32_e32 v171, 0xff, v170
	v_dot4_i32_iu8 v33, v33, v150, v163 neg_lo:[1,1,0]
	v_perm_b32 v43, v168, v43, 0xc0c0401
	s_delay_alu instid0(VALU_DEP_4)
	v_sub_nc_u16 v39, v39, v41
	v_lshrrev_b32_e32 v41, 16, v27
	v_or_b32_e32 v169, v171, v169
	v_and_b32_e32 v171, 0xff, v37
	v_or_b32_e32 v35, v35, v43
	v_lshrrev_b32_e32 v43, 16, v2
	v_lshlrev_b16 v39, 8, v39
	v_perm_b32 v37, v37, v169, 0x4010c0c
	v_or_b32_e32 v45, v171, v45
	v_dot4_i32_iu8 v35, v35, v150, v159 neg_lo:[1,1,0]
	v_sub_nc_u16 v41, v41, v43
	v_lshrrev_b16 v43, 8, v27
	v_sub_nc_u16 v27, v27, v2
	v_lshrrev_b16 v2, 8, v2
	v_perm_b32 v45, v170, v45, 0xc0c0401
	v_lshrrev_b32_e32 v159, 24, v155
	s_delay_alu instid0(VALU_DEP_3) | instskip(SKIP_1) | instid1(VALU_DEP_4)
	v_sub_nc_u16 v2, v43, v2
	v_ashrrev_i32_e32 v43, s25, v151
	v_or_b32_e32 v37, v37, v45
	v_bfe_u32 v45, v4, 24, 2
	v_and_b32_e32 v4, 0x3030303, v4
	v_lshlrev_b16 v2, 8, v2
	v_lshlrev_b32_e32 v43, 2, v43
	v_dot4_i32_iu8 v37, v37, v150, v160 neg_lo:[1,1,0]
	v_lshrrev_b32_e32 v160, 16, v155
	s_delay_alu instid0(VALU_DEP_3) | instskip(NEXT) | instid1(VALU_DEP_1)
	v_and_b32_e32 v43, 0x4040404, v43
	v_lshrrev_b32_e32 v150, 24, v43
	v_lshrrev_b32_e32 v151, 16, v43
	s_delay_alu instid0(VALU_DEP_2) | instskip(SKIP_1) | instid1(VALU_DEP_2)
	v_sub_nc_u16 v45, v45, v150
	v_lshrrev_b32_e32 v150, 16, v4
	v_lshlrev_b16 v45, 8, v45
	s_delay_alu instid0(VALU_DEP_2) | instskip(SKIP_3) | instid1(VALU_DEP_1)
	v_sub_nc_u16 v150, v150, v151
	v_lshrrev_b16 v151, 8, v4
	v_sub_nc_u16 v4, v4, v43
	v_lshrrev_b16 v43, 8, v43
	v_sub_nc_u16 v43, v151, v43
	v_bfe_u32 v151, v0, 24, 2
	v_and_b32_e32 v0, 0x3030303, v0
	s_delay_alu instid0(VALU_DEP_3) | instskip(NEXT) | instid1(VALU_DEP_3)
	v_lshlrev_b16 v43, 8, v43
	v_sub_nc_u16 v151, v151, v154
	s_delay_alu instid0(VALU_DEP_3) | instskip(NEXT) | instid1(VALU_DEP_2)
	v_lshrrev_b32_e32 v154, 16, v0
	v_lshlrev_b16 v151, 8, v151
	s_delay_alu instid0(VALU_DEP_2) | instskip(SKIP_3) | instid1(VALU_DEP_1)
	v_sub_nc_u16 v154, v154, v158
	v_lshrrev_b16 v158, 8, v0
	v_sub_nc_u16 v0, v0, v6
	v_lshrrev_b16 v6, 8, v6
	v_sub_nc_u16 v6, v158, v6
	v_bfe_u32 v158, v29, 24, 2
	v_and_b32_e32 v29, 0x3030303, v29
	s_delay_alu instid0(VALU_DEP_3) | instskip(NEXT) | instid1(VALU_DEP_3)
	v_lshlrev_b16 v6, 8, v6
	v_sub_nc_u16 v158, v158, v159
	s_delay_alu instid0(VALU_DEP_3) | instskip(NEXT) | instid1(VALU_DEP_2)
	v_lshrrev_b32_e32 v159, 16, v29
	v_lshlrev_b16 v158, 8, v158
	s_delay_alu instid0(VALU_DEP_2) | instskip(SKIP_3) | instid1(VALU_DEP_1)
	v_sub_nc_u16 v159, v159, v160
	v_lshrrev_b16 v160, 8, v29
	v_sub_nc_u16 v29, v29, v155
	v_lshrrev_b16 v155, 8, v155
	v_sub_nc_u16 v155, v160, v155
	v_and_b32_e32 v160, 0xff, v41
	s_delay_alu instid0(VALU_DEP_2) | instskip(NEXT) | instid1(VALU_DEP_2)
	v_lshlrev_b16 v155, 8, v155
	v_or_b32_e32 v39, v160, v39
	v_and_b32_e32 v160, 0xff, v27
	s_delay_alu instid0(VALU_DEP_2) | instskip(NEXT) | instid1(VALU_DEP_2)
	v_perm_b32 v27, v27, v39, 0x4010c0c
	v_or_b32_e32 v2, v160, v2
	v_and_b32_e32 v160, 0xff, v150
	s_delay_alu instid0(VALU_DEP_2) | instskip(NEXT) | instid1(VALU_DEP_2)
	v_perm_b32 v2, v41, v2, 0xc0c0401
	v_or_b32_e32 v45, v160, v45
	v_and_b32_e32 v160, 0xff, v4
	s_delay_alu instid0(VALU_DEP_3) | instskip(SKIP_1) | instid1(VALU_DEP_3)
	v_or_b32_e32 v2, v27, v2
	v_ashrrev_i32_e32 v27, s21, v32
	v_or_b32_e32 v43, v160, v43
	v_and_b32_e32 v160, 0xff, v154
	v_ashrrev_i32_e32 v32, s21, v36
	v_ashrrev_i32_e32 v36, s25, v40
	v_perm_b32 v4, v4, v45, 0x4010c0c
	v_perm_b32 v39, v150, v43, 0xc0c0401
	v_or_b32_e32 v151, v160, v151
	v_and_b32_e32 v160, 0xff, v0
	v_lshlrev_b32_e32 v36, 2, v36
	v_ashrrev_i32_e32 v40, s25, v46
	v_or_b32_e32 v4, v4, v39
	v_perm_b32 v0, v0, v151, 0x4010c0c
	v_or_b32_e32 v6, v160, v6
	v_and_b32_e32 v160, 0xff, v159
	v_and_b32_e32 v36, 0x4040404, v36
	v_ashrrev_i32_e32 v39, s25, v44
	v_dot4_i32_iu8 v2, v2, v144, v157 neg_lo:[1,1,0]
	v_perm_b32 v6, v154, v6, 0xc0c0401
	v_or_b32_e32 v158, v160, v158
	v_and_b32_e32 v160, 0xff, v29
	v_lshrrev_b32_e32 v43, 16, v36
	v_lshlrev_b32_e32 v39, 2, v39
	v_or_b32_e32 v0, v0, v6
	v_perm_b32 v29, v29, v158, 0x4010c0c
	v_or_b32_e32 v155, v160, v155
	v_dot4_i32_iu8 v4, v4, v144, v161 neg_lo:[1,1,0]
	v_and_b32_e32 v39, 0x4040404, v39
	v_dot4_i32_iu8 v0, v0, v144, v164 neg_lo:[1,1,0]
	v_lshlrev_b32_e32 v40, 2, v40
	v_perm_b32 v41, v159, v155, 0xc0c0401
	s_delay_alu instid0(VALU_DEP_4) | instskip(NEXT) | instid1(VALU_DEP_3)
	v_lshrrev_b32_e32 v46, 24, v39
	v_and_b32_e32 v40, 0x4040404, v40
	s_delay_alu instid0(VALU_DEP_3)
	v_or_b32_e32 v6, v29, v41
	v_ashrrev_i32_e32 v29, s21, v34
	v_ashrrev_i32_e32 v34, s21, v38
	v_ashrrev_i32_e32 v38, s25, v42
	v_bfe_u32 v41, v27, 24, 2
	v_lshrrev_b32_e32 v42, 24, v36
	v_and_b32_e32 v27, 0x3030303, v27
	v_dot4_i32_iu8 v6, v6, v144, v153 neg_lo:[1,1,0]
	v_lshlrev_b32_e32 v38, 2, v38
	v_lshrrev_b32_e32 v144, 16, v39
	v_sub_nc_u16 v41, v41, v42
	v_lshrrev_b32_e32 v42, 16, v27
	v_lshrrev_b32_e32 v150, 24, v40
	v_and_b32_e32 v38, 0x4040404, v38
	v_lshrrev_b32_e32 v151, 16, v40
	v_lshlrev_b16 v41, 8, v41
	v_sub_nc_u16 v42, v42, v43
	v_lshrrev_b16 v43, 8, v27
	v_sub_nc_u16 v27, v27, v36
	v_lshrrev_b16 v36, 8, v36
	v_lshrrev_b32_e32 v44, 24, v38
	v_lshrrev_b32_e32 v45, 16, v38
	s_add_i32 s21, s21, 2
	s_delay_alu instid0(VALU_DEP_3) | instskip(SKIP_2) | instid1(VALU_DEP_3)
	v_sub_nc_u16 v36, v43, v36
	v_bfe_u32 v43, v29, 24, 2
	v_and_b32_e32 v29, 0x3030303, v29
	v_lshlrev_b16 v36, 8, v36
	s_delay_alu instid0(VALU_DEP_3) | instskip(NEXT) | instid1(VALU_DEP_3)
	v_sub_nc_u16 v43, v43, v44
	v_lshrrev_b32_e32 v44, 16, v29
	s_delay_alu instid0(VALU_DEP_2) | instskip(NEXT) | instid1(VALU_DEP_2)
	v_lshlrev_b16 v43, 8, v43
	v_sub_nc_u16 v44, v44, v45
	v_lshrrev_b16 v45, 8, v29
	v_sub_nc_u16 v29, v29, v38
	v_lshrrev_b16 v38, 8, v38
	s_delay_alu instid0(VALU_DEP_1) | instskip(SKIP_2) | instid1(VALU_DEP_3)
	v_sub_nc_u16 v38, v45, v38
	v_bfe_u32 v45, v32, 24, 2
	v_and_b32_e32 v32, 0x3030303, v32
	v_lshlrev_b16 v38, 8, v38
	s_delay_alu instid0(VALU_DEP_3) | instskip(NEXT) | instid1(VALU_DEP_3)
	v_sub_nc_u16 v45, v45, v46
	v_lshrrev_b32_e32 v46, 16, v32
	s_delay_alu instid0(VALU_DEP_2) | instskip(NEXT) | instid1(VALU_DEP_2)
	v_lshlrev_b16 v45, 8, v45
	v_sub_nc_u16 v46, v46, v144
	v_lshrrev_b16 v144, 8, v32
	v_sub_nc_u16 v32, v32, v39
	v_lshrrev_b16 v39, 8, v39
	s_delay_alu instid0(VALU_DEP_1) | instskip(SKIP_2) | instid1(VALU_DEP_3)
	v_sub_nc_u16 v39, v144, v39
	v_bfe_u32 v144, v34, 24, 2
	v_and_b32_e32 v34, 0x3030303, v34
	v_lshlrev_b16 v39, 8, v39
	s_delay_alu instid0(VALU_DEP_3) | instskip(NEXT) | instid1(VALU_DEP_3)
	v_sub_nc_u16 v144, v144, v150
	v_lshrrev_b32_e32 v150, 16, v34
	s_delay_alu instid0(VALU_DEP_2) | instskip(NEXT) | instid1(VALU_DEP_2)
	v_lshlrev_b16 v144, 8, v144
	v_sub_nc_u16 v150, v150, v151
	v_lshrrev_b16 v151, 8, v34
	v_sub_nc_u16 v34, v34, v40
	v_lshrrev_b16 v40, 8, v40
	s_delay_alu instid0(VALU_DEP_1) | instskip(SKIP_1) | instid1(VALU_DEP_2)
	v_sub_nc_u16 v40, v151, v40
	v_and_b32_e32 v151, 0xff, v42
	v_lshlrev_b16 v40, 8, v40
	s_delay_alu instid0(VALU_DEP_2) | instskip(SKIP_1) | instid1(VALU_DEP_2)
	v_or_b32_e32 v41, v151, v41
	v_and_b32_e32 v151, 0xff, v27
	v_perm_b32 v27, v27, v41, 0x4010c0c
	s_delay_alu instid0(VALU_DEP_2) | instskip(SKIP_2) | instid1(VALU_DEP_3)
	v_or_b32_e32 v36, v151, v36
	v_and_b32_e32 v151, 0xff, v44
	v_lshrrev_b32_e32 v41, 16, v7
	v_perm_b32 v36, v42, v36, 0xc0c0401
	s_delay_alu instid0(VALU_DEP_3) | instskip(SKIP_1) | instid1(VALU_DEP_3)
	v_or_b32_e32 v43, v151, v43
	v_and_b32_e32 v151, 0xff, v29
	v_or_b32_e32 v27, v27, v36
	s_delay_alu instid0(VALU_DEP_3) | instskip(NEXT) | instid1(VALU_DEP_3)
	v_perm_b32 v29, v29, v43, 0x4010c0c
	v_or_b32_e32 v38, v151, v38
	v_and_b32_e32 v151, 0xff, v46
	v_lshrrev_b32_e32 v36, 24, v3
	v_dot4_i32_iu8 v27, v27, v143, v31 neg_lo:[1,1,0]
	s_delay_alu instid0(VALU_DEP_4) | instskip(NEXT) | instid1(VALU_DEP_4)
	v_perm_b32 v38, v44, v38, 0xc0c0401
	v_or_b32_e32 v45, v151, v45
	v_and_b32_e32 v151, 0xff, v32
	s_delay_alu instid0(VALU_DEP_3) | instskip(NEXT) | instid1(VALU_DEP_3)
	v_or_b32_e32 v29, v29, v38
	v_perm_b32 v32, v32, v45, 0x4010c0c
	s_delay_alu instid0(VALU_DEP_3) | instskip(SKIP_1) | instid1(VALU_DEP_4)
	v_or_b32_e32 v39, v151, v39
	v_and_b32_e32 v151, 0xff, v150
	v_dot4_i32_iu8 v29, v29, v143, v33 neg_lo:[1,1,0]
	v_ashrrev_i32_e32 v33, s25, v152
	s_delay_alu instid0(VALU_DEP_4) | instskip(NEXT) | instid1(VALU_DEP_4)
	v_perm_b32 v39, v46, v39, 0xc0c0401
	v_or_b32_e32 v144, v151, v144
	v_and_b32_e32 v151, 0xff, v34
	s_delay_alu instid0(VALU_DEP_4) | instskip(NEXT) | instid1(VALU_DEP_4)
	v_lshlrev_b32_e32 v33, 2, v33
	v_or_b32_e32 v32, v32, v39
	s_delay_alu instid0(VALU_DEP_4) | instskip(NEXT) | instid1(VALU_DEP_4)
	v_perm_b32 v34, v34, v144, 0x4010c0c
	v_or_b32_e32 v40, v151, v40
	s_delay_alu instid0(VALU_DEP_4) | instskip(NEXT) | instid1(VALU_DEP_4)
	v_and_b32_e32 v33, 0x4040404, v33
	v_dot4_i32_iu8 v31, v32, v143, v35 neg_lo:[1,1,0]
	v_bfe_u32 v35, v28, 24, 2
	s_delay_alu instid0(VALU_DEP_4)
	v_perm_b32 v40, v150, v40, 0xc0c0401
	v_and_b32_e32 v28, 0x3030303, v28
	v_lshrrev_b32_e32 v38, 24, v33
	v_lshrrev_b32_e32 v39, 16, v33
	v_sub_nc_u16 v35, v35, v36
	v_or_b32_e32 v34, v34, v40
	v_lshrrev_b32_e32 v36, 16, v28
	v_lshrrev_b32_e32 v40, 24, v7
	s_delay_alu instid0(VALU_DEP_4) | instskip(NEXT) | instid1(VALU_DEP_4)
	v_lshlrev_b16 v35, 8, v35
	v_dot4_i32_iu8 v32, v34, v143, v37 neg_lo:[1,1,0]
	v_lshrrev_b32_e32 v37, 16, v3
	v_ashrrev_i32_e32 v34, s25, v156
	s_add_i32 s25, s25, 1
	s_cmp_lt_u32 s26, 14
	s_delay_alu instid0(VALU_DEP_2) | instskip(SKIP_4) | instid1(VALU_DEP_2)
	v_sub_nc_u16 v36, v36, v37
	v_lshrrev_b16 v37, 8, v28
	v_sub_nc_u16 v28, v28, v3
	v_lshrrev_b16 v3, 8, v3
	v_lshlrev_b32_e32 v34, 2, v34
	v_sub_nc_u16 v3, v37, v3
	v_bfe_u32 v37, v5, 24, 2
	v_and_b32_e32 v5, 0x3030303, v5
	s_delay_alu instid0(VALU_DEP_4) | instskip(NEXT) | instid1(VALU_DEP_4)
	v_and_b32_e32 v34, 0x4040404, v34
	v_lshlrev_b16 v3, 8, v3
	s_delay_alu instid0(VALU_DEP_4) | instskip(NEXT) | instid1(VALU_DEP_4)
	v_sub_nc_u16 v37, v37, v38
	v_lshrrev_b32_e32 v38, 16, v5
	s_delay_alu instid0(VALU_DEP_4) | instskip(SKIP_1) | instid1(VALU_DEP_4)
	v_lshrrev_b32_e32 v42, 24, v34
	v_lshrrev_b32_e32 v43, 16, v34
	v_lshlrev_b16 v37, 8, v37
	s_delay_alu instid0(VALU_DEP_4) | instskip(SKIP_3) | instid1(VALU_DEP_1)
	v_sub_nc_u16 v38, v38, v39
	v_lshrrev_b16 v39, 8, v5
	v_sub_nc_u16 v5, v5, v33
	v_lshrrev_b16 v33, 8, v33
	v_sub_nc_u16 v33, v39, v33
	v_bfe_u32 v39, v1, 24, 2
	v_and_b32_e32 v1, 0x3030303, v1
	s_delay_alu instid0(VALU_DEP_3) | instskip(NEXT) | instid1(VALU_DEP_3)
	v_lshlrev_b16 v33, 8, v33
	v_sub_nc_u16 v39, v39, v40
	s_delay_alu instid0(VALU_DEP_3) | instskip(NEXT) | instid1(VALU_DEP_2)
	v_lshrrev_b32_e32 v40, 16, v1
	v_lshlrev_b16 v39, 8, v39
	s_delay_alu instid0(VALU_DEP_2) | instskip(SKIP_3) | instid1(VALU_DEP_1)
	v_sub_nc_u16 v40, v40, v41
	v_lshrrev_b16 v41, 8, v1
	v_sub_nc_u16 v1, v1, v7
	v_lshrrev_b16 v7, 8, v7
	v_sub_nc_u16 v7, v41, v7
	v_bfe_u32 v41, v30, 24, 2
	v_and_b32_e32 v30, 0x3030303, v30
	s_delay_alu instid0(VALU_DEP_3) | instskip(NEXT) | instid1(VALU_DEP_3)
	v_lshlrev_b16 v7, 8, v7
	v_sub_nc_u16 v41, v41, v42
	s_delay_alu instid0(VALU_DEP_3) | instskip(NEXT) | instid1(VALU_DEP_2)
	v_lshrrev_b32_e32 v42, 16, v30
	v_lshlrev_b16 v41, 8, v41
	s_delay_alu instid0(VALU_DEP_2) | instskip(SKIP_3) | instid1(VALU_DEP_1)
	v_sub_nc_u16 v42, v42, v43
	v_lshrrev_b16 v43, 8, v30
	v_sub_nc_u16 v30, v30, v34
	v_lshrrev_b16 v34, 8, v34
	v_sub_nc_u16 v34, v43, v34
	v_and_b32_e32 v43, 0xff, v36
	s_delay_alu instid0(VALU_DEP_2) | instskip(NEXT) | instid1(VALU_DEP_2)
	v_lshlrev_b16 v34, 8, v34
	v_or_b32_e32 v35, v43, v35
	v_and_b32_e32 v43, 0xff, v28
	s_delay_alu instid0(VALU_DEP_2) | instskip(NEXT) | instid1(VALU_DEP_2)
	v_perm_b32 v28, v28, v35, 0x4010c0c
	v_or_b32_e32 v3, v43, v3
	v_and_b32_e32 v43, 0xff, v38
	s_delay_alu instid0(VALU_DEP_2) | instskip(NEXT) | instid1(VALU_DEP_2)
	v_perm_b32 v3, v36, v3, 0xc0c0401
	v_or_b32_e32 v37, v43, v37
	v_and_b32_e32 v43, 0xff, v5
	s_delay_alu instid0(VALU_DEP_3) | instskip(SKIP_1) | instid1(VALU_DEP_3)
	v_or_b32_e32 v3, v28, v3
	v_add3_u32 v28, v118, s27, v149
	v_or_b32_e32 v33, v43, v33
	v_and_b32_e32 v43, 0xff, v40
	v_perm_b32 v5, v5, v37, 0x4010c0c
	v_dot4_i32_iu8 v3, v3, v141, v2 neg_lo:[1,1,0]
	v_add3_u32 v2, v120, s27, v149
	ds_load_u16 v2, v2
	ds_load_u16 v28, v28
	v_or_b32_e32 v39, v43, v39
	v_and_b32_e32 v43, 0xff, v1
	v_perm_b32 v33, v38, v33, 0xc0c0401
	s_delay_alu instid0(VALU_DEP_3) | instskip(NEXT) | instid1(VALU_DEP_3)
	v_perm_b32 v1, v1, v39, 0x4010c0c
	v_or_b32_e32 v7, v43, v7
	v_and_b32_e32 v43, 0xff, v42
	s_delay_alu instid0(VALU_DEP_4)
	v_or_b32_e32 v5, v5, v33
	ds_load_b32 v33, v139
	v_add_nc_u32_e32 v139, 4, v139
	v_perm_b32 v7, v40, v7, 0xc0c0401
	v_or_b32_e32 v41, v43, v41
	v_and_b32_e32 v43, 0xff, v30
	s_delay_alu instid0(VALU_DEP_3) | instskip(NEXT) | instid1(VALU_DEP_3)
	v_or_b32_e32 v1, v1, v7
	v_perm_b32 v30, v30, v41, 0x4010c0c
	s_delay_alu instid0(VALU_DEP_3) | instskip(NEXT) | instid1(VALU_DEP_1)
	v_or_b32_e32 v34, v43, v34
	v_perm_b32 v34, v42, v34, 0xc0c0401
	s_delay_alu instid0(VALU_DEP_1)
	v_or_b32_e32 v7, v30, v34
	v_dot4_i32_iu8 v34, v1, v141, v0 neg_lo:[1,1,0]
	s_waitcnt lgkmcnt(2)
	v_lshrrev_b16 v0, 8, v2
	v_bfe_i32 v2, v2, 0, 8
	v_dot4_i32_iu8 v30, v5, v141, v4 neg_lo:[1,1,0]
	s_waitcnt lgkmcnt(1)
	v_lshrrev_b16 v1, 8, v28
	v_dot4_i32_iu8 v35, v7, v141, v6 neg_lo:[1,1,0]
	v_bfe_i32 v5, v0, 0, 8
	v_mul_lo_u32 v0, v27, v2
	v_bfe_i32 v6, v146, 0, 8
	v_bfe_i32 v7, v1, 0, 8
	v_bfe_i32 v4, v28, 0, 8
	v_lshrrev_b16 v27, 8, v148
	v_mad_u64_u32 v[1:2], null, v3, v5, v[0:1]
	v_lshrrev_b16 v5, 8, v146
	v_mul_lo_u32 v0, v29, v6
	v_bfe_i32 v3, v148, 0, 8
	v_mul_lo_u32 v2, v31, v4
	v_bfe_i32 v27, v27, 0, 8
	v_bfe_i32 v6, v5, 0, 8
	s_delay_alu instid0(VALU_DEP_4) | instskip(NEXT) | instid1(VALU_DEP_2)
	v_mul_lo_u32 v3, v32, v3
	v_mad_u64_u32 v[4:5], null, v30, v6, v[0:1]
	s_waitcnt lgkmcnt(0)
	v_mul_f32_e32 v0, v33, v140
	v_cvt_f32_i32_e32 v1, v1
	s_delay_alu instid0(VALU_DEP_4)
	v_mad_u64_u32 v[5:6], null, v34, v7, v[2:3]
	v_mul_f32_e32 v2, v33, v142
	v_mad_u64_u32 v[6:7], null, v35, v27, v[3:4]
	v_mul_f32_e32 v3, v33, v145
	v_mul_f32_e32 v7, v33, v147
	v_cvt_f32_i32_e32 v4, v4
	v_cvt_f32_i32_e32 v5, v5
	v_fmac_f32_e32 v49, v0, v1
	v_cvt_f32_i32_e32 v6, v6
	s_delay_alu instid0(VALU_DEP_4) | instskip(NEXT) | instid1(VALU_DEP_2)
	v_fmac_f32_e32 v97, v3, v4
	v_dual_fmac_f32 v89, v2, v5 :: v_dual_fmac_f32 v24, v7, v6
	s_cbranch_scc1 .LBB230_20
; %bb.21:                               ;   in Loop: Header=BB230_5 Depth=1
	s_or_b32 s1, s6, 0x100
	s_delay_alu instid0(SALU_CYCLE_1)
	s_cmp_ge_i32 s1, s5
	s_barrier
	buffer_gl0_inv
	s_cbranch_scc1 .LBB230_4
; %bb.22:                               ;   in Loop: Header=BB230_5 Depth=1
	v_add_nc_u32_e32 v0, s20, v108
	s_delay_alu instid0(VALU_DEP_1) | instskip(NEXT) | instid1(VALU_DEP_1)
	v_cmp_gt_i32_e64 s1, s8, v0
	s_and_b32 s21, s0, s1
	s_delay_alu instid0(SALU_CYCLE_1)
	s_and_saveexec_b32 s1, s21
	s_cbranch_execz .LBB230_24
; %bb.23:                               ;   in Loop: Header=BB230_5 Depth=1
	v_add_nc_u32_e32 v2, v103, v0
	s_delay_alu instid0(VALU_DEP_1)
	v_mad_i64_i32 v[0:1], null, v2, 36, v[25:26]
	global_load_b32 v0, v[0:1], off offset:4
	s_waitcnt vmcnt(0)
	ds_store_b32 v90, v0
.LBB230_24:                             ;   in Loop: Header=BB230_5 Depth=1
	s_or_b32 exec_lo, exec_lo, s1
	s_and_saveexec_b32 s21, vcc_lo
	s_cbranch_execz .LBB230_27
; %bb.25:                               ;   in Loop: Header=BB230_5 Depth=1
	v_or_b32_e32 v0, s20, v48
	s_delay_alu instid0(VALU_DEP_1) | instskip(NEXT) | instid1(VALU_DEP_1)
	v_or_b32_e32 v1, 8, v0
	v_cmp_gt_i32_e64 s1, s8, v1
	s_delay_alu instid0(VALU_DEP_1) | instskip(NEXT) | instid1(SALU_CYCLE_1)
	s_and_b32 s1, s0, s1
	s_and_b32 exec_lo, exec_lo, s1
	s_cbranch_execz .LBB230_27
; %bb.26:                               ;   in Loop: Header=BB230_5 Depth=1
	v_ashrrev_i32_e32 v1, 31, v0
	v_add_co_u32 v2, s1, v103, v0
	s_delay_alu instid0(VALU_DEP_1) | instskip(NEXT) | instid1(VALU_DEP_2)
	v_add_co_ci_u32_e64 v3, s1, v110, v1, s1
	v_mad_u64_u32 v[0:1], null, v2, 36, s[16:17]
	s_delay_alu instid0(VALU_DEP_1)
	v_mad_i32_i24 v1, v3, 36, v1
	global_load_b32 v0, v[0:1], off
	s_waitcnt vmcnt(0)
	v_cvt_f32_f16_e32 v0, v0
	ds_store_b32 v91, v0
.LBB230_27:                             ;   in Loop: Header=BB230_5 Depth=1
	s_or_b32 exec_lo, exec_lo, s21
	v_dual_mov_b32 v138, v115 :: v_dual_mov_b32 v139, v116
	s_mov_b32 s1, 16
	s_mov_b32 s27, 14
	s_mov_b32 s21, 0
	s_waitcnt lgkmcnt(0)
	s_barrier
	buffer_gl0_inv
.LBB230_28:                             ;   Parent Loop BB230_5 Depth=1
                                        ; =>  This Inner Loop Header: Depth=2
	s_add_i32 s25, s27, 2
	ds_load_b128 v[4:7], v138
	ds_load_b128 v[0:3], v138 offset:16
	s_and_b32 s29, s25, 0x3ffffff8
	s_lshr_b32 s28, s25, 4
	s_lshl_b32 s29, s29, 2
	s_lshl_b32 s30, s28, 2
	v_add_nc_u32_e32 v147, s29, v94
	v_add_nc_u32_e32 v148, s29, v98
	;; [unrolled: 1-line block ×4, first 2 shown]
	s_add_i32 s26, s27, -14
	ds_load_2addr_b32 v[29:30], v147 offset1:1
	ds_load_2addr_b32 v[35:36], v148 offset1:1
	ds_load_2addr_b32 v[27:28], v147 offset0:6 offset1:7
	ds_load_2addr_b32 v[31:32], v147 offset0:2 offset1:3
	;; [unrolled: 1-line block ×3, first 2 shown]
	ds_load_b32 v141, v37
	v_add_nc_u32_e32 v161, s29, v105
	s_lshl_b32 s28, s28, 3
	v_add_nc_u32_e32 v138, 32, v138
	v_add_lshl_u32 v164, v93, s28, 2
	v_add_lshl_u32 v167, v96, s28, 2
	;; [unrolled: 1-line block ×3, first 2 shown]
	s_waitcnt lgkmcnt(7)
	v_perm_b32 v149, v6, v6, 0x30201
	s_waitcnt lgkmcnt(6)
	v_perm_b32 v156, v0, v0, 0x30201
	v_perm_b32 v157, v1, v1, 0x30201
	;; [unrolled: 1-line block ×4, first 2 shown]
	v_add_nc_u32_e32 v6, 0x4208, v164
	v_perm_b32 v150, v4, v4, 0x30201
	v_perm_b32 v151, v5, v5, 0x30201
	;; [unrolled: 1-line block ×3, first 2 shown]
	s_waitcnt lgkmcnt(5)
	v_ashrrev_i32_e32 v152, s26, v29
	s_waitcnt lgkmcnt(4)
	v_ashrrev_i32_e32 v154, s26, v35
	v_ashrrev_i32_e32 v155, s26, v36
	ds_load_2addr_b32 v[2:3], v158 offset1:1
	ds_load_2addr_b32 v[0:1], v158 offset0:6 offset1:7
	ds_load_2addr_b32 v[35:36], v158 offset0:2 offset1:3
	v_ashrrev_i32_e32 v153, s26, v30
	v_bfe_u32 v174, v152, 24, 2
	v_and_b32_e32 v152, 0x3030303, v152
	v_add_nc_u32_e32 v43, 0x4208, v170
	v_add_lshl_u32 v173, v104, s28, 2
	s_and_b32 s28, s1, -16
	s_waitcnt lgkmcnt(5)
	v_ashrrev_i32_e32 v31, s26, v31
	s_add_i32 s27, s27, s28
	s_waitcnt lgkmcnt(4)
	v_ashrrev_i32_e32 v33, s26, v33
	v_ashrrev_i32_e32 v27, s26, v27
	;; [unrolled: 1-line block ×3, first 2 shown]
	s_add_i32 s1, s1, 2
	s_waitcnt lgkmcnt(2)
	v_ashrrev_i32_e32 v159, s26, v2
	v_add_nc_u32_e32 v2, s30, v102
	v_ashrrev_i32_e32 v160, s26, v3
	ds_load_2addr_b32 v[37:38], v161 offset0:2 offset1:3
	ds_load_b32 v142, v2
	ds_load_2addr_b32 v[2:3], v161 offset1:1
	s_waitcnt lgkmcnt(3)
	v_ashrrev_i32_e32 v35, s26, v35
	v_ashrrev_i32_e32 v0, s26, v0
	;; [unrolled: 1-line block ×3, first 2 shown]
	s_waitcnt lgkmcnt(2)
	v_ashrrev_i32_e32 v37, s26, v37
	s_waitcnt lgkmcnt(0)
	v_ashrrev_i32_e32 v162, s26, v2
	v_add_nc_u32_e32 v2, 0x4200, v164
	v_ashrrev_i32_e32 v163, s26, v3
	v_add_nc_u32_e32 v3, 0x4218, v164
	ds_load_2addr_b32 v[4:5], v2 offset1:1
	ds_load_2addr_b32 v[2:3], v3 offset1:1
	ds_load_2addr_b32 v[39:40], v6 offset1:1
	s_waitcnt lgkmcnt(2)
	v_ashrrev_i32_e32 v165, s21, v4
	v_add_nc_u32_e32 v4, 0x4200, v167
	v_ashrrev_i32_e32 v166, s21, v5
	v_add_nc_u32_e32 v5, 0x4208, v167
	ds_load_2addr_b32 v[6:7], v4 offset1:1
	ds_load_2addr_b32 v[41:42], v5 offset1:1
	ds_load_2addr_b32 v[4:5], v148 offset0:6 offset1:7
	v_lshlrev_b32_e32 v165, 2, v165
	v_lshlrev_b32_e32 v166, 2, v166
	s_waitcnt lgkmcnt(3)
	v_ashrrev_i32_e32 v39, s21, v39
	v_ashrrev_i32_e32 v2, s21, v2
	;; [unrolled: 1-line block ×3, first 2 shown]
	v_and_b32_e32 v165, 0x4040404, v165
	v_and_b32_e32 v166, 0x4040404, v166
	v_lshlrev_b32_e32 v39, 2, v39
	v_lshlrev_b32_e32 v2, 2, v2
	;; [unrolled: 1-line block ×3, first 2 shown]
	v_lshrrev_b32_e32 v175, 24, v165
	v_lshrrev_b32_e32 v176, 16, v165
	;; [unrolled: 1-line block ×4, first 2 shown]
	v_and_b32_e32 v39, 0x4040404, v39
	v_sub_nc_u16 v174, v174, v175
	v_lshrrev_b32_e32 v175, 16, v152
	s_waitcnt lgkmcnt(2)
	v_ashrrev_i32_e32 v168, s21, v6
	v_add_nc_u32_e32 v6, 0x4200, v170
	v_ashrrev_i32_e32 v169, s21, v7
	v_add_nc_u32_e32 v7, 0x4218, v170
	v_sub_nc_u16 v175, v175, v176
	v_lshrrev_b16 v176, 8, v152
	v_sub_nc_u16 v152, v152, v165
	v_lshrrev_b16 v165, 8, v165
	v_lshlrev_b32_e32 v168, 2, v168
	ds_load_2addr_b32 v[29:30], v6 offset1:1
	ds_load_2addr_b32 v[6:7], v7 offset1:1
	;; [unrolled: 1-line block ×3, first 2 shown]
	v_lshlrev_b32_e32 v169, 2, v169
	v_lshlrev_b16 v174, 8, v174
	v_sub_nc_u16 v165, v176, v165
	v_bfe_u32 v176, v153, 24, 2
	v_and_b32_e32 v153, 0x3030303, v153
	v_and_b32_e32 v168, 0x4040404, v168
	;; [unrolled: 1-line block ×3, first 2 shown]
	v_lshlrev_b16 v165, 8, v165
	v_sub_nc_u16 v176, v176, v177
	v_lshrrev_b32_e32 v177, 16, v153
	v_lshrrev_b32_e32 v179, 24, v168
	;; [unrolled: 1-line block ×5, first 2 shown]
	v_sub_nc_u16 v177, v177, v178
	v_lshrrev_b16 v178, 8, v153
	v_sub_nc_u16 v153, v153, v166
	v_lshrrev_b16 v166, 8, v166
	s_waitcnt lgkmcnt(2)
	v_ashrrev_i32_e32 v171, s21, v29
	v_add_nc_u32_e32 v29, 0x4200, v173
	v_ashrrev_i32_e32 v172, s21, v30
	v_add_nc_u32_e32 v30, 0x4208, v173
	v_sub_nc_u16 v166, v178, v166
	v_bfe_u32 v178, v154, 24, 2
	v_and_b32_e32 v154, 0x3030303, v154
	v_lshlrev_b32_e32 v171, 2, v171
	ds_load_2addr_b32 v[145:146], v29 offset1:1
	ds_load_2addr_b32 v[45:46], v30 offset1:1
	ds_load_2addr_b32 v[29:30], v161 offset0:6 offset1:7
	v_lshlrev_b32_e32 v172, 2, v172
	v_sub_nc_u16 v178, v178, v179
	v_lshrrev_b32_e32 v179, 16, v154
	v_and_b32_e32 v171, 0x4040404, v171
	v_lshlrev_b16 v176, 8, v176
	v_and_b32_e32 v172, 0x4040404, v172
	v_lshlrev_b16 v166, 8, v166
	v_sub_nc_u16 v179, v179, v180
	v_lshrrev_b16 v180, 8, v154
	v_sub_nc_u16 v154, v154, v168
	v_lshrrev_b16 v168, 8, v168
	v_lshrrev_b32_e32 v183, 24, v171
	v_lshrrev_b32_e32 v184, 16, v171
	;; [unrolled: 1-line block ×4, first 2 shown]
	v_sub_nc_u16 v168, v180, v168
	v_bfe_u32 v180, v155, 24, 2
	v_and_b32_e32 v155, 0x3030303, v155
	s_waitcnt lgkmcnt(2)
	v_ashrrev_i32_e32 v145, s21, v145
	v_ashrrev_i32_e32 v146, s21, v146
	v_lshlrev_b16 v178, 8, v178
	v_sub_nc_u16 v180, v180, v181
	v_lshrrev_b32_e32 v181, 16, v155
	v_lshlrev_b32_e32 v145, 2, v145
	v_lshlrev_b32_e32 v146, 2, v146
	v_lshlrev_b16 v168, 8, v168
	v_lshlrev_b16 v180, 8, v180
	v_sub_nc_u16 v181, v181, v182
	v_lshrrev_b16 v182, 8, v155
	v_sub_nc_u16 v155, v155, v169
	v_lshrrev_b16 v169, 8, v169
	v_and_b32_e32 v145, 0x4040404, v145
	v_and_b32_e32 v146, 0x4040404, v146
	v_ashrrev_i32_e32 v41, s21, v41
	v_ashrrev_i32_e32 v43, s21, v43
	v_sub_nc_u16 v169, v182, v169
	v_bfe_u32 v182, v159, 24, 2
	v_and_b32_e32 v159, 0x3030303, v159
	v_lshrrev_b32_e32 v187, 24, v145
	v_lshrrev_b32_e32 v188, 16, v145
	;; [unrolled: 1-line block ×3, first 2 shown]
	v_sub_nc_u16 v182, v182, v183
	v_lshrrev_b32_e32 v183, 16, v159
	v_lshrrev_b32_e32 v190, 16, v146
	v_lshlrev_b16 v169, 8, v169
	v_lshlrev_b32_e32 v41, 2, v41
	v_lshlrev_b16 v182, 8, v182
	v_sub_nc_u16 v183, v183, v184
	v_lshrrev_b16 v184, 8, v159
	v_sub_nc_u16 v159, v159, v171
	v_lshrrev_b16 v171, 8, v171
	v_and_b32_e32 v41, 0x4040404, v41
	v_lshlrev_b32_e32 v43, 2, v43
	s_waitcnt lgkmcnt(1)
	v_ashrrev_i32_e32 v45, s21, v45
	v_and_b32_e32 v2, 0x4040404, v2
	v_sub_nc_u16 v171, v184, v171
	v_bfe_u32 v184, v160, 24, 2
	v_and_b32_e32 v160, 0x3030303, v160
	v_and_b32_e32 v43, 0x4040404, v43
	v_lshlrev_b32_e32 v45, 2, v45
	v_lshlrev_b16 v171, 8, v171
	v_sub_nc_u16 v184, v184, v185
	v_lshrrev_b32_e32 v185, 16, v160
	v_ashrrev_i32_e32 v4, s26, v4
	v_and_b32_e32 v45, 0x4040404, v45
	v_ashrrev_i32_e32 v6, s21, v6
	v_lshlrev_b16 v184, 8, v184
	v_sub_nc_u16 v185, v185, v186
	v_lshrrev_b16 v186, 8, v160
	v_sub_nc_u16 v160, v160, v172
	v_lshrrev_b16 v172, 8, v172
	v_lshlrev_b32_e32 v6, 2, v6
	s_waitcnt lgkmcnt(0)
	v_ashrrev_i32_e32 v29, s26, v29
	v_and_b32_e32 v3, 0x4040404, v3
	v_ashrrev_i32_e32 v5, s26, v5
	v_sub_nc_u16 v172, v186, v172
	v_bfe_u32 v186, v162, 24, 2
	v_and_b32_e32 v162, 0x3030303, v162
	v_and_b32_e32 v6, 0x4040404, v6
	v_ashrrev_i32_e32 v7, s21, v7
	v_lshlrev_b16 v172, 8, v172
	v_sub_nc_u16 v186, v186, v187
	v_lshrrev_b32_e32 v187, 16, v162
	v_ashrrev_i32_e32 v30, s26, v30
	v_lshlrev_b32_e32 v7, 2, v7
	s_delay_alu instid0(VALU_DEP_4) | instskip(NEXT) | instid1(VALU_DEP_4)
	v_lshlrev_b16 v186, 8, v186
	v_sub_nc_u16 v187, v187, v188
	v_lshrrev_b16 v188, 8, v162
	v_sub_nc_u16 v162, v162, v145
	v_lshrrev_b16 v145, 8, v145
	v_and_b32_e32 v7, 0x4040404, v7
	s_delay_alu instid0(VALU_DEP_2) | instskip(SKIP_2) | instid1(VALU_DEP_3)
	v_sub_nc_u16 v145, v188, v145
	v_bfe_u32 v188, v163, 24, 2
	v_and_b32_e32 v163, 0x3030303, v163
	v_lshlrev_b16 v145, 8, v145
	s_delay_alu instid0(VALU_DEP_3) | instskip(NEXT) | instid1(VALU_DEP_3)
	v_sub_nc_u16 v188, v188, v189
	v_lshrrev_b32_e32 v189, 16, v163
	s_delay_alu instid0(VALU_DEP_2) | instskip(NEXT) | instid1(VALU_DEP_2)
	v_lshlrev_b16 v188, 8, v188
	v_sub_nc_u16 v189, v189, v190
	v_lshrrev_b16 v190, 8, v163
	v_sub_nc_u16 v163, v163, v146
	v_lshrrev_b16 v146, 8, v146
	s_delay_alu instid0(VALU_DEP_1) | instskip(SKIP_1) | instid1(VALU_DEP_2)
	v_sub_nc_u16 v146, v190, v146
	v_and_b32_e32 v190, 0xff, v175
	v_lshlrev_b16 v146, 8, v146
	s_delay_alu instid0(VALU_DEP_2) | instskip(SKIP_1) | instid1(VALU_DEP_2)
	v_or_b32_e32 v174, v190, v174
	v_and_b32_e32 v190, 0xff, v152
	v_perm_b32 v152, v152, v174, 0x4010c0c
	s_delay_alu instid0(VALU_DEP_2) | instskip(SKIP_1) | instid1(VALU_DEP_2)
	v_or_b32_e32 v165, v190, v165
	v_and_b32_e32 v190, 0xff, v177
	v_perm_b32 v165, v175, v165, 0xc0c0401
	s_delay_alu instid0(VALU_DEP_2) | instskip(SKIP_1) | instid1(VALU_DEP_3)
	v_or_b32_e32 v176, v190, v176
	v_and_b32_e32 v190, 0xff, v153
	v_or_b32_e32 v152, v152, v165
	s_delay_alu instid0(VALU_DEP_3) | instskip(NEXT) | instid1(VALU_DEP_3)
	v_perm_b32 v153, v153, v176, 0x4010c0c
	v_or_b32_e32 v166, v190, v166
	v_and_b32_e32 v190, 0xff, v179
	s_delay_alu instid0(VALU_DEP_4) | instskip(NEXT) | instid1(VALU_DEP_3)
	v_dot4_i32_iu8 v152, v152, v150, 0 neg_lo:[1,1,0]
	v_perm_b32 v166, v177, v166, 0xc0c0401
	s_delay_alu instid0(VALU_DEP_3) | instskip(SKIP_1) | instid1(VALU_DEP_3)
	v_or_b32_e32 v178, v190, v178
	v_and_b32_e32 v190, 0xff, v154
	v_or_b32_e32 v153, v153, v166
	s_delay_alu instid0(VALU_DEP_3) | instskip(NEXT) | instid1(VALU_DEP_3)
	v_perm_b32 v154, v154, v178, 0x4010c0c
	v_or_b32_e32 v168, v190, v168
	v_and_b32_e32 v190, 0xff, v181
	s_delay_alu instid0(VALU_DEP_2) | instskip(NEXT) | instid1(VALU_DEP_2)
	v_perm_b32 v168, v179, v168, 0xc0c0401
	v_or_b32_e32 v180, v190, v180
	v_and_b32_e32 v190, 0xff, v155
	s_delay_alu instid0(VALU_DEP_3) | instskip(NEXT) | instid1(VALU_DEP_3)
	v_or_b32_e32 v154, v154, v168
	v_perm_b32 v155, v155, v180, 0x4010c0c
	s_delay_alu instid0(VALU_DEP_3) | instskip(SKIP_1) | instid1(VALU_DEP_4)
	v_or_b32_e32 v169, v190, v169
	v_and_b32_e32 v190, 0xff, v183
	v_dot4_i32_iu8 v154, v154, v150, 0 neg_lo:[1,1,0]
	s_delay_alu instid0(VALU_DEP_3) | instskip(NEXT) | instid1(VALU_DEP_3)
	v_perm_b32 v169, v181, v169, 0xc0c0401
	v_or_b32_e32 v182, v190, v182
	v_and_b32_e32 v190, 0xff, v159
	s_delay_alu instid0(VALU_DEP_3) | instskip(NEXT) | instid1(VALU_DEP_3)
	v_or_b32_e32 v155, v155, v169
	v_perm_b32 v159, v159, v182, 0x4010c0c
	s_delay_alu instid0(VALU_DEP_3) | instskip(SKIP_1) | instid1(VALU_DEP_2)
	v_or_b32_e32 v171, v190, v171
	v_and_b32_e32 v190, 0xff, v185
	v_perm_b32 v171, v183, v171, 0xc0c0401
	s_delay_alu instid0(VALU_DEP_2) | instskip(SKIP_1) | instid1(VALU_DEP_3)
	v_or_b32_e32 v184, v190, v184
	v_and_b32_e32 v190, 0xff, v160
	v_or_b32_e32 v159, v159, v171
	s_delay_alu instid0(VALU_DEP_3) | instskip(NEXT) | instid1(VALU_DEP_3)
	v_perm_b32 v160, v160, v184, 0x4010c0c
	v_or_b32_e32 v172, v190, v172
	v_and_b32_e32 v190, 0xff, v187
	s_delay_alu instid0(VALU_DEP_4) | instskip(NEXT) | instid1(VALU_DEP_3)
	v_dot4_i32_iu8 v159, v159, v150, 0 neg_lo:[1,1,0]
	v_perm_b32 v172, v185, v172, 0xc0c0401
	s_delay_alu instid0(VALU_DEP_3) | instskip(SKIP_1) | instid1(VALU_DEP_3)
	v_or_b32_e32 v186, v190, v186
	v_and_b32_e32 v190, 0xff, v162
	v_or_b32_e32 v160, v160, v172
	s_delay_alu instid0(VALU_DEP_3) | instskip(NEXT) | instid1(VALU_DEP_3)
	v_perm_b32 v162, v162, v186, 0x4010c0c
	v_or_b32_e32 v145, v190, v145
	v_and_b32_e32 v190, 0xff, v189
	s_delay_alu instid0(VALU_DEP_4) | instskip(NEXT) | instid1(VALU_DEP_3)
	v_dot4_i32_iu8 v159, v160, v151, v159 neg_lo:[1,1,0]
	v_perm_b32 v145, v187, v145, 0xc0c0401
	s_delay_alu instid0(VALU_DEP_3) | instskip(SKIP_1) | instid1(VALU_DEP_3)
	v_or_b32_e32 v188, v190, v188
	v_and_b32_e32 v190, 0xff, v163
	v_or_b32_e32 v145, v162, v145
	s_delay_alu instid0(VALU_DEP_3) | instskip(NEXT) | instid1(VALU_DEP_3)
	v_perm_b32 v163, v163, v188, 0x4010c0c
	v_or_b32_e32 v146, v190, v146
	v_dot4_i32_iu8 v162, v153, v151, v152 neg_lo:[1,1,0]
	v_add_nc_u32_e32 v152, 0x4210, v173
	v_dot4_i32_iu8 v145, v145, v150, 0 neg_lo:[1,1,0]
	v_add_nc_u32_e32 v150, 0x4218, v167
	v_perm_b32 v146, v189, v146, 0xc0c0401
	s_delay_alu instid0(VALU_DEP_1) | instskip(SKIP_2) | instid1(VALU_DEP_3)
	v_or_b32_e32 v146, v163, v146
	v_dot4_i32_iu8 v163, v155, v151, v154 neg_lo:[1,1,0]
	v_add_nc_u32_e32 v154, 0x4218, v173
	v_dot4_i32_iu8 v160, v146, v151, v145 neg_lo:[1,1,0]
	ds_load_2addr_b32 v[145:146], v147 offset0:4 offset1:5
	v_add_nc_u32_e32 v147, 0x4210, v167
	s_waitcnt lgkmcnt(0)
	v_ashrrev_i32_e32 v165, s26, v145
	v_ashrrev_i32_e32 v166, s26, v146
	ds_load_2addr_b32 v[145:146], v148 offset0:4 offset1:5
	v_bfe_u32 v173, v165, 24, 2
	v_and_b32_e32 v165, 0x3030303, v165
	s_waitcnt lgkmcnt(0)
	v_ashrrev_i32_e32 v168, s26, v145
	v_ashrrev_i32_e32 v169, s26, v146
	ds_load_2addr_b32 v[145:146], v158 offset0:4 offset1:5
	s_waitcnt lgkmcnt(0)
	v_ashrrev_i32_e32 v158, s26, v145
	v_ashrrev_i32_e32 v171, s26, v146
	ds_load_2addr_b32 v[145:146], v161 offset0:4 offset1:5
	s_waitcnt lgkmcnt(0)
	v_ashrrev_i32_e32 v161, s26, v145
	v_add_nc_u32_e32 v145, 0x4210, v164
	v_ashrrev_i32_e32 v172, s26, v146
	ds_load_2addr_b32 v[145:146], v145 offset1:1
	s_waitcnt lgkmcnt(0)
	v_ashrrev_i32_e32 v164, s21, v145
	v_add_nc_u32_e32 v145, s27, v123
	v_ashrrev_i32_e32 v174, s21, v146
	s_delay_alu instid0(VALU_DEP_3)
	v_lshlrev_b32_e32 v164, 2, v164
	ds_load_u16 v146, v145 offset:26354
	v_add_nc_u32_e32 v145, s30, v99
	ds_load_b32 v145, v145
	ds_load_2addr_b32 v[147:148], v147 offset1:1
	ds_load_2addr_b32 v[150:151], v150 offset1:1
	v_and_b32_e32 v164, 0x4040404, v164
	v_lshlrev_b32_e32 v174, 2, v174
	s_delay_alu instid0(VALU_DEP_2) | instskip(SKIP_1) | instid1(VALU_DEP_3)
	v_lshrrev_b32_e32 v177, 24, v164
	v_lshrrev_b32_e32 v178, 16, v164
	v_and_b32_e32 v174, 0x4040404, v174
	s_delay_alu instid0(VALU_DEP_3) | instskip(SKIP_1) | instid1(VALU_DEP_3)
	v_sub_nc_u16 v173, v173, v177
	v_lshrrev_b32_e32 v177, 16, v165
	v_lshrrev_b32_e32 v179, 24, v174
	v_lshrrev_b32_e32 v180, 16, v174
	s_delay_alu instid0(VALU_DEP_4) | instskip(NEXT) | instid1(VALU_DEP_4)
	v_lshlrev_b16 v173, 8, v173
	v_sub_nc_u16 v177, v177, v178
	v_lshrrev_b16 v178, 8, v165
	v_sub_nc_u16 v165, v165, v164
	v_lshrrev_b16 v164, 8, v164
	s_waitcnt lgkmcnt(1)
	v_ashrrev_i32_e32 v167, s21, v147
	v_add_nc_u32_e32 v147, 0x4210, v170
	v_ashrrev_i32_e32 v175, s21, v148
	v_sub_nc_u16 v164, v178, v164
	v_bfe_u32 v178, v166, 24, 2
	v_and_b32_e32 v166, 0x3030303, v166
	v_lshlrev_b32_e32 v167, 2, v167
	ds_load_2addr_b32 v[147:148], v147 offset1:1
	v_lshlrev_b32_e32 v175, 2, v175
	v_sub_nc_u16 v178, v178, v179
	v_lshrrev_b32_e32 v179, 16, v166
	v_and_b32_e32 v167, 0x4040404, v167
	v_lshlrev_b16 v164, 8, v164
	v_and_b32_e32 v175, 0x4040404, v175
	v_lshlrev_b16 v178, 8, v178
	v_sub_nc_u16 v179, v179, v180
	v_lshrrev_b16 v180, 8, v166
	v_sub_nc_u16 v166, v166, v174
	v_lshrrev_b16 v174, 8, v174
	v_lshrrev_b32_e32 v181, 24, v167
	v_lshrrev_b32_e32 v182, 16, v167
	;; [unrolled: 1-line block ×4, first 2 shown]
	v_sub_nc_u16 v174, v180, v174
	v_bfe_u32 v180, v168, 24, 2
	v_and_b32_e32 v168, 0x3030303, v168
	s_waitcnt lgkmcnt(0)
	v_ashrrev_i32_e32 v170, s21, v147
	v_add_nc_u32_e32 v147, s27, v121
	v_sub_nc_u16 v180, v180, v181
	v_lshrrev_b32_e32 v181, 16, v168
	v_ashrrev_i32_e32 v176, s21, v148
	v_lshlrev_b32_e32 v170, 2, v170
	ds_load_u16 v148, v147 offset:28402
	v_add_nc_u32_e32 v147, s30, v106
	v_sub_nc_u16 v181, v181, v182
	v_lshrrev_b16 v182, 8, v168
	v_sub_nc_u16 v168, v168, v167
	v_lshrrev_b16 v167, 8, v167
	v_and_b32_e32 v170, 0x4040404, v170
	ds_load_b32 v147, v147
	ds_load_2addr_b32 v[152:153], v152 offset1:1
	ds_load_2addr_b32 v[154:155], v154 offset1:1
	v_lshlrev_b32_e32 v176, 2, v176
	v_lshlrev_b16 v174, 8, v174
	v_sub_nc_u16 v167, v182, v167
	v_bfe_u32 v182, v169, 24, 2
	v_and_b32_e32 v169, 0x3030303, v169
	v_lshrrev_b32_e32 v185, 24, v170
	v_lshrrev_b32_e32 v186, 16, v170
	v_and_b32_e32 v176, 0x4040404, v176
	v_sub_nc_u16 v182, v182, v183
	v_lshrrev_b32_e32 v183, 16, v169
	v_lshlrev_b16 v180, 8, v180
	v_lshlrev_b16 v167, 8, v167
	v_lshrrev_b32_e32 v187, 24, v176
	v_lshrrev_b32_e32 v188, 16, v176
	v_sub_nc_u16 v183, v183, v184
	v_lshrrev_b16 v184, 8, v169
	v_sub_nc_u16 v169, v169, v175
	v_lshrrev_b16 v175, 8, v175
	s_waitcnt lgkmcnt(1)
	v_ashrrev_i32_e32 v152, s21, v152
	v_ashrrev_i32_e32 v153, s21, v153
	v_lshlrev_b16 v182, 8, v182
	s_waitcnt lgkmcnt(0)
	v_ashrrev_i32_e32 v154, s21, v154
	v_sub_nc_u16 v175, v184, v175
	v_bfe_u32 v184, v158, 24, 2
	v_and_b32_e32 v158, 0x3030303, v158
	v_lshlrev_b32_e32 v152, 2, v152
	v_lshlrev_b32_e32 v153, 2, v153
	v_lshlrev_b16 v175, 8, v175
	v_sub_nc_u16 v184, v184, v185
	v_lshrrev_b32_e32 v185, 16, v158
	v_and_b32_e32 v152, 0x4040404, v152
	v_and_b32_e32 v153, 0x4040404, v153
	v_lshlrev_b32_e32 v154, 2, v154
	v_lshlrev_b16 v184, 8, v184
	v_sub_nc_u16 v185, v185, v186
	v_lshrrev_b16 v186, 8, v158
	v_sub_nc_u16 v158, v158, v170
	v_lshrrev_b16 v170, 8, v170
	v_lshrrev_b32_e32 v189, 24, v152
	v_lshrrev_b32_e32 v190, 16, v152
	;; [unrolled: 1-line block ×4, first 2 shown]
	v_sub_nc_u16 v170, v186, v170
	v_bfe_u32 v186, v171, 24, 2
	v_and_b32_e32 v171, 0x3030303, v171
	v_and_b32_e32 v154, 0x4040404, v154
	s_delay_alu instid0(VALU_DEP_4) | instskip(NEXT) | instid1(VALU_DEP_4)
	v_lshlrev_b16 v170, 8, v170
	v_sub_nc_u16 v186, v186, v187
	s_delay_alu instid0(VALU_DEP_4) | instskip(NEXT) | instid1(VALU_DEP_2)
	v_lshrrev_b32_e32 v187, 16, v171
	v_lshlrev_b16 v186, 8, v186
	s_delay_alu instid0(VALU_DEP_2) | instskip(SKIP_3) | instid1(VALU_DEP_1)
	v_sub_nc_u16 v187, v187, v188
	v_lshrrev_b16 v188, 8, v171
	v_sub_nc_u16 v171, v171, v176
	v_lshrrev_b16 v176, 8, v176
	v_sub_nc_u16 v176, v188, v176
	v_bfe_u32 v188, v161, 24, 2
	v_and_b32_e32 v161, 0x3030303, v161
	s_delay_alu instid0(VALU_DEP_3) | instskip(NEXT) | instid1(VALU_DEP_3)
	v_lshlrev_b16 v176, 8, v176
	v_sub_nc_u16 v188, v188, v189
	s_delay_alu instid0(VALU_DEP_3) | instskip(NEXT) | instid1(VALU_DEP_2)
	v_lshrrev_b32_e32 v189, 16, v161
	v_lshlrev_b16 v188, 8, v188
	s_delay_alu instid0(VALU_DEP_2) | instskip(SKIP_3) | instid1(VALU_DEP_1)
	v_sub_nc_u16 v189, v189, v190
	v_lshrrev_b16 v190, 8, v161
	v_sub_nc_u16 v161, v161, v152
	v_lshrrev_b16 v152, 8, v152
	v_sub_nc_u16 v152, v190, v152
	v_bfe_u32 v190, v172, 24, 2
	v_and_b32_e32 v172, 0x3030303, v172
	s_delay_alu instid0(VALU_DEP_3) | instskip(NEXT) | instid1(VALU_DEP_3)
	v_lshlrev_b16 v152, 8, v152
	v_sub_nc_u16 v190, v190, v191
	s_delay_alu instid0(VALU_DEP_3) | instskip(NEXT) | instid1(VALU_DEP_2)
	v_lshrrev_b32_e32 v191, 16, v172
	v_lshlrev_b16 v190, 8, v190
	s_delay_alu instid0(VALU_DEP_2) | instskip(SKIP_3) | instid1(VALU_DEP_1)
	v_sub_nc_u16 v191, v191, v192
	v_lshrrev_b16 v192, 8, v172
	v_sub_nc_u16 v172, v172, v153
	v_lshrrev_b16 v153, 8, v153
	v_sub_nc_u16 v153, v192, v153
	v_and_b32_e32 v192, 0xff, v177
	s_delay_alu instid0(VALU_DEP_2) | instskip(NEXT) | instid1(VALU_DEP_2)
	v_lshlrev_b16 v153, 8, v153
	v_or_b32_e32 v173, v192, v173
	v_and_b32_e32 v192, 0xff, v165
	s_delay_alu instid0(VALU_DEP_2) | instskip(NEXT) | instid1(VALU_DEP_2)
	v_perm_b32 v165, v165, v173, 0x4010c0c
	v_or_b32_e32 v164, v192, v164
	v_and_b32_e32 v192, 0xff, v179
	s_delay_alu instid0(VALU_DEP_2) | instskip(NEXT) | instid1(VALU_DEP_2)
	v_perm_b32 v164, v177, v164, 0xc0c0401
	v_or_b32_e32 v178, v192, v178
	v_and_b32_e32 v192, 0xff, v166
	s_delay_alu instid0(VALU_DEP_3) | instskip(NEXT) | instid1(VALU_DEP_3)
	v_or_b32_e32 v164, v165, v164
	v_perm_b32 v166, v166, v178, 0x4010c0c
	s_delay_alu instid0(VALU_DEP_3) | instskip(SKIP_1) | instid1(VALU_DEP_2)
	v_or_b32_e32 v174, v192, v174
	v_and_b32_e32 v192, 0xff, v181
	v_perm_b32 v173, v179, v174, 0xc0c0401
	s_delay_alu instid0(VALU_DEP_2) | instskip(SKIP_1) | instid1(VALU_DEP_3)
	v_or_b32_e32 v180, v192, v180
	v_and_b32_e32 v192, 0xff, v168
	v_or_b32_e32 v165, v166, v173
	s_delay_alu instid0(VALU_DEP_3) | instskip(NEXT) | instid1(VALU_DEP_3)
	v_perm_b32 v168, v168, v180, 0x4010c0c
	v_or_b32_e32 v167, v192, v167
	v_and_b32_e32 v192, 0xff, v183
	s_delay_alu instid0(VALU_DEP_2) | instskip(NEXT) | instid1(VALU_DEP_2)
	v_perm_b32 v167, v181, v167, 0xc0c0401
	v_or_b32_e32 v182, v192, v182
	v_and_b32_e32 v192, 0xff, v169
	s_delay_alu instid0(VALU_DEP_3) | instskip(NEXT) | instid1(VALU_DEP_3)
	v_or_b32_e32 v166, v168, v167
	v_perm_b32 v169, v169, v182, 0x4010c0c
	s_delay_alu instid0(VALU_DEP_3) | instskip(SKIP_1) | instid1(VALU_DEP_2)
	v_or_b32_e32 v175, v192, v175
	v_and_b32_e32 v192, 0xff, v185
	v_perm_b32 v174, v183, v175, 0xc0c0401
	s_delay_alu instid0(VALU_DEP_2) | instskip(SKIP_1) | instid1(VALU_DEP_3)
	v_or_b32_e32 v184, v192, v184
	v_and_b32_e32 v192, 0xff, v158
	v_or_b32_e32 v167, v169, v174
	s_delay_alu instid0(VALU_DEP_3) | instskip(NEXT) | instid1(VALU_DEP_3)
	v_perm_b32 v158, v158, v184, 0x4010c0c
	v_or_b32_e32 v170, v192, v170
	v_and_b32_e32 v192, 0xff, v187
	v_lshrrev_b32_e32 v169, 24, v45
	s_delay_alu instid0(VALU_DEP_3) | instskip(NEXT) | instid1(VALU_DEP_3)
	v_perm_b32 v170, v185, v170, 0xc0c0401
	v_or_b32_e32 v186, v192, v186
	v_and_b32_e32 v192, 0xff, v171
	s_delay_alu instid0(VALU_DEP_3) | instskip(NEXT) | instid1(VALU_DEP_3)
	v_or_b32_e32 v158, v158, v170
	v_perm_b32 v171, v171, v186, 0x4010c0c
	s_delay_alu instid0(VALU_DEP_3) | instskip(SKIP_3) | instid1(VALU_DEP_4)
	v_or_b32_e32 v176, v192, v176
	v_and_b32_e32 v192, 0xff, v189
	v_lshrrev_b32_e32 v170, 16, v45
	v_dot4_i32_iu8 v158, v158, v156, 0 neg_lo:[1,1,0]
	v_perm_b32 v175, v187, v176, 0xc0c0401
	s_delay_alu instid0(VALU_DEP_4) | instskip(SKIP_1) | instid1(VALU_DEP_3)
	v_or_b32_e32 v188, v192, v188
	v_and_b32_e32 v192, 0xff, v161
	v_or_b32_e32 v168, v171, v175
	s_delay_alu instid0(VALU_DEP_3) | instskip(NEXT) | instid1(VALU_DEP_3)
	v_perm_b32 v161, v161, v188, 0x4010c0c
	v_or_b32_e32 v152, v192, v152
	v_and_b32_e32 v192, 0xff, v191
	s_delay_alu instid0(VALU_DEP_4) | instskip(SKIP_1) | instid1(VALU_DEP_4)
	v_dot4_i32_iu8 v158, v168, v157, v158 neg_lo:[1,1,0]
	v_lshrrev_b32_e32 v168, 16, v43
	v_perm_b32 v152, v189, v152, 0xc0c0401
	s_delay_alu instid0(VALU_DEP_4) | instskip(SKIP_1) | instid1(VALU_DEP_3)
	v_or_b32_e32 v190, v192, v190
	v_and_b32_e32 v192, 0xff, v172
	v_or_b32_e32 v152, v161, v152
	s_delay_alu instid0(VALU_DEP_3) | instskip(NEXT) | instid1(VALU_DEP_3)
	v_perm_b32 v172, v172, v190, 0x4010c0c
	v_or_b32_e32 v153, v192, v153
	v_dot4_i32_iu8 v161, v164, v156, 0 neg_lo:[1,1,0]
	v_dot4_i32_iu8 v164, v166, v156, 0 neg_lo:[1,1,0]
	;; [unrolled: 1-line block ×3, first 2 shown]
	v_lshrrev_b32_e32 v166, 16, v41
	v_perm_b32 v153, v191, v153, 0xc0c0401
	v_dot4_i32_iu8 v156, v165, v157, v161 neg_lo:[1,1,0]
	v_dot4_i32_iu8 v161, v167, v157, v164 neg_lo:[1,1,0]
	v_lshrrev_b32_e32 v164, 16, v39
	v_lshrrev_b32_e32 v165, 24, v41
	v_or_b32_e32 v153, v172, v153
	v_lshrrev_b32_e32 v167, 24, v43
	s_delay_alu instid0(VALU_DEP_2) | instskip(SKIP_3) | instid1(VALU_DEP_2)
	v_dot4_i32_iu8 v152, v153, v157, v152 neg_lo:[1,1,0]
	v_bfe_u32 v153, v31, 24, 2
	v_lshrrev_b32_e32 v157, 24, v39
	v_and_b32_e32 v31, 0x3030303, v31
	v_sub_nc_u16 v153, v153, v157
	s_delay_alu instid0(VALU_DEP_2) | instskip(NEXT) | instid1(VALU_DEP_2)
	v_lshrrev_b32_e32 v157, 16, v31
	v_lshlrev_b16 v153, 8, v153
	s_delay_alu instid0(VALU_DEP_2) | instskip(SKIP_3) | instid1(VALU_DEP_1)
	v_sub_nc_u16 v157, v157, v164
	v_lshrrev_b16 v164, 8, v31
	v_sub_nc_u16 v31, v31, v39
	v_lshrrev_b16 v39, 8, v39
	v_sub_nc_u16 v39, v164, v39
	v_bfe_u32 v164, v33, 24, 2
	v_and_b32_e32 v33, 0x3030303, v33
	s_delay_alu instid0(VALU_DEP_3) | instskip(NEXT) | instid1(VALU_DEP_3)
	v_lshlrev_b16 v39, 8, v39
	v_sub_nc_u16 v164, v164, v165
	s_delay_alu instid0(VALU_DEP_3) | instskip(NEXT) | instid1(VALU_DEP_2)
	v_lshrrev_b32_e32 v165, 16, v33
	v_lshlrev_b16 v164, 8, v164
	s_delay_alu instid0(VALU_DEP_2) | instskip(SKIP_3) | instid1(VALU_DEP_1)
	v_sub_nc_u16 v165, v165, v166
	v_lshrrev_b16 v166, 8, v33
	v_sub_nc_u16 v33, v33, v41
	v_lshrrev_b16 v41, 8, v41
	v_sub_nc_u16 v41, v166, v41
	v_bfe_u32 v166, v35, 24, 2
	v_and_b32_e32 v35, 0x3030303, v35
	s_delay_alu instid0(VALU_DEP_3) | instskip(NEXT) | instid1(VALU_DEP_3)
	v_lshlrev_b16 v41, 8, v41
	v_sub_nc_u16 v166, v166, v167
	s_delay_alu instid0(VALU_DEP_3) | instskip(NEXT) | instid1(VALU_DEP_2)
	;; [unrolled: 14-line block ×3, first 2 shown]
	v_lshrrev_b32_e32 v169, 16, v37
	v_lshlrev_b16 v168, 8, v168
	s_delay_alu instid0(VALU_DEP_2) | instskip(SKIP_3) | instid1(VALU_DEP_1)
	v_sub_nc_u16 v169, v169, v170
	v_lshrrev_b16 v170, 8, v37
	v_sub_nc_u16 v37, v37, v45
	v_lshrrev_b16 v45, 8, v45
	v_sub_nc_u16 v45, v170, v45
	v_and_b32_e32 v170, 0xff, v157
	s_delay_alu instid0(VALU_DEP_2) | instskip(NEXT) | instid1(VALU_DEP_2)
	v_lshlrev_b16 v45, 8, v45
	v_or_b32_e32 v153, v170, v153
	v_and_b32_e32 v170, 0xff, v31
	s_delay_alu instid0(VALU_DEP_2) | instskip(NEXT) | instid1(VALU_DEP_2)
	v_perm_b32 v31, v31, v153, 0x4010c0c
	v_or_b32_e32 v39, v170, v39
	v_and_b32_e32 v170, 0xff, v165
	v_lshrrev_b32_e32 v153, 24, v6
	s_delay_alu instid0(VALU_DEP_3) | instskip(NEXT) | instid1(VALU_DEP_3)
	v_perm_b32 v39, v157, v39, 0xc0c0401
	v_or_b32_e32 v164, v170, v164
	v_and_b32_e32 v170, 0xff, v33
	v_lshrrev_b32_e32 v157, 16, v6
	s_delay_alu instid0(VALU_DEP_4) | instskip(NEXT) | instid1(VALU_DEP_4)
	v_or_b32_e32 v31, v31, v39
	v_perm_b32 v33, v33, v164, 0x4010c0c
	s_delay_alu instid0(VALU_DEP_4)
	v_or_b32_e32 v41, v170, v41
	v_and_b32_e32 v170, 0xff, v167
	v_bfe_u32 v39, v27, 24, 2
	v_and_b32_e32 v27, 0x3030303, v27
	v_dot4_i32_iu8 v31, v31, v149, v162 neg_lo:[1,1,0]
	v_perm_b32 v41, v165, v41, 0xc0c0401
	v_or_b32_e32 v166, v170, v166
	v_and_b32_e32 v170, 0xff, v35
	s_delay_alu instid0(VALU_DEP_3) | instskip(NEXT) | instid1(VALU_DEP_3)
	v_or_b32_e32 v33, v33, v41
	v_perm_b32 v35, v35, v166, 0x4010c0c
	s_delay_alu instid0(VALU_DEP_3) | instskip(SKIP_3) | instid1(VALU_DEP_4)
	v_or_b32_e32 v43, v170, v43
	v_lshrrev_b32_e32 v41, 24, v2
	v_and_b32_e32 v170, 0xff, v169
	v_dot4_i32_iu8 v33, v33, v149, v163 neg_lo:[1,1,0]
	v_perm_b32 v43, v167, v43, 0xc0c0401
	s_delay_alu instid0(VALU_DEP_4)
	v_sub_nc_u16 v39, v39, v41
	v_lshrrev_b32_e32 v41, 16, v27
	v_or_b32_e32 v168, v170, v168
	v_and_b32_e32 v170, 0xff, v37
	v_or_b32_e32 v35, v35, v43
	v_lshrrev_b32_e32 v43, 16, v2
	v_lshlrev_b16 v39, 8, v39
	v_perm_b32 v37, v37, v168, 0x4010c0c
	v_or_b32_e32 v45, v170, v45
	v_dot4_i32_iu8 v35, v35, v149, v159 neg_lo:[1,1,0]
	v_sub_nc_u16 v41, v41, v43
	v_lshrrev_b16 v43, 8, v27
	v_sub_nc_u16 v27, v27, v2
	v_lshrrev_b16 v2, 8, v2
	v_perm_b32 v45, v169, v45, 0xc0c0401
	v_lshrrev_b32_e32 v159, 24, v154
	s_delay_alu instid0(VALU_DEP_3) | instskip(SKIP_1) | instid1(VALU_DEP_4)
	v_sub_nc_u16 v2, v43, v2
	v_ashrrev_i32_e32 v43, s21, v150
	v_or_b32_e32 v37, v37, v45
	v_bfe_u32 v45, v4, 24, 2
	v_and_b32_e32 v4, 0x3030303, v4
	v_lshlrev_b16 v2, 8, v2
	v_lshlrev_b32_e32 v43, 2, v43
	v_dot4_i32_iu8 v37, v37, v149, v160 neg_lo:[1,1,0]
	v_lshrrev_b32_e32 v160, 16, v154
	s_delay_alu instid0(VALU_DEP_3) | instskip(NEXT) | instid1(VALU_DEP_1)
	v_and_b32_e32 v43, 0x4040404, v43
	v_lshrrev_b32_e32 v149, 24, v43
	v_lshrrev_b32_e32 v150, 16, v43
	s_delay_alu instid0(VALU_DEP_2) | instskip(SKIP_1) | instid1(VALU_DEP_2)
	v_sub_nc_u16 v45, v45, v149
	v_lshrrev_b32_e32 v149, 16, v4
	v_lshlrev_b16 v45, 8, v45
	s_delay_alu instid0(VALU_DEP_2) | instskip(SKIP_3) | instid1(VALU_DEP_1)
	v_sub_nc_u16 v149, v149, v150
	v_lshrrev_b16 v150, 8, v4
	v_sub_nc_u16 v4, v4, v43
	v_lshrrev_b16 v43, 8, v43
	v_sub_nc_u16 v43, v150, v43
	v_bfe_u32 v150, v0, 24, 2
	v_and_b32_e32 v0, 0x3030303, v0
	s_delay_alu instid0(VALU_DEP_3) | instskip(NEXT) | instid1(VALU_DEP_3)
	v_lshlrev_b16 v43, 8, v43
	v_sub_nc_u16 v150, v150, v153
	s_delay_alu instid0(VALU_DEP_3) | instskip(NEXT) | instid1(VALU_DEP_2)
	v_lshrrev_b32_e32 v153, 16, v0
	v_lshlrev_b16 v150, 8, v150
	s_delay_alu instid0(VALU_DEP_2) | instskip(SKIP_3) | instid1(VALU_DEP_1)
	v_sub_nc_u16 v153, v153, v157
	v_lshrrev_b16 v157, 8, v0
	v_sub_nc_u16 v0, v0, v6
	v_lshrrev_b16 v6, 8, v6
	v_sub_nc_u16 v6, v157, v6
	v_bfe_u32 v157, v29, 24, 2
	v_and_b32_e32 v29, 0x3030303, v29
	s_delay_alu instid0(VALU_DEP_3) | instskip(NEXT) | instid1(VALU_DEP_3)
	v_lshlrev_b16 v6, 8, v6
	v_sub_nc_u16 v157, v157, v159
	s_delay_alu instid0(VALU_DEP_3) | instskip(NEXT) | instid1(VALU_DEP_2)
	v_lshrrev_b32_e32 v159, 16, v29
	v_lshlrev_b16 v157, 8, v157
	s_delay_alu instid0(VALU_DEP_2) | instskip(SKIP_3) | instid1(VALU_DEP_1)
	v_sub_nc_u16 v159, v159, v160
	v_lshrrev_b16 v160, 8, v29
	v_sub_nc_u16 v29, v29, v154
	v_lshrrev_b16 v154, 8, v154
	v_sub_nc_u16 v154, v160, v154
	v_and_b32_e32 v160, 0xff, v41
	s_delay_alu instid0(VALU_DEP_2) | instskip(NEXT) | instid1(VALU_DEP_2)
	v_lshlrev_b16 v154, 8, v154
	v_or_b32_e32 v39, v160, v39
	v_and_b32_e32 v160, 0xff, v27
	s_delay_alu instid0(VALU_DEP_2) | instskip(NEXT) | instid1(VALU_DEP_2)
	v_perm_b32 v27, v27, v39, 0x4010c0c
	v_or_b32_e32 v2, v160, v2
	v_and_b32_e32 v160, 0xff, v149
	s_delay_alu instid0(VALU_DEP_2) | instskip(NEXT) | instid1(VALU_DEP_2)
	v_perm_b32 v2, v41, v2, 0xc0c0401
	v_or_b32_e32 v45, v160, v45
	v_and_b32_e32 v160, 0xff, v4
	s_delay_alu instid0(VALU_DEP_3) | instskip(SKIP_1) | instid1(VALU_DEP_3)
	v_or_b32_e32 v2, v27, v2
	v_ashrrev_i32_e32 v27, s26, v32
	v_or_b32_e32 v43, v160, v43
	v_and_b32_e32 v160, 0xff, v153
	v_ashrrev_i32_e32 v32, s26, v36
	v_ashrrev_i32_e32 v36, s21, v40
	v_perm_b32 v4, v4, v45, 0x4010c0c
	v_perm_b32 v39, v149, v43, 0xc0c0401
	v_or_b32_e32 v150, v160, v150
	v_and_b32_e32 v160, 0xff, v0
	v_lshlrev_b32_e32 v36, 2, v36
	v_ashrrev_i32_e32 v40, s21, v46
	v_or_b32_e32 v4, v4, v39
	v_perm_b32 v0, v0, v150, 0x4010c0c
	v_or_b32_e32 v6, v160, v6
	v_and_b32_e32 v160, 0xff, v159
	v_and_b32_e32 v36, 0x4040404, v36
	v_ashrrev_i32_e32 v39, s21, v44
	v_dot4_i32_iu8 v2, v2, v144, v156 neg_lo:[1,1,0]
	v_perm_b32 v6, v153, v6, 0xc0c0401
	v_or_b32_e32 v157, v160, v157
	v_and_b32_e32 v160, 0xff, v29
	v_lshrrev_b32_e32 v43, 16, v36
	v_lshlrev_b32_e32 v39, 2, v39
	v_or_b32_e32 v0, v0, v6
	v_perm_b32 v29, v29, v157, 0x4010c0c
	v_or_b32_e32 v154, v160, v154
	v_dot4_i32_iu8 v4, v4, v144, v161 neg_lo:[1,1,0]
	v_and_b32_e32 v39, 0x4040404, v39
	v_dot4_i32_iu8 v0, v0, v144, v158 neg_lo:[1,1,0]
	v_lshlrev_b32_e32 v40, 2, v40
	v_perm_b32 v41, v159, v154, 0xc0c0401
	s_delay_alu instid0(VALU_DEP_4) | instskip(NEXT) | instid1(VALU_DEP_3)
	v_lshrrev_b32_e32 v46, 24, v39
	v_and_b32_e32 v40, 0x4040404, v40
	s_delay_alu instid0(VALU_DEP_3)
	v_or_b32_e32 v6, v29, v41
	v_ashrrev_i32_e32 v29, s26, v34
	v_ashrrev_i32_e32 v34, s26, v38
	;; [unrolled: 1-line block ×3, first 2 shown]
	v_bfe_u32 v41, v27, 24, 2
	v_lshrrev_b32_e32 v42, 24, v36
	v_and_b32_e32 v27, 0x3030303, v27
	v_dot4_i32_iu8 v6, v6, v144, v152 neg_lo:[1,1,0]
	v_lshlrev_b32_e32 v38, 2, v38
	v_lshrrev_b32_e32 v144, 16, v39
	v_sub_nc_u16 v41, v41, v42
	v_lshrrev_b32_e32 v42, 16, v27
	v_lshrrev_b32_e32 v149, 24, v40
	v_and_b32_e32 v38, 0x4040404, v38
	v_lshrrev_b32_e32 v150, 16, v40
	v_lshlrev_b16 v41, 8, v41
	v_sub_nc_u16 v42, v42, v43
	v_lshrrev_b16 v43, 8, v27
	v_sub_nc_u16 v27, v27, v36
	v_lshrrev_b16 v36, 8, v36
	v_lshrrev_b32_e32 v44, 24, v38
	v_lshrrev_b32_e32 v45, 16, v38
	s_delay_alu instid0(VALU_DEP_3) | instskip(SKIP_2) | instid1(VALU_DEP_3)
	v_sub_nc_u16 v36, v43, v36
	v_bfe_u32 v43, v29, 24, 2
	v_and_b32_e32 v29, 0x3030303, v29
	v_lshlrev_b16 v36, 8, v36
	s_delay_alu instid0(VALU_DEP_3) | instskip(NEXT) | instid1(VALU_DEP_3)
	v_sub_nc_u16 v43, v43, v44
	v_lshrrev_b32_e32 v44, 16, v29
	s_delay_alu instid0(VALU_DEP_2) | instskip(NEXT) | instid1(VALU_DEP_2)
	v_lshlrev_b16 v43, 8, v43
	v_sub_nc_u16 v44, v44, v45
	v_lshrrev_b16 v45, 8, v29
	v_sub_nc_u16 v29, v29, v38
	v_lshrrev_b16 v38, 8, v38
	s_delay_alu instid0(VALU_DEP_1) | instskip(SKIP_2) | instid1(VALU_DEP_3)
	v_sub_nc_u16 v38, v45, v38
	v_bfe_u32 v45, v32, 24, 2
	v_and_b32_e32 v32, 0x3030303, v32
	v_lshlrev_b16 v38, 8, v38
	s_delay_alu instid0(VALU_DEP_3) | instskip(NEXT) | instid1(VALU_DEP_3)
	v_sub_nc_u16 v45, v45, v46
	v_lshrrev_b32_e32 v46, 16, v32
	s_delay_alu instid0(VALU_DEP_2) | instskip(NEXT) | instid1(VALU_DEP_2)
	v_lshlrev_b16 v45, 8, v45
	v_sub_nc_u16 v46, v46, v144
	v_lshrrev_b16 v144, 8, v32
	v_sub_nc_u16 v32, v32, v39
	v_lshrrev_b16 v39, 8, v39
	s_delay_alu instid0(VALU_DEP_1) | instskip(SKIP_2) | instid1(VALU_DEP_3)
	v_sub_nc_u16 v39, v144, v39
	v_bfe_u32 v144, v34, 24, 2
	v_and_b32_e32 v34, 0x3030303, v34
	v_lshlrev_b16 v39, 8, v39
	s_delay_alu instid0(VALU_DEP_3) | instskip(NEXT) | instid1(VALU_DEP_3)
	v_sub_nc_u16 v144, v144, v149
	v_lshrrev_b32_e32 v149, 16, v34
	s_delay_alu instid0(VALU_DEP_2) | instskip(NEXT) | instid1(VALU_DEP_2)
	v_lshlrev_b16 v144, 8, v144
	v_sub_nc_u16 v149, v149, v150
	v_lshrrev_b16 v150, 8, v34
	v_sub_nc_u16 v34, v34, v40
	v_lshrrev_b16 v40, 8, v40
	s_delay_alu instid0(VALU_DEP_1) | instskip(SKIP_1) | instid1(VALU_DEP_2)
	v_sub_nc_u16 v40, v150, v40
	v_and_b32_e32 v150, 0xff, v42
	v_lshlrev_b16 v40, 8, v40
	s_delay_alu instid0(VALU_DEP_2) | instskip(SKIP_1) | instid1(VALU_DEP_2)
	v_or_b32_e32 v41, v150, v41
	v_and_b32_e32 v150, 0xff, v27
	v_perm_b32 v27, v27, v41, 0x4010c0c
	s_delay_alu instid0(VALU_DEP_2) | instskip(SKIP_2) | instid1(VALU_DEP_3)
	v_or_b32_e32 v36, v150, v36
	v_and_b32_e32 v150, 0xff, v44
	v_lshrrev_b32_e32 v41, 16, v7
	v_perm_b32 v36, v42, v36, 0xc0c0401
	s_delay_alu instid0(VALU_DEP_3) | instskip(SKIP_1) | instid1(VALU_DEP_3)
	v_or_b32_e32 v43, v150, v43
	v_and_b32_e32 v150, 0xff, v29
	v_or_b32_e32 v27, v27, v36
	s_delay_alu instid0(VALU_DEP_3) | instskip(NEXT) | instid1(VALU_DEP_3)
	v_perm_b32 v29, v29, v43, 0x4010c0c
	v_or_b32_e32 v38, v150, v38
	v_and_b32_e32 v150, 0xff, v46
	v_lshrrev_b32_e32 v36, 24, v3
	v_dot4_i32_iu8 v27, v27, v143, v31 neg_lo:[1,1,0]
	s_delay_alu instid0(VALU_DEP_4) | instskip(NEXT) | instid1(VALU_DEP_4)
	v_perm_b32 v38, v44, v38, 0xc0c0401
	v_or_b32_e32 v45, v150, v45
	v_and_b32_e32 v150, 0xff, v32
	s_delay_alu instid0(VALU_DEP_3) | instskip(NEXT) | instid1(VALU_DEP_3)
	v_or_b32_e32 v29, v29, v38
	v_perm_b32 v32, v32, v45, 0x4010c0c
	s_delay_alu instid0(VALU_DEP_3) | instskip(SKIP_1) | instid1(VALU_DEP_4)
	v_or_b32_e32 v39, v150, v39
	v_and_b32_e32 v150, 0xff, v149
	v_dot4_i32_iu8 v29, v29, v143, v33 neg_lo:[1,1,0]
	v_ashrrev_i32_e32 v33, s21, v151
	s_delay_alu instid0(VALU_DEP_4) | instskip(NEXT) | instid1(VALU_DEP_4)
	v_perm_b32 v39, v46, v39, 0xc0c0401
	v_or_b32_e32 v144, v150, v144
	v_and_b32_e32 v150, 0xff, v34
	s_delay_alu instid0(VALU_DEP_4) | instskip(NEXT) | instid1(VALU_DEP_4)
	v_lshlrev_b32_e32 v33, 2, v33
	v_or_b32_e32 v32, v32, v39
	s_delay_alu instid0(VALU_DEP_4) | instskip(NEXT) | instid1(VALU_DEP_4)
	v_perm_b32 v34, v34, v144, 0x4010c0c
	v_or_b32_e32 v40, v150, v40
	s_delay_alu instid0(VALU_DEP_4) | instskip(NEXT) | instid1(VALU_DEP_4)
	v_and_b32_e32 v33, 0x4040404, v33
	v_dot4_i32_iu8 v31, v32, v143, v35 neg_lo:[1,1,0]
	v_bfe_u32 v35, v28, 24, 2
	s_delay_alu instid0(VALU_DEP_4)
	v_perm_b32 v40, v149, v40, 0xc0c0401
	v_and_b32_e32 v28, 0x3030303, v28
	v_lshrrev_b32_e32 v38, 24, v33
	v_lshrrev_b32_e32 v39, 16, v33
	v_sub_nc_u16 v35, v35, v36
	v_or_b32_e32 v34, v34, v40
	v_lshrrev_b32_e32 v36, 16, v28
	v_lshrrev_b32_e32 v40, 24, v7
	s_delay_alu instid0(VALU_DEP_4) | instskip(NEXT) | instid1(VALU_DEP_4)
	v_lshlrev_b16 v35, 8, v35
	v_dot4_i32_iu8 v32, v34, v143, v37 neg_lo:[1,1,0]
	v_lshrrev_b32_e32 v37, 16, v3
	v_ashrrev_i32_e32 v34, s21, v155
	s_add_i32 s21, s21, 1
	s_cmp_lt_u32 s25, 22
	s_delay_alu instid0(VALU_DEP_2) | instskip(SKIP_4) | instid1(VALU_DEP_2)
	v_sub_nc_u16 v36, v36, v37
	v_lshrrev_b16 v37, 8, v28
	v_sub_nc_u16 v28, v28, v3
	v_lshrrev_b16 v3, 8, v3
	v_lshlrev_b32_e32 v34, 2, v34
	v_sub_nc_u16 v3, v37, v3
	v_bfe_u32 v37, v5, 24, 2
	v_and_b32_e32 v5, 0x3030303, v5
	s_delay_alu instid0(VALU_DEP_4) | instskip(NEXT) | instid1(VALU_DEP_4)
	v_and_b32_e32 v34, 0x4040404, v34
	v_lshlrev_b16 v3, 8, v3
	s_delay_alu instid0(VALU_DEP_4) | instskip(NEXT) | instid1(VALU_DEP_4)
	v_sub_nc_u16 v37, v37, v38
	v_lshrrev_b32_e32 v38, 16, v5
	s_delay_alu instid0(VALU_DEP_4) | instskip(SKIP_1) | instid1(VALU_DEP_4)
	v_lshrrev_b32_e32 v42, 24, v34
	v_lshrrev_b32_e32 v43, 16, v34
	v_lshlrev_b16 v37, 8, v37
	s_delay_alu instid0(VALU_DEP_4) | instskip(SKIP_3) | instid1(VALU_DEP_1)
	v_sub_nc_u16 v38, v38, v39
	v_lshrrev_b16 v39, 8, v5
	v_sub_nc_u16 v5, v5, v33
	v_lshrrev_b16 v33, 8, v33
	v_sub_nc_u16 v33, v39, v33
	v_bfe_u32 v39, v1, 24, 2
	v_and_b32_e32 v1, 0x3030303, v1
	s_delay_alu instid0(VALU_DEP_3) | instskip(NEXT) | instid1(VALU_DEP_3)
	v_lshlrev_b16 v33, 8, v33
	v_sub_nc_u16 v39, v39, v40
	s_delay_alu instid0(VALU_DEP_3) | instskip(NEXT) | instid1(VALU_DEP_2)
	v_lshrrev_b32_e32 v40, 16, v1
	v_lshlrev_b16 v39, 8, v39
	s_delay_alu instid0(VALU_DEP_2) | instskip(SKIP_3) | instid1(VALU_DEP_1)
	v_sub_nc_u16 v40, v40, v41
	v_lshrrev_b16 v41, 8, v1
	v_sub_nc_u16 v1, v1, v7
	v_lshrrev_b16 v7, 8, v7
	v_sub_nc_u16 v7, v41, v7
	v_bfe_u32 v41, v30, 24, 2
	v_and_b32_e32 v30, 0x3030303, v30
	s_delay_alu instid0(VALU_DEP_3) | instskip(NEXT) | instid1(VALU_DEP_3)
	v_lshlrev_b16 v7, 8, v7
	v_sub_nc_u16 v41, v41, v42
	s_delay_alu instid0(VALU_DEP_3) | instskip(NEXT) | instid1(VALU_DEP_2)
	v_lshrrev_b32_e32 v42, 16, v30
	v_lshlrev_b16 v41, 8, v41
	s_delay_alu instid0(VALU_DEP_2) | instskip(SKIP_3) | instid1(VALU_DEP_1)
	v_sub_nc_u16 v42, v42, v43
	v_lshrrev_b16 v43, 8, v30
	v_sub_nc_u16 v30, v30, v34
	v_lshrrev_b16 v34, 8, v34
	v_sub_nc_u16 v34, v43, v34
	v_and_b32_e32 v43, 0xff, v36
	s_delay_alu instid0(VALU_DEP_2) | instskip(NEXT) | instid1(VALU_DEP_2)
	v_lshlrev_b16 v34, 8, v34
	v_or_b32_e32 v35, v43, v35
	v_and_b32_e32 v43, 0xff, v28
	s_delay_alu instid0(VALU_DEP_2) | instskip(NEXT) | instid1(VALU_DEP_2)
	v_perm_b32 v28, v28, v35, 0x4010c0c
	v_or_b32_e32 v3, v43, v3
	v_and_b32_e32 v43, 0xff, v38
	s_delay_alu instid0(VALU_DEP_2) | instskip(NEXT) | instid1(VALU_DEP_2)
	v_perm_b32 v3, v36, v3, 0xc0c0401
	v_or_b32_e32 v37, v43, v37
	v_and_b32_e32 v43, 0xff, v5
	s_delay_alu instid0(VALU_DEP_3) | instskip(NEXT) | instid1(VALU_DEP_3)
	v_or_b32_e32 v3, v28, v3
	v_perm_b32 v5, v5, v37, 0x4010c0c
	s_delay_alu instid0(VALU_DEP_3) | instskip(SKIP_1) | instid1(VALU_DEP_2)
	v_or_b32_e32 v33, v43, v33
	v_and_b32_e32 v43, 0xff, v40
	v_perm_b32 v33, v38, v33, 0xc0c0401
	s_delay_alu instid0(VALU_DEP_2) | instskip(SKIP_1) | instid1(VALU_DEP_3)
	v_or_b32_e32 v39, v43, v39
	v_and_b32_e32 v43, 0xff, v1
	v_or_b32_e32 v5, v5, v33
	s_delay_alu instid0(VALU_DEP_3) | instskip(NEXT) | instid1(VALU_DEP_3)
	v_perm_b32 v1, v1, v39, 0x4010c0c
	v_or_b32_e32 v7, v43, v7
	v_and_b32_e32 v43, 0xff, v42
	v_dot4_i32_iu8 v33, v3, v140, v2 neg_lo:[1,1,0]
	v_dot4_i32_iu8 v35, v5, v140, v4 neg_lo:[1,1,0]
	v_bfe_i32 v4, v146, 0, 8
	v_perm_b32 v7, v40, v7, 0xc0c0401
	v_or_b32_e32 v41, v43, v41
	v_and_b32_e32 v43, 0xff, v30
	v_bfe_i32 v5, v148, 0, 8
	s_delay_alu instid0(VALU_DEP_4) | instskip(NEXT) | instid1(VALU_DEP_4)
	v_or_b32_e32 v1, v1, v7
	v_perm_b32 v30, v30, v41, 0x4010c0c
	s_delay_alu instid0(VALU_DEP_4) | instskip(SKIP_1) | instid1(VALU_DEP_4)
	v_or_b32_e32 v34, v43, v34
	v_add_nc_u32_e32 v7, s27, v124
	v_dot4_i32_iu8 v36, v1, v140, v0 neg_lo:[1,1,0]
	s_delay_alu instid0(VALU_DEP_3) | instskip(NEXT) | instid1(VALU_DEP_1)
	v_perm_b32 v34, v42, v34, 0xc0c0401
	v_or_b32_e32 v28, v30, v34
	v_add_nc_u32_e32 v30, s27, v122
	ds_load_u16 v7, v7 offset:25330
	ds_load_u16 v30, v30 offset:27378
	ds_load_b32 v34, v139
	v_dot4_i32_iu8 v28, v28, v140, v6 neg_lo:[1,1,0]
	v_add_nc_u32_e32 v139, 4, v139
	s_mov_b32 s27, s25
	s_waitcnt lgkmcnt(2)
	v_bfe_i32 v1, v7, 0, 8
	s_waitcnt lgkmcnt(1)
	v_lshrrev_b16 v0, 8, v30
	v_bfe_i32 v3, v30, 0, 8
	v_lshrrev_b16 v2, 8, v7
	s_delay_alu instid0(VALU_DEP_3) | instskip(SKIP_1) | instid1(VALU_DEP_3)
	v_bfe_i32 v30, v0, 0, 8
	v_lshrrev_b16 v0, 8, v146
	v_bfe_i32 v7, v2, 0, 8
	v_lshrrev_b16 v2, 8, v148
	s_delay_alu instid0(VALU_DEP_3) | instskip(SKIP_2) | instid1(VALU_DEP_4)
	v_bfe_i32 v37, v0, 0, 8
	v_mul_lo_u32 v0, v27, v1
	v_mul_lo_u32 v1, v29, v4
	v_bfe_i32 v38, v2, 0, 8
	v_mul_lo_u32 v2, v31, v3
	v_mul_lo_u32 v3, v32, v5
	s_delay_alu instid0(VALU_DEP_4) | instskip(NEXT) | instid1(VALU_DEP_3)
	v_mad_u64_u32 v[4:5], null, v33, v7, v[0:1]
	v_mad_u64_u32 v[5:6], null, v35, v37, v[1:2]
	s_delay_alu instid0(VALU_DEP_3)
	v_mad_u64_u32 v[0:1], null, v36, v30, v[2:3]
	s_waitcnt lgkmcnt(0)
	v_mul_f32_e32 v6, v34, v145
	v_mul_f32_e32 v7, v34, v147
	v_mad_u64_u32 v[1:2], null, v28, v38, v[3:4]
	v_mul_f32_e32 v2, v34, v141
	v_mul_f32_e32 v3, v34, v142
	v_cvt_f32_i32_e32 v4, v4
	v_cvt_f32_i32_e32 v5, v5
	;; [unrolled: 1-line block ×4, first 2 shown]
	s_delay_alu instid0(VALU_DEP_4) | instskip(NEXT) | instid1(VALU_DEP_4)
	v_fmac_f32_e32 v49, v2, v4
	v_fmac_f32_e32 v97, v6, v5
	s_delay_alu instid0(VALU_DEP_4) | instskip(NEXT) | instid1(VALU_DEP_4)
	v_fmac_f32_e32 v89, v3, v0
	v_fmac_f32_e32 v24, v7, v1
	s_cbranch_scc1 .LBB230_28
; %bb.29:                               ;   in Loop: Header=BB230_5 Depth=1
	s_or_b32 s1, s6, 0x180
	s_delay_alu instid0(SALU_CYCLE_1)
	s_cmp_ge_i32 s1, s5
	s_barrier
	buffer_gl0_inv
	s_cbranch_scc1 .LBB230_4
; %bb.30:                               ;   in Loop: Header=BB230_5 Depth=1
	v_add_nc_u32_e32 v0, s20, v109
	s_delay_alu instid0(VALU_DEP_1) | instskip(NEXT) | instid1(VALU_DEP_1)
	v_cmp_gt_i32_e64 s1, s8, v0
	s_and_b32 s6, s0, s1
	s_delay_alu instid0(SALU_CYCLE_1)
	s_and_saveexec_b32 s1, s6
	s_cbranch_execz .LBB230_32
; %bb.31:                               ;   in Loop: Header=BB230_5 Depth=1
	v_add_nc_u32_e32 v2, v103, v0
	s_delay_alu instid0(VALU_DEP_1)
	v_mad_i64_i32 v[0:1], null, v2, 36, v[25:26]
	global_load_b32 v0, v[0:1], off offset:4
	s_waitcnt vmcnt(0)
	ds_store_b32 v90, v0
.LBB230_32:                             ;   in Loop: Header=BB230_5 Depth=1
	s_or_b32 exec_lo, exec_lo, s1
	s_and_saveexec_b32 s6, vcc_lo
	s_cbranch_execz .LBB230_35
; %bb.33:                               ;   in Loop: Header=BB230_5 Depth=1
	v_or_b32_e32 v0, s20, v48
	s_delay_alu instid0(VALU_DEP_1) | instskip(NEXT) | instid1(VALU_DEP_1)
	v_or_b32_e32 v1, 12, v0
	v_cmp_gt_i32_e64 s1, s8, v1
	s_delay_alu instid0(VALU_DEP_1) | instskip(NEXT) | instid1(SALU_CYCLE_1)
	s_and_b32 s1, s0, s1
	s_and_b32 exec_lo, exec_lo, s1
	s_cbranch_execz .LBB230_35
; %bb.34:                               ;   in Loop: Header=BB230_5 Depth=1
	v_ashrrev_i32_e32 v1, 31, v0
	v_add_co_u32 v2, s1, v103, v0
	s_delay_alu instid0(VALU_DEP_1) | instskip(NEXT) | instid1(VALU_DEP_2)
	v_add_co_ci_u32_e64 v3, s1, v110, v1, s1
	v_mad_u64_u32 v[0:1], null, v2, 36, s[18:19]
	s_delay_alu instid0(VALU_DEP_1)
	v_mad_i32_i24 v1, v3, 36, v1
	global_load_b32 v0, v[0:1], off
	s_waitcnt vmcnt(0)
	v_cvt_f32_f16_e32 v0, v0
	ds_store_b32 v91, v0
.LBB230_35:                             ;   in Loop: Header=BB230_5 Depth=1
	s_or_b32 exec_lo, exec_lo, s6
	v_dual_mov_b32 v138, v115 :: v_dual_mov_b32 v139, v116
	s_mov_b32 s1, 24
	s_mov_b32 s25, 22
	s_mov_b32 s6, 4
	s_waitcnt lgkmcnt(0)
	s_barrier
	buffer_gl0_inv
.LBB230_36:                             ;   Parent Loop BB230_5 Depth=1
                                        ; =>  This Inner Loop Header: Depth=2
	s_add_i32 s20, s25, 2
	ds_load_b128 v[4:7], v138
	ds_load_b128 v[0:3], v138 offset:16
	s_and_b32 s27, s20, 0x3ffffff8
	s_lshr_b32 s26, s20, 4
	s_lshl_b32 s27, s27, 2
	s_lshl_b32 s28, s26, 2
	v_add_nc_u32_e32 v147, s27, v94
	v_add_nc_u32_e32 v148, s27, v98
	v_add_nc_u32_e32 v158, s27, v101
	v_add_nc_u32_e32 v37, s28, v95
	s_sub_i32 s21, s25, 22
	ds_load_2addr_b32 v[29:30], v147 offset1:1
	ds_load_2addr_b32 v[35:36], v148 offset1:1
	ds_load_2addr_b32 v[27:28], v147 offset0:6 offset1:7
	ds_load_2addr_b32 v[31:32], v147 offset0:2 offset1:3
	;; [unrolled: 1-line block ×3, first 2 shown]
	ds_load_b32 v141, v37
	v_add_nc_u32_e32 v161, s27, v105
	s_lshl_b32 s26, s26, 3
	v_add_nc_u32_e32 v138, 32, v138
	v_add_lshl_u32 v164, v93, s26, 2
	v_add_lshl_u32 v167, v96, s26, 2
	;; [unrolled: 1-line block ×3, first 2 shown]
	s_waitcnt lgkmcnt(7)
	v_perm_b32 v149, v6, v6, 0x30201
	s_waitcnt lgkmcnt(6)
	v_perm_b32 v156, v0, v0, 0x30201
	v_perm_b32 v157, v1, v1, 0x30201
	;; [unrolled: 1-line block ×4, first 2 shown]
	v_add_nc_u32_e32 v6, 0x4208, v164
	v_perm_b32 v150, v4, v4, 0x30201
	v_perm_b32 v151, v5, v5, 0x30201
	;; [unrolled: 1-line block ×3, first 2 shown]
	s_waitcnt lgkmcnt(5)
	v_ashrrev_i32_e32 v152, s21, v29
	s_waitcnt lgkmcnt(4)
	v_ashrrev_i32_e32 v154, s21, v35
	v_ashrrev_i32_e32 v155, s21, v36
	ds_load_2addr_b32 v[2:3], v158 offset1:1
	ds_load_2addr_b32 v[0:1], v158 offset0:6 offset1:7
	ds_load_2addr_b32 v[35:36], v158 offset0:2 offset1:3
	v_ashrrev_i32_e32 v153, s21, v30
	v_bfe_u32 v174, v152, 24, 2
	v_and_b32_e32 v152, 0x3030303, v152
	v_add_nc_u32_e32 v43, 0x4208, v170
	v_add_lshl_u32 v173, v104, s26, 2
	s_and_b32 s26, s1, -16
	s_waitcnt lgkmcnt(5)
	v_ashrrev_i32_e32 v31, s21, v31
	s_add_i32 s25, s25, s26
	s_waitcnt lgkmcnt(4)
	v_ashrrev_i32_e32 v33, s21, v33
	v_ashrrev_i32_e32 v27, s21, v27
	;; [unrolled: 1-line block ×3, first 2 shown]
	s_add_i32 s1, s1, 2
	s_waitcnt lgkmcnt(2)
	v_ashrrev_i32_e32 v159, s21, v2
	v_add_nc_u32_e32 v2, s28, v102
	v_ashrrev_i32_e32 v160, s21, v3
	ds_load_2addr_b32 v[37:38], v161 offset0:2 offset1:3
	ds_load_b32 v142, v2
	ds_load_2addr_b32 v[2:3], v161 offset1:1
	s_waitcnt lgkmcnt(3)
	v_ashrrev_i32_e32 v35, s21, v35
	v_ashrrev_i32_e32 v0, s21, v0
	;; [unrolled: 1-line block ×3, first 2 shown]
	s_waitcnt lgkmcnt(2)
	v_ashrrev_i32_e32 v37, s21, v37
	s_waitcnt lgkmcnt(0)
	v_ashrrev_i32_e32 v162, s21, v2
	v_add_nc_u32_e32 v2, 0x4200, v164
	v_ashrrev_i32_e32 v163, s21, v3
	v_add_nc_u32_e32 v3, 0x4218, v164
	ds_load_2addr_b32 v[4:5], v2 offset1:1
	ds_load_2addr_b32 v[2:3], v3 offset1:1
	;; [unrolled: 1-line block ×3, first 2 shown]
	s_waitcnt lgkmcnt(2)
	v_ashrrev_i32_e32 v165, s6, v4
	v_add_nc_u32_e32 v4, 0x4200, v167
	v_ashrrev_i32_e32 v166, s6, v5
	v_add_nc_u32_e32 v5, 0x4208, v167
	ds_load_2addr_b32 v[6:7], v4 offset1:1
	ds_load_2addr_b32 v[41:42], v5 offset1:1
	ds_load_2addr_b32 v[4:5], v148 offset0:6 offset1:7
	v_lshlrev_b32_e32 v165, 2, v165
	v_lshlrev_b32_e32 v166, 2, v166
	s_waitcnt lgkmcnt(3)
	v_ashrrev_i32_e32 v39, s6, v39
	v_ashrrev_i32_e32 v2, s6, v2
	;; [unrolled: 1-line block ×3, first 2 shown]
	v_and_b32_e32 v165, 0x4040404, v165
	v_and_b32_e32 v166, 0x4040404, v166
	v_lshlrev_b32_e32 v39, 2, v39
	v_lshlrev_b32_e32 v2, 2, v2
	;; [unrolled: 1-line block ×3, first 2 shown]
	v_lshrrev_b32_e32 v175, 24, v165
	v_lshrrev_b32_e32 v176, 16, v165
	;; [unrolled: 1-line block ×4, first 2 shown]
	v_and_b32_e32 v39, 0x4040404, v39
	v_sub_nc_u16 v174, v174, v175
	v_lshrrev_b32_e32 v175, 16, v152
	s_waitcnt lgkmcnt(2)
	v_ashrrev_i32_e32 v168, s6, v6
	v_add_nc_u32_e32 v6, 0x4200, v170
	v_ashrrev_i32_e32 v169, s6, v7
	v_add_nc_u32_e32 v7, 0x4218, v170
	v_sub_nc_u16 v175, v175, v176
	v_lshrrev_b16 v176, 8, v152
	v_sub_nc_u16 v152, v152, v165
	v_lshrrev_b16 v165, 8, v165
	v_lshlrev_b32_e32 v168, 2, v168
	ds_load_2addr_b32 v[29:30], v6 offset1:1
	ds_load_2addr_b32 v[6:7], v7 offset1:1
	;; [unrolled: 1-line block ×3, first 2 shown]
	v_lshlrev_b32_e32 v169, 2, v169
	v_lshlrev_b16 v174, 8, v174
	v_sub_nc_u16 v165, v176, v165
	v_bfe_u32 v176, v153, 24, 2
	v_and_b32_e32 v153, 0x3030303, v153
	v_and_b32_e32 v168, 0x4040404, v168
	;; [unrolled: 1-line block ×3, first 2 shown]
	v_lshlrev_b16 v165, 8, v165
	v_sub_nc_u16 v176, v176, v177
	v_lshrrev_b32_e32 v177, 16, v153
	v_lshrrev_b32_e32 v179, 24, v168
	;; [unrolled: 1-line block ×5, first 2 shown]
	v_sub_nc_u16 v177, v177, v178
	v_lshrrev_b16 v178, 8, v153
	v_sub_nc_u16 v153, v153, v166
	v_lshrrev_b16 v166, 8, v166
	s_waitcnt lgkmcnt(2)
	v_ashrrev_i32_e32 v171, s6, v29
	v_add_nc_u32_e32 v29, 0x4200, v173
	v_ashrrev_i32_e32 v172, s6, v30
	v_add_nc_u32_e32 v30, 0x4208, v173
	v_sub_nc_u16 v166, v178, v166
	v_bfe_u32 v178, v154, 24, 2
	v_and_b32_e32 v154, 0x3030303, v154
	v_lshlrev_b32_e32 v171, 2, v171
	ds_load_2addr_b32 v[145:146], v29 offset1:1
	ds_load_2addr_b32 v[45:46], v30 offset1:1
	ds_load_2addr_b32 v[29:30], v161 offset0:6 offset1:7
	v_lshlrev_b32_e32 v172, 2, v172
	v_sub_nc_u16 v178, v178, v179
	v_lshrrev_b32_e32 v179, 16, v154
	v_and_b32_e32 v171, 0x4040404, v171
	v_lshlrev_b16 v176, 8, v176
	v_and_b32_e32 v172, 0x4040404, v172
	v_lshlrev_b16 v166, 8, v166
	v_sub_nc_u16 v179, v179, v180
	v_lshrrev_b16 v180, 8, v154
	v_sub_nc_u16 v154, v154, v168
	v_lshrrev_b16 v168, 8, v168
	v_lshrrev_b32_e32 v183, 24, v171
	v_lshrrev_b32_e32 v184, 16, v171
	v_lshrrev_b32_e32 v185, 24, v172
	v_lshrrev_b32_e32 v186, 16, v172
	v_sub_nc_u16 v168, v180, v168
	v_bfe_u32 v180, v155, 24, 2
	v_and_b32_e32 v155, 0x3030303, v155
	s_waitcnt lgkmcnt(2)
	v_ashrrev_i32_e32 v145, s6, v145
	v_ashrrev_i32_e32 v146, s6, v146
	v_lshlrev_b16 v178, 8, v178
	v_sub_nc_u16 v180, v180, v181
	v_lshrrev_b32_e32 v181, 16, v155
	v_lshlrev_b32_e32 v145, 2, v145
	v_lshlrev_b32_e32 v146, 2, v146
	v_lshlrev_b16 v168, 8, v168
	v_lshlrev_b16 v180, 8, v180
	v_sub_nc_u16 v181, v181, v182
	v_lshrrev_b16 v182, 8, v155
	v_sub_nc_u16 v155, v155, v169
	v_lshrrev_b16 v169, 8, v169
	v_and_b32_e32 v145, 0x4040404, v145
	v_and_b32_e32 v146, 0x4040404, v146
	v_ashrrev_i32_e32 v41, s6, v41
	v_ashrrev_i32_e32 v43, s6, v43
	v_sub_nc_u16 v169, v182, v169
	v_bfe_u32 v182, v159, 24, 2
	v_and_b32_e32 v159, 0x3030303, v159
	v_lshrrev_b32_e32 v187, 24, v145
	v_lshrrev_b32_e32 v188, 16, v145
	;; [unrolled: 1-line block ×3, first 2 shown]
	v_sub_nc_u16 v182, v182, v183
	v_lshrrev_b32_e32 v183, 16, v159
	v_lshrrev_b32_e32 v190, 16, v146
	v_lshlrev_b16 v169, 8, v169
	v_lshlrev_b32_e32 v41, 2, v41
	v_lshlrev_b16 v182, 8, v182
	v_sub_nc_u16 v183, v183, v184
	v_lshrrev_b16 v184, 8, v159
	v_sub_nc_u16 v159, v159, v171
	v_lshrrev_b16 v171, 8, v171
	v_and_b32_e32 v41, 0x4040404, v41
	v_lshlrev_b32_e32 v43, 2, v43
	s_waitcnt lgkmcnt(1)
	v_ashrrev_i32_e32 v45, s6, v45
	v_and_b32_e32 v2, 0x4040404, v2
	v_sub_nc_u16 v171, v184, v171
	v_bfe_u32 v184, v160, 24, 2
	v_and_b32_e32 v160, 0x3030303, v160
	v_and_b32_e32 v43, 0x4040404, v43
	v_lshlrev_b32_e32 v45, 2, v45
	v_lshlrev_b16 v171, 8, v171
	v_sub_nc_u16 v184, v184, v185
	v_lshrrev_b32_e32 v185, 16, v160
	v_ashrrev_i32_e32 v4, s21, v4
	v_and_b32_e32 v45, 0x4040404, v45
	v_ashrrev_i32_e32 v6, s6, v6
	v_lshlrev_b16 v184, 8, v184
	v_sub_nc_u16 v185, v185, v186
	v_lshrrev_b16 v186, 8, v160
	v_sub_nc_u16 v160, v160, v172
	v_lshrrev_b16 v172, 8, v172
	v_lshlrev_b32_e32 v6, 2, v6
	s_waitcnt lgkmcnt(0)
	v_ashrrev_i32_e32 v29, s21, v29
	v_and_b32_e32 v3, 0x4040404, v3
	v_ashrrev_i32_e32 v5, s21, v5
	v_sub_nc_u16 v172, v186, v172
	v_bfe_u32 v186, v162, 24, 2
	v_and_b32_e32 v162, 0x3030303, v162
	v_and_b32_e32 v6, 0x4040404, v6
	v_ashrrev_i32_e32 v7, s6, v7
	v_lshlrev_b16 v172, 8, v172
	v_sub_nc_u16 v186, v186, v187
	v_lshrrev_b32_e32 v187, 16, v162
	v_ashrrev_i32_e32 v30, s21, v30
	v_lshlrev_b32_e32 v7, 2, v7
	s_delay_alu instid0(VALU_DEP_4) | instskip(NEXT) | instid1(VALU_DEP_4)
	v_lshlrev_b16 v186, 8, v186
	v_sub_nc_u16 v187, v187, v188
	v_lshrrev_b16 v188, 8, v162
	v_sub_nc_u16 v162, v162, v145
	v_lshrrev_b16 v145, 8, v145
	v_and_b32_e32 v7, 0x4040404, v7
	s_delay_alu instid0(VALU_DEP_2) | instskip(SKIP_2) | instid1(VALU_DEP_3)
	v_sub_nc_u16 v145, v188, v145
	v_bfe_u32 v188, v163, 24, 2
	v_and_b32_e32 v163, 0x3030303, v163
	v_lshlrev_b16 v145, 8, v145
	s_delay_alu instid0(VALU_DEP_3) | instskip(NEXT) | instid1(VALU_DEP_3)
	v_sub_nc_u16 v188, v188, v189
	v_lshrrev_b32_e32 v189, 16, v163
	s_delay_alu instid0(VALU_DEP_2) | instskip(NEXT) | instid1(VALU_DEP_2)
	v_lshlrev_b16 v188, 8, v188
	v_sub_nc_u16 v189, v189, v190
	v_lshrrev_b16 v190, 8, v163
	v_sub_nc_u16 v163, v163, v146
	v_lshrrev_b16 v146, 8, v146
	s_delay_alu instid0(VALU_DEP_1) | instskip(SKIP_1) | instid1(VALU_DEP_2)
	v_sub_nc_u16 v146, v190, v146
	v_and_b32_e32 v190, 0xff, v175
	v_lshlrev_b16 v146, 8, v146
	s_delay_alu instid0(VALU_DEP_2) | instskip(SKIP_1) | instid1(VALU_DEP_2)
	v_or_b32_e32 v174, v190, v174
	v_and_b32_e32 v190, 0xff, v152
	v_perm_b32 v152, v152, v174, 0x4010c0c
	s_delay_alu instid0(VALU_DEP_2) | instskip(SKIP_1) | instid1(VALU_DEP_2)
	v_or_b32_e32 v165, v190, v165
	v_and_b32_e32 v190, 0xff, v177
	v_perm_b32 v165, v175, v165, 0xc0c0401
	s_delay_alu instid0(VALU_DEP_2) | instskip(SKIP_1) | instid1(VALU_DEP_3)
	v_or_b32_e32 v176, v190, v176
	v_and_b32_e32 v190, 0xff, v153
	v_or_b32_e32 v152, v152, v165
	s_delay_alu instid0(VALU_DEP_3) | instskip(NEXT) | instid1(VALU_DEP_3)
	v_perm_b32 v153, v153, v176, 0x4010c0c
	v_or_b32_e32 v166, v190, v166
	v_and_b32_e32 v190, 0xff, v179
	s_delay_alu instid0(VALU_DEP_4) | instskip(NEXT) | instid1(VALU_DEP_3)
	v_dot4_i32_iu8 v152, v152, v150, 0 neg_lo:[1,1,0]
	v_perm_b32 v166, v177, v166, 0xc0c0401
	s_delay_alu instid0(VALU_DEP_3) | instskip(SKIP_1) | instid1(VALU_DEP_3)
	v_or_b32_e32 v178, v190, v178
	v_and_b32_e32 v190, 0xff, v154
	v_or_b32_e32 v153, v153, v166
	s_delay_alu instid0(VALU_DEP_3) | instskip(NEXT) | instid1(VALU_DEP_3)
	v_perm_b32 v154, v154, v178, 0x4010c0c
	v_or_b32_e32 v168, v190, v168
	v_and_b32_e32 v190, 0xff, v181
	s_delay_alu instid0(VALU_DEP_2) | instskip(NEXT) | instid1(VALU_DEP_2)
	v_perm_b32 v168, v179, v168, 0xc0c0401
	v_or_b32_e32 v180, v190, v180
	v_and_b32_e32 v190, 0xff, v155
	s_delay_alu instid0(VALU_DEP_3) | instskip(NEXT) | instid1(VALU_DEP_3)
	v_or_b32_e32 v154, v154, v168
	v_perm_b32 v155, v155, v180, 0x4010c0c
	s_delay_alu instid0(VALU_DEP_3) | instskip(SKIP_1) | instid1(VALU_DEP_4)
	v_or_b32_e32 v169, v190, v169
	v_and_b32_e32 v190, 0xff, v183
	v_dot4_i32_iu8 v154, v154, v150, 0 neg_lo:[1,1,0]
	s_delay_alu instid0(VALU_DEP_3) | instskip(NEXT) | instid1(VALU_DEP_3)
	v_perm_b32 v169, v181, v169, 0xc0c0401
	v_or_b32_e32 v182, v190, v182
	v_and_b32_e32 v190, 0xff, v159
	s_delay_alu instid0(VALU_DEP_3) | instskip(NEXT) | instid1(VALU_DEP_3)
	v_or_b32_e32 v155, v155, v169
	v_perm_b32 v159, v159, v182, 0x4010c0c
	s_delay_alu instid0(VALU_DEP_3) | instskip(SKIP_1) | instid1(VALU_DEP_2)
	v_or_b32_e32 v171, v190, v171
	v_and_b32_e32 v190, 0xff, v185
	v_perm_b32 v171, v183, v171, 0xc0c0401
	s_delay_alu instid0(VALU_DEP_2) | instskip(SKIP_1) | instid1(VALU_DEP_3)
	v_or_b32_e32 v184, v190, v184
	v_and_b32_e32 v190, 0xff, v160
	v_or_b32_e32 v159, v159, v171
	s_delay_alu instid0(VALU_DEP_3) | instskip(NEXT) | instid1(VALU_DEP_3)
	v_perm_b32 v160, v160, v184, 0x4010c0c
	v_or_b32_e32 v172, v190, v172
	v_and_b32_e32 v190, 0xff, v187
	s_delay_alu instid0(VALU_DEP_4) | instskip(NEXT) | instid1(VALU_DEP_3)
	v_dot4_i32_iu8 v159, v159, v150, 0 neg_lo:[1,1,0]
	v_perm_b32 v172, v185, v172, 0xc0c0401
	s_delay_alu instid0(VALU_DEP_3) | instskip(SKIP_1) | instid1(VALU_DEP_3)
	v_or_b32_e32 v186, v190, v186
	v_and_b32_e32 v190, 0xff, v162
	v_or_b32_e32 v160, v160, v172
	s_delay_alu instid0(VALU_DEP_3) | instskip(NEXT) | instid1(VALU_DEP_3)
	v_perm_b32 v162, v162, v186, 0x4010c0c
	v_or_b32_e32 v145, v190, v145
	v_and_b32_e32 v190, 0xff, v189
	s_delay_alu instid0(VALU_DEP_4) | instskip(NEXT) | instid1(VALU_DEP_3)
	v_dot4_i32_iu8 v159, v160, v151, v159 neg_lo:[1,1,0]
	v_perm_b32 v145, v187, v145, 0xc0c0401
	s_delay_alu instid0(VALU_DEP_3) | instskip(SKIP_1) | instid1(VALU_DEP_3)
	v_or_b32_e32 v188, v190, v188
	v_and_b32_e32 v190, 0xff, v163
	v_or_b32_e32 v145, v162, v145
	s_delay_alu instid0(VALU_DEP_3) | instskip(NEXT) | instid1(VALU_DEP_3)
	v_perm_b32 v163, v163, v188, 0x4010c0c
	v_or_b32_e32 v146, v190, v146
	v_dot4_i32_iu8 v162, v153, v151, v152 neg_lo:[1,1,0]
	v_add_nc_u32_e32 v152, 0x4210, v173
	v_dot4_i32_iu8 v145, v145, v150, 0 neg_lo:[1,1,0]
	v_add_nc_u32_e32 v150, 0x4218, v167
	v_perm_b32 v146, v189, v146, 0xc0c0401
	s_delay_alu instid0(VALU_DEP_1) | instskip(SKIP_2) | instid1(VALU_DEP_3)
	v_or_b32_e32 v146, v163, v146
	v_dot4_i32_iu8 v163, v155, v151, v154 neg_lo:[1,1,0]
	v_add_nc_u32_e32 v154, 0x4218, v173
	v_dot4_i32_iu8 v160, v146, v151, v145 neg_lo:[1,1,0]
	ds_load_2addr_b32 v[145:146], v147 offset0:4 offset1:5
	v_add_nc_u32_e32 v147, 0x4210, v167
	s_waitcnt lgkmcnt(0)
	v_ashrrev_i32_e32 v165, s21, v145
	v_ashrrev_i32_e32 v166, s21, v146
	ds_load_2addr_b32 v[145:146], v148 offset0:4 offset1:5
	v_bfe_u32 v173, v165, 24, 2
	v_and_b32_e32 v165, 0x3030303, v165
	s_waitcnt lgkmcnt(0)
	v_ashrrev_i32_e32 v168, s21, v145
	v_ashrrev_i32_e32 v169, s21, v146
	ds_load_2addr_b32 v[145:146], v158 offset0:4 offset1:5
	s_waitcnt lgkmcnt(0)
	v_ashrrev_i32_e32 v158, s21, v145
	v_ashrrev_i32_e32 v171, s21, v146
	ds_load_2addr_b32 v[145:146], v161 offset0:4 offset1:5
	s_waitcnt lgkmcnt(0)
	v_ashrrev_i32_e32 v161, s21, v145
	v_add_nc_u32_e32 v145, 0x4210, v164
	v_ashrrev_i32_e32 v172, s21, v146
	ds_load_2addr_b32 v[145:146], v145 offset1:1
	s_waitcnt lgkmcnt(0)
	v_ashrrev_i32_e32 v164, s6, v145
	v_add_nc_u32_e32 v145, s25, v123
	v_ashrrev_i32_e32 v174, s6, v146
	s_delay_alu instid0(VALU_DEP_3)
	v_lshlrev_b32_e32 v164, 2, v164
	ds_load_u16 v146, v145 offset:26354
	v_add_nc_u32_e32 v145, s28, v99
	ds_load_b32 v145, v145
	ds_load_2addr_b32 v[147:148], v147 offset1:1
	ds_load_2addr_b32 v[150:151], v150 offset1:1
	v_and_b32_e32 v164, 0x4040404, v164
	v_lshlrev_b32_e32 v174, 2, v174
	s_delay_alu instid0(VALU_DEP_2) | instskip(SKIP_1) | instid1(VALU_DEP_3)
	v_lshrrev_b32_e32 v177, 24, v164
	v_lshrrev_b32_e32 v178, 16, v164
	v_and_b32_e32 v174, 0x4040404, v174
	s_delay_alu instid0(VALU_DEP_3) | instskip(SKIP_1) | instid1(VALU_DEP_3)
	v_sub_nc_u16 v173, v173, v177
	v_lshrrev_b32_e32 v177, 16, v165
	v_lshrrev_b32_e32 v179, 24, v174
	v_lshrrev_b32_e32 v180, 16, v174
	s_delay_alu instid0(VALU_DEP_4) | instskip(NEXT) | instid1(VALU_DEP_4)
	v_lshlrev_b16 v173, 8, v173
	v_sub_nc_u16 v177, v177, v178
	v_lshrrev_b16 v178, 8, v165
	v_sub_nc_u16 v165, v165, v164
	v_lshrrev_b16 v164, 8, v164
	s_waitcnt lgkmcnt(1)
	v_ashrrev_i32_e32 v167, s6, v147
	v_add_nc_u32_e32 v147, 0x4210, v170
	v_ashrrev_i32_e32 v175, s6, v148
	v_sub_nc_u16 v164, v178, v164
	v_bfe_u32 v178, v166, 24, 2
	v_and_b32_e32 v166, 0x3030303, v166
	v_lshlrev_b32_e32 v167, 2, v167
	ds_load_2addr_b32 v[147:148], v147 offset1:1
	v_lshlrev_b32_e32 v175, 2, v175
	v_sub_nc_u16 v178, v178, v179
	v_lshrrev_b32_e32 v179, 16, v166
	v_and_b32_e32 v167, 0x4040404, v167
	v_lshlrev_b16 v164, 8, v164
	v_and_b32_e32 v175, 0x4040404, v175
	v_lshlrev_b16 v178, 8, v178
	v_sub_nc_u16 v179, v179, v180
	v_lshrrev_b16 v180, 8, v166
	v_sub_nc_u16 v166, v166, v174
	v_lshrrev_b16 v174, 8, v174
	v_lshrrev_b32_e32 v181, 24, v167
	v_lshrrev_b32_e32 v182, 16, v167
	;; [unrolled: 1-line block ×4, first 2 shown]
	v_sub_nc_u16 v174, v180, v174
	v_bfe_u32 v180, v168, 24, 2
	v_and_b32_e32 v168, 0x3030303, v168
	s_waitcnt lgkmcnt(0)
	v_ashrrev_i32_e32 v170, s6, v147
	v_add_nc_u32_e32 v147, s25, v121
	v_sub_nc_u16 v180, v180, v181
	v_lshrrev_b32_e32 v181, 16, v168
	v_ashrrev_i32_e32 v176, s6, v148
	v_lshlrev_b32_e32 v170, 2, v170
	ds_load_u16 v148, v147 offset:28402
	v_add_nc_u32_e32 v147, s28, v106
	v_sub_nc_u16 v181, v181, v182
	v_lshrrev_b16 v182, 8, v168
	v_sub_nc_u16 v168, v168, v167
	v_lshrrev_b16 v167, 8, v167
	v_and_b32_e32 v170, 0x4040404, v170
	ds_load_b32 v147, v147
	ds_load_2addr_b32 v[152:153], v152 offset1:1
	ds_load_2addr_b32 v[154:155], v154 offset1:1
	v_lshlrev_b32_e32 v176, 2, v176
	v_lshlrev_b16 v174, 8, v174
	v_sub_nc_u16 v167, v182, v167
	v_bfe_u32 v182, v169, 24, 2
	v_and_b32_e32 v169, 0x3030303, v169
	v_lshrrev_b32_e32 v185, 24, v170
	v_lshrrev_b32_e32 v186, 16, v170
	v_and_b32_e32 v176, 0x4040404, v176
	v_sub_nc_u16 v182, v182, v183
	v_lshrrev_b32_e32 v183, 16, v169
	v_lshlrev_b16 v180, 8, v180
	v_lshlrev_b16 v167, 8, v167
	v_lshrrev_b32_e32 v187, 24, v176
	v_lshrrev_b32_e32 v188, 16, v176
	v_sub_nc_u16 v183, v183, v184
	v_lshrrev_b16 v184, 8, v169
	v_sub_nc_u16 v169, v169, v175
	v_lshrrev_b16 v175, 8, v175
	s_waitcnt lgkmcnt(1)
	v_ashrrev_i32_e32 v152, s6, v152
	v_ashrrev_i32_e32 v153, s6, v153
	v_lshlrev_b16 v182, 8, v182
	s_waitcnt lgkmcnt(0)
	v_ashrrev_i32_e32 v154, s6, v154
	v_sub_nc_u16 v175, v184, v175
	v_bfe_u32 v184, v158, 24, 2
	v_and_b32_e32 v158, 0x3030303, v158
	v_lshlrev_b32_e32 v152, 2, v152
	v_lshlrev_b32_e32 v153, 2, v153
	v_lshlrev_b16 v175, 8, v175
	v_sub_nc_u16 v184, v184, v185
	v_lshrrev_b32_e32 v185, 16, v158
	v_and_b32_e32 v152, 0x4040404, v152
	v_and_b32_e32 v153, 0x4040404, v153
	v_lshlrev_b32_e32 v154, 2, v154
	v_lshlrev_b16 v184, 8, v184
	v_sub_nc_u16 v185, v185, v186
	v_lshrrev_b16 v186, 8, v158
	v_sub_nc_u16 v158, v158, v170
	v_lshrrev_b16 v170, 8, v170
	v_lshrrev_b32_e32 v189, 24, v152
	v_lshrrev_b32_e32 v190, 16, v152
	;; [unrolled: 1-line block ×4, first 2 shown]
	v_sub_nc_u16 v170, v186, v170
	v_bfe_u32 v186, v171, 24, 2
	v_and_b32_e32 v171, 0x3030303, v171
	v_and_b32_e32 v154, 0x4040404, v154
	s_delay_alu instid0(VALU_DEP_4) | instskip(NEXT) | instid1(VALU_DEP_4)
	v_lshlrev_b16 v170, 8, v170
	v_sub_nc_u16 v186, v186, v187
	s_delay_alu instid0(VALU_DEP_4) | instskip(NEXT) | instid1(VALU_DEP_2)
	v_lshrrev_b32_e32 v187, 16, v171
	v_lshlrev_b16 v186, 8, v186
	s_delay_alu instid0(VALU_DEP_2) | instskip(SKIP_3) | instid1(VALU_DEP_1)
	v_sub_nc_u16 v187, v187, v188
	v_lshrrev_b16 v188, 8, v171
	v_sub_nc_u16 v171, v171, v176
	v_lshrrev_b16 v176, 8, v176
	v_sub_nc_u16 v176, v188, v176
	v_bfe_u32 v188, v161, 24, 2
	v_and_b32_e32 v161, 0x3030303, v161
	s_delay_alu instid0(VALU_DEP_3) | instskip(NEXT) | instid1(VALU_DEP_3)
	v_lshlrev_b16 v176, 8, v176
	v_sub_nc_u16 v188, v188, v189
	s_delay_alu instid0(VALU_DEP_3) | instskip(NEXT) | instid1(VALU_DEP_2)
	v_lshrrev_b32_e32 v189, 16, v161
	v_lshlrev_b16 v188, 8, v188
	s_delay_alu instid0(VALU_DEP_2) | instskip(SKIP_3) | instid1(VALU_DEP_1)
	v_sub_nc_u16 v189, v189, v190
	v_lshrrev_b16 v190, 8, v161
	v_sub_nc_u16 v161, v161, v152
	v_lshrrev_b16 v152, 8, v152
	v_sub_nc_u16 v152, v190, v152
	v_bfe_u32 v190, v172, 24, 2
	v_and_b32_e32 v172, 0x3030303, v172
	s_delay_alu instid0(VALU_DEP_3) | instskip(NEXT) | instid1(VALU_DEP_3)
	v_lshlrev_b16 v152, 8, v152
	v_sub_nc_u16 v190, v190, v191
	s_delay_alu instid0(VALU_DEP_3) | instskip(NEXT) | instid1(VALU_DEP_2)
	v_lshrrev_b32_e32 v191, 16, v172
	v_lshlrev_b16 v190, 8, v190
	s_delay_alu instid0(VALU_DEP_2) | instskip(SKIP_3) | instid1(VALU_DEP_1)
	v_sub_nc_u16 v191, v191, v192
	v_lshrrev_b16 v192, 8, v172
	v_sub_nc_u16 v172, v172, v153
	v_lshrrev_b16 v153, 8, v153
	v_sub_nc_u16 v153, v192, v153
	v_and_b32_e32 v192, 0xff, v177
	s_delay_alu instid0(VALU_DEP_2) | instskip(NEXT) | instid1(VALU_DEP_2)
	v_lshlrev_b16 v153, 8, v153
	v_or_b32_e32 v173, v192, v173
	v_and_b32_e32 v192, 0xff, v165
	s_delay_alu instid0(VALU_DEP_2) | instskip(NEXT) | instid1(VALU_DEP_2)
	v_perm_b32 v165, v165, v173, 0x4010c0c
	v_or_b32_e32 v164, v192, v164
	v_and_b32_e32 v192, 0xff, v179
	s_delay_alu instid0(VALU_DEP_2) | instskip(NEXT) | instid1(VALU_DEP_2)
	v_perm_b32 v164, v177, v164, 0xc0c0401
	v_or_b32_e32 v178, v192, v178
	v_and_b32_e32 v192, 0xff, v166
	s_delay_alu instid0(VALU_DEP_3) | instskip(NEXT) | instid1(VALU_DEP_3)
	v_or_b32_e32 v164, v165, v164
	v_perm_b32 v166, v166, v178, 0x4010c0c
	s_delay_alu instid0(VALU_DEP_3) | instskip(SKIP_1) | instid1(VALU_DEP_2)
	v_or_b32_e32 v174, v192, v174
	v_and_b32_e32 v192, 0xff, v181
	v_perm_b32 v173, v179, v174, 0xc0c0401
	s_delay_alu instid0(VALU_DEP_2) | instskip(SKIP_1) | instid1(VALU_DEP_3)
	v_or_b32_e32 v180, v192, v180
	v_and_b32_e32 v192, 0xff, v168
	v_or_b32_e32 v165, v166, v173
	s_delay_alu instid0(VALU_DEP_3) | instskip(NEXT) | instid1(VALU_DEP_3)
	v_perm_b32 v168, v168, v180, 0x4010c0c
	v_or_b32_e32 v167, v192, v167
	v_and_b32_e32 v192, 0xff, v183
	s_delay_alu instid0(VALU_DEP_2) | instskip(NEXT) | instid1(VALU_DEP_2)
	v_perm_b32 v167, v181, v167, 0xc0c0401
	v_or_b32_e32 v182, v192, v182
	v_and_b32_e32 v192, 0xff, v169
	s_delay_alu instid0(VALU_DEP_3) | instskip(NEXT) | instid1(VALU_DEP_3)
	v_or_b32_e32 v166, v168, v167
	v_perm_b32 v169, v169, v182, 0x4010c0c
	s_delay_alu instid0(VALU_DEP_3) | instskip(SKIP_1) | instid1(VALU_DEP_2)
	v_or_b32_e32 v175, v192, v175
	v_and_b32_e32 v192, 0xff, v185
	v_perm_b32 v174, v183, v175, 0xc0c0401
	s_delay_alu instid0(VALU_DEP_2) | instskip(SKIP_1) | instid1(VALU_DEP_3)
	v_or_b32_e32 v184, v192, v184
	v_and_b32_e32 v192, 0xff, v158
	v_or_b32_e32 v167, v169, v174
	s_delay_alu instid0(VALU_DEP_3) | instskip(NEXT) | instid1(VALU_DEP_3)
	v_perm_b32 v158, v158, v184, 0x4010c0c
	v_or_b32_e32 v170, v192, v170
	v_and_b32_e32 v192, 0xff, v187
	v_lshrrev_b32_e32 v169, 24, v45
	s_delay_alu instid0(VALU_DEP_3) | instskip(NEXT) | instid1(VALU_DEP_3)
	v_perm_b32 v170, v185, v170, 0xc0c0401
	v_or_b32_e32 v186, v192, v186
	v_and_b32_e32 v192, 0xff, v171
	s_delay_alu instid0(VALU_DEP_3) | instskip(NEXT) | instid1(VALU_DEP_3)
	v_or_b32_e32 v158, v158, v170
	v_perm_b32 v171, v171, v186, 0x4010c0c
	s_delay_alu instid0(VALU_DEP_3) | instskip(SKIP_3) | instid1(VALU_DEP_4)
	v_or_b32_e32 v176, v192, v176
	v_and_b32_e32 v192, 0xff, v189
	v_lshrrev_b32_e32 v170, 16, v45
	v_dot4_i32_iu8 v158, v158, v156, 0 neg_lo:[1,1,0]
	v_perm_b32 v175, v187, v176, 0xc0c0401
	s_delay_alu instid0(VALU_DEP_4) | instskip(SKIP_1) | instid1(VALU_DEP_3)
	v_or_b32_e32 v188, v192, v188
	v_and_b32_e32 v192, 0xff, v161
	v_or_b32_e32 v168, v171, v175
	s_delay_alu instid0(VALU_DEP_3) | instskip(NEXT) | instid1(VALU_DEP_3)
	v_perm_b32 v161, v161, v188, 0x4010c0c
	v_or_b32_e32 v152, v192, v152
	v_and_b32_e32 v192, 0xff, v191
	s_delay_alu instid0(VALU_DEP_4) | instskip(SKIP_1) | instid1(VALU_DEP_4)
	v_dot4_i32_iu8 v158, v168, v157, v158 neg_lo:[1,1,0]
	v_lshrrev_b32_e32 v168, 16, v43
	v_perm_b32 v152, v189, v152, 0xc0c0401
	s_delay_alu instid0(VALU_DEP_4) | instskip(SKIP_1) | instid1(VALU_DEP_3)
	v_or_b32_e32 v190, v192, v190
	v_and_b32_e32 v192, 0xff, v172
	v_or_b32_e32 v152, v161, v152
	s_delay_alu instid0(VALU_DEP_3) | instskip(NEXT) | instid1(VALU_DEP_3)
	v_perm_b32 v172, v172, v190, 0x4010c0c
	v_or_b32_e32 v153, v192, v153
	v_dot4_i32_iu8 v161, v164, v156, 0 neg_lo:[1,1,0]
	v_dot4_i32_iu8 v164, v166, v156, 0 neg_lo:[1,1,0]
	;; [unrolled: 1-line block ×3, first 2 shown]
	v_lshrrev_b32_e32 v166, 16, v41
	v_perm_b32 v153, v191, v153, 0xc0c0401
	v_dot4_i32_iu8 v156, v165, v157, v161 neg_lo:[1,1,0]
	v_dot4_i32_iu8 v161, v167, v157, v164 neg_lo:[1,1,0]
	v_lshrrev_b32_e32 v164, 16, v39
	v_lshrrev_b32_e32 v165, 24, v41
	v_or_b32_e32 v153, v172, v153
	v_lshrrev_b32_e32 v167, 24, v43
	s_delay_alu instid0(VALU_DEP_2) | instskip(SKIP_3) | instid1(VALU_DEP_2)
	v_dot4_i32_iu8 v152, v153, v157, v152 neg_lo:[1,1,0]
	v_bfe_u32 v153, v31, 24, 2
	v_lshrrev_b32_e32 v157, 24, v39
	v_and_b32_e32 v31, 0x3030303, v31
	v_sub_nc_u16 v153, v153, v157
	s_delay_alu instid0(VALU_DEP_2) | instskip(NEXT) | instid1(VALU_DEP_2)
	v_lshrrev_b32_e32 v157, 16, v31
	v_lshlrev_b16 v153, 8, v153
	s_delay_alu instid0(VALU_DEP_2) | instskip(SKIP_3) | instid1(VALU_DEP_1)
	v_sub_nc_u16 v157, v157, v164
	v_lshrrev_b16 v164, 8, v31
	v_sub_nc_u16 v31, v31, v39
	v_lshrrev_b16 v39, 8, v39
	v_sub_nc_u16 v39, v164, v39
	v_bfe_u32 v164, v33, 24, 2
	v_and_b32_e32 v33, 0x3030303, v33
	s_delay_alu instid0(VALU_DEP_3) | instskip(NEXT) | instid1(VALU_DEP_3)
	v_lshlrev_b16 v39, 8, v39
	v_sub_nc_u16 v164, v164, v165
	s_delay_alu instid0(VALU_DEP_3) | instskip(NEXT) | instid1(VALU_DEP_2)
	v_lshrrev_b32_e32 v165, 16, v33
	v_lshlrev_b16 v164, 8, v164
	s_delay_alu instid0(VALU_DEP_2) | instskip(SKIP_3) | instid1(VALU_DEP_1)
	v_sub_nc_u16 v165, v165, v166
	v_lshrrev_b16 v166, 8, v33
	v_sub_nc_u16 v33, v33, v41
	v_lshrrev_b16 v41, 8, v41
	v_sub_nc_u16 v41, v166, v41
	v_bfe_u32 v166, v35, 24, 2
	v_and_b32_e32 v35, 0x3030303, v35
	s_delay_alu instid0(VALU_DEP_3) | instskip(NEXT) | instid1(VALU_DEP_3)
	v_lshlrev_b16 v41, 8, v41
	v_sub_nc_u16 v166, v166, v167
	s_delay_alu instid0(VALU_DEP_3) | instskip(NEXT) | instid1(VALU_DEP_2)
	;; [unrolled: 14-line block ×3, first 2 shown]
	v_lshrrev_b32_e32 v169, 16, v37
	v_lshlrev_b16 v168, 8, v168
	s_delay_alu instid0(VALU_DEP_2) | instskip(SKIP_3) | instid1(VALU_DEP_1)
	v_sub_nc_u16 v169, v169, v170
	v_lshrrev_b16 v170, 8, v37
	v_sub_nc_u16 v37, v37, v45
	v_lshrrev_b16 v45, 8, v45
	v_sub_nc_u16 v45, v170, v45
	v_and_b32_e32 v170, 0xff, v157
	s_delay_alu instid0(VALU_DEP_2) | instskip(NEXT) | instid1(VALU_DEP_2)
	v_lshlrev_b16 v45, 8, v45
	v_or_b32_e32 v153, v170, v153
	v_and_b32_e32 v170, 0xff, v31
	s_delay_alu instid0(VALU_DEP_2) | instskip(NEXT) | instid1(VALU_DEP_2)
	v_perm_b32 v31, v31, v153, 0x4010c0c
	v_or_b32_e32 v39, v170, v39
	v_and_b32_e32 v170, 0xff, v165
	v_lshrrev_b32_e32 v153, 24, v6
	s_delay_alu instid0(VALU_DEP_3) | instskip(NEXT) | instid1(VALU_DEP_3)
	v_perm_b32 v39, v157, v39, 0xc0c0401
	v_or_b32_e32 v164, v170, v164
	v_and_b32_e32 v170, 0xff, v33
	v_lshrrev_b32_e32 v157, 16, v6
	s_delay_alu instid0(VALU_DEP_4) | instskip(NEXT) | instid1(VALU_DEP_4)
	v_or_b32_e32 v31, v31, v39
	v_perm_b32 v33, v33, v164, 0x4010c0c
	s_delay_alu instid0(VALU_DEP_4)
	v_or_b32_e32 v41, v170, v41
	v_and_b32_e32 v170, 0xff, v167
	v_bfe_u32 v39, v27, 24, 2
	v_and_b32_e32 v27, 0x3030303, v27
	v_dot4_i32_iu8 v31, v31, v149, v162 neg_lo:[1,1,0]
	v_perm_b32 v41, v165, v41, 0xc0c0401
	v_or_b32_e32 v166, v170, v166
	v_and_b32_e32 v170, 0xff, v35
	s_delay_alu instid0(VALU_DEP_3) | instskip(NEXT) | instid1(VALU_DEP_3)
	v_or_b32_e32 v33, v33, v41
	v_perm_b32 v35, v35, v166, 0x4010c0c
	s_delay_alu instid0(VALU_DEP_3) | instskip(SKIP_3) | instid1(VALU_DEP_4)
	v_or_b32_e32 v43, v170, v43
	v_lshrrev_b32_e32 v41, 24, v2
	v_and_b32_e32 v170, 0xff, v169
	v_dot4_i32_iu8 v33, v33, v149, v163 neg_lo:[1,1,0]
	v_perm_b32 v43, v167, v43, 0xc0c0401
	s_delay_alu instid0(VALU_DEP_4)
	v_sub_nc_u16 v39, v39, v41
	v_lshrrev_b32_e32 v41, 16, v27
	v_or_b32_e32 v168, v170, v168
	v_and_b32_e32 v170, 0xff, v37
	v_or_b32_e32 v35, v35, v43
	v_lshrrev_b32_e32 v43, 16, v2
	v_lshlrev_b16 v39, 8, v39
	v_perm_b32 v37, v37, v168, 0x4010c0c
	v_or_b32_e32 v45, v170, v45
	v_dot4_i32_iu8 v35, v35, v149, v159 neg_lo:[1,1,0]
	v_sub_nc_u16 v41, v41, v43
	v_lshrrev_b16 v43, 8, v27
	v_sub_nc_u16 v27, v27, v2
	v_lshrrev_b16 v2, 8, v2
	v_perm_b32 v45, v169, v45, 0xc0c0401
	v_lshrrev_b32_e32 v159, 24, v154
	s_delay_alu instid0(VALU_DEP_3) | instskip(SKIP_1) | instid1(VALU_DEP_4)
	v_sub_nc_u16 v2, v43, v2
	v_ashrrev_i32_e32 v43, s6, v150
	v_or_b32_e32 v37, v37, v45
	v_bfe_u32 v45, v4, 24, 2
	v_and_b32_e32 v4, 0x3030303, v4
	v_lshlrev_b16 v2, 8, v2
	v_lshlrev_b32_e32 v43, 2, v43
	v_dot4_i32_iu8 v37, v37, v149, v160 neg_lo:[1,1,0]
	v_lshrrev_b32_e32 v160, 16, v154
	s_delay_alu instid0(VALU_DEP_3) | instskip(NEXT) | instid1(VALU_DEP_1)
	v_and_b32_e32 v43, 0x4040404, v43
	v_lshrrev_b32_e32 v149, 24, v43
	v_lshrrev_b32_e32 v150, 16, v43
	s_delay_alu instid0(VALU_DEP_2) | instskip(SKIP_1) | instid1(VALU_DEP_2)
	v_sub_nc_u16 v45, v45, v149
	v_lshrrev_b32_e32 v149, 16, v4
	v_lshlrev_b16 v45, 8, v45
	s_delay_alu instid0(VALU_DEP_2) | instskip(SKIP_3) | instid1(VALU_DEP_1)
	v_sub_nc_u16 v149, v149, v150
	v_lshrrev_b16 v150, 8, v4
	v_sub_nc_u16 v4, v4, v43
	v_lshrrev_b16 v43, 8, v43
	v_sub_nc_u16 v43, v150, v43
	v_bfe_u32 v150, v0, 24, 2
	v_and_b32_e32 v0, 0x3030303, v0
	s_delay_alu instid0(VALU_DEP_3) | instskip(NEXT) | instid1(VALU_DEP_3)
	v_lshlrev_b16 v43, 8, v43
	v_sub_nc_u16 v150, v150, v153
	s_delay_alu instid0(VALU_DEP_3) | instskip(NEXT) | instid1(VALU_DEP_2)
	v_lshrrev_b32_e32 v153, 16, v0
	v_lshlrev_b16 v150, 8, v150
	s_delay_alu instid0(VALU_DEP_2) | instskip(SKIP_3) | instid1(VALU_DEP_1)
	v_sub_nc_u16 v153, v153, v157
	v_lshrrev_b16 v157, 8, v0
	v_sub_nc_u16 v0, v0, v6
	v_lshrrev_b16 v6, 8, v6
	v_sub_nc_u16 v6, v157, v6
	v_bfe_u32 v157, v29, 24, 2
	v_and_b32_e32 v29, 0x3030303, v29
	s_delay_alu instid0(VALU_DEP_3) | instskip(NEXT) | instid1(VALU_DEP_3)
	v_lshlrev_b16 v6, 8, v6
	v_sub_nc_u16 v157, v157, v159
	s_delay_alu instid0(VALU_DEP_3) | instskip(NEXT) | instid1(VALU_DEP_2)
	v_lshrrev_b32_e32 v159, 16, v29
	v_lshlrev_b16 v157, 8, v157
	s_delay_alu instid0(VALU_DEP_2) | instskip(SKIP_3) | instid1(VALU_DEP_1)
	v_sub_nc_u16 v159, v159, v160
	v_lshrrev_b16 v160, 8, v29
	v_sub_nc_u16 v29, v29, v154
	v_lshrrev_b16 v154, 8, v154
	v_sub_nc_u16 v154, v160, v154
	v_and_b32_e32 v160, 0xff, v41
	s_delay_alu instid0(VALU_DEP_2) | instskip(NEXT) | instid1(VALU_DEP_2)
	v_lshlrev_b16 v154, 8, v154
	v_or_b32_e32 v39, v160, v39
	v_and_b32_e32 v160, 0xff, v27
	s_delay_alu instid0(VALU_DEP_2) | instskip(NEXT) | instid1(VALU_DEP_2)
	v_perm_b32 v27, v27, v39, 0x4010c0c
	v_or_b32_e32 v2, v160, v2
	v_and_b32_e32 v160, 0xff, v149
	s_delay_alu instid0(VALU_DEP_2) | instskip(NEXT) | instid1(VALU_DEP_2)
	v_perm_b32 v2, v41, v2, 0xc0c0401
	v_or_b32_e32 v45, v160, v45
	v_and_b32_e32 v160, 0xff, v4
	s_delay_alu instid0(VALU_DEP_3) | instskip(SKIP_1) | instid1(VALU_DEP_3)
	v_or_b32_e32 v2, v27, v2
	v_ashrrev_i32_e32 v27, s21, v32
	v_or_b32_e32 v43, v160, v43
	v_and_b32_e32 v160, 0xff, v153
	v_ashrrev_i32_e32 v32, s21, v36
	v_ashrrev_i32_e32 v36, s6, v40
	v_perm_b32 v4, v4, v45, 0x4010c0c
	v_perm_b32 v39, v149, v43, 0xc0c0401
	v_or_b32_e32 v150, v160, v150
	v_and_b32_e32 v160, 0xff, v0
	v_lshlrev_b32_e32 v36, 2, v36
	v_ashrrev_i32_e32 v40, s6, v46
	v_or_b32_e32 v4, v4, v39
	v_perm_b32 v0, v0, v150, 0x4010c0c
	v_or_b32_e32 v6, v160, v6
	v_and_b32_e32 v160, 0xff, v159
	v_and_b32_e32 v36, 0x4040404, v36
	v_ashrrev_i32_e32 v39, s6, v44
	v_dot4_i32_iu8 v2, v2, v144, v156 neg_lo:[1,1,0]
	v_perm_b32 v6, v153, v6, 0xc0c0401
	v_or_b32_e32 v157, v160, v157
	v_and_b32_e32 v160, 0xff, v29
	v_lshrrev_b32_e32 v43, 16, v36
	v_lshlrev_b32_e32 v39, 2, v39
	v_or_b32_e32 v0, v0, v6
	v_perm_b32 v29, v29, v157, 0x4010c0c
	v_or_b32_e32 v154, v160, v154
	v_dot4_i32_iu8 v4, v4, v144, v161 neg_lo:[1,1,0]
	v_and_b32_e32 v39, 0x4040404, v39
	v_dot4_i32_iu8 v0, v0, v144, v158 neg_lo:[1,1,0]
	v_lshlrev_b32_e32 v40, 2, v40
	v_perm_b32 v41, v159, v154, 0xc0c0401
	s_delay_alu instid0(VALU_DEP_4) | instskip(NEXT) | instid1(VALU_DEP_3)
	v_lshrrev_b32_e32 v46, 24, v39
	v_and_b32_e32 v40, 0x4040404, v40
	s_delay_alu instid0(VALU_DEP_3)
	v_or_b32_e32 v6, v29, v41
	v_ashrrev_i32_e32 v29, s21, v34
	v_ashrrev_i32_e32 v34, s21, v38
	;; [unrolled: 1-line block ×3, first 2 shown]
	v_bfe_u32 v41, v27, 24, 2
	v_lshrrev_b32_e32 v42, 24, v36
	v_and_b32_e32 v27, 0x3030303, v27
	v_dot4_i32_iu8 v6, v6, v144, v152 neg_lo:[1,1,0]
	v_lshlrev_b32_e32 v38, 2, v38
	v_lshrrev_b32_e32 v144, 16, v39
	v_sub_nc_u16 v41, v41, v42
	v_lshrrev_b32_e32 v42, 16, v27
	v_lshrrev_b32_e32 v149, 24, v40
	v_and_b32_e32 v38, 0x4040404, v38
	v_lshrrev_b32_e32 v150, 16, v40
	v_lshlrev_b16 v41, 8, v41
	v_sub_nc_u16 v42, v42, v43
	v_lshrrev_b16 v43, 8, v27
	v_sub_nc_u16 v27, v27, v36
	v_lshrrev_b16 v36, 8, v36
	v_lshrrev_b32_e32 v44, 24, v38
	v_lshrrev_b32_e32 v45, 16, v38
	s_delay_alu instid0(VALU_DEP_3) | instskip(SKIP_2) | instid1(VALU_DEP_3)
	v_sub_nc_u16 v36, v43, v36
	v_bfe_u32 v43, v29, 24, 2
	v_and_b32_e32 v29, 0x3030303, v29
	v_lshlrev_b16 v36, 8, v36
	s_delay_alu instid0(VALU_DEP_3) | instskip(NEXT) | instid1(VALU_DEP_3)
	v_sub_nc_u16 v43, v43, v44
	v_lshrrev_b32_e32 v44, 16, v29
	s_delay_alu instid0(VALU_DEP_2) | instskip(NEXT) | instid1(VALU_DEP_2)
	v_lshlrev_b16 v43, 8, v43
	v_sub_nc_u16 v44, v44, v45
	v_lshrrev_b16 v45, 8, v29
	v_sub_nc_u16 v29, v29, v38
	v_lshrrev_b16 v38, 8, v38
	s_delay_alu instid0(VALU_DEP_1) | instskip(SKIP_2) | instid1(VALU_DEP_3)
	v_sub_nc_u16 v38, v45, v38
	v_bfe_u32 v45, v32, 24, 2
	v_and_b32_e32 v32, 0x3030303, v32
	v_lshlrev_b16 v38, 8, v38
	s_delay_alu instid0(VALU_DEP_3) | instskip(NEXT) | instid1(VALU_DEP_3)
	v_sub_nc_u16 v45, v45, v46
	v_lshrrev_b32_e32 v46, 16, v32
	s_delay_alu instid0(VALU_DEP_2) | instskip(NEXT) | instid1(VALU_DEP_2)
	v_lshlrev_b16 v45, 8, v45
	v_sub_nc_u16 v46, v46, v144
	v_lshrrev_b16 v144, 8, v32
	v_sub_nc_u16 v32, v32, v39
	v_lshrrev_b16 v39, 8, v39
	s_delay_alu instid0(VALU_DEP_1) | instskip(SKIP_2) | instid1(VALU_DEP_3)
	v_sub_nc_u16 v39, v144, v39
	v_bfe_u32 v144, v34, 24, 2
	v_and_b32_e32 v34, 0x3030303, v34
	v_lshlrev_b16 v39, 8, v39
	s_delay_alu instid0(VALU_DEP_3) | instskip(NEXT) | instid1(VALU_DEP_3)
	v_sub_nc_u16 v144, v144, v149
	v_lshrrev_b32_e32 v149, 16, v34
	s_delay_alu instid0(VALU_DEP_2) | instskip(NEXT) | instid1(VALU_DEP_2)
	v_lshlrev_b16 v144, 8, v144
	v_sub_nc_u16 v149, v149, v150
	v_lshrrev_b16 v150, 8, v34
	v_sub_nc_u16 v34, v34, v40
	v_lshrrev_b16 v40, 8, v40
	s_delay_alu instid0(VALU_DEP_1) | instskip(SKIP_1) | instid1(VALU_DEP_2)
	v_sub_nc_u16 v40, v150, v40
	v_and_b32_e32 v150, 0xff, v42
	v_lshlrev_b16 v40, 8, v40
	s_delay_alu instid0(VALU_DEP_2) | instskip(SKIP_1) | instid1(VALU_DEP_2)
	v_or_b32_e32 v41, v150, v41
	v_and_b32_e32 v150, 0xff, v27
	v_perm_b32 v27, v27, v41, 0x4010c0c
	s_delay_alu instid0(VALU_DEP_2) | instskip(SKIP_2) | instid1(VALU_DEP_3)
	v_or_b32_e32 v36, v150, v36
	v_and_b32_e32 v150, 0xff, v44
	v_lshrrev_b32_e32 v41, 16, v7
	v_perm_b32 v36, v42, v36, 0xc0c0401
	s_delay_alu instid0(VALU_DEP_3) | instskip(SKIP_1) | instid1(VALU_DEP_3)
	v_or_b32_e32 v43, v150, v43
	v_and_b32_e32 v150, 0xff, v29
	v_or_b32_e32 v27, v27, v36
	s_delay_alu instid0(VALU_DEP_3) | instskip(NEXT) | instid1(VALU_DEP_3)
	v_perm_b32 v29, v29, v43, 0x4010c0c
	v_or_b32_e32 v38, v150, v38
	v_and_b32_e32 v150, 0xff, v46
	v_lshrrev_b32_e32 v36, 24, v3
	v_dot4_i32_iu8 v27, v27, v143, v31 neg_lo:[1,1,0]
	s_delay_alu instid0(VALU_DEP_4) | instskip(NEXT) | instid1(VALU_DEP_4)
	v_perm_b32 v38, v44, v38, 0xc0c0401
	v_or_b32_e32 v45, v150, v45
	v_and_b32_e32 v150, 0xff, v32
	s_delay_alu instid0(VALU_DEP_3) | instskip(NEXT) | instid1(VALU_DEP_3)
	v_or_b32_e32 v29, v29, v38
	v_perm_b32 v32, v32, v45, 0x4010c0c
	s_delay_alu instid0(VALU_DEP_3) | instskip(SKIP_1) | instid1(VALU_DEP_4)
	v_or_b32_e32 v39, v150, v39
	v_and_b32_e32 v150, 0xff, v149
	v_dot4_i32_iu8 v29, v29, v143, v33 neg_lo:[1,1,0]
	v_ashrrev_i32_e32 v33, s6, v151
	s_delay_alu instid0(VALU_DEP_4) | instskip(NEXT) | instid1(VALU_DEP_4)
	v_perm_b32 v39, v46, v39, 0xc0c0401
	v_or_b32_e32 v144, v150, v144
	v_and_b32_e32 v150, 0xff, v34
	s_delay_alu instid0(VALU_DEP_4) | instskip(NEXT) | instid1(VALU_DEP_4)
	v_lshlrev_b32_e32 v33, 2, v33
	v_or_b32_e32 v32, v32, v39
	s_delay_alu instid0(VALU_DEP_4) | instskip(NEXT) | instid1(VALU_DEP_4)
	v_perm_b32 v34, v34, v144, 0x4010c0c
	v_or_b32_e32 v40, v150, v40
	s_delay_alu instid0(VALU_DEP_4) | instskip(NEXT) | instid1(VALU_DEP_4)
	v_and_b32_e32 v33, 0x4040404, v33
	v_dot4_i32_iu8 v31, v32, v143, v35 neg_lo:[1,1,0]
	v_bfe_u32 v35, v28, 24, 2
	s_delay_alu instid0(VALU_DEP_4)
	v_perm_b32 v40, v149, v40, 0xc0c0401
	v_and_b32_e32 v28, 0x3030303, v28
	v_lshrrev_b32_e32 v38, 24, v33
	v_lshrrev_b32_e32 v39, 16, v33
	v_sub_nc_u16 v35, v35, v36
	v_or_b32_e32 v34, v34, v40
	v_lshrrev_b32_e32 v36, 16, v28
	v_lshrrev_b32_e32 v40, 24, v7
	s_delay_alu instid0(VALU_DEP_4) | instskip(NEXT) | instid1(VALU_DEP_4)
	v_lshlrev_b16 v35, 8, v35
	v_dot4_i32_iu8 v32, v34, v143, v37 neg_lo:[1,1,0]
	v_lshrrev_b32_e32 v37, 16, v3
	v_ashrrev_i32_e32 v34, s6, v155
	s_add_i32 s6, s6, 1
	s_cmp_lt_u32 s20, 30
	s_delay_alu instid0(VALU_DEP_2) | instskip(SKIP_4) | instid1(VALU_DEP_2)
	v_sub_nc_u16 v36, v36, v37
	v_lshrrev_b16 v37, 8, v28
	v_sub_nc_u16 v28, v28, v3
	v_lshrrev_b16 v3, 8, v3
	v_lshlrev_b32_e32 v34, 2, v34
	v_sub_nc_u16 v3, v37, v3
	v_bfe_u32 v37, v5, 24, 2
	v_and_b32_e32 v5, 0x3030303, v5
	s_delay_alu instid0(VALU_DEP_4) | instskip(NEXT) | instid1(VALU_DEP_4)
	v_and_b32_e32 v34, 0x4040404, v34
	v_lshlrev_b16 v3, 8, v3
	s_delay_alu instid0(VALU_DEP_4) | instskip(NEXT) | instid1(VALU_DEP_4)
	v_sub_nc_u16 v37, v37, v38
	v_lshrrev_b32_e32 v38, 16, v5
	s_delay_alu instid0(VALU_DEP_4) | instskip(SKIP_1) | instid1(VALU_DEP_4)
	v_lshrrev_b32_e32 v42, 24, v34
	v_lshrrev_b32_e32 v43, 16, v34
	v_lshlrev_b16 v37, 8, v37
	s_delay_alu instid0(VALU_DEP_4) | instskip(SKIP_3) | instid1(VALU_DEP_1)
	v_sub_nc_u16 v38, v38, v39
	v_lshrrev_b16 v39, 8, v5
	v_sub_nc_u16 v5, v5, v33
	v_lshrrev_b16 v33, 8, v33
	v_sub_nc_u16 v33, v39, v33
	v_bfe_u32 v39, v1, 24, 2
	v_and_b32_e32 v1, 0x3030303, v1
	s_delay_alu instid0(VALU_DEP_3) | instskip(NEXT) | instid1(VALU_DEP_3)
	v_lshlrev_b16 v33, 8, v33
	v_sub_nc_u16 v39, v39, v40
	s_delay_alu instid0(VALU_DEP_3) | instskip(NEXT) | instid1(VALU_DEP_2)
	v_lshrrev_b32_e32 v40, 16, v1
	v_lshlrev_b16 v39, 8, v39
	s_delay_alu instid0(VALU_DEP_2) | instskip(SKIP_3) | instid1(VALU_DEP_1)
	v_sub_nc_u16 v40, v40, v41
	v_lshrrev_b16 v41, 8, v1
	v_sub_nc_u16 v1, v1, v7
	v_lshrrev_b16 v7, 8, v7
	v_sub_nc_u16 v7, v41, v7
	v_bfe_u32 v41, v30, 24, 2
	v_and_b32_e32 v30, 0x3030303, v30
	s_delay_alu instid0(VALU_DEP_3) | instskip(NEXT) | instid1(VALU_DEP_3)
	v_lshlrev_b16 v7, 8, v7
	v_sub_nc_u16 v41, v41, v42
	s_delay_alu instid0(VALU_DEP_3) | instskip(NEXT) | instid1(VALU_DEP_2)
	v_lshrrev_b32_e32 v42, 16, v30
	v_lshlrev_b16 v41, 8, v41
	s_delay_alu instid0(VALU_DEP_2) | instskip(SKIP_3) | instid1(VALU_DEP_1)
	v_sub_nc_u16 v42, v42, v43
	v_lshrrev_b16 v43, 8, v30
	v_sub_nc_u16 v30, v30, v34
	v_lshrrev_b16 v34, 8, v34
	v_sub_nc_u16 v34, v43, v34
	v_and_b32_e32 v43, 0xff, v36
	s_delay_alu instid0(VALU_DEP_2) | instskip(NEXT) | instid1(VALU_DEP_2)
	v_lshlrev_b16 v34, 8, v34
	v_or_b32_e32 v35, v43, v35
	v_and_b32_e32 v43, 0xff, v28
	s_delay_alu instid0(VALU_DEP_2) | instskip(NEXT) | instid1(VALU_DEP_2)
	v_perm_b32 v28, v28, v35, 0x4010c0c
	v_or_b32_e32 v3, v43, v3
	v_and_b32_e32 v43, 0xff, v38
	s_delay_alu instid0(VALU_DEP_2) | instskip(NEXT) | instid1(VALU_DEP_2)
	v_perm_b32 v3, v36, v3, 0xc0c0401
	v_or_b32_e32 v37, v43, v37
	v_and_b32_e32 v43, 0xff, v5
	s_delay_alu instid0(VALU_DEP_3) | instskip(NEXT) | instid1(VALU_DEP_3)
	v_or_b32_e32 v3, v28, v3
	v_perm_b32 v5, v5, v37, 0x4010c0c
	s_delay_alu instid0(VALU_DEP_3) | instskip(SKIP_1) | instid1(VALU_DEP_2)
	v_or_b32_e32 v33, v43, v33
	v_and_b32_e32 v43, 0xff, v40
	v_perm_b32 v33, v38, v33, 0xc0c0401
	s_delay_alu instid0(VALU_DEP_2) | instskip(SKIP_1) | instid1(VALU_DEP_3)
	v_or_b32_e32 v39, v43, v39
	v_and_b32_e32 v43, 0xff, v1
	v_or_b32_e32 v5, v5, v33
	s_delay_alu instid0(VALU_DEP_3) | instskip(NEXT) | instid1(VALU_DEP_3)
	v_perm_b32 v1, v1, v39, 0x4010c0c
	v_or_b32_e32 v7, v43, v7
	v_and_b32_e32 v43, 0xff, v42
	v_dot4_i32_iu8 v33, v3, v140, v2 neg_lo:[1,1,0]
	v_dot4_i32_iu8 v35, v5, v140, v4 neg_lo:[1,1,0]
	v_bfe_i32 v4, v146, 0, 8
	v_perm_b32 v7, v40, v7, 0xc0c0401
	v_or_b32_e32 v41, v43, v41
	v_and_b32_e32 v43, 0xff, v30
	v_bfe_i32 v5, v148, 0, 8
	s_delay_alu instid0(VALU_DEP_4) | instskip(NEXT) | instid1(VALU_DEP_4)
	v_or_b32_e32 v1, v1, v7
	v_perm_b32 v30, v30, v41, 0x4010c0c
	s_delay_alu instid0(VALU_DEP_4) | instskip(SKIP_1) | instid1(VALU_DEP_4)
	v_or_b32_e32 v34, v43, v34
	v_add_nc_u32_e32 v7, s25, v124
	v_dot4_i32_iu8 v36, v1, v140, v0 neg_lo:[1,1,0]
	s_delay_alu instid0(VALU_DEP_3) | instskip(NEXT) | instid1(VALU_DEP_1)
	v_perm_b32 v34, v42, v34, 0xc0c0401
	v_or_b32_e32 v28, v30, v34
	v_add_nc_u32_e32 v30, s25, v122
	ds_load_u16 v7, v7 offset:25330
	ds_load_u16 v30, v30 offset:27378
	ds_load_b32 v34, v139
	v_dot4_i32_iu8 v28, v28, v140, v6 neg_lo:[1,1,0]
	v_add_nc_u32_e32 v139, 4, v139
	s_mov_b32 s25, s20
	s_waitcnt lgkmcnt(2)
	v_bfe_i32 v1, v7, 0, 8
	s_waitcnt lgkmcnt(1)
	v_lshrrev_b16 v0, 8, v30
	v_bfe_i32 v3, v30, 0, 8
	v_lshrrev_b16 v2, 8, v7
	s_delay_alu instid0(VALU_DEP_3) | instskip(SKIP_1) | instid1(VALU_DEP_3)
	v_bfe_i32 v30, v0, 0, 8
	v_lshrrev_b16 v0, 8, v146
	v_bfe_i32 v7, v2, 0, 8
	v_lshrrev_b16 v2, 8, v148
	s_delay_alu instid0(VALU_DEP_3) | instskip(SKIP_2) | instid1(VALU_DEP_4)
	v_bfe_i32 v37, v0, 0, 8
	v_mul_lo_u32 v0, v27, v1
	v_mul_lo_u32 v1, v29, v4
	v_bfe_i32 v38, v2, 0, 8
	v_mul_lo_u32 v2, v31, v3
	v_mul_lo_u32 v3, v32, v5
	s_delay_alu instid0(VALU_DEP_4) | instskip(NEXT) | instid1(VALU_DEP_3)
	v_mad_u64_u32 v[4:5], null, v33, v7, v[0:1]
	v_mad_u64_u32 v[5:6], null, v35, v37, v[1:2]
	s_delay_alu instid0(VALU_DEP_3)
	v_mad_u64_u32 v[0:1], null, v36, v30, v[2:3]
	s_waitcnt lgkmcnt(0)
	v_mul_f32_e32 v6, v34, v145
	v_mul_f32_e32 v7, v34, v147
	v_mad_u64_u32 v[1:2], null, v28, v38, v[3:4]
	v_mul_f32_e32 v2, v34, v141
	v_mul_f32_e32 v3, v34, v142
	v_cvt_f32_i32_e32 v4, v4
	v_cvt_f32_i32_e32 v5, v5
	;; [unrolled: 1-line block ×4, first 2 shown]
	s_delay_alu instid0(VALU_DEP_4) | instskip(NEXT) | instid1(VALU_DEP_4)
	v_fmac_f32_e32 v49, v2, v4
	v_fmac_f32_e32 v97, v6, v5
	s_delay_alu instid0(VALU_DEP_4) | instskip(NEXT) | instid1(VALU_DEP_4)
	v_fmac_f32_e32 v89, v3, v0
	v_fmac_f32_e32 v24, v7, v1
	s_cbranch_scc1 .LBB230_36
; %bb.37:                               ;   in Loop: Header=BB230_5 Depth=1
	s_barrier
	buffer_gl0_inv
	s_branch .LBB230_4
.LBB230_38:
	s_mul_i32 s0, s10, s7
	s_waitcnt vmcnt(0)
	v_cmp_gt_i32_e32 vcc_lo, s0, v47
	s_and_saveexec_b32 s0, vcc_lo
	s_cbranch_execz .LBB230_47
; %bb.39:
	v_mul_lo_u32 v0, v47, s9
	v_add_nc_u32_e32 v1, s11, v48
	s_mov_b32 s0, exec_lo
	s_delay_alu instid0(VALU_DEP_1)
	v_cmpx_gt_u32_e64 s9, v1
	s_cbranch_execz .LBB230_41
; %bb.40:
	v_bfe_u32 v3, v49, 16, 1
	s_delay_alu instid0(VALU_DEP_4) | instskip(SKIP_1) | instid1(VALU_DEP_3)
	v_add_nc_u32_e32 v2, v0, v1
	v_cmp_o_f32_e32 vcc_lo, v49, v49
	v_add3_u32 v4, v49, v3, 0x7fff
	v_mov_b32_e32 v3, 0
	s_delay_alu instid0(VALU_DEP_2) | instskip(NEXT) | instid1(VALU_DEP_2)
	v_lshrrev_b32_e32 v4, 16, v4
	v_lshlrev_b64 v[2:3], 1, v[2:3]
	s_delay_alu instid0(VALU_DEP_2) | instskip(NEXT) | instid1(VALU_DEP_2)
	v_cndmask_b32_e32 v4, 0x7fc0, v4, vcc_lo
	v_add_co_u32 v2, vcc_lo, s12, v2
	s_delay_alu instid0(VALU_DEP_3)
	v_add_co_ci_u32_e32 v3, vcc_lo, s13, v3, vcc_lo
	global_store_b16 v[2:3], v4, off
.LBB230_41:
	s_or_b32 exec_lo, exec_lo, s0
	v_add_nc_u32_e32 v2, 32, v1
	s_mov_b32 s0, exec_lo
	s_delay_alu instid0(VALU_DEP_1)
	v_cmpx_gt_u32_e64 s9, v2
	s_cbranch_execz .LBB230_43
; %bb.42:
	v_bfe_u32 v3, v97, 16, 1
	v_add_nc_u32_e32 v2, v0, v2
	v_cmp_o_f32_e32 vcc_lo, v97, v97
	s_delay_alu instid0(VALU_DEP_3) | instskip(SKIP_1) | instid1(VALU_DEP_2)
	v_add3_u32 v4, v97, v3, 0x7fff
	v_mov_b32_e32 v3, 0
	v_lshrrev_b32_e32 v4, 16, v4
	s_delay_alu instid0(VALU_DEP_2) | instskip(NEXT) | instid1(VALU_DEP_2)
	v_lshlrev_b64 v[2:3], 1, v[2:3]
	v_cndmask_b32_e32 v4, 0x7fc0, v4, vcc_lo
	s_delay_alu instid0(VALU_DEP_2) | instskip(NEXT) | instid1(VALU_DEP_3)
	v_add_co_u32 v2, vcc_lo, s12, v2
	v_add_co_ci_u32_e32 v3, vcc_lo, s13, v3, vcc_lo
	global_store_b16 v[2:3], v4, off
.LBB230_43:
	s_or_b32 exec_lo, exec_lo, s0
	v_add_nc_u32_e32 v2, 64, v1
	s_mov_b32 s0, exec_lo
	s_delay_alu instid0(VALU_DEP_1)
	v_cmpx_gt_u32_e64 s9, v2
	s_cbranch_execz .LBB230_45
; %bb.44:
	v_bfe_u32 v3, v89, 16, 1
	v_add_nc_u32_e32 v2, v0, v2
	v_cmp_o_f32_e32 vcc_lo, v89, v89
	s_delay_alu instid0(VALU_DEP_3) | instskip(SKIP_1) | instid1(VALU_DEP_2)
	v_add3_u32 v4, v89, v3, 0x7fff
	v_mov_b32_e32 v3, 0
	v_lshrrev_b32_e32 v4, 16, v4
	s_delay_alu instid0(VALU_DEP_2) | instskip(NEXT) | instid1(VALU_DEP_2)
	v_lshlrev_b64 v[2:3], 1, v[2:3]
	v_cndmask_b32_e32 v4, 0x7fc0, v4, vcc_lo
	s_delay_alu instid0(VALU_DEP_2) | instskip(NEXT) | instid1(VALU_DEP_3)
	v_add_co_u32 v2, vcc_lo, s12, v2
	v_add_co_ci_u32_e32 v3, vcc_lo, s13, v3, vcc_lo
	global_store_b16 v[2:3], v4, off
.LBB230_45:
	s_or_b32 exec_lo, exec_lo, s0
	v_add_nc_u32_e32 v1, 0x60, v1
	s_delay_alu instid0(VALU_DEP_1)
	v_cmp_gt_u32_e32 vcc_lo, s9, v1
	s_and_b32 exec_lo, exec_lo, vcc_lo
	s_cbranch_execz .LBB230_47
; %bb.46:
	v_bfe_u32 v2, v24, 16, 1
	v_dual_mov_b32 v1, 0 :: v_dual_add_nc_u32 v0, v0, v1
	v_cmp_o_f32_e32 vcc_lo, v24, v24
	s_delay_alu instid0(VALU_DEP_3) | instskip(NEXT) | instid1(VALU_DEP_3)
	v_add3_u32 v2, v24, v2, 0x7fff
	v_lshlrev_b64 v[0:1], 1, v[0:1]
	s_delay_alu instid0(VALU_DEP_2) | instskip(NEXT) | instid1(VALU_DEP_1)
	v_lshrrev_b32_e32 v2, 16, v2
	v_cndmask_b32_e32 v2, 0x7fc0, v2, vcc_lo
	s_delay_alu instid0(VALU_DEP_3) | instskip(NEXT) | instid1(VALU_DEP_4)
	v_add_co_u32 v0, vcc_lo, s12, v0
	v_add_co_ci_u32_e32 v1, vcc_lo, s13, v1, vcc_lo
	global_store_b16 v[0:1], v2, off
.LBB230_47:
	s_nop 0
	s_sendmsg sendmsg(MSG_DEALLOC_VGPRS)
	s_endpgm
	.section	.rodata,"a",@progbits
	.p2align	6, 0x0
	.amdhsa_kernel _ZL8moe_q3_KIN3c108BFloat16ELb1EEvPKvS3_PT_PKiS7_S7_iiiiiii
		.amdhsa_group_segment_fixed_size 31776
		.amdhsa_private_segment_fixed_size 0
		.amdhsa_kernarg_size 76
		.amdhsa_user_sgpr_count 14
		.amdhsa_user_sgpr_dispatch_ptr 0
		.amdhsa_user_sgpr_queue_ptr 0
		.amdhsa_user_sgpr_kernarg_segment_ptr 1
		.amdhsa_user_sgpr_dispatch_id 0
		.amdhsa_user_sgpr_private_segment_size 0
		.amdhsa_wavefront_size32 1
		.amdhsa_uses_dynamic_stack 0
		.amdhsa_enable_private_segment 0
		.amdhsa_system_sgpr_workgroup_id_x 1
		.amdhsa_system_sgpr_workgroup_id_y 1
		.amdhsa_system_sgpr_workgroup_id_z 0
		.amdhsa_system_sgpr_workgroup_info 0
		.amdhsa_system_vgpr_workitem_id 1
		.amdhsa_next_free_vgpr 195
		.amdhsa_next_free_sgpr 31
		.amdhsa_reserve_vcc 1
		.amdhsa_float_round_mode_32 0
		.amdhsa_float_round_mode_16_64 0
		.amdhsa_float_denorm_mode_32 3
		.amdhsa_float_denorm_mode_16_64 3
		.amdhsa_dx10_clamp 1
		.amdhsa_ieee_mode 1
		.amdhsa_fp16_overflow 0
		.amdhsa_workgroup_processor_mode 1
		.amdhsa_memory_ordered 1
		.amdhsa_forward_progress 0
		.amdhsa_shared_vgpr_count 0
		.amdhsa_exception_fp_ieee_invalid_op 0
		.amdhsa_exception_fp_denorm_src 0
		.amdhsa_exception_fp_ieee_div_zero 0
		.amdhsa_exception_fp_ieee_overflow 0
		.amdhsa_exception_fp_ieee_underflow 0
		.amdhsa_exception_fp_ieee_inexact 0
		.amdhsa_exception_int_div_zero 0
	.end_amdhsa_kernel
	.section	.text._ZL8moe_q3_KIN3c108BFloat16ELb1EEvPKvS3_PT_PKiS7_S7_iiiiiii,"axG",@progbits,_ZL8moe_q3_KIN3c108BFloat16ELb1EEvPKvS3_PT_PKiS7_S7_iiiiiii,comdat
.Lfunc_end230:
	.size	_ZL8moe_q3_KIN3c108BFloat16ELb1EEvPKvS3_PT_PKiS7_S7_iiiiiii, .Lfunc_end230-_ZL8moe_q3_KIN3c108BFloat16ELb1EEvPKvS3_PT_PKiS7_S7_iiiiiii
                                        ; -- End function
	.section	.AMDGPU.csdata,"",@progbits
; Kernel info:
; codeLenInByte = 34144
; NumSgprs: 33
; NumVgprs: 195
; ScratchSize: 0
; MemoryBound: 0
; FloatMode: 240
; IeeeMode: 1
; LDSByteSize: 31776 bytes/workgroup (compile time only)
; SGPRBlocks: 4
; VGPRBlocks: 24
; NumSGPRsForWavesPerEU: 33
; NumVGPRsForWavesPerEU: 195
; Occupancy: 7
; WaveLimiterHint : 1
; COMPUTE_PGM_RSRC2:SCRATCH_EN: 0
; COMPUTE_PGM_RSRC2:USER_SGPR: 14
; COMPUTE_PGM_RSRC2:TRAP_HANDLER: 0
; COMPUTE_PGM_RSRC2:TGID_X_EN: 1
; COMPUTE_PGM_RSRC2:TGID_Y_EN: 1
; COMPUTE_PGM_RSRC2:TGID_Z_EN: 0
; COMPUTE_PGM_RSRC2:TIDIG_COMP_CNT: 1
	.section	.text._ZL8moe_q4_KIN3c108BFloat16ELb0EEvPKvS3_PT_PKiS7_S7_iiiiiii,"axG",@progbits,_ZL8moe_q4_KIN3c108BFloat16ELb0EEvPKvS3_PT_PKiS7_S7_iiiiiii,comdat
	.globl	_ZL8moe_q4_KIN3c108BFloat16ELb0EEvPKvS3_PT_PKiS7_S7_iiiiiii ; -- Begin function _ZL8moe_q4_KIN3c108BFloat16ELb0EEvPKvS3_PT_PKiS7_S7_iiiiiii
	.p2align	8
	.type	_ZL8moe_q4_KIN3c108BFloat16ELb0EEvPKvS3_PT_PKiS7_S7_iiiiiii,@function
_ZL8moe_q4_KIN3c108BFloat16ELb0EEvPKvS3_PT_PKiS7_S7_iiiiiii: ; @_ZL8moe_q4_KIN3c108BFloat16ELb0EEvPKvS3_PT_PKiS7_S7_iiiiiii
; %bb.0:
	s_load_b128 s[4:7], s[0:1], 0x18
	s_mov_b32 s2, s15
	s_mov_b32 s3, 0
	s_delay_alu instid0(SALU_CYCLE_1)
	s_lshl_b64 s[8:9], s[2:3], 2
	s_waitcnt lgkmcnt(0)
	s_add_u32 s6, s6, s8
	s_addc_u32 s7, s7, s9
	s_load_b32 s12, s[6:7], 0x0
	s_waitcnt lgkmcnt(0)
	s_cmpk_gt_u32 s12, 0xff
	s_cbranch_scc1 .LBB231_33
; %bb.1:
	s_load_b64 s[6:7], s[0:1], 0x28
	s_lshl_b32 s2, s2, 3
	s_waitcnt lgkmcnt(0)
	s_load_b32 s3, s[6:7], 0x0
	s_waitcnt lgkmcnt(0)
	s_cmp_gt_u32 s2, s3
	s_cbranch_scc1 .LBB231_33
; %bb.2:
	v_bfe_u32 v1, v0, 10, 10
	v_mov_b32_e32 v4, 0
	s_lshl_b32 s16, s14, 7
	s_mov_b32 s17, 0
	s_delay_alu instid0(VALU_DEP_2) | instskip(NEXT) | instid1(VALU_DEP_2)
	v_add_nc_u32_e32 v3, s2, v1
	v_dual_mov_b32 v19, v4 :: v_dual_and_b32 v0, 0x3ff, v0
	v_mov_b32_e32 v50, v4
	v_mov_b32_e32 v60, v4
	s_delay_alu instid0(VALU_DEP_4) | instskip(NEXT) | instid1(VALU_DEP_1)
	v_lshlrev_b64 v[2:3], 2, v[3:4]
	v_add_co_u32 v2, vcc_lo, s4, v2
	s_delay_alu instid0(VALU_DEP_2)
	v_add_co_ci_u32_e32 v3, vcc_lo, s5, v3, vcc_lo
	global_load_b32 v13, v[2:3], off
	s_clause 0x2
	s_load_b64 s[10:11], s[0:1], 0x30
	s_load_b64 s[8:9], s[0:1], 0x10
	s_load_b128 s[4:7], s[0:1], 0x3c
	scratch_store_b32 off, v0, off offset:124 ; 4-byte Folded Spill
	s_waitcnt lgkmcnt(0)
	s_cmpk_lt_i32 s11, 0x100
	s_cbranch_scc1 .LBB231_24
; %bb.3:
	scratch_load_b32 v14, off, off offset:124 ; 4-byte Folded Reload
	s_load_b128 s[0:3], s[0:1], 0x0
	s_ashr_i32 s14, s11, 31
	s_mul_i32 s18, s12, s10
	s_lshr_b32 s10, s14, 24
	s_ashr_i32 s15, s5, 31
	s_add_i32 s10, s11, s10
	s_lshr_b32 s14, s15, 27
	s_ashr_i32 s10, s10, 8
	s_add_i32 s5, s5, s14
	s_mul_i32 s14, s10, s16
	s_ashr_i32 s15, s18, 31
	s_ashr_i32 s5, s5, 5
	v_dual_mov_b32 v19, 0 :: v_dual_lshlrev_b32 v0, 3, v1
	s_mul_hi_i32 s19, s14, 0x90
	s_mulk_i32 s14, 0x90
	s_waitcnt vmcnt(1)
	v_sub_nc_u32_e32 v4, 0, v13
	s_movk_i32 s12, 0x1080
	s_movk_i32 s13, 0x2100
	v_mul_i32_i24_e32 v43, s10, v1
	s_waitcnt lgkmcnt(0)
	s_add_u32 s0, s0, s18
	s_addc_u32 s1, s1, s15
	s_add_u32 s18, s0, s14
	s_addc_u32 s19, s1, s19
	s_abs_i32 s15, s7
	s_lshl_b32 s14, s10, 3
	s_sub_i32 s0, 0, s15
	v_mad_i32_i24 v27, s10, v1, s14
	s_movk_i32 s1, 0x3180
	v_mov_b32_e32 v50, 0
	v_mov_b32_e32 v60, 0
	scratch_store_b32 off, v13, off offset:164 ; 4-byte Folded Spill
	s_waitcnt vmcnt(0)
	v_lshrrev_b32_e32 v2, 2, v14
	v_and_b32_e32 v3, 3, v14
	v_lshrrev_b32_e32 v24, 5, v14
	v_mad_u32_u24 v78, 0x84, v14, s1
	v_lshrrev_b32_e32 v68, 3, v14
	v_add_nc_u32_e32 v5, v2, v0
	v_add_nc_u16 v0, v2, v0
	v_max_i32_e32 v2, v13, v4
	v_cvt_f32_u32_e32 v4, s15
	v_add_nc_u32_e32 v6, 0xfe, v3
	v_cmp_gt_u32_e32 vcc_lo, 2, v3
	v_lshlrev_b32_e32 v23, 5, v1
	v_lshlrev_b32_e32 v9, 2, v3
	v_rcp_iflag_f32_e32 v4, v4
	v_dual_cndmask_b32 v6, v6, v3 :: v_dual_lshlrev_b32 v21, 2, v14
	v_cmp_lt_u32_e32 vcc_lo, 1, v3
	v_add_nc_u32_e32 v7, v23, v14
	v_and_b32_e32 v5, 0x7f, v5
	v_lshrrev_b16 v0, 1, v0
	v_and_b32_e32 v6, 0xff, v6
	v_mul_u32_u24_e32 v75, 0x84, v14
	v_and_b32_e32 v10, 0x7f, v7
	s_delay_alu instid0(TRANS32_DEP_1)
	v_mul_f32_e32 v4, 0x4f7ffffe, v4
	v_and_b32_e32 v8, 4, v21
	v_add_nc_u32_e32 v28, s14, v27
	v_lshrrev_b32_e32 v11, 3, v7
	v_mul_i32_i24_e32 v42, s10, v10
	v_cvt_u32_f32_e32 v4, v4
	v_dual_cndmask_b32 v37, 0, v8 :: v_dual_lshlrev_b32 v10, 2, v10
	s_delay_alu instid0(VALU_DEP_4) | instskip(SKIP_1) | instid1(VALU_DEP_4)
	v_and_b32_e32 v11, 12, v11
	v_xor_b32_e32 v12, 64, v5
	v_mul_lo_u32 v8, s0, v4
	v_and_b32_e32 v0, 60, v0
	v_cmp_ne_u32_e64 s0, 0, v3
	v_add3_u32 v45, v10, v11, 0x4e40
	v_lshl_or_b32 v10, v5, 4, v9
	v_lshrrev_b32_e32 v11, 1, v12
	v_mul_i32_i24_e32 v49, s10, v5
	v_lshl_or_b32 v5, v12, 4, v9
	v_mul_hi_u32 v8, v4, v8
	v_add3_u32 v55, v10, v0, 0x4200
	v_and_b32_e32 v0, 28, v21
	v_add_co_ci_u32_e64 v3, s0, 0, v6, s0
	v_lshlrev_b32_e32 v47, 1, v6
	v_and_b32_e32 v6, 60, v11
	v_and_or_b32 v10, v14, 31, v23
	v_add_nc_u32_e32 v4, v4, v8
	v_add_co_u32 v11, s0, s2, v0
	v_mad_i32_i24 v0, 0xffffffe4, v1, v7
	v_mul_i32_i24_e32 v57, s10, v12
	s_delay_alu instid0(VALU_DEP_4)
	v_mul_hi_u32 v4, v2, v4
	v_add3_u32 v5, v5, v6, 0x4200
	v_add_co_ci_u32_e64 v12, null, s3, 0, s0
	v_lshl_add_u32 v6, v10, 2, 0x4a40
	v_lshl_add_u32 v0, v0, 2, 0x5050
	v_cndmask_b32_e64 v8, 0, 1, vcc_lo
	scratch_store_b64 off, v[11:12], off offset:128 ; 8-byte Folded Spill
	v_mul_lo_u32 v9, v4, s15
	s_clause 0x1
	scratch_store_b32 off, v6, off offset:136
	scratch_store_b32 off, v0, off offset:156
	v_add_nc_u32_e32 v7, 1, v4
	v_add_nc_u32_e32 v10, 32, v14
	;; [unrolled: 1-line block ×4, first 2 shown]
	v_mad_u32_u24 v53, 0x84, v1, v21
	v_sub_nc_u32_e32 v2, v2, v9
	v_lshrrev_b32_e32 v6, 3, v10
	v_add_nc_u32_e32 v39, s14, v36
	v_xor_b32_e32 v9, s7, v13
	v_lshlrev_b32_e32 v10, 2, v10
	v_subrev_nc_u32_e32 v0, s15, v2
	v_cmp_le_u32_e32 vcc_lo, s15, v2
	v_and_b32_e32 v31, 0x7c, v21
	v_ashrrev_i32_e32 v9, 31, v9
	v_add_nc_u32_e32 v48, 0x420, v53
	v_add_nc_u32_e32 v52, 0x840, v53
	v_cndmask_b32_e32 v0, v2, v0, vcc_lo
	v_dual_cndmask_b32 v4, v4, v7 :: v_dual_lshlrev_b32 v7, 2, v24
	v_add_nc_u32_e32 v54, 0xc60, v53
	v_add_nc_u32_e32 v56, 0x1080, v53
	s_delay_alu instid0(VALU_DEP_4) | instskip(NEXT) | instid1(VALU_DEP_4)
	v_cmp_le_u32_e32 vcc_lo, s15, v0
	v_add_nc_u32_e32 v2, 1, v4
	v_add_nc_u32_e32 v58, 0x14a0, v53
	;; [unrolled: 1-line block ×4, first 2 shown]
	s_delay_alu instid0(VALU_DEP_4)
	v_dual_cndmask_b32 v0, v4, v2 :: v_dual_add_nc_u32 v17, 0x2100, v53
	v_add3_u32 v4, v7, v21, 0x4e40
	v_and_b32_e32 v7, 60, v6
	v_add_nc_u32_e32 v2, 0x60, v14
	v_add_nc_u32_e32 v18, 0x2520, v53
	v_xor_b32_e32 v0, v0, v9
	v_add_nc_u32_e32 v22, 0x2940, v53
	v_add3_u32 v7, v21, v7, 0x4e40
	scratch_store_b32 off, v4, off          ; 4-byte Folded Spill
	v_lshrrev_b32_e32 v4, 3, v11
	v_lshrrev_b32_e32 v12, 3, v2
	v_sub_nc_u32_e32 v0, v0, v9
	v_lshlrev_b32_e32 v9, 2, v11
	v_lshlrev_b32_e32 v2, 2, v2
	v_and_b32_e32 v13, 60, v4
	v_dual_mov_b32 v4, 0 :: v_dual_lshlrev_b32 v85, 2, v4
	v_add_nc_u32_e32 v51, s14, v39
	v_cmp_gt_i32_e64 s1, s4, v0
	s_delay_alu instid0(VALU_DEP_4)
	v_add3_u32 v11, v21, v13, 0x4e40
	scratch_store_b32 off, v7, off offset:4 ; 4-byte Folded Spill
	v_and_b32_e32 v7, 60, v12
	v_add_nc_u32_e32 v26, s14, v51
	v_add_nc_u32_e32 v25, 0x2d60, v53
	;; [unrolled: 1-line block ×4, first 2 shown]
	v_add3_u32 v7, v21, v7, 0x4e40
	scratch_store_b32 off, v11, off offset:8 ; 4-byte Folded Spill
	v_add_nc_u32_e32 v89, s14, v26
	v_mul_lo_u32 v11, v0, s5
	v_add_nc_u32_e32 v33, 0x39c0, v53
	scratch_store_b32 off, v7, off offset:12 ; 4-byte Folded Spill
	v_add_nc_u32_e32 v34, 0x3de0, v53
	v_add_nc_u32_e32 v20, s14, v89
	v_cmp_gt_u32_e64 s0, 4, v14
	v_mad_u32_u24 v76, 0x84, v14, s12
	v_mad_u32_u24 v77, 0x84, v14, s13
	s_clause 0x1
	scratch_store_b32 off, v11, off offset:16
	scratch_store_b32 off, v6, off offset:140
	v_add_nc_u32_e32 v32, s14, v20
	v_ashrrev_i32_e32 v0, 31, v11
	v_lshlrev_b32_e32 v83, 4, v14
	v_lshlrev_b32_e32 v84, 2, v12
	;; [unrolled: 1-line block ×3, first 2 shown]
	v_add_nc_u32_e32 v35, s14, v32
	scratch_store_b32 off, v0, off offset:160 ; 4-byte Folded Spill
	v_mad_u32_u24 v0, 0x84, v14, 64
	v_lshl_or_b32 v87, v68, 2, 0x4200
	v_lshlrev_b32_e32 v6, 2, v3
	v_add_nc_u32_e32 v38, s14, v35
	v_lshlrev_b32_e32 v59, 2, v8
	scratch_store_b32 off, v0, off offset:144 ; 4-byte Folded Spill
	v_lshl_add_u32 v0, v1, 4, 0x5050
	v_lshlrev_b32_e32 v90, 2, v10
	v_add_nc_u32_e32 v40, s14, v38
	v_lshlrev_b32_e32 v91, 2, v9
	v_lshlrev_b32_e32 v92, 2, v2
	scratch_store_b32 off, v0, off offset:148 ; 4-byte Folded Spill
	v_lshl_add_u32 v0, v1, 7, 0x4a40
	v_add_nc_u32_e32 v41, s14, v40
	s_add_u32 s12, s2, 0x90
	s_addc_u32 s13, s3, 0
	scratch_store_b32 off, v0, off offset:152 ; 4-byte Folded Spill
	v_add_nc_u32_e32 v44, s14, v41
	s_delay_alu instid0(VALU_DEP_1)
	v_add_nc_u32_e32 v46, s14, v44
	s_clause 0x19
	scratch_store_b32 off, v17, off offset:20
	scratch_store_b32 off, v18, off offset:24
	;; [unrolled: 1-line block ×26, first 2 shown]
	s_branch .LBB231_6
.LBB231_4:                              ;   in Loop: Header=BB231_6 Depth=1
	s_clause 0x19
	scratch_load_b32 v17, off, off offset:20
	scratch_load_b32 v18, off, off offset:24
	;; [unrolled: 1-line block ×26, first 2 shown]
.LBB231_5:                              ;   in Loop: Header=BB231_6 Depth=1
	s_add_i32 s17, s17, 1
	s_delay_alu instid0(SALU_CYCLE_1)
	s_cmp_eq_u32 s17, s10
	s_cbranch_scc1 .LBB231_23
.LBB231_6:                              ; =>This Loop Header: Depth=1
                                        ;     Child Loop BB231_13 Depth 2
                                        ;     Child Loop BB231_21 Depth 2
	s_mul_i32 s14, s17, 0x90
	s_mul_hi_u32 s15, s17, 0x90
	s_add_u32 s14, s18, s14
	s_addc_u32 s15, s19, s15
	s_delay_alu instid0(SALU_CYCLE_1) | instskip(SKIP_2) | instid1(VALU_DEP_2)
	v_mad_u64_u32 v[0:1], null, 0x90, v24, s[14:15]
	s_waitcnt vmcnt(5)
	v_mad_u64_u32 v[97:98], null, 0x90, v49, s[14:15]
	v_add_co_u32 v0, vcc_lo, v0, v31
	s_delay_alu instid0(VALU_DEP_3) | instskip(NEXT) | instid1(VALU_DEP_2)
	v_add_co_ci_u32_e32 v1, vcc_lo, 0, v1, vcc_lo
	v_add_co_u32 v0, vcc_lo, v0, 16
	s_delay_alu instid0(VALU_DEP_2) | instskip(NEXT) | instid1(VALU_DEP_1)
	v_add_co_ci_u32_e32 v1, vcc_lo, 0, v1, vcc_lo
	v_mad_u64_u32 v[2:3], null, 0x90, v43, v[0:1]
	v_mad_u64_u32 v[7:8], null, 0x90, v27, v[0:1]
	;; [unrolled: 1-line block ×8, first 2 shown]
	s_clause 0x7
	global_load_b32 v99, v[2:3], off
	global_load_b32 v100, v[7:8], off
	;; [unrolled: 1-line block ×8, first 2 shown]
	v_add_co_u32 v15, vcc_lo, v97, 4
	s_waitcnt vmcnt(11)
	v_mad_u64_u32 v[9:10], null, 0x90, v57, s[14:15]
	v_add_co_ci_u32_e32 v16, vcc_lo, 0, v98, vcc_lo
	s_waitcnt vmcnt(8)
	v_add_co_u32 v13, vcc_lo, v15, v6
	v_mad_u64_u32 v[2:3], null, 0x90, v20, v[0:1]
	s_delay_alu instid0(VALU_DEP_3) | instskip(SKIP_4) | instid1(VALU_DEP_4)
	v_add_co_ci_u32_e32 v14, vcc_lo, 0, v16, vcc_lo
	v_add_co_u32 v93, vcc_lo, v9, 4
	v_add_co_ci_u32_e32 v94, vcc_lo, 0, v10, vcc_lo
	v_add_co_u32 v9, vcc_lo, v15, v59
	;; [unrolled: 2-line block ×3, first 2 shown]
	s_delay_alu instid0(VALU_DEP_4)
	v_add_co_ci_u32_e32 v16, vcc_lo, 0, v94, vcc_lo
	v_add_co_u32 v93, vcc_lo, v93, v59
	v_add_co_ci_u32_e32 v94, vcc_lo, 0, v94, vcc_lo
	s_clause 0x2
	global_load_b32 v97, v[13:14], off
	global_load_b32 v98, v[9:10], off
	;; [unrolled: 1-line block ×3, first 2 shown]
	v_mad_u64_u32 v[7:8], null, 0x90, v32, v[0:1]
	v_mad_u64_u32 v[11:12], null, 0x90, v35, v[0:1]
	global_load_b32 v108, v[93:94], off
	v_mad_u64_u32 v[9:10], null, 0x90, v38, v[0:1]
	v_mad_u64_u32 v[13:14], null, 0x90, v40, v[0:1]
	;; [unrolled: 1-line block ×6, first 2 shown]
	s_clause 0x8
	global_load_b32 v2, v[2:3], off
	global_load_b32 v3, v[7:8], off
	;; [unrolled: 1-line block ×9, first 2 shown]
	s_lshl_b32 s14, s17, 8
	s_waitcnt vmcnt(20)
	ds_store_b32 v53, v99
	s_waitcnt vmcnt(19)
	ds_store_b32 v48, v100
	;; [unrolled: 2-line block ×14, first 2 shown]
	v_ashrrev_i32_e32 v1, v37, v97
	v_ashrrev_i32_e32 v13, v37, v107
	;; [unrolled: 1-line block ×4, first 2 shown]
	s_cmp_lt_i32 s14, s11
	v_and_b32_e32 v1, 0xf0f0f0f, v1
	v_and_b32_e32 v13, 0xf0f0f0f, v13
	s_delay_alu instid0(VALU_DEP_2) | instskip(NEXT) | instid1(VALU_DEP_2)
	v_and_or_b32 v1, 0x30303030, v14, v1
	v_and_or_b32 v2, 0x30303030, v15, v13
	s_waitcnt vmcnt(2)
	ds_store_b32 v33, v11
	s_waitcnt vmcnt(1)
	ds_store_b32 v34, v12
	;; [unrolled: 2-line block ×3, first 2 shown]
	ds_store_b32 v55, v1
	ds_store_b32 v5, v2
	s_cbranch_scc0 .LBB231_5
; %bb.7:                                ;   in Loop: Header=BB231_6 Depth=1
	s_lshl_b32 s15, s17, 3
	s_delay_alu instid0(SALU_CYCLE_1) | instskip(NEXT) | instid1(VALU_DEP_1)
	v_add_nc_u32_e32 v0, s15, v68
	v_cmp_gt_i32_e32 vcc_lo, s5, v0
	s_and_b32 s21, s1, vcc_lo
	s_delay_alu instid0(SALU_CYCLE_1)
	s_and_saveexec_b32 s20, s21
	s_cbranch_execz .LBB231_9
; %bb.8:                                ;   in Loop: Header=BB231_6 Depth=1
	s_clause 0x1
	scratch_load_b32 v1, off, off offset:16
	scratch_load_b64 v[6:7], off, off offset:128
	s_waitcnt vmcnt(1)
	v_add_nc_u32_e32 v2, v1, v0
	s_waitcnt vmcnt(0)
	s_delay_alu instid0(VALU_DEP_1)
	v_mad_i64_i32 v[0:1], null, v2, 36, v[6:7]
	global_load_b32 v0, v[0:1], off offset:4
	scratch_load_b32 v1, off, off offset:136 ; 4-byte Folded Reload
	s_waitcnt vmcnt(0)
	ds_store_b32 v1, v0
.LBB231_9:                              ;   in Loop: Header=BB231_6 Depth=1
	s_or_b32 exec_lo, exec_lo, s20
	s_and_saveexec_b32 s20, s0
	s_cbranch_execz .LBB231_12
; %bb.10:                               ;   in Loop: Header=BB231_6 Depth=1
	scratch_load_b32 v0, off, off offset:124 ; 4-byte Folded Reload
	s_waitcnt vmcnt(0)
	v_or_b32_e32 v0, s15, v0
	s_delay_alu instid0(VALU_DEP_1) | instskip(SKIP_1) | instid1(SALU_CYCLE_1)
	v_cmp_gt_i32_e32 vcc_lo, s5, v0
	s_and_b32 s21, s1, vcc_lo
	s_and_b32 exec_lo, exec_lo, s21
	s_cbranch_execz .LBB231_12
; %bb.11:                               ;   in Loop: Header=BB231_6 Depth=1
	scratch_load_b32 v1, off, off offset:16 ; 4-byte Folded Reload
	s_waitcnt vmcnt(0)
	v_add_nc_u32_e32 v2, v1, v0
	s_delay_alu instid0(VALU_DEP_1)
	v_mad_i64_i32 v[0:1], null, v2, 36, s[2:3]
	global_load_b32 v0, v[0:1], off
	scratch_load_b32 v1, off, off offset:156 ; 4-byte Folded Reload
	s_waitcnt vmcnt(0)
	ds_store_b32 v1, v0
.LBB231_12:                             ;   in Loop: Header=BB231_6 Depth=1
	s_or_b32 exec_lo, exec_lo, s20
	s_waitcnt lgkmcnt(0)
	s_waitcnt_vscnt null, 0x0
	s_barrier
	buffer_gl0_inv
	s_clause 0x2
	scratch_load_b32 v0, off, off
	scratch_load_b32 v1, off, off offset:4
	scratch_load_b32 v2, off, off offset:8
	s_mov_b32 s22, 0
	s_mov_b32 s20, -1
	s_waitcnt vmcnt(2)
	ds_load_b32 v0, v0
	s_waitcnt vmcnt(1)
	ds_load_b32 v1, v1 offset:128
	s_waitcnt vmcnt(0)
	ds_load_b32 v8, v2 offset:256
	scratch_load_b32 v2, off, off offset:12 ; 4-byte Folded Reload
	s_waitcnt lgkmcnt(1)
	v_cvt_f32_f16_e32 v3, v1
	v_lshrrev_b32_e32 v1, 16, v1
	s_waitcnt lgkmcnt(0)
	v_lshrrev_b32_e32 v11, 16, v8
	v_cvt_f32_f16_e32 v7, v8
	s_delay_alu instid0(VALU_DEP_3) | instskip(NEXT) | instid1(VALU_DEP_3)
	v_cvt_f32_f16_e32 v10, v1
	v_cvt_f32_f16_e32 v11, v11
	s_waitcnt vmcnt(0)
	ds_load_b32 v9, v2 offset:384
	v_cvt_f32_f16_e32 v2, v0
	v_lshrrev_b32_e32 v0, 16, v0
	s_waitcnt lgkmcnt(0)
	v_lshrrev_b32_e32 v12, 16, v9
	v_cvt_f32_f16_e32 v8, v9
	s_delay_alu instid0(VALU_DEP_3) | instskip(NEXT) | instid1(VALU_DEP_3)
	v_cvt_f32_f16_e32 v9, v0
	v_cvt_f32_f16_e32 v12, v12
.LBB231_13:                             ;   Parent Loop BB231_6 Depth=1
                                        ; =>  This Inner Loop Header: Depth=2
	s_lshr_b32 s21, s22, 2
	v_lshl_or_b32 v0, s22, 1, v23
	s_lshl_b32 s22, s22, 2
	v_lshlrev_b32_e32 v1, 2, v68
	v_lshlrev_b32_e32 v13, 2, v21
	v_add_nc_u32_e32 v14, s22, v75
	s_addk_i32 s21, 0x4200
	v_add_nc_u32_e32 v15, s22, v76
	v_add_nc_u32_e32 v102, s22, v77
	;; [unrolled: 1-line block ×3, first 2 shown]
	v_add3_u32 v103, s21, v84, v92
	v_add3_u32 v143, s21, v86, v90
	;; [unrolled: 1-line block ×3, first 2 shown]
	v_lshlrev_b32_e32 v110, 2, v0
	v_add3_u32 v13, s21, v1, v13
	v_lshrrev_b32_e32 v145, 1, v0
	ds_load_2addr_b32 v[0:1], v14 offset1:1
	ds_load_2addr_b32 v[96:97], v14 offset0:2 offset1:3
	ds_load_2addr_b32 v[119:120], v14 offset0:4 offset1:5
	;; [unrolled: 1-line block ×3, first 2 shown]
	ds_load_2addr_b32 v[98:99], v102 offset1:1
	ds_load_2addr_b32 v[123:124], v102 offset0:2 offset1:3
	ds_load_2addr_b32 v[100:101], v15 offset1:1
	ds_load_2addr_b32 v[125:126], v16 offset0:2 offset1:3
	ds_load_2addr_b32 v[127:128], v16 offset0:4 offset1:5
	;; [unrolled: 1-line block ×7, first 2 shown]
	ds_load_u8 v95, v143 offset:9
	ds_load_u8 v93, v144 offset:9
	;; [unrolled: 1-line block ×3, first 2 shown]
	ds_load_2addr_b32 v[139:140], v16 offset1:1
	ds_load_u16 v16, v144
	ds_load_u8 v94, v103 offset:8
	ds_load_u16 v14, v103
	ds_load_2addr_b32 v[141:142], v102 offset0:6 offset1:7
	ds_load_b128 v[102:105], v110 offset:19008
	ds_load_b128 v[106:109], v110 offset:19024
	;; [unrolled: 1-line block ×4, first 2 shown]
	s_waitcnt lgkmcnt(21)
	v_and_b32_e32 v148, 15, v98
	v_and_b32_e32 v149, 15, v1
	v_ashrrev_i32_e32 v155, 4, v1
	v_bfe_u32 v174, v1, 8, 4
	v_bfe_u32 v185, v1, 16, 4
	;; [unrolled: 1-line block ×3, first 2 shown]
	v_and_b32_e32 v151, 15, v99
	v_bfe_u32 v162, v98, 8, 4
	s_waitcnt lgkmcnt(20)
	v_and_b32_e32 v163, 15, v123
	v_and_b32_e32 v146, 15, v0
	s_waitcnt lgkmcnt(19)
	v_and_b32_e32 v147, 15, v100
	s_waitcnt lgkmcnt(8)
	v_and_b32_e32 v64, 15, v139
	v_and_b32_e32 v150, 15, v101
	v_ashrrev_i32_e32 v152, 4, v0
	v_ashrrev_i32_e32 v153, 4, v100
	;; [unrolled: 1-line block ×3, first 2 shown]
	s_waitcnt lgkmcnt(3)
	v_bfe_i32 v1, v102, 0, 8
	v_bfe_i32 v248, v102, 8, 8
	v_bfe_i32 v251, v103, 0, 8
	v_bfe_i32 v255, v104, 0, 8
	v_and_b32_e32 v164, 15, v125
	v_mul_i32_i24_e32 v148, v148, v1
	v_mul_i32_i24_e32 v162, v162, v248
	v_and_b32_e32 v65, 15, v140
	v_mul_i32_i24_e32 v163, v163, v255
	v_mul_i32_i24_e32 v146, v146, v1
	v_mad_i32_i24 v148, v151, v251, v148
	v_mul_i32_i24_e32 v147, v147, v1
	v_mul_i32_i24_e32 v1, v64, v1
	v_ashrrev_i32_e32 v64, 4, v139
	v_ashrrev_i32_e32 v165, 4, v96
	v_add3_u32 v148, v148, v163, v162
	v_bfe_u32 v162, v139, 8, 4
	s_waitcnt lgkmcnt(1)
	v_bfe_i32 v37, v111, 0, 8
	v_mad_i32_i24 v146, v149, v251, v146
	v_mad_i32_i24 v147, v150, v251, v147
	v_and_b32_e32 v150, 15, v152
	v_and_b32_e32 v151, 15, v153
	v_mad_i32_i24 v1, v65, v251, v1
	v_and_b32_e32 v65, 15, v154
	v_and_b32_e32 v251, 15, v64
	v_mul_i32_i24_e32 v162, v162, v248
	v_mul_i32_i24_e32 v164, v164, v255
	v_bfe_i32 v81, v105, 0, 8
	v_bfe_i32 v82, v105, 8, 8
	;; [unrolled: 1-line block ×3, first 2 shown]
	v_ashrrev_i32_e32 v66, 24, v105
	v_bfe_i32 v18, v108, 0, 8
	v_bfe_i32 v25, v108, 8, 8
	v_bfe_i32 v29, v108, 16, 8
	v_ashrrev_i32_e32 v30, 24, v108
	v_bfe_i32 v38, v111, 8, 8
	v_bfe_i32 v41, v112, 0, 8
	;; [unrolled: 1-line block ×4, first 2 shown]
	v_ashrrev_i32_e32 v105, 24, v112
	v_bfe_i32 v112, v113, 0, 8
	v_mul_i32_i24_e32 v150, v150, v37
	v_mul_i32_i24_e32 v151, v151, v37
	;; [unrolled: 1-line block ×4, first 2 shown]
	v_and_b32_e32 v251, 15, v155
	v_add3_u32 v162, v1, v164, v162
	v_bfe_u32 v1, v152, 8, 4
	v_and_b32_e32 v164, 15, v165
	v_ashrrev_i32_e32 v156, 4, v101
	v_ashrrev_i32_e32 v166, 4, v129
	v_mad_i32_i24 v150, v251, v41, v150
	v_mul_i32_i24_e32 v1, v1, v38
	v_mul_i32_i24_e32 v164, v164, v112
	v_and_b32_e32 v251, 15, v156
	v_ashrrev_i32_e32 v157, 4, v99
	v_ashrrev_i32_e32 v167, 4, v123
	;; [unrolled: 1-line block ×3, first 2 shown]
	v_add3_u32 v150, v150, v164, v1
	v_bfe_u32 v1, v153, 8, 4
	v_and_b32_e32 v164, 15, v166
	v_mad_i32_i24 v151, v251, v41, v151
	v_and_b32_e32 v251, 15, v157
	v_ashrrev_i32_e32 v149, 4, v140
	v_mul_i32_i24_e32 v1, v1, v38
	v_mul_i32_i24_e32 v164, v164, v112
	v_bfe_u32 v158, v0, 8, 4
	v_mad_i32_i24 v65, v251, v41, v65
	v_and_b32_e32 v159, 15, v96
	v_and_b32_e32 v251, 15, v149
	v_add3_u32 v151, v151, v164, v1
	v_bfe_u32 v1, v154, 8, 4
	v_and_b32_e32 v164, 15, v167
	v_bfe_u32 v169, v0, 16, 4
	v_bfe_u32 v0, v0, 24, 4
	v_bfe_i32 v249, v102, 16, 8
	v_mul_i32_i24_e32 v1, v1, v38
	v_mul_i32_i24_e32 v164, v164, v112
	v_ashrrev_i32_e32 v250, 24, v102
	v_mad_i32_i24 v37, v251, v41, v37
	v_mul_i32_i24_e32 v158, v158, v248
	v_mul_i32_i24_e32 v159, v159, v255
	v_add3_u32 v65, v65, v164, v1
	v_and_b32_e32 v1, 15, v168
	v_bfe_u32 v170, v100, 16, 4
	v_bfe_u32 v171, v100, 24, 4
	;; [unrolled: 1-line block ×3, first 2 shown]
	v_add3_u32 v146, v146, v159, v158
	v_mul_i32_i24_e32 v1, v1, v112
	v_bfe_u32 v112, v64, 8, 4
	v_mul_i32_i24_e32 v0, v0, v250
	v_bfe_i32 v40, v111, 16, 8
	v_ashrrev_i32_e32 v111, 24, v111
	v_bfe_u32 v160, v100, 8, 4
	v_mul_i32_i24_e32 v38, v112, v38
	ds_load_u16 v112, v143
	ds_load_u8 v143, v143 offset:8
	ds_load_u8 v144, v144 offset:8
	v_and_b32_e32 v161, 15, v129
	v_and_b32_e32 v175, 15, v97
	v_bfe_i32 v252, v103, 8, 8
	v_add3_u32 v37, v37, v1, v38
	v_bfe_u32 v38, v139, 16, 4
	v_mul_i32_i24_e32 v1, v169, v249
	v_bfe_u32 v139, v139, 24, 4
	v_ashrrev_i32_e32 v181, 4, v97
	v_ashrrev_i32_e32 v182, 4, v130
	v_mul_i32_i24_e32 v38, v38, v249
	v_add3_u32 v146, v146, v1, v0
	ds_load_b64 v[0:1], v145 offset:20560
	v_mul_i32_i24_e32 v145, v170, v249
	v_mul_i32_i24_e32 v170, v171, v250
	;; [unrolled: 1-line block ×3, first 2 shown]
	v_bfe_u32 v249, v153, 16, 4
	v_bfe_u32 v153, v153, 24, 4
	v_mul_i32_i24_e32 v139, v139, v250
	v_ashrrev_i32_e32 v183, 4, v124
	v_ashrrev_i32_e32 v184, 4, v126
	v_mul_i32_i24_e32 v249, v249, v40
	v_mul_i32_i24_e32 v153, v153, v111
	v_add3_u32 v38, v162, v38, v139
	v_bfe_u32 v162, v152, 16, 4
	v_mul_i32_i24_e32 v160, v160, v248
	v_mul_i32_i24_e32 v161, v161, v255
	v_add3_u32 v151, v151, v249, v153
	v_bfe_u32 v153, v154, 16, 4
	v_bfe_u32 v154, v154, 24, 4
	;; [unrolled: 1-line block ×3, first 2 shown]
	v_mul_i32_i24_e32 v162, v162, v40
	v_mul_i32_i24_e32 v174, v174, v252
	;; [unrolled: 1-line block ×5, first 2 shown]
	v_bfe_u32 v173, v98, 24, 4
	v_bfe_u32 v176, v101, 8, 4
	v_and_b32_e32 v177, 15, v130
	v_add3_u32 v65, v65, v153, v154
	v_bfe_u32 v154, v64, 16, 4
	v_bfe_u32 v64, v64, 24, 4
	v_bfe_i32 v45, v114, 0, 8
	v_add3_u32 v147, v147, v161, v160
	v_mul_i32_i24_e32 v152, v152, v111
	v_mul_i32_i24_e32 v40, v154, v40
	;; [unrolled: 1-line block ×3, first 2 shown]
	v_and_b32_e32 v153, 15, v181
	v_and_b32_e32 v111, 15, v182
	v_add3_u32 v146, v146, v175, v174
	v_and_b32_e32 v174, 15, v184
	v_add3_u32 v37, v37, v40, v64
	v_and_b32_e32 v64, 15, v183
	v_bfe_u32 v178, v99, 8, 4
	v_and_b32_e32 v179, 15, v124
	v_and_b32_e32 v180, 15, v126
	v_bfe_u32 v187, v101, 16, 4
	v_bfe_u32 v188, v101, 24, 4
	v_bfe_i32 v253, v103, 16, 8
	v_ashrrev_i32_e32 v254, 24, v103
	v_bfe_u32 v169, v140, 8, 4
	v_add3_u32 v145, v147, v145, v170
	v_mul_i32_i24_e32 v172, v173, v250
	v_bfe_u32 v249, v155, 8, 4
	v_bfe_u32 v154, v156, 8, 4
	v_bfe_u32 v40, v157, 8, 4
	v_mul_i32_i24_e32 v176, v176, v252
	v_mul_i32_i24_e32 v177, v177, v81
	;; [unrolled: 1-line block ×6, first 2 shown]
	v_bfe_u32 v174, v149, 8, 4
	v_bfe_u32 v189, v99, 16, 4
	;; [unrolled: 1-line block ×3, first 2 shown]
	v_and_b32_e32 v192, 15, v119
	v_bfe_u32 v193, v129, 8, 4
	v_and_b32_e32 v194, 15, v131
	v_bfe_u32 v195, v123, 8, 4
	;; [unrolled: 2-line block ×3, first 2 shown]
	v_and_b32_e32 v198, 15, v127
	v_ashrrev_i32_e32 v199, 4, v119
	v_ashrrev_i32_e32 v200, 4, v131
	;; [unrolled: 1-line block ×4, first 2 shown]
	v_bfe_u32 v203, v96, 16, 4
	v_bfe_u32 v204, v96, 24, 4
	;; [unrolled: 1-line block ×12, first 2 shown]
	v_and_b32_e32 v212, 15, v120
	v_bfe_u32 v213, v130, 8, 4
	v_and_b32_e32 v214, 15, v132
	v_bfe_u32 v215, v124, 8, 4
	;; [unrolled: 2-line block ×4, first 2 shown]
	v_bfe_u32 v119, v119, 24, 4
	v_bfe_u32 v221, v120, 8, 4
	;; [unrolled: 1-line block ×6, first 2 shown]
	v_and_b32_e32 v229, 15, v122
	v_bfe_u32 v230, v122, 8, 4
	v_bfe_u32 v231, v126, 16, 4
	v_bfe_u32 v126, v126, 24, 4
	v_bfe_u32 v232, v122, 16, 4
	v_bfe_u32 v233, v122, 24, 4
	v_ashrrev_i32_e32 v96, 4, v122
	v_bfe_u32 v122, v131, 8, 4
	v_bfe_u32 v234, v131, 16, 4
	;; [unrolled: 1-line block ×6, first 2 shown]
	v_and_b32_e32 v244, 15, v134
	v_bfe_u32 v245, v134, 8, 4
	v_bfe_u32 v246, v134, 16, 4
	;; [unrolled: 1-line block ×3, first 2 shown]
	v_ashrrev_i32_e32 v97, 4, v134
	v_bfe_u32 v134, v135, 16, 4
	v_bfe_u32 v135, v135, 24, 4
	v_bfe_i32 v79, v104, 8, 8
	v_bfe_i32 v67, v104, 16, 8
	v_ashrrev_i32_e32 v80, 24, v104
	v_bfe_i32 v17, v106, 0, 8
	v_bfe_i32 v73, v106, 8, 8
	v_bfe_i32 v70, v106, 16, 8
	v_ashrrev_i32_e32 v71, 24, v106
	v_bfe_i32 v72, v107, 0, 8
	v_bfe_i32 v74, v107, 8, 8
	v_bfe_i32 v5, v107, 16, 8
	v_ashrrev_i32_e32 v6, 24, v107
	v_bfe_i32 v32, v109, 0, 8
	v_bfe_i32 v33, v109, 8, 8
	v_bfe_i32 v34, v109, 16, 8
	v_ashrrev_i32_e32 v35, 24, v109
	s_waitcnt lgkmcnt(4)
	v_bfe_i32 v109, v117, 0, 8
	v_bfe_i32 v107, v117, 8, 8
	;; [unrolled: 1-line block ×3, first 2 shown]
	v_ashrrev_i32_e32 v104, 24, v117
	v_bfe_u32 v117, v136, 8, 4
	v_bfe_u32 v41, v127, 16, 4
	;; [unrolled: 1-line block ×4, first 2 shown]
	v_and_b32_e32 v163, 15, v138
	v_bfe_u32 v22, v140, 16, 4
	v_add3_u32 v148, v148, v171, v172
	v_and_b32_e32 v173, 15, v142
	v_add3_u32 v150, v150, v162, v152
	v_add3_u32 v145, v145, v177, v176
	v_mul_i32_i24_e32 v178, v178, v252
	v_mul_i32_i24_e32 v179, v179, v81
	;; [unrolled: 1-line block ×12, first 2 shown]
	v_bfe_u32 v190, v99, 24, 4
	v_ashrrev_i32_e32 v220, 4, v120
	v_ashrrev_i32_e32 v110, 4, v132
	v_ashrrev_i32_e32 v101, 4, v136
	v_ashrrev_i32_e32 v99, 4, v128
	v_bfe_u32 v222, v120, 16, 4
	v_bfe_u32 v120, v120, 24, 4
	;; [unrolled: 1-line block ×4, first 2 shown]
	v_bfe_i32 v46, v114, 8, 8
	v_bfe_i32 v47, v114, 16, 8
	v_ashrrev_i32_e32 v114, 24, v114
	v_bfe_i32 v49, v115, 0, 8
	v_bfe_i32 v55, v115, 8, 8
	;; [unrolled: 1-line block ×6, first 2 shown]
	v_ashrrev_i32_e32 v98, 24, v118
	v_bfe_u32 v118, v136, 16, 4
	v_bfe_u32 v136, v136, 24, 4
	;; [unrolled: 1-line block ×6, first 2 shown]
	v_add3_u32 v148, v148, v179, v178
	v_and_b32_e32 v179, 15, v199
	v_and_b32_e32 v180, 15, v200
	v_add3_u32 v38, v38, v81, v169
	v_and_b32_e32 v169, 15, v201
	v_add3_u32 v150, v150, v153, v249
	v_and_b32_e32 v249, 15, v202
	v_bfe_u32 v174, v181, 8, 4
	v_add3_u32 v20, v37, v45, v20
	v_bfe_u32 v45, v182, 8, 4
	v_add3_u32 v146, v146, v185, v186
	;; [unrolled: 2-line block ×3, first 2 shown]
	v_bfe_u32 v188, v184, 8, 4
	v_mul_i32_i24_e32 v189, v189, v253
	v_mul_i32_i24_e32 v22, v22, v253
	v_bfe_u32 v253, v181, 16, 4
	v_bfe_u32 v181, v181, 24, 4
	v_mul_i32_i24_e32 v191, v191, v79
	v_mul_i32_i24_e32 v193, v193, v79
	v_mul_i32_i24_e32 v195, v195, v79
	v_mul_i32_i24_e32 v79, v197, v79
	v_bfe_u32 v197, v182, 16, 4
	v_bfe_u32 v182, v182, 24, 4
	v_mul_i32_i24_e32 v192, v192, v17
	v_mul_i32_i24_e32 v194, v194, v17
	;; [unrolled: 6-line block ×4, first 2 shown]
	v_mul_i32_i24_e32 v123, v123, v80
	v_mul_i32_i24_e32 v80, v125, v80
	v_bfe_u32 v125, v199, 8, 4
	v_mul_i32_i24_e32 v212, v212, v72
	v_mul_i32_i24_e32 v214, v214, v72
	v_mul_i32_i24_e32 v216, v216, v72
	v_mul_i32_i24_e32 v72, v218, v72
	v_bfe_u32 v218, v200, 8, 4
	v_mul_i32_i24_e32 v210, v210, v66
	v_mul_i32_i24_e32 v130, v130, v66
	;; [unrolled: 5-line block ×7, first 2 shown]
	v_mul_i32_i24_e32 v173, v173, v32
	v_mul_i32_i24_e32 v32, v163, v32
	v_bfe_u32 v163, v202, 16, 4
	v_bfe_i32 v59, v116, 0, 8
	v_bfe_i32 v62, v116, 8, 8
	;; [unrolled: 1-line block ×3, first 2 shown]
	v_ashrrev_i32_e32 v116, 24, v116
	v_and_b32_e32 v37, 15, v220
	v_and_b32_e32 v185, 15, v110
	;; [unrolled: 1-line block ×4, first 2 shown]
	v_mul_i32_i24_e32 v222, v222, v5
	v_mul_i32_i24_e32 v236, v236, v5
	v_mul_i32_i24_e32 v118, v118, v5
	v_mul_i32_i24_e32 v5, v159, v5
	v_bfe_u32 v159, v220, 8, 4
	v_mul_i32_i24_e32 v120, v120, v6
	v_mul_i32_i24_e32 v132, v132, v6
	v_mul_i32_i24_e32 v136, v136, v6
	v_mul_i32_i24_e32 v6, v128, v6
	v_bfe_u32 v128, v220, 16, 4
	v_bfe_u32 v220, v220, 24, 4
	v_mul_i32_i24_e32 v232, v232, v34
	v_mul_i32_i24_e32 v246, v246, v34
	v_mul_i32_i24_e32 v152, v152, v34
	v_mul_i32_i24_e32 v34, v164, v34
	v_bfe_u32 v164, v110, 8, 4
	v_mul_i32_i24_e32 v179, v179, v49
	v_mul_i32_i24_e32 v180, v180, v49
	v_mul_i32_i24_e32 v169, v169, v49
	v_mul_i32_i24_e32 v49, v249, v49
	v_bfe_u32 v249, v110, 16, 4
	v_bfe_u32 v110, v110, 24, 4
	;; [unrolled: 11-line block ×4, first 2 shown]
	v_bfe_u32 v140, v140, 24, 4
	v_and_b32_e32 v223, 15, v121
	v_bfe_u32 v224, v121, 8, 4
	v_bfe_u32 v227, v121, 16, 4
	;; [unrolled: 1-line block ×3, first 2 shown]
	v_ashrrev_i32_e32 v121, 4, v121
	v_and_b32_e32 v237, 15, v133
	v_bfe_u32 v238, v133, 8, 4
	v_bfe_u32 v239, v133, 16, 4
	;; [unrolled: 1-line block ×3, first 2 shown]
	v_and_b32_e32 v243, 15, v137
	v_ashrrev_i32_e32 v133, 4, v133
	v_ashrrev_i32_e32 v251, 4, v137
	v_and_b32_e32 v147, 15, v141
	v_ashrrev_i32_e32 v170, 4, v141
	v_bfe_u32 v175, v155, 16, 4
	v_bfe_u32 v155, v155, 24, 4
	;; [unrolled: 1-line block ×6, first 2 shown]
	v_mul_i32_i24_e32 v220, v220, v116
	v_mul_i32_i24_e32 v110, v110, v116
	v_mul_i32_i24_e32 v101, v101, v116
	v_mul_i32_i24_e32 v99, v99, v116
	v_bfe_u32 v116, v149, 16, 4
	v_bfe_u32 v149, v149, 24, 4
	v_mul_i32_i24_e32 v190, v190, v254
	v_mul_i32_i24_e32 v140, v140, v254
	v_bfe_i32 v44, v113, 16, 8
	v_ashrrev_i32_e32 v115, 24, v115
	v_bfe_u32 v160, v137, 8, 4
	v_bfe_u32 v171, v141, 8, 4
	;; [unrolled: 1-line block ×4, first 2 shown]
	v_add3_u32 v111, v151, v111, v154
	v_bfe_u32 v151, v165, 16, 4
	v_bfe_u32 v154, v165, 24, 4
	;; [unrolled: 1-line block ×3, first 2 shown]
	v_add3_u32 v40, v65, v64, v40
	v_bfe_u32 v64, v167, 16, 4
	v_bfe_u32 v65, v167, 24, 4
	;; [unrolled: 1-line block ×3, first 2 shown]
	v_mul_i32_i24_e32 v208, v208, v82
	v_mul_i32_i24_e32 v213, v213, v82
	v_mul_i32_i24_e32 v215, v215, v82
	v_mul_i32_i24_e32 v82, v217, v82
	v_and_b32_e32 v217, 15, v121
	v_mul_i32_i24_e32 v209, v209, v69
	v_mul_i32_i24_e32 v225, v225, v69
	v_mul_i32_i24_e32 v226, v226, v69
	v_mul_i32_i24_e32 v69, v231, v69
	v_and_b32_e32 v231, 15, v133
	;; [unrolled: 5-line block ×3, first 2 shown]
	v_bfe_u32 v199, v199, 24, 4
	v_bfe_u32 v200, v200, 24, 4
	;; [unrolled: 1-line block ×4, first 2 shown]
	v_mul_i32_i24_e32 v155, v155, v105
	v_mul_i32_i24_e32 v156, v156, v105
	;; [unrolled: 1-line block ×4, first 2 shown]
	v_and_b32_e32 v149, 15, v170
	v_bfe_i32 v42, v113, 8, 8
	v_bfe_u32 v250, v166, 8, 4
	v_bfe_u32 v153, v168, 8, 4
	v_mul_i32_i24_e32 v175, v175, v108
	v_mul_i32_i24_e32 v176, v176, v108
	;; [unrolled: 1-line block ×4, first 2 shown]
	v_add3_u32 v148, v148, v189, v190
	v_add3_u32 v22, v38, v22, v140
	v_ashrrev_i32_e32 v113, 24, v113
	v_bfe_u32 v161, v137, 16, 4
	v_bfe_u32 v172, v141, 16, 4
	;; [unrolled: 1-line block ×4, first 2 shown]
	v_mul_i32_i24_e32 v224, v224, v25
	v_mul_i32_i24_e32 v238, v238, v25
	v_mul_i32_i24_e32 v171, v171, v25
	v_mul_i32_i24_e32 v25, v160, v25
	v_bfe_u32 v160, v121, 8, 4
	v_mul_i32_i24_e32 v151, v151, v44
	v_mul_i32_i24_e32 v165, v165, v44
	v_mul_i32_i24_e32 v64, v64, v44
	v_mul_i32_i24_e32 v44, v167, v44
	v_bfe_u32 v167, v133, 8, 4
	v_mul_i32_i24_e32 v199, v199, v115
	v_mul_i32_i24_e32 v200, v200, v115
	v_mul_i32_i24_e32 v201, v201, v115
	v_mul_i32_i24_e32 v115, v202, v115
	v_bfe_u32 v202, v251, 8, 4
	v_mul_i32_i24_e32 v217, v217, v109
	v_mul_i32_i24_e32 v231, v231, v109
	v_mul_i32_i24_e32 v243, v243, v109
	v_mul_i32_i24_e32 v109, v149, v109
	v_bfe_u32 v149, v170, 8, 4
	v_mul_i32_i24_e32 v178, v178, v42
	v_mul_i32_i24_e32 v250, v250, v42
	;; [unrolled: 1-line block ×4, first 2 shown]
	v_add3_u32 v38, v150, v175, v155
	v_add3_u32 v111, v111, v176, v156
	;; [unrolled: 1-line block ×8, first 2 shown]
	v_bfe_u32 v137, v137, 24, 4
	v_bfe_u32 v248, v138, 8, 4
	;; [unrolled: 1-line block ×3, first 2 shown]
	v_ashrrev_i32_e32 v138, 4, v138
	v_bfe_u32 v141, v141, 24, 4
	v_bfe_u32 v139, v142, 8, 4
	;; [unrolled: 1-line block ×3, first 2 shown]
	v_ashrrev_i32_e32 v142, 4, v142
	v_mul_i32_i24_e32 v227, v227, v29
	v_mul_i32_i24_e32 v239, v239, v29
	v_mul_i32_i24_e32 v172, v172, v29
	v_mul_i32_i24_e32 v29, v161, v29
	v_bfe_u32 v161, v121, 16, 4
	v_bfe_u32 v121, v121, 24, 4
	v_mul_i32_i24_e32 v154, v154, v113
	v_mul_i32_i24_e32 v166, v166, v113
	v_mul_i32_i24_e32 v65, v65, v113
	v_mul_i32_i24_e32 v113, v168, v113
	v_bfe_u32 v168, v133, 16, 4
	v_bfe_u32 v133, v133, 24, 4
	;; [unrolled: 6-line block ×4, first 2 shown]
	v_add3_u32 v22, v38, v179, v178
	v_add3_u32 v38, v111, v180, v250
	;; [unrolled: 1-line block ×8, first 2 shown]
	v_mul_i32_i24_e32 v228, v228, v30
	v_mul_i32_i24_e32 v240, v240, v30
	;; [unrolled: 1-line block ×4, first 2 shown]
	v_and_b32_e32 v137, 15, v96
	v_and_b32_e32 v254, 15, v97
	v_mul_i32_i24_e32 v128, v128, v63
	v_mul_i32_i24_e32 v249, v249, v63
	v_mul_i32_i24_e32 v184, v184, v63
	v_mul_i32_i24_e32 v63, v163, v63
	v_and_b32_e32 v163, 15, v138
	v_mul_i32_i24_e32 v121, v121, v104
	v_mul_i32_i24_e32 v133, v133, v104
	v_mul_i32_i24_e32 v251, v251, v104
	v_mul_i32_i24_e32 v104, v170, v104
	;; [unrolled: 5-line block ×3, first 2 shown]
	v_mul_i32_i24_e32 v37, v37, v59
	v_mul_i32_i24_e32 v185, v185, v59
	v_mul_i32_i24_e32 v187, v187, v59
	v_mul_i32_i24_e32 v59, v252, v59
	v_add3_u32 v22, v22, v151, v154
	v_add3_u32 v38, v38, v165, v166
	;; [unrolled: 1-line block ×8, first 2 shown]
	v_mul_i32_i24_e32 v230, v230, v33
	v_mul_i32_i24_e32 v245, v245, v33
	;; [unrolled: 1-line block ×4, first 2 shown]
	v_bfe_u32 v248, v96, 8, 4
	v_bfe_u32 v188, v97, 8, 4
	;; [unrolled: 1-line block ×3, first 2 shown]
	v_mul_i32_i24_e32 v137, v137, v103
	v_mul_i32_i24_e32 v254, v254, v103
	v_mul_i32_i24_e32 v163, v163, v103
	v_mul_i32_i24_e32 v103, v170, v103
	v_bfe_u32 v170, v142, 8, 4
	v_add3_u32 v22, v22, v37, v174
	v_add3_u32 v37, v38, v185, v45
	;; [unrolled: 1-line block ×8, first 2 shown]
	v_bfe_u32 v153, v96, 16, 4
	v_bfe_u32 v252, v97, 16, 4
	v_mul_i32_i24_e32 v161, v161, v106
	v_mul_i32_i24_e32 v168, v168, v106
	;; [unrolled: 1-line block ×4, first 2 shown]
	v_bfe_u32 v149, v138, 16, 4
	v_mul_i32_i24_e32 v248, v248, v102
	v_mul_i32_i24_e32 v188, v188, v102
	;; [unrolled: 1-line block ×4, first 2 shown]
	v_bfe_u32 v170, v142, 16, 4
	v_bfe_u32 v96, v96, 24, 4
	;; [unrolled: 1-line block ×5, first 2 shown]
	v_add3_u32 v22, v22, v253, v181
	v_add3_u32 v37, v37, v197, v182
	;; [unrolled: 1-line block ×8, first 2 shown]
	v_mul_i32_i24_e32 v153, v153, v100
	v_mul_i32_i24_e32 v252, v252, v100
	;; [unrolled: 1-line block ×4, first 2 shown]
	ds_load_u16 v170, v13
	v_mul_i32_i24_e32 v96, v96, v98
	v_mul_i32_i24_e32 v97, v97, v98
	;; [unrolled: 1-line block ×4, first 2 shown]
	ds_load_u8 v142, v13 offset:8
	ds_load_u8 v13, v13 offset:9
	v_add3_u32 v18, v22, v217, v125
	v_add3_u32 v22, v37, v231, v218
	;; [unrolled: 1-line block ×24, first 2 shown]
	s_waitcnt lgkmcnt(5)
	v_cvt_f32_ubyte0_e32 v143, v143
	s_waitcnt lgkmcnt(4)
	v_cvt_f32_ubyte0_e32 v144, v144
	v_cvt_f32_ubyte0_e32 v94, v94
	s_waitcnt lgkmcnt(1)
	v_cvt_f32_ubyte0_e32 v142, v142
	v_add3_u32 v6, v18, v128, v220
	v_add3_u32 v17, v22, v249, v110
	;; [unrolled: 1-line block ×8, first 2 shown]
	v_mul_i32_i24_e32 v233, v233, v35
	v_mul_i32_i24_e32 v247, v247, v35
	;; [unrolled: 1-line block ×4, first 2 shown]
	v_cvt_f32_ubyte0_e32 v95, v95
	v_fma_mix_f32 v143, v0, v143, 0 op_sel:[1,0,0] op_sel_hi:[1,0,0]
	v_cvt_f32_ubyte0_e32 v93, v93
	v_fma_mix_f32 v144, v0, v144, 0 op_sel:[1,0,0] op_sel_hi:[1,0,0]
	;; [unrolled: 2-line block ×3, first 2 shown]
	s_waitcnt lgkmcnt(0)
	v_cvt_f32_ubyte0_e32 v13, v13
	v_fma_mix_f32 v142, v0, v142, 0 op_sel:[1,0,0] op_sel_hi:[1,0,0]
	v_add3_u32 v6, v6, v160, v161
	v_add3_u32 v17, v17, v167, v168
	;; [unrolled: 1-line block ×8, first 2 shown]
	v_fma_mix_f32 v95, v1, v95, v143 op_sel:[1,0,0] op_sel_hi:[1,0,0]
	v_lshrrev_b16 v143, 8, v112
	v_and_b32_e32 v112, 0xff, v112
	v_fma_mix_f32 v93, v1, v93, v144 op_sel:[1,0,0] op_sel_hi:[1,0,0]
	v_lshrrev_b16 v144, 8, v16
	v_and_b32_e32 v16, 0xff, v16
	;; [unrolled: 3-line block ×4, first 2 shown]
	v_add3_u32 v6, v6, v121, v248
	v_add3_u32 v17, v17, v133, v188
	;; [unrolled: 1-line block ×8, first 2 shown]
	v_and_b32_e32 v143, 0xffff, v143
	v_and_b32_e32 v144, 0xffff, v144
	;; [unrolled: 1-line block ×4, first 2 shown]
	v_add3_u32 v6, v6, v153, v96
	v_add3_u32 v17, v17, v252, v97
	;; [unrolled: 1-line block ×4, first 2 shown]
	v_mul_lo_u32 v22, v22, v170
	v_mul_lo_u32 v25, v25, v112
	;; [unrolled: 1-line block ×8, first 2 shown]
	v_cvt_f32_i32_e32 v20, v22
	v_cvt_f32_i32_e32 v22, v25
	;; [unrolled: 1-line block ×8, first 2 shown]
	v_fma_mix_f32 v20, v0, v20, 0 op_sel_hi:[1,0,0]
	v_fma_mix_f32 v22, v0, v22, 0 op_sel_hi:[1,0,0]
	;; [unrolled: 1-line block ×4, first 2 shown]
	v_mul_f32_e32 v95, v95, v10
	v_mul_f32_e32 v93, v93, v11
	;; [unrolled: 1-line block ×4, first 2 shown]
	v_fma_mix_f32 v6, v1, v6, v20 op_sel_hi:[1,0,0]
	v_fma_mix_f32 v13, v1, v14, v22 op_sel_hi:[1,0,0]
	;; [unrolled: 1-line block ×4, first 2 shown]
	s_mov_b32 s22, 8
	v_fma_f32 v1, v6, v2, -v5
	v_fma_f32 v5, v13, v3, -v95
	;; [unrolled: 1-line block ×4, first 2 shown]
	s_and_b32 vcc_lo, exec_lo, s20
	v_add_f32_e32 v19, v19, v1
	v_add_f32_e32 v60, v60, v5
	;; [unrolled: 1-line block ×4, first 2 shown]
	s_mov_b32 s20, 0
	s_cbranch_vccnz .LBB231_13
; %bb.14:                               ;   in Loop: Header=BB231_6 Depth=1
	s_bitset1_b32 s14, 7
	s_delay_alu instid0(SALU_CYCLE_1)
	s_cmp_ge_i32 s14, s11
	s_barrier
	buffer_gl0_inv
	s_cbranch_scc1 .LBB231_4
; %bb.15:                               ;   in Loop: Header=BB231_6 Depth=1
	scratch_load_b32 v0, off, off offset:140 ; 4-byte Folded Reload
	s_waitcnt vmcnt(0)
	v_add_nc_u32_e32 v0, s15, v0
	s_delay_alu instid0(VALU_DEP_1)
	v_cmp_gt_i32_e32 vcc_lo, s5, v0
	s_and_b32 s20, s1, vcc_lo
	s_mov_b32 s14, exec_lo
	s_clause 0x3
	scratch_load_b32 v49, off, off offset:100
	scratch_load_b32 v55, off, off offset:104
	;; [unrolled: 1-line block ×4, first 2 shown]
	s_and_b32 s20, s14, s20
	s_delay_alu instid0(SALU_CYCLE_1)
	s_mov_b32 exec_lo, s20
	s_cbranch_execz .LBB231_17
; %bb.16:                               ;   in Loop: Header=BB231_6 Depth=1
	s_clause 0x1
	scratch_load_b32 v1, off, off offset:16
	scratch_load_b64 v[5:6], off, off offset:128
	s_waitcnt vmcnt(1)
	v_add_nc_u32_e32 v2, v1, v0
	s_waitcnt vmcnt(0)
	s_delay_alu instid0(VALU_DEP_1)
	v_mad_i64_i32 v[0:1], null, v2, 36, v[5:6]
	global_load_b32 v0, v[0:1], off offset:4
	scratch_load_b32 v1, off, off offset:136 ; 4-byte Folded Reload
	s_waitcnt vmcnt(0)
	ds_store_b32 v1, v0
.LBB231_17:                             ;   in Loop: Header=BB231_6 Depth=1
	s_or_b32 exec_lo, exec_lo, s14
	s_and_saveexec_b32 s14, s0
	s_cbranch_execz .LBB231_20
; %bb.18:                               ;   in Loop: Header=BB231_6 Depth=1
	scratch_load_b32 v0, off, off offset:124 ; 4-byte Folded Reload
	s_waitcnt vmcnt(0)
	v_or_b32_e32 v0, s15, v0
	s_delay_alu instid0(VALU_DEP_1) | instskip(NEXT) | instid1(VALU_DEP_1)
	v_or_b32_e32 v1, 4, v0
	v_cmp_gt_i32_e32 vcc_lo, s5, v1
	s_and_b32 s15, s1, vcc_lo
	s_delay_alu instid0(SALU_CYCLE_1)
	s_and_b32 exec_lo, exec_lo, s15
	s_cbranch_execz .LBB231_20
; %bb.19:                               ;   in Loop: Header=BB231_6 Depth=1
	scratch_load_b32 v2, off, off offset:16 ; 4-byte Folded Reload
	v_ashrrev_i32_e32 v1, 31, v0
	s_waitcnt vmcnt(0)
	v_add_co_u32 v2, vcc_lo, v2, v0
	scratch_load_b32 v0, off, off offset:160 ; 4-byte Folded Reload
	s_waitcnt vmcnt(0)
	v_add_co_ci_u32_e32 v3, vcc_lo, v0, v1, vcc_lo
	v_mad_u64_u32 v[0:1], null, v2, 36, s[12:13]
	s_delay_alu instid0(VALU_DEP_1)
	v_mad_i32_i24 v1, v3, 36, v1
	global_load_b32 v0, v[0:1], off
	scratch_load_b32 v1, off, off offset:156 ; 4-byte Folded Reload
	s_waitcnt vmcnt(0)
	ds_store_b32 v1, v0
.LBB231_20:                             ;   in Loop: Header=BB231_6 Depth=1
	s_or_b32 exec_lo, exec_lo, s14
	s_waitcnt vmcnt(0) lgkmcnt(0)
	s_barrier
	buffer_gl0_inv
	s_clause 0x3
	scratch_load_b32 v0, off, off
	scratch_load_b32 v1, off, off offset:4
	scratch_load_b32 v2, off, off offset:8
	;; [unrolled: 1-line block ×3, first 2 shown]
	s_mov_b32 s14, 16
	s_mov_b32 s15, 0
	;; [unrolled: 1-line block ×3, first 2 shown]
	s_waitcnt vmcnt(3)
	ds_load_b32 v0, v0
	s_waitcnt vmcnt(2)
	ds_load_b32 v1, v1 offset:128
	s_waitcnt vmcnt(1)
	ds_load_b32 v2, v2 offset:256
	;; [unrolled: 2-line block ×3, first 2 shown]
	s_clause 0x2
	scratch_load_b32 v93, off, off offset:152
	scratch_load_b32 v94, off, off offset:148
	;; [unrolled: 1-line block ×3, first 2 shown]
	s_waitcnt lgkmcnt(3)
	v_cvt_f32_f16_e32 v95, v0
	v_lshrrev_b32_e32 v0, 16, v0
	s_waitcnt lgkmcnt(2)
	v_cvt_f32_f16_e32 v96, v1
	v_lshrrev_b32_e32 v1, 16, v1
	s_waitcnt lgkmcnt(1)
	v_cvt_f32_f16_e32 v97, v2
	v_lshrrev_b32_e32 v2, 16, v2
	s_waitcnt lgkmcnt(0)
	v_lshrrev_b32_e32 v5, 16, v3
	v_cvt_f32_f16_e32 v98, v3
	v_cvt_f32_f16_e32 v99, v0
	v_cvt_f32_f16_e32 v100, v1
	v_cvt_f32_f16_e32 v101, v2
	v_cvt_f32_f16_e32 v102, v5
.LBB231_21:                             ;   Parent Loop BB231_6 Depth=1
                                        ; =>  This Inner Loop Header: Depth=2
	s_waitcnt vmcnt(2)
	ds_load_b128 v[0:3], v93
	ds_load_b128 v[7:10], v93 offset:16
	v_add_nc_u32_e32 v168, s15, v83
	s_lshr_b32 s21, s14, 2
	s_waitcnt vmcnt(0)
	v_add_nc_u32_e32 v15, 0x2108, v103
	s_and_b32 s21, s21, 0x3ffffffc
	v_add_nc_u32_e32 v18, 0x3180, v103
	v_add3_u32 v167, v86, s21, v168
	v_add_nc_u32_e32 v16, 0x2110, v103
	v_add_nc_u32_e32 v32, 0x1098, v103
	;; [unrolled: 1-line block ×3, first 2 shown]
	s_add_i32 s22, s20, 8
	s_add_i32 s20, s20, 16
	;; [unrolled: 1-line block ×4, first 2 shown]
	s_cmp_lt_u32 s20, 24
	s_mov_b32 s20, s22
	s_waitcnt lgkmcnt(1)
	v_bfe_i32 v13, v0, 0, 8
	v_bfe_i32 v11, v0, 8, 8
	v_bfe_i32 v157, v0, 16, 8
	v_ashrrev_i32_e32 v156, 24, v0
	v_bfe_i32 v12, v1, 0, 8
	v_bfe_i32 v152, v1, 8, 8
	v_bfe_i32 v148, v1, 16, 8
	v_ashrrev_i32_e32 v149, 24, v1
	;; [unrolled: 4-line block ×4, first 2 shown]
	s_waitcnt lgkmcnt(0)
	v_bfe_i32 v146, v7, 0, 8
	v_bfe_i32 v128, v7, 8, 8
	v_bfe_i32 v125, v7, 16, 8
	v_ashrrev_i32_e32 v124, 24, v7
	v_bfe_i32 v138, v8, 0, 8
	v_bfe_i32 v120, v8, 8, 8
	v_bfe_i32 v116, v8, 16, 8
	v_ashrrev_i32_e32 v117, 24, v8
	;; [unrolled: 4-line block ×4, first 2 shown]
	ds_load_b128 v[0:3], v93 offset:32
	ds_load_b128 v[7:10], v93 offset:48
	v_add_nc_u32_e32 v93, 64, v93
	s_waitcnt lgkmcnt(1)
	v_bfe_i32 v164, v0, 0, 8
	v_bfe_i32 v160, v0, 8, 8
	v_bfe_i32 v159, v0, 16, 8
	v_ashrrev_i32_e32 v158, 24, v0
	v_bfe_i32 v163, v1, 0, 8
	v_bfe_i32 v153, v1, 8, 8
	v_bfe_i32 v151, v1, 16, 8
	v_ashrrev_i32_e32 v150, 24, v1
	;; [unrolled: 4-line block ×4, first 2 shown]
	s_waitcnt lgkmcnt(0)
	v_bfe_i32 v147, v7, 0, 8
	v_bfe_i32 v129, v7, 8, 8
	v_bfe_i32 v127, v7, 16, 8
	v_ashrrev_i32_e32 v126, 24, v7
	v_bfe_i32 v139, v8, 0, 8
	v_bfe_i32 v121, v8, 8, 8
	v_bfe_i32 v119, v8, 16, 8
	v_ashrrev_i32_e32 v118, 24, v8
	v_bfe_i32 v131, v9, 0, 8
	v_bfe_i32 v115, v9, 8, 8
	v_bfe_i32 v114, v9, 16, 8
	v_ashrrev_i32_e32 v110, 24, v9
	v_bfe_i32 v123, v10, 0, 8
	v_bfe_i32 v111, v10, 8, 8
	v_bfe_i32 v105, v10, 16, 8
	v_ashrrev_i32_e32 v104, 24, v10
	ds_load_2addr_b32 v[2:3], v103 offset1:1
	ds_load_2addr_b32 v[0:1], v103 offset0:2 offset1:3
	ds_load_2addr_b32 v[7:8], v103 offset0:4 offset1:5
	ds_load_b64 v[9:10], v94
	ds_load_u16 v165, v167 offset:17416
	v_add_nc_u32_e32 v94, 8, v94
	s_waitcnt lgkmcnt(4)
	v_and_b32_e32 v5, 15, v2
	v_and_b32_e32 v6, 15, v3
	s_waitcnt lgkmcnt(3)
	v_and_b32_e32 v14, 15, v0
	v_ashrrev_i32_e32 v22, 4, v2
	v_ashrrev_i32_e32 v25, 4, v3
	v_mul_i32_i24_e32 v5, v5, v13
	v_ashrrev_i32_e32 v29, 4, v0
	v_mul_i32_i24_e32 v14, v14, v162
	v_and_b32_e32 v45, 15, v1
	s_delay_alu instid0(VALU_DEP_4) | instskip(SKIP_1) | instid1(VALU_DEP_3)
	v_mad_i32_i24 v5, v6, v12, v5
	v_bfe_u32 v6, v2, 8, 4
	v_mul_i32_i24_e32 v45, v45, v154
	s_delay_alu instid0(VALU_DEP_2) | instskip(NEXT) | instid1(VALU_DEP_1)
	v_mul_i32_i24_e32 v6, v6, v11
	v_add3_u32 v5, v5, v14, v6
	v_add_nc_u32_e32 v6, 0x1080, v103
	v_add_nc_u32_e32 v14, 0x2100, v103
	ds_load_2addr_b32 v[170:171], v6 offset1:1
	ds_load_2addr_b32 v[172:173], v14 offset1:1
	v_add3_u32 v14, v85, s21, v168
	ds_load_2addr_b32 v[174:175], v15 offset1:1
	ds_load_2addr_b32 v[15:16], v16 offset1:1
	ds_load_u16 v166, v14 offset:17928
	ds_load_2addr_b32 v[176:177], v18 offset1:1
	v_add3_u32 v18, v84, s21, v168
	ds_load_u16 v169, v18 offset:18440
	s_waitcnt lgkmcnt(6)
	v_and_b32_e32 v6, 15, v170
	s_waitcnt lgkmcnt(5)
	v_and_b32_e32 v17, 15, v172
	v_ashrrev_i32_e32 v40, 4, v171
	v_ashrrev_i32_e32 v34, 4, v172
	v_mul_i32_i24_e32 v6, v6, v13
	s_waitcnt lgkmcnt(1)
	v_and_b32_e32 v20, 15, v176
	v_mul_i32_i24_e32 v17, v17, v13
	v_and_b32_e32 v41, 15, v40
	v_and_b32_e32 v35, 15, v34
	v_ashrrev_i32_e32 v37, 4, v176
	v_mul_i32_i24_e32 v13, v20, v13
	v_and_b32_e32 v20, 15, v171
	s_delay_alu instid0(VALU_DEP_4) | instskip(NEXT) | instid1(VALU_DEP_4)
	v_mul_i32_i24_e32 v35, v35, v164
	v_and_b32_e32 v38, 15, v37
	s_delay_alu instid0(VALU_DEP_3) | instskip(SKIP_1) | instid1(VALU_DEP_3)
	v_mad_i32_i24 v6, v20, v12, v6
	v_and_b32_e32 v20, 15, v173
	v_mul_i32_i24_e32 v38, v38, v164
	s_delay_alu instid0(VALU_DEP_2) | instskip(SKIP_1) | instid1(VALU_DEP_1)
	v_mad_i32_i24 v17, v20, v12, v17
	v_and_b32_e32 v20, 15, v177
	v_mad_i32_i24 v20, v20, v12, v13
	v_bfe_u32 v12, v2, 16, 4
	v_bfe_u32 v13, v2, 24, 4
	v_and_b32_e32 v2, 15, v22
	s_delay_alu instid0(VALU_DEP_3) | instskip(NEXT) | instid1(VALU_DEP_3)
	v_mul_i32_i24_e32 v12, v12, v157
	v_mul_i32_i24_e32 v13, v13, v156
	s_delay_alu instid0(VALU_DEP_3) | instskip(NEXT) | instid1(VALU_DEP_2)
	v_mul_i32_i24_e32 v2, v2, v164
	v_add3_u32 v5, v5, v12, v13
	v_and_b32_e32 v12, 15, v25
	v_and_b32_e32 v13, 15, v29
	s_delay_alu instid0(VALU_DEP_2) | instskip(SKIP_1) | instid1(VALU_DEP_3)
	v_mad_i32_i24 v2, v12, v163, v2
	v_bfe_u32 v12, v22, 8, 4
	v_mul_i32_i24_e32 v13, v13, v161
	s_delay_alu instid0(VALU_DEP_2) | instskip(NEXT) | instid1(VALU_DEP_1)
	v_mul_i32_i24_e32 v12, v12, v160
	v_add3_u32 v30, v2, v13, v12
	v_add_nc_u32_e32 v13, 0x1088, v103
	ds_load_u16 v2, v14 offset:17920
	v_add_nc_u32_e32 v14, 0x1090, v103
	ds_load_2addr_b32 v[178:179], v13 offset1:1
	ds_load_2addr_b32 v[180:181], v14 offset1:1
	;; [unrolled: 1-line block ×3, first 2 shown]
	v_bfe_u32 v12, v170, 8, 4
	s_delay_alu instid0(VALU_DEP_1) | instskip(SKIP_2) | instid1(VALU_DEP_1)
	v_mul_i32_i24_e32 v12, v12, v11
	s_waitcnt lgkmcnt(2)
	v_and_b32_e32 v32, 15, v178
	v_mul_i32_i24_e32 v32, v32, v162
	s_delay_alu instid0(VALU_DEP_1) | instskip(SKIP_2) | instid1(VALU_DEP_2)
	v_add3_u32 v6, v6, v32, v12
	v_bfe_u32 v12, v172, 8, 4
	v_and_b32_e32 v32, 15, v174
	v_mul_i32_i24_e32 v12, v12, v11
	s_delay_alu instid0(VALU_DEP_2) | instskip(NEXT) | instid1(VALU_DEP_1)
	v_mul_i32_i24_e32 v32, v32, v162
	v_add3_u32 v17, v17, v32, v12
	v_bfe_u32 v12, v176, 8, 4
	s_delay_alu instid0(VALU_DEP_1)
	v_mul_i32_i24_e32 v32, v12, v11
	v_add_nc_u32_e32 v11, 0x3188, v103
	v_add_nc_u32_e32 v12, 0x3190, v103
	ds_load_2addr_b32 v[182:183], v11 offset1:1
	ds_load_2addr_b32 v[184:185], v12 offset1:1
	;; [unrolled: 1-line block ×3, first 2 shown]
	ds_load_u16 v18, v18 offset:18432
	s_waitcnt lgkmcnt(3)
	v_and_b32_e32 v33, 15, v182
	s_delay_alu instid0(VALU_DEP_1) | instskip(NEXT) | instid1(VALU_DEP_1)
	v_mul_i32_i24_e32 v33, v33, v162
	v_add3_u32 v20, v20, v33, v32
	v_ashrrev_i32_e32 v32, 4, v170
	s_delay_alu instid0(VALU_DEP_1) | instskip(NEXT) | instid1(VALU_DEP_1)
	v_and_b32_e32 v33, 15, v32
	v_mul_i32_i24_e32 v33, v33, v164
	s_delay_alu instid0(VALU_DEP_1) | instskip(SKIP_1) | instid1(VALU_DEP_1)
	v_mad_i32_i24 v33, v41, v163, v33
	v_ashrrev_i32_e32 v41, 4, v173
	v_and_b32_e32 v42, 15, v41
	s_delay_alu instid0(VALU_DEP_1) | instskip(SKIP_1) | instid1(VALU_DEP_1)
	v_mad_i32_i24 v35, v42, v163, v35
	v_ashrrev_i32_e32 v42, 4, v177
	v_and_b32_e32 v44, 15, v42
	s_delay_alu instid0(VALU_DEP_1) | instskip(SKIP_1) | instid1(VALU_DEP_1)
	v_mad_i32_i24 v38, v44, v163, v38
	v_bfe_u32 v44, v3, 8, 4
	v_mul_i32_i24_e32 v44, v44, v152
	s_delay_alu instid0(VALU_DEP_1) | instskip(SKIP_2) | instid1(VALU_DEP_2)
	v_add3_u32 v5, v5, v45, v44
	v_bfe_u32 v44, v22, 16, 4
	v_bfe_u32 v22, v22, 24, 4
	v_mul_i32_i24_e32 v44, v44, v159
	s_delay_alu instid0(VALU_DEP_2) | instskip(NEXT) | instid1(VALU_DEP_1)
	v_mul_i32_i24_e32 v22, v22, v158
	v_add3_u32 v22, v30, v44, v22
	v_bfe_u32 v30, v170, 16, 4
	v_bfe_u32 v44, v170, 24, 4
	s_delay_alu instid0(VALU_DEP_2) | instskip(NEXT) | instid1(VALU_DEP_2)
	v_mul_i32_i24_e32 v30, v30, v157
	v_mul_i32_i24_e32 v44, v44, v156
	s_delay_alu instid0(VALU_DEP_1) | instskip(SKIP_2) | instid1(VALU_DEP_2)
	v_add3_u32 v6, v6, v30, v44
	v_ashrrev_i32_e32 v44, 4, v178
	v_bfe_u32 v30, v32, 8, 4
	v_and_b32_e32 v45, 15, v44
	s_delay_alu instid0(VALU_DEP_2) | instskip(NEXT) | instid1(VALU_DEP_2)
	v_mul_i32_i24_e32 v30, v30, v160
	v_mul_i32_i24_e32 v45, v45, v161
	s_delay_alu instid0(VALU_DEP_1) | instskip(SKIP_2) | instid1(VALU_DEP_2)
	v_add3_u32 v30, v33, v45, v30
	v_bfe_u32 v33, v172, 16, 4
	v_bfe_u32 v45, v172, 24, 4
	v_mul_i32_i24_e32 v33, v33, v157
	s_delay_alu instid0(VALU_DEP_2) | instskip(NEXT) | instid1(VALU_DEP_1)
	v_mul_i32_i24_e32 v45, v45, v156
	v_add3_u32 v17, v17, v33, v45
	v_ashrrev_i32_e32 v45, 4, v174
	v_bfe_u32 v33, v34, 8, 4
	s_delay_alu instid0(VALU_DEP_2) | instskip(NEXT) | instid1(VALU_DEP_2)
	v_and_b32_e32 v46, 15, v45
	v_mul_i32_i24_e32 v33, v33, v160
	s_delay_alu instid0(VALU_DEP_2) | instskip(NEXT) | instid1(VALU_DEP_1)
	v_mul_i32_i24_e32 v46, v46, v161
	v_add3_u32 v33, v35, v46, v33
	v_bfe_u32 v35, v176, 16, 4
	v_bfe_u32 v46, v176, 24, 4
	s_delay_alu instid0(VALU_DEP_2) | instskip(NEXT) | instid1(VALU_DEP_2)
	v_mul_i32_i24_e32 v35, v35, v157
	v_mul_i32_i24_e32 v46, v46, v156
	s_delay_alu instid0(VALU_DEP_1) | instskip(SKIP_2) | instid1(VALU_DEP_2)
	v_add3_u32 v20, v20, v35, v46
	v_ashrrev_i32_e32 v46, 4, v182
	v_bfe_u32 v35, v37, 8, 4
	v_and_b32_e32 v47, 15, v46
	s_delay_alu instid0(VALU_DEP_2) | instskip(NEXT) | instid1(VALU_DEP_2)
	v_mul_i32_i24_e32 v35, v35, v160
	v_mul_i32_i24_e32 v47, v47, v161
	s_delay_alu instid0(VALU_DEP_1) | instskip(SKIP_2) | instid1(VALU_DEP_2)
	v_add3_u32 v35, v38, v47, v35
	v_bfe_u32 v38, v3, 16, 4
	v_bfe_u32 v3, v3, 24, 4
	v_mul_i32_i24_e32 v38, v38, v148
	s_delay_alu instid0(VALU_DEP_2) | instskip(NEXT) | instid1(VALU_DEP_1)
	v_mul_i32_i24_e32 v3, v3, v149
	v_add3_u32 v3, v5, v38, v3
	v_ashrrev_i32_e32 v38, 4, v1
	v_bfe_u32 v5, v25, 8, 4
	s_delay_alu instid0(VALU_DEP_2) | instskip(NEXT) | instid1(VALU_DEP_2)
	v_and_b32_e32 v47, 15, v38
	v_mul_i32_i24_e32 v5, v5, v153
	s_delay_alu instid0(VALU_DEP_2) | instskip(NEXT) | instid1(VALU_DEP_1)
	v_mul_i32_i24_e32 v47, v47, v155
	v_add3_u32 v5, v22, v47, v5
	v_bfe_u32 v22, v171, 8, 4
	v_and_b32_e32 v47, 15, v179
	s_delay_alu instid0(VALU_DEP_2) | instskip(NEXT) | instid1(VALU_DEP_2)
	v_mul_i32_i24_e32 v22, v22, v152
	v_mul_i32_i24_e32 v47, v47, v154
	s_delay_alu instid0(VALU_DEP_1) | instskip(SKIP_2) | instid1(VALU_DEP_2)
	v_add3_u32 v6, v6, v47, v22
	v_bfe_u32 v22, v32, 16, 4
	v_bfe_u32 v32, v32, 24, 4
	v_mul_i32_i24_e32 v22, v22, v159
	s_delay_alu instid0(VALU_DEP_2) | instskip(NEXT) | instid1(VALU_DEP_1)
	v_mul_i32_i24_e32 v32, v32, v158
	v_add3_u32 v22, v30, v22, v32
	v_bfe_u32 v30, v173, 8, 4
	v_and_b32_e32 v32, 15, v175
	s_delay_alu instid0(VALU_DEP_2) | instskip(NEXT) | instid1(VALU_DEP_2)
	v_mul_i32_i24_e32 v30, v30, v152
	v_mul_i32_i24_e32 v32, v32, v154
	s_delay_alu instid0(VALU_DEP_1) | instskip(SKIP_3) | instid1(VALU_DEP_3)
	v_add3_u32 v17, v17, v32, v30
	v_bfe_u32 v30, v34, 16, 4
	v_bfe_u32 v32, v34, 24, 4
	v_and_b32_e32 v34, 15, v7
	v_mul_i32_i24_e32 v30, v30, v159
	s_delay_alu instid0(VALU_DEP_3) | instskip(NEXT) | instid1(VALU_DEP_3)
	v_mul_i32_i24_e32 v32, v32, v158
	v_mul_i32_i24_e32 v34, v34, v146
	s_delay_alu instid0(VALU_DEP_2) | instskip(SKIP_2) | instid1(VALU_DEP_2)
	v_add3_u32 v30, v33, v30, v32
	v_bfe_u32 v32, v177, 8, 4
	v_and_b32_e32 v33, 15, v183
	v_mul_i32_i24_e32 v32, v32, v152
	s_delay_alu instid0(VALU_DEP_2) | instskip(NEXT) | instid1(VALU_DEP_1)
	v_mul_i32_i24_e32 v33, v33, v154
	v_add3_u32 v20, v20, v33, v32
	v_bfe_u32 v32, v37, 16, 4
	v_bfe_u32 v33, v37, 24, 4
	s_delay_alu instid0(VALU_DEP_2) | instskip(NEXT) | instid1(VALU_DEP_2)
	v_mul_i32_i24_e32 v32, v32, v159
	v_mul_i32_i24_e32 v33, v33, v158
	s_delay_alu instid0(VALU_DEP_1) | instskip(SKIP_1) | instid1(VALU_DEP_1)
	v_add3_u32 v32, v35, v32, v33
	v_bfe_u32 v33, v0, 8, 4
	v_mul_i32_i24_e32 v33, v33, v144
	s_delay_alu instid0(VALU_DEP_1) | instskip(SKIP_2) | instid1(VALU_DEP_2)
	v_add3_u32 v3, v3, v34, v33
	v_bfe_u32 v33, v25, 16, 4
	v_bfe_u32 v25, v25, 24, 4
	v_mul_i32_i24_e32 v33, v33, v151
	s_delay_alu instid0(VALU_DEP_2) | instskip(NEXT) | instid1(VALU_DEP_1)
	v_mul_i32_i24_e32 v25, v25, v150
	v_add3_u32 v5, v5, v33, v25
	v_bfe_u32 v25, v171, 16, 4
	v_bfe_u32 v33, v171, 24, 4
	s_delay_alu instid0(VALU_DEP_2) | instskip(NEXT) | instid1(VALU_DEP_2)
	v_mul_i32_i24_e32 v25, v25, v148
	v_mul_i32_i24_e32 v33, v33, v149
	s_delay_alu instid0(VALU_DEP_1) | instskip(SKIP_2) | instid1(VALU_DEP_2)
	v_add3_u32 v6, v6, v25, v33
	v_ashrrev_i32_e32 v33, 4, v179
	v_bfe_u32 v25, v40, 8, 4
	v_and_b32_e32 v34, 15, v33
	s_delay_alu instid0(VALU_DEP_2) | instskip(NEXT) | instid1(VALU_DEP_2)
	v_mul_i32_i24_e32 v25, v25, v153
	v_mul_i32_i24_e32 v34, v34, v155
	s_delay_alu instid0(VALU_DEP_1) | instskip(SKIP_2) | instid1(VALU_DEP_2)
	v_add3_u32 v22, v22, v34, v25
	v_bfe_u32 v25, v173, 16, 4
	v_bfe_u32 v34, v173, 24, 4
	v_mul_i32_i24_e32 v25, v25, v148
	s_delay_alu instid0(VALU_DEP_2) | instskip(NEXT) | instid1(VALU_DEP_1)
	v_mul_i32_i24_e32 v34, v34, v149
	v_add3_u32 v17, v17, v25, v34
	v_ashrrev_i32_e32 v34, 4, v175
	v_bfe_u32 v25, v41, 8, 4
	s_delay_alu instid0(VALU_DEP_2) | instskip(NEXT) | instid1(VALU_DEP_2)
	v_and_b32_e32 v35, 15, v34
	v_mul_i32_i24_e32 v25, v25, v153
	s_delay_alu instid0(VALU_DEP_2) | instskip(NEXT) | instid1(VALU_DEP_1)
	v_mul_i32_i24_e32 v35, v35, v155
	v_add3_u32 v25, v30, v35, v25
	v_bfe_u32 v30, v177, 16, 4
	v_bfe_u32 v35, v177, 24, 4
	s_delay_alu instid0(VALU_DEP_2) | instskip(NEXT) | instid1(VALU_DEP_2)
	v_mul_i32_i24_e32 v30, v30, v148
	v_mul_i32_i24_e32 v35, v35, v149
	s_delay_alu instid0(VALU_DEP_1) | instskip(SKIP_2) | instid1(VALU_DEP_2)
	v_add3_u32 v20, v20, v30, v35
	v_ashrrev_i32_e32 v35, 4, v183
	v_bfe_u32 v30, v42, 8, 4
	v_and_b32_e32 v37, 15, v35
	s_delay_alu instid0(VALU_DEP_2) | instskip(NEXT) | instid1(VALU_DEP_2)
	v_mul_i32_i24_e32 v30, v30, v153
	v_mul_i32_i24_e32 v37, v37, v155
	s_delay_alu instid0(VALU_DEP_1) | instskip(SKIP_2) | instid1(VALU_DEP_2)
	v_add3_u32 v30, v32, v37, v30
	v_bfe_u32 v32, v0, 16, 4
	v_bfe_u32 v0, v0, 24, 4
	v_mul_i32_i24_e32 v32, v32, v141
	s_delay_alu instid0(VALU_DEP_2) | instskip(NEXT) | instid1(VALU_DEP_1)
	v_mul_i32_i24_e32 v0, v0, v140
	v_add3_u32 v0, v3, v32, v0
	v_ashrrev_i32_e32 v32, 4, v7
	v_bfe_u32 v3, v29, 8, 4
	s_delay_alu instid0(VALU_DEP_2) | instskip(NEXT) | instid1(VALU_DEP_2)
	v_and_b32_e32 v37, 15, v32
	v_mul_i32_i24_e32 v3, v3, v145
	s_delay_alu instid0(VALU_DEP_2) | instskip(NEXT) | instid1(VALU_DEP_1)
	v_mul_i32_i24_e32 v37, v37, v147
	v_add3_u32 v3, v5, v37, v3
	v_bfe_u32 v5, v178, 8, 4
	v_and_b32_e32 v37, 15, v180
	s_delay_alu instid0(VALU_DEP_2) | instskip(NEXT) | instid1(VALU_DEP_2)
	v_mul_i32_i24_e32 v5, v5, v144
	v_mul_i32_i24_e32 v37, v37, v146
	s_delay_alu instid0(VALU_DEP_1) | instskip(SKIP_2) | instid1(VALU_DEP_2)
	v_add3_u32 v5, v6, v37, v5
	v_bfe_u32 v6, v40, 16, 4
	v_bfe_u32 v37, v40, 24, 4
	v_mul_i32_i24_e32 v6, v6, v151
	s_delay_alu instid0(VALU_DEP_2) | instskip(NEXT) | instid1(VALU_DEP_1)
	v_mul_i32_i24_e32 v37, v37, v150
	v_add3_u32 v6, v22, v6, v37
	v_bfe_u32 v22, v174, 8, 4
	v_and_b32_e32 v37, 15, v15
	s_delay_alu instid0(VALU_DEP_2) | instskip(NEXT) | instid1(VALU_DEP_2)
	v_mul_i32_i24_e32 v22, v22, v144
	v_mul_i32_i24_e32 v37, v37, v146
	s_delay_alu instid0(VALU_DEP_1) | instskip(SKIP_2) | instid1(VALU_DEP_2)
	v_add3_u32 v17, v17, v37, v22
	v_bfe_u32 v22, v41, 16, 4
	v_bfe_u32 v37, v41, 24, 4
	v_mul_i32_i24_e32 v22, v22, v151
	s_delay_alu instid0(VALU_DEP_2) | instskip(NEXT) | instid1(VALU_DEP_1)
	v_mul_i32_i24_e32 v37, v37, v150
	v_add3_u32 v22, v25, v22, v37
	v_bfe_u32 v25, v182, 8, 4
	s_waitcnt lgkmcnt(2)
	v_and_b32_e32 v37, 15, v184
	s_delay_alu instid0(VALU_DEP_2) | instskip(NEXT) | instid1(VALU_DEP_2)
	v_mul_i32_i24_e32 v25, v25, v144
	v_mul_i32_i24_e32 v37, v37, v146
	s_delay_alu instid0(VALU_DEP_1) | instskip(SKIP_2) | instid1(VALU_DEP_2)
	v_add3_u32 v20, v20, v37, v25
	v_bfe_u32 v25, v42, 16, 4
	v_bfe_u32 v37, v42, 24, 4
	v_mul_i32_i24_e32 v25, v25, v151
	s_delay_alu instid0(VALU_DEP_2) | instskip(NEXT) | instid1(VALU_DEP_1)
	v_mul_i32_i24_e32 v37, v37, v150
	v_add3_u32 v25, v30, v25, v37
	v_bfe_u32 v30, v1, 8, 4
	v_and_b32_e32 v37, 15, v8
	s_delay_alu instid0(VALU_DEP_2) | instskip(NEXT) | instid1(VALU_DEP_2)
	v_mul_i32_i24_e32 v30, v30, v136
	v_mul_i32_i24_e32 v37, v37, v138
	s_delay_alu instid0(VALU_DEP_1) | instskip(SKIP_2) | instid1(VALU_DEP_2)
	v_add3_u32 v0, v0, v37, v30
	v_bfe_u32 v30, v29, 16, 4
	v_bfe_u32 v29, v29, 24, 4
	v_mul_i32_i24_e32 v30, v30, v143
	s_delay_alu instid0(VALU_DEP_2) | instskip(NEXT) | instid1(VALU_DEP_1)
	v_mul_i32_i24_e32 v29, v29, v142
	v_add3_u32 v3, v3, v30, v29
	v_bfe_u32 v29, v178, 16, 4
	v_bfe_u32 v30, v178, 24, 4
	s_delay_alu instid0(VALU_DEP_2) | instskip(NEXT) | instid1(VALU_DEP_2)
	v_mul_i32_i24_e32 v29, v29, v141
	v_mul_i32_i24_e32 v30, v30, v140
	s_delay_alu instid0(VALU_DEP_1) | instskip(SKIP_2) | instid1(VALU_DEP_2)
	v_add3_u32 v5, v5, v29, v30
	v_ashrrev_i32_e32 v30, 4, v180
	v_bfe_u32 v29, v44, 8, 4
	v_and_b32_e32 v37, 15, v30
	s_delay_alu instid0(VALU_DEP_2) | instskip(NEXT) | instid1(VALU_DEP_2)
	v_mul_i32_i24_e32 v29, v29, v145
	v_mul_i32_i24_e32 v37, v37, v147
	s_delay_alu instid0(VALU_DEP_1) | instskip(SKIP_2) | instid1(VALU_DEP_2)
	v_add3_u32 v6, v6, v37, v29
	v_bfe_u32 v29, v174, 16, 4
	v_bfe_u32 v37, v174, 24, 4
	v_mul_i32_i24_e32 v29, v29, v141
	s_delay_alu instid0(VALU_DEP_2) | instskip(NEXT) | instid1(VALU_DEP_1)
	v_mul_i32_i24_e32 v37, v37, v140
	v_add3_u32 v17, v17, v29, v37
	v_ashrrev_i32_e32 v37, 4, v15
	v_bfe_u32 v29, v45, 8, 4
	s_delay_alu instid0(VALU_DEP_2) | instskip(NEXT) | instid1(VALU_DEP_2)
	v_and_b32_e32 v40, 15, v37
	v_mul_i32_i24_e32 v29, v29, v145
	s_delay_alu instid0(VALU_DEP_2) | instskip(NEXT) | instid1(VALU_DEP_1)
	v_mul_i32_i24_e32 v40, v40, v147
	v_add3_u32 v22, v22, v40, v29
	v_bfe_u32 v29, v182, 16, 4
	v_bfe_u32 v40, v182, 24, 4
	s_delay_alu instid0(VALU_DEP_2) | instskip(NEXT) | instid1(VALU_DEP_2)
	v_mul_i32_i24_e32 v29, v29, v141
	v_mul_i32_i24_e32 v40, v40, v140
	s_delay_alu instid0(VALU_DEP_1) | instskip(SKIP_2) | instid1(VALU_DEP_2)
	v_add3_u32 v20, v20, v29, v40
	v_ashrrev_i32_e32 v40, 4, v184
	v_bfe_u32 v29, v46, 8, 4
	v_and_b32_e32 v41, 15, v40
	s_delay_alu instid0(VALU_DEP_2) | instskip(NEXT) | instid1(VALU_DEP_2)
	v_mul_i32_i24_e32 v29, v29, v145
	v_mul_i32_i24_e32 v41, v41, v147
	s_delay_alu instid0(VALU_DEP_1) | instskip(SKIP_3) | instid1(VALU_DEP_3)
	v_add3_u32 v25, v25, v41, v29
	v_bfe_u32 v29, v1, 16, 4
	v_bfe_u32 v1, v1, 24, 4
	v_ashrrev_i32_e32 v41, 4, v8
	v_mul_i32_i24_e32 v29, v29, v134
	s_delay_alu instid0(VALU_DEP_3) | instskip(NEXT) | instid1(VALU_DEP_1)
	v_mul_i32_i24_e32 v1, v1, v135
	v_add3_u32 v29, v0, v29, v1
	v_bfe_u32 v0, v38, 8, 4
	v_and_b32_e32 v1, 15, v41
	s_delay_alu instid0(VALU_DEP_2) | instskip(NEXT) | instid1(VALU_DEP_2)
	v_mul_i32_i24_e32 v0, v0, v137
	v_mul_i32_i24_e32 v1, v1, v139
	s_delay_alu instid0(VALU_DEP_1) | instskip(SKIP_2) | instid1(VALU_DEP_2)
	v_add3_u32 v3, v3, v1, v0
	v_bfe_u32 v0, v179, 8, 4
	v_and_b32_e32 v1, 15, v181
	v_mul_i32_i24_e32 v0, v0, v136
	s_delay_alu instid0(VALU_DEP_2) | instskip(NEXT) | instid1(VALU_DEP_1)
	v_mul_i32_i24_e32 v1, v1, v138
	v_add3_u32 v5, v5, v1, v0
	v_bfe_u32 v0, v44, 16, 4
	v_bfe_u32 v1, v44, 24, 4
	s_delay_alu instid0(VALU_DEP_2) | instskip(NEXT) | instid1(VALU_DEP_2)
	v_mul_i32_i24_e32 v0, v0, v143
	v_mul_i32_i24_e32 v1, v1, v142
	s_delay_alu instid0(VALU_DEP_1) | instskip(SKIP_2) | instid1(VALU_DEP_2)
	v_add3_u32 v6, v6, v0, v1
	v_bfe_u32 v0, v175, 8, 4
	v_and_b32_e32 v1, 15, v16
	v_mul_i32_i24_e32 v0, v0, v136
	s_delay_alu instid0(VALU_DEP_2) | instskip(NEXT) | instid1(VALU_DEP_1)
	v_mul_i32_i24_e32 v1, v1, v138
	v_add3_u32 v17, v17, v1, v0
	v_bfe_u32 v0, v45, 16, 4
	v_bfe_u32 v1, v45, 24, 4
	;; [unrolled: 13-line block ×3, first 2 shown]
	s_delay_alu instid0(VALU_DEP_2) | instskip(NEXT) | instid1(VALU_DEP_2)
	v_mul_i32_i24_e32 v0, v0, v143
	v_mul_i32_i24_e32 v1, v1, v142
	s_delay_alu instid0(VALU_DEP_1) | instskip(SKIP_1) | instid1(VALU_DEP_1)
	v_add3_u32 v25, v25, v0, v1
	v_bfe_u32 v0, v7, 8, 4
	v_mul_i32_i24_e32 v42, v0, v128
	ds_load_2addr_b32 v[0:1], v103 offset0:6 offset1:7
	s_waitcnt lgkmcnt(0)
	v_and_b32_e32 v44, 15, v0
	s_delay_alu instid0(VALU_DEP_1) | instskip(NEXT) | instid1(VALU_DEP_1)
	v_mul_i32_i24_e32 v44, v44, v130
	v_add3_u32 v29, v29, v44, v42
	v_bfe_u32 v42, v38, 16, 4
	v_bfe_u32 v38, v38, 24, 4
	s_delay_alu instid0(VALU_DEP_2) | instskip(NEXT) | instid1(VALU_DEP_2)
	v_mul_i32_i24_e32 v42, v42, v133
	v_mul_i32_i24_e32 v38, v38, v132
	s_delay_alu instid0(VALU_DEP_1) | instskip(SKIP_2) | instid1(VALU_DEP_2)
	v_add3_u32 v3, v3, v42, v38
	v_bfe_u32 v38, v179, 16, 4
	v_bfe_u32 v42, v179, 24, 4
	v_mul_i32_i24_e32 v38, v38, v134
	s_delay_alu instid0(VALU_DEP_2) | instskip(NEXT) | instid1(VALU_DEP_1)
	v_mul_i32_i24_e32 v42, v42, v135
	v_add3_u32 v5, v5, v38, v42
	v_ashrrev_i32_e32 v42, 4, v181
	v_bfe_u32 v38, v33, 8, 4
	s_delay_alu instid0(VALU_DEP_2) | instskip(NEXT) | instid1(VALU_DEP_2)
	v_and_b32_e32 v44, 15, v42
	v_mul_i32_i24_e32 v38, v38, v137
	s_delay_alu instid0(VALU_DEP_2) | instskip(NEXT) | instid1(VALU_DEP_1)
	v_mul_i32_i24_e32 v44, v44, v139
	v_add3_u32 v6, v6, v44, v38
	v_bfe_u32 v38, v175, 16, 4
	v_bfe_u32 v44, v175, 24, 4
	s_delay_alu instid0(VALU_DEP_2) | instskip(NEXT) | instid1(VALU_DEP_2)
	v_mul_i32_i24_e32 v38, v38, v134
	v_mul_i32_i24_e32 v44, v44, v135
	s_delay_alu instid0(VALU_DEP_1) | instskip(SKIP_2) | instid1(VALU_DEP_2)
	v_add3_u32 v17, v17, v38, v44
	v_ashrrev_i32_e32 v44, 4, v16
	v_bfe_u32 v38, v34, 8, 4
	v_and_b32_e32 v45, 15, v44
	s_delay_alu instid0(VALU_DEP_2) | instskip(NEXT) | instid1(VALU_DEP_2)
	v_mul_i32_i24_e32 v38, v38, v137
	v_mul_i32_i24_e32 v45, v45, v139
	s_delay_alu instid0(VALU_DEP_1) | instskip(SKIP_2) | instid1(VALU_DEP_2)
	v_add3_u32 v22, v22, v45, v38
	v_bfe_u32 v38, v183, 16, 4
	v_bfe_u32 v45, v183, 24, 4
	v_mul_i32_i24_e32 v38, v38, v134
	s_delay_alu instid0(VALU_DEP_2) | instskip(NEXT) | instid1(VALU_DEP_1)
	v_mul_i32_i24_e32 v45, v45, v135
	v_add3_u32 v20, v20, v38, v45
	v_ashrrev_i32_e32 v45, 4, v185
	v_bfe_u32 v38, v35, 8, 4
	s_delay_alu instid0(VALU_DEP_2) | instskip(NEXT) | instid1(VALU_DEP_2)
	v_and_b32_e32 v46, 15, v45
	v_mul_i32_i24_e32 v38, v38, v137
	s_delay_alu instid0(VALU_DEP_2) | instskip(NEXT) | instid1(VALU_DEP_1)
	v_mul_i32_i24_e32 v46, v46, v139
	v_add3_u32 v25, v25, v46, v38
	v_bfe_u32 v38, v7, 16, 4
	v_bfe_u32 v7, v7, 24, 4
	s_delay_alu instid0(VALU_DEP_2) | instskip(NEXT) | instid1(VALU_DEP_2)
	v_mul_i32_i24_e32 v38, v38, v125
	v_mul_i32_i24_e32 v7, v7, v124
	s_delay_alu instid0(VALU_DEP_1) | instskip(SKIP_2) | instid1(VALU_DEP_2)
	v_add3_u32 v7, v29, v38, v7
	v_ashrrev_i32_e32 v38, 4, v0
	v_bfe_u32 v29, v32, 8, 4
	v_and_b32_e32 v46, 15, v38
	s_delay_alu instid0(VALU_DEP_2) | instskip(NEXT) | instid1(VALU_DEP_2)
	v_mul_i32_i24_e32 v29, v29, v129
	v_mul_i32_i24_e32 v46, v46, v131
	s_delay_alu instid0(VALU_DEP_1) | instskip(SKIP_2) | instid1(VALU_DEP_2)
	v_add3_u32 v3, v3, v46, v29
	v_bfe_u32 v29, v180, 8, 4
	v_and_b32_e32 v46, 15, v13
	v_mul_i32_i24_e32 v29, v29, v128
	s_delay_alu instid0(VALU_DEP_2) | instskip(NEXT) | instid1(VALU_DEP_1)
	v_mul_i32_i24_e32 v46, v46, v130
	v_add3_u32 v5, v5, v46, v29
	v_bfe_u32 v29, v33, 16, 4
	v_bfe_u32 v33, v33, 24, 4
	s_delay_alu instid0(VALU_DEP_2) | instskip(NEXT) | instid1(VALU_DEP_2)
	v_mul_i32_i24_e32 v29, v29, v133
	v_mul_i32_i24_e32 v33, v33, v132
	s_delay_alu instid0(VALU_DEP_1)
	v_add3_u32 v6, v6, v29, v33
	v_add_nc_u32_e32 v33, 0x2118, v103
	v_bfe_u32 v29, v15, 8, 4
	v_add_nc_u32_e32 v103, 32, v103
	ds_load_2addr_b32 v[134:135], v33 offset1:1
	v_mul_i32_i24_e32 v29, v29, v128
	s_waitcnt lgkmcnt(0)
	v_and_b32_e32 v33, 15, v134
	s_delay_alu instid0(VALU_DEP_1) | instskip(NEXT) | instid1(VALU_DEP_1)
	v_mul_i32_i24_e32 v33, v33, v130
	v_add3_u32 v17, v17, v33, v29
	v_bfe_u32 v29, v34, 16, 4
	v_bfe_u32 v33, v34, 24, 4
	s_delay_alu instid0(VALU_DEP_2) | instskip(NEXT) | instid1(VALU_DEP_2)
	v_mul_i32_i24_e32 v29, v29, v133
	v_mul_i32_i24_e32 v33, v33, v132
	s_delay_alu instid0(VALU_DEP_1) | instskip(SKIP_2) | instid1(VALU_DEP_2)
	v_add3_u32 v22, v22, v29, v33
	v_bfe_u32 v29, v184, 8, 4
	v_and_b32_e32 v33, 15, v11
	v_mul_i32_i24_e32 v29, v29, v128
	s_delay_alu instid0(VALU_DEP_2) | instskip(NEXT) | instid1(VALU_DEP_1)
	v_mul_i32_i24_e32 v33, v33, v130
	v_add3_u32 v20, v20, v33, v29
	v_bfe_u32 v29, v35, 16, 4
	v_bfe_u32 v33, v35, 24, 4
	s_delay_alu instid0(VALU_DEP_2) | instskip(NEXT) | instid1(VALU_DEP_2)
	v_mul_i32_i24_e32 v29, v29, v133
	v_mul_i32_i24_e32 v33, v33, v132
	s_delay_alu instid0(VALU_DEP_1) | instskip(SKIP_2) | instid1(VALU_DEP_2)
	v_add3_u32 v25, v25, v29, v33
	v_bfe_u32 v29, v8, 8, 4
	v_and_b32_e32 v33, 15, v1
	v_mul_i32_i24_e32 v29, v29, v120
	s_delay_alu instid0(VALU_DEP_2) | instskip(NEXT) | instid1(VALU_DEP_1)
	v_mul_i32_i24_e32 v33, v33, v122
	v_add3_u32 v7, v7, v33, v29
	v_bfe_u32 v29, v32, 16, 4
	v_bfe_u32 v32, v32, 24, 4
	s_delay_alu instid0(VALU_DEP_2) | instskip(NEXT) | instid1(VALU_DEP_2)
	v_mul_i32_i24_e32 v29, v29, v127
	v_mul_i32_i24_e32 v32, v32, v126
	s_delay_alu instid0(VALU_DEP_1) | instskip(SKIP_2) | instid1(VALU_DEP_2)
	v_add3_u32 v3, v3, v29, v32
	v_bfe_u32 v29, v180, 16, 4
	v_bfe_u32 v32, v180, 24, 4
	v_mul_i32_i24_e32 v29, v29, v125
	s_delay_alu instid0(VALU_DEP_2) | instskip(NEXT) | instid1(VALU_DEP_1)
	v_mul_i32_i24_e32 v32, v32, v124
	v_add3_u32 v5, v5, v29, v32
	v_ashrrev_i32_e32 v32, 4, v13
	v_bfe_u32 v29, v30, 8, 4
	s_delay_alu instid0(VALU_DEP_2) | instskip(NEXT) | instid1(VALU_DEP_2)
	v_and_b32_e32 v33, 15, v32
	v_mul_i32_i24_e32 v29, v29, v129
	s_delay_alu instid0(VALU_DEP_2) | instskip(NEXT) | instid1(VALU_DEP_1)
	v_mul_i32_i24_e32 v33, v33, v131
	v_add3_u32 v6, v6, v33, v29
	v_bfe_u32 v29, v15, 16, 4
	v_bfe_u32 v15, v15, 24, 4
	s_delay_alu instid0(VALU_DEP_2) | instskip(NEXT) | instid1(VALU_DEP_2)
	v_mul_i32_i24_e32 v29, v29, v125
	v_mul_i32_i24_e32 v15, v15, v124
	s_delay_alu instid0(VALU_DEP_1) | instskip(SKIP_2) | instid1(VALU_DEP_2)
	v_add3_u32 v15, v17, v29, v15
	v_ashrrev_i32_e32 v29, 4, v134
	v_bfe_u32 v17, v37, 8, 4
	v_and_b32_e32 v33, 15, v29
	s_delay_alu instid0(VALU_DEP_2) | instskip(NEXT) | instid1(VALU_DEP_2)
	v_mul_i32_i24_e32 v17, v17, v129
	v_mul_i32_i24_e32 v33, v33, v131
	s_delay_alu instid0(VALU_DEP_1) | instskip(SKIP_2) | instid1(VALU_DEP_2)
	v_add3_u32 v17, v22, v33, v17
	v_bfe_u32 v22, v184, 16, 4
	v_bfe_u32 v33, v184, 24, 4
	v_mul_i32_i24_e32 v22, v22, v125
	s_delay_alu instid0(VALU_DEP_2) | instskip(NEXT) | instid1(VALU_DEP_1)
	v_mul_i32_i24_e32 v33, v33, v124
	v_add3_u32 v20, v20, v22, v33
	v_ashrrev_i32_e32 v33, 4, v11
	v_bfe_u32 v22, v40, 8, 4
	s_delay_alu instid0(VALU_DEP_2) | instskip(NEXT) | instid1(VALU_DEP_2)
	v_and_b32_e32 v34, 15, v33
	v_mul_i32_i24_e32 v22, v22, v129
	s_delay_alu instid0(VALU_DEP_2) | instskip(NEXT) | instid1(VALU_DEP_1)
	v_mul_i32_i24_e32 v34, v34, v131
	v_add3_u32 v22, v25, v34, v22
	v_bfe_u32 v25, v8, 16, 4
	v_bfe_u32 v8, v8, 24, 4
	s_delay_alu instid0(VALU_DEP_2) | instskip(NEXT) | instid1(VALU_DEP_2)
	v_mul_i32_i24_e32 v25, v25, v116
	v_mul_i32_i24_e32 v8, v8, v117
	s_delay_alu instid0(VALU_DEP_1) | instskip(SKIP_2) | instid1(VALU_DEP_2)
	v_add3_u32 v7, v7, v25, v8
	v_ashrrev_i32_e32 v25, 4, v1
	v_bfe_u32 v8, v41, 8, 4
	v_and_b32_e32 v34, 15, v25
	s_delay_alu instid0(VALU_DEP_2) | instskip(NEXT) | instid1(VALU_DEP_2)
	v_mul_i32_i24_e32 v8, v8, v121
	v_mul_i32_i24_e32 v34, v34, v123
	s_delay_alu instid0(VALU_DEP_1) | instskip(SKIP_2) | instid1(VALU_DEP_2)
	v_add3_u32 v3, v3, v34, v8
	v_bfe_u32 v8, v181, 8, 4
	v_and_b32_e32 v34, 15, v14
	v_mul_i32_i24_e32 v8, v8, v120
	s_delay_alu instid0(VALU_DEP_2) | instskip(NEXT) | instid1(VALU_DEP_1)
	v_mul_i32_i24_e32 v34, v34, v122
	v_add3_u32 v5, v5, v34, v8
	v_bfe_u32 v8, v30, 16, 4
	v_bfe_u32 v30, v30, 24, 4
	s_delay_alu instid0(VALU_DEP_2) | instskip(NEXT) | instid1(VALU_DEP_2)
	v_mul_i32_i24_e32 v8, v8, v127
	v_mul_i32_i24_e32 v30, v30, v126
	s_delay_alu instid0(VALU_DEP_1) | instskip(SKIP_2) | instid1(VALU_DEP_2)
	v_add3_u32 v6, v6, v8, v30
	v_bfe_u32 v8, v16, 8, 4
	v_and_b32_e32 v30, 15, v135
	v_mul_i32_i24_e32 v8, v8, v120
	s_delay_alu instid0(VALU_DEP_2) | instskip(NEXT) | instid1(VALU_DEP_1)
	v_mul_i32_i24_e32 v30, v30, v122
	v_add3_u32 v8, v15, v30, v8
	v_bfe_u32 v15, v37, 16, 4
	v_bfe_u32 v30, v37, 24, 4
	;; [unrolled: 13-line block ×3, first 2 shown]
	s_delay_alu instid0(VALU_DEP_2) | instskip(NEXT) | instid1(VALU_DEP_2)
	v_mul_i32_i24_e32 v20, v20, v127
	v_mul_i32_i24_e32 v30, v30, v126
	s_delay_alu instid0(VALU_DEP_1) | instskip(SKIP_3) | instid1(VALU_DEP_3)
	v_add3_u32 v20, v22, v20, v30
	v_bfe_u32 v22, v0, 8, 4
	v_bfe_u32 v30, v0, 16, 4
	;; [unrolled: 1-line block ×3, first 2 shown]
	v_mul_i32_i24_e32 v22, v22, v113
	s_delay_alu instid0(VALU_DEP_3) | instskip(NEXT) | instid1(VALU_DEP_3)
	v_mul_i32_i24_e32 v30, v30, v112
	v_mul_i32_i24_e32 v0, v0, v108
	s_delay_alu instid0(VALU_DEP_2) | instskip(SKIP_2) | instid1(VALU_DEP_2)
	v_add3_u32 v7, v7, v22, v30
	v_bfe_u32 v22, v41, 16, 4
	v_bfe_u32 v30, v41, 24, 4
	v_mul_i32_i24_e32 v22, v22, v119
	s_delay_alu instid0(VALU_DEP_2) | instskip(NEXT) | instid1(VALU_DEP_1)
	v_mul_i32_i24_e32 v30, v30, v118
	v_add3_u32 v3, v3, v22, v30
	v_bfe_u32 v22, v181, 16, 4
	v_bfe_u32 v30, v181, 24, 4
	s_delay_alu instid0(VALU_DEP_2) | instskip(NEXT) | instid1(VALU_DEP_2)
	v_mul_i32_i24_e32 v22, v22, v116
	v_mul_i32_i24_e32 v30, v30, v117
	s_delay_alu instid0(VALU_DEP_1) | instskip(SKIP_2) | instid1(VALU_DEP_2)
	v_add3_u32 v5, v5, v22, v30
	v_ashrrev_i32_e32 v30, 4, v14
	v_bfe_u32 v22, v42, 8, 4
	v_and_b32_e32 v34, 15, v30
	s_delay_alu instid0(VALU_DEP_2) | instskip(NEXT) | instid1(VALU_DEP_2)
	v_mul_i32_i24_e32 v22, v22, v121
	v_mul_i32_i24_e32 v34, v34, v123
	s_delay_alu instid0(VALU_DEP_1) | instskip(SKIP_2) | instid1(VALU_DEP_2)
	v_add3_u32 v6, v6, v34, v22
	v_bfe_u32 v22, v16, 16, 4
	v_bfe_u32 v16, v16, 24, 4
	v_mul_i32_i24_e32 v22, v22, v116
	s_delay_alu instid0(VALU_DEP_2) | instskip(NEXT) | instid1(VALU_DEP_1)
	v_mul_i32_i24_e32 v16, v16, v117
	v_add3_u32 v8, v8, v22, v16
	v_ashrrev_i32_e32 v22, 4, v135
	v_bfe_u32 v16, v44, 8, 4
	s_delay_alu instid0(VALU_DEP_2) | instskip(NEXT) | instid1(VALU_DEP_2)
	v_and_b32_e32 v34, 15, v22
	v_mul_i32_i24_e32 v16, v16, v121
	s_delay_alu instid0(VALU_DEP_2) | instskip(NEXT) | instid1(VALU_DEP_1)
	v_mul_i32_i24_e32 v34, v34, v123
	v_add3_u32 v15, v15, v34, v16
	v_bfe_u32 v16, v185, 16, 4
	v_bfe_u32 v34, v185, 24, 4
	s_delay_alu instid0(VALU_DEP_2) | instskip(NEXT) | instid1(VALU_DEP_2)
	v_mul_i32_i24_e32 v16, v16, v116
	v_mul_i32_i24_e32 v34, v34, v117
	s_delay_alu instid0(VALU_DEP_1) | instskip(SKIP_2) | instid1(VALU_DEP_2)
	v_add3_u32 v16, v17, v16, v34
	v_ashrrev_i32_e32 v34, 4, v12
	v_bfe_u32 v17, v45, 8, 4
	v_and_b32_e32 v35, 15, v34
	s_delay_alu instid0(VALU_DEP_2) | instskip(NEXT) | instid1(VALU_DEP_2)
	v_mul_i32_i24_e32 v17, v17, v121
	v_mul_i32_i24_e32 v35, v35, v123
	s_delay_alu instid0(VALU_DEP_1) | instskip(SKIP_1) | instid1(VALU_DEP_1)
	v_add3_u32 v17, v20, v35, v17
	v_bfe_u32 v20, v1, 8, 4
	v_mul_i32_i24_e32 v20, v20, v109
	s_delay_alu instid0(VALU_DEP_1) | instskip(SKIP_2) | instid1(VALU_DEP_2)
	v_add3_u32 v0, v7, v0, v20
	v_bfe_u32 v7, v38, 8, 4
	v_bfe_u32 v20, v38, 16, 4
	v_mul_i32_i24_e32 v7, v7, v115
	s_delay_alu instid0(VALU_DEP_2) | instskip(NEXT) | instid1(VALU_DEP_1)
	v_mul_i32_i24_e32 v20, v20, v114
	v_add3_u32 v3, v3, v7, v20
	v_bfe_u32 v7, v13, 8, 4
	v_bfe_u32 v20, v13, 16, 4
	s_delay_alu instid0(VALU_DEP_2) | instskip(NEXT) | instid1(VALU_DEP_2)
	v_mul_i32_i24_e32 v7, v7, v113
	v_mul_i32_i24_e32 v20, v20, v112
	s_delay_alu instid0(VALU_DEP_1) | instskip(SKIP_2) | instid1(VALU_DEP_2)
	v_add3_u32 v5, v5, v7, v20
	v_bfe_u32 v7, v42, 16, 4
	v_bfe_u32 v20, v42, 24, 4
	v_mul_i32_i24_e32 v7, v7, v119
	s_delay_alu instid0(VALU_DEP_2) | instskip(NEXT) | instid1(VALU_DEP_1)
	v_mul_i32_i24_e32 v20, v20, v118
	v_add3_u32 v6, v6, v7, v20
	v_bfe_u32 v7, v134, 8, 4
	v_bfe_u32 v20, v134, 16, 4
	s_delay_alu instid0(VALU_DEP_2) | instskip(NEXT) | instid1(VALU_DEP_2)
	v_mul_i32_i24_e32 v7, v7, v113
	;; [unrolled: 13-line block ×3, first 2 shown]
	v_mul_i32_i24_e32 v20, v20, v112
	s_delay_alu instid0(VALU_DEP_1) | instskip(SKIP_2) | instid1(VALU_DEP_2)
	v_add3_u32 v15, v16, v15, v20
	v_bfe_u32 v16, v45, 16, 4
	v_bfe_u32 v20, v45, 24, 4
	v_mul_i32_i24_e32 v16, v16, v119
	s_delay_alu instid0(VALU_DEP_2) | instskip(NEXT) | instid1(VALU_DEP_1)
	v_mul_i32_i24_e32 v20, v20, v118
	v_add3_u32 v16, v17, v16, v20
	v_bfe_u32 v17, v1, 16, 4
	v_bfe_u32 v1, v1, 24, 4
	v_cvt_f32_ubyte0_e32 v20, v165
	s_delay_alu instid0(VALU_DEP_3) | instskip(NEXT) | instid1(VALU_DEP_3)
	v_mul_i32_i24_e32 v17, v17, v106
	v_mul_i32_i24_e32 v1, v1, v107
	s_delay_alu instid0(VALU_DEP_3) | instskip(NEXT) | instid1(VALU_DEP_2)
	v_fma_mix_f32 v20, v9, v20, 0 op_sel:[1,0,0] op_sel_hi:[1,0,0]
	v_add3_u32 v0, v0, v17, v1
	v_bfe_u32 v1, v38, 24, 4
	v_bfe_u32 v17, v25, 8, 4
	s_delay_alu instid0(VALU_DEP_2) | instskip(NEXT) | instid1(VALU_DEP_2)
	v_mul_i32_i24_e32 v1, v1, v110
	v_mul_i32_i24_e32 v17, v17, v111
	s_delay_alu instid0(VALU_DEP_1) | instskip(SKIP_2) | instid1(VALU_DEP_2)
	v_add3_u32 v1, v3, v1, v17
	v_bfe_u32 v3, v13, 24, 4
	v_bfe_u32 v13, v14, 8, 4
	v_mul_i32_i24_e32 v3, v3, v108
	s_delay_alu instid0(VALU_DEP_2) | instskip(NEXT) | instid1(VALU_DEP_1)
	v_mul_i32_i24_e32 v13, v13, v109
	v_add3_u32 v3, v5, v3, v13
	v_bfe_u32 v5, v32, 8, 4
	v_bfe_u32 v13, v32, 16, 4
	s_delay_alu instid0(VALU_DEP_2) | instskip(NEXT) | instid1(VALU_DEP_2)
	v_mul_i32_i24_e32 v5, v5, v115
	v_mul_i32_i24_e32 v13, v13, v114
	s_delay_alu instid0(VALU_DEP_1) | instskip(SKIP_2) | instid1(VALU_DEP_2)
	v_add3_u32 v5, v6, v5, v13
	v_bfe_u32 v6, v134, 24, 4
	v_bfe_u32 v13, v135, 8, 4
	v_mul_i32_i24_e32 v6, v6, v108
	s_delay_alu instid0(VALU_DEP_2) | instskip(NEXT) | instid1(VALU_DEP_1)
	v_mul_i32_i24_e32 v13, v13, v109
	v_add3_u32 v6, v7, v6, v13
	v_bfe_u32 v7, v29, 8, 4
	v_bfe_u32 v13, v29, 16, 4
	s_delay_alu instid0(VALU_DEP_2) | instskip(NEXT) | instid1(VALU_DEP_2)
	v_mul_i32_i24_e32 v7, v7, v115
	v_mul_i32_i24_e32 v13, v13, v114
	s_delay_alu instid0(VALU_DEP_1) | instskip(SKIP_3) | instid1(VALU_DEP_3)
	v_add3_u32 v7, v8, v7, v13
	v_bfe_u32 v8, v11, 24, 4
	v_bfe_u32 v11, v12, 8, 4
	;; [unrolled: 1-line block ×3, first 2 shown]
	v_mul_i32_i24_e32 v8, v8, v108
	s_delay_alu instid0(VALU_DEP_3) | instskip(NEXT) | instid1(VALU_DEP_3)
	v_mul_i32_i24_e32 v11, v11, v109
	v_mul_i32_i24_e32 v13, v13, v114
	s_delay_alu instid0(VALU_DEP_2) | instskip(SKIP_2) | instid1(VALU_DEP_2)
	v_add3_u32 v8, v15, v8, v11
	v_bfe_u32 v11, v33, 8, 4
	v_bfe_u32 v15, v25, 24, 4
	v_mul_i32_i24_e32 v11, v11, v115
	s_delay_alu instid0(VALU_DEP_2) | instskip(NEXT) | instid1(VALU_DEP_2)
	v_mul_i32_i24_e32 v15, v15, v104
	v_add3_u32 v11, v16, v11, v13
	v_bfe_u32 v13, v25, 16, 4
	v_bfe_u32 v16, v22, 24, 4
	v_cvt_f32_ubyte0_e32 v25, v166
	s_delay_alu instid0(VALU_DEP_3) | instskip(NEXT) | instid1(VALU_DEP_3)
	v_mul_i32_i24_e32 v13, v13, v105
	v_mul_i32_i24_e32 v16, v16, v104
	s_delay_alu instid0(VALU_DEP_3) | instskip(NEXT) | instid1(VALU_DEP_3)
	v_fma_mix_f32 v25, v9, v25, 0 op_sel:[1,0,0] op_sel_hi:[1,0,0]
	v_add3_u32 v1, v1, v13, v15
	v_bfe_u32 v13, v14, 16, 4
	v_bfe_u32 v14, v14, 24, 4
	;; [unrolled: 1-line block ×3, first 2 shown]
	s_delay_alu instid0(VALU_DEP_3) | instskip(NEXT) | instid1(VALU_DEP_3)
	v_mul_i32_i24_e32 v13, v13, v106
	v_mul_i32_i24_e32 v14, v14, v107
	s_delay_alu instid0(VALU_DEP_3) | instskip(NEXT) | instid1(VALU_DEP_2)
	v_mul_i32_i24_e32 v15, v15, v105
	v_add3_u32 v3, v3, v13, v14
	v_bfe_u32 v13, v32, 24, 4
	v_bfe_u32 v14, v30, 8, 4
	s_delay_alu instid0(VALU_DEP_2) | instskip(NEXT) | instid1(VALU_DEP_2)
	v_mul_i32_i24_e32 v13, v13, v110
	v_mul_i32_i24_e32 v14, v14, v111
	s_delay_alu instid0(VALU_DEP_1) | instskip(SKIP_2) | instid1(VALU_DEP_2)
	v_add3_u32 v5, v5, v13, v14
	v_bfe_u32 v13, v135, 16, 4
	v_bfe_u32 v14, v135, 24, 4
	v_mul_i32_i24_e32 v13, v13, v106
	s_delay_alu instid0(VALU_DEP_2) | instskip(NEXT) | instid1(VALU_DEP_1)
	v_mul_i32_i24_e32 v14, v14, v107
	v_add3_u32 v6, v6, v13, v14
	v_bfe_u32 v13, v29, 24, 4
	v_bfe_u32 v14, v22, 8, 4
	v_cvt_f32_ubyte1_e32 v22, v165
	v_cvt_f32_ubyte1_e32 v29, v166
	s_delay_alu instid0(VALU_DEP_4) | instskip(NEXT) | instid1(VALU_DEP_4)
	v_mul_i32_i24_e32 v13, v13, v110
	v_mul_i32_i24_e32 v14, v14, v111
	s_delay_alu instid0(VALU_DEP_4) | instskip(NEXT) | instid1(VALU_DEP_4)
	v_fma_mix_f32 v20, v10, v22, v20 op_sel:[1,0,0] op_sel_hi:[1,0,0]
	v_fma_mix_f32 v25, v10, v29, v25 op_sel:[1,0,0] op_sel_hi:[1,0,0]
	s_delay_alu instid0(VALU_DEP_3)
	v_add3_u32 v7, v7, v13, v14
	v_bfe_u32 v13, v12, 16, 4
	v_bfe_u32 v12, v12, 24, 4
	;; [unrolled: 1-line block ×3, first 2 shown]
	v_mul_f32_e32 v20, v20, v100
	v_add3_u32 v7, v7, v15, v16
	v_mul_i32_i24_e32 v13, v13, v106
	v_mul_i32_i24_e32 v12, v12, v107
	;; [unrolled: 1-line block ×3, first 2 shown]
	v_bfe_u32 v15, v34, 16, 4
	v_bfe_u32 v16, v34, 24, 4
	v_mul_f32_e32 v25, v25, v101
	v_add3_u32 v8, v8, v13, v12
	v_bfe_u32 v12, v33, 24, 4
	v_bfe_u32 v13, v34, 8, 4
	v_mul_i32_i24_e32 v15, v15, v105
	v_mul_i32_i24_e32 v16, v16, v104
	s_delay_alu instid0(VALU_DEP_4) | instskip(NEXT) | instid1(VALU_DEP_4)
	v_mul_i32_i24_e32 v12, v12, v110
	v_mul_i32_i24_e32 v13, v13, v111
	s_delay_alu instid0(VALU_DEP_1) | instskip(SKIP_3) | instid1(VALU_DEP_4)
	v_add3_u32 v11, v11, v12, v13
	v_bfe_u32 v13, v30, 16, 4
	v_add3_u32 v12, v87, s21, v168
	v_cvt_f32_ubyte1_e32 v30, v169
	v_add3_u32 v11, v11, v15, v16
	s_delay_alu instid0(VALU_DEP_4) | instskip(NEXT) | instid1(VALU_DEP_1)
	v_mul_i32_i24_e32 v13, v13, v105
	v_add3_u32 v5, v5, v13, v14
	ds_load_u16 v13, v12 offset:8
	ds_load_u16 v14, v167 offset:17408
	ds_load_u16 v12, v12
	s_waitcnt lgkmcnt(2)
	v_cvt_f32_ubyte0_e32 v17, v13
	v_cvt_f32_ubyte1_e32 v13, v13
	s_waitcnt lgkmcnt(0)
	v_and_b32_e32 v22, 0xff, v12
	v_lshrrev_b16 v12, 8, v12
	v_and_b32_e32 v29, 0xff, v14
	v_fma_mix_f32 v17, v9, v17, 0 op_sel:[1,0,0] op_sel_hi:[1,0,0]
	v_lshrrev_b16 v14, 8, v14
	v_mul_lo_u32 v0, v0, v22
	v_lshrrev_b16 v22, 8, v18
	v_and_b32_e32 v18, 0xff, v18
	v_fma_mix_f32 v13, v10, v13, v17 op_sel:[1,0,0] op_sel_hi:[1,0,0]
	v_cvt_f32_ubyte0_e32 v17, v169
	v_and_b32_e32 v12, 0xffff, v12
	v_and_b32_e32 v14, 0xffff, v14
	;; [unrolled: 1-line block ×3, first 2 shown]
	v_mul_lo_u32 v3, v3, v29
	v_fma_mix_f32 v17, v9, v17, 0 op_sel:[1,0,0] op_sel_hi:[1,0,0]
	v_mul_lo_u32 v8, v8, v18
	v_mul_lo_u32 v1, v1, v12
	;; [unrolled: 1-line block ×3, first 2 shown]
	v_cvt_f32_i32_e32 v0, v0
	v_fma_mix_f32 v17, v10, v30, v17 op_sel:[1,0,0] op_sel_hi:[1,0,0]
	v_and_b32_e32 v30, 0xff, v2
	v_lshrrev_b16 v2, 8, v2
	v_cvt_f32_i32_e32 v3, v3
	v_cvt_f32_i32_e32 v8, v8
	v_fma_mix_f32 v0, v9, v0, 0 op_sel_hi:[1,0,0]
	v_mul_lo_u32 v6, v6, v30
	v_and_b32_e32 v2, 0xffff, v2
	v_cvt_f32_i32_e32 v1, v1
	v_fma_mix_f32 v3, v9, v3, 0 op_sel_hi:[1,0,0]
	v_cvt_f32_i32_e32 v5, v5
	v_fma_mix_f32 v8, v9, v8, 0 op_sel_hi:[1,0,0]
	v_mul_lo_u32 v2, v7, v2
	v_mul_lo_u32 v7, v11, v22
	v_cvt_f32_i32_e32 v6, v6
	v_mul_f32_e32 v13, v13, v99
	v_fma_mix_f32 v0, v10, v1, v0 op_sel_hi:[1,0,0]
	v_fma_mix_f32 v1, v10, v5, v3 op_sel_hi:[1,0,0]
	s_delay_alu instid0(VALU_DEP_4)
	v_fma_mix_f32 v6, v9, v6, 0 op_sel_hi:[1,0,0]
	v_cvt_f32_i32_e32 v2, v2
	v_cvt_f32_i32_e32 v7, v7
	v_mul_f32_e32 v9, v17, v102
	v_fma_f32 v0, v0, v95, -v13
	v_fma_f32 v1, v1, v96, -v20
	v_fma_mix_f32 v2, v10, v2, v6 op_sel_hi:[1,0,0]
	v_fma_mix_f32 v3, v10, v7, v8 op_sel_hi:[1,0,0]
	s_delay_alu instid0(VALU_DEP_3) | instskip(NEXT) | instid1(VALU_DEP_3)
	v_dual_add_f32 v19, v19, v0 :: v_dual_add_f32 v60, v60, v1
	v_fma_f32 v2, v2, v97, -v25
	s_delay_alu instid0(VALU_DEP_3) | instskip(NEXT) | instid1(VALU_DEP_2)
	v_fma_f32 v3, v3, v98, -v9
	v_add_f32_e32 v50, v50, v2
	s_delay_alu instid0(VALU_DEP_2)
	v_add_f32_e32 v4, v4, v3
	s_cbranch_scc1 .LBB231_21
; %bb.22:                               ;   in Loop: Header=BB231_6 Depth=1
	s_barrier
	buffer_gl0_inv
	s_clause 0x15
	scratch_load_b32 v17, off, off offset:20
	scratch_load_b32 v18, off, off offset:24
	;; [unrolled: 1-line block ×22, first 2 shown]
	s_branch .LBB231_5
.LBB231_23:
	scratch_load_b32 v13, off, off offset:164 ; 4-byte Folded Reload
.LBB231_24:
	s_mul_i32 s0, s7, s4
	s_waitcnt vmcnt(0)
	v_cmp_gt_i32_e32 vcc_lo, s0, v13
	s_and_saveexec_b32 s0, vcc_lo
	s_cbranch_execz .LBB231_33
; %bb.25:
	scratch_load_b32 v0, off, off offset:124 ; 4-byte Folded Reload
	s_mov_b32 s0, exec_lo
	s_waitcnt vmcnt(0)
	v_add_nc_u32_e32 v1, s16, v0
	v_mul_lo_u32 v0, v13, s6
	s_delay_alu instid0(VALU_DEP_2)
	v_cmpx_gt_u32_e64 s6, v1
	s_cbranch_execz .LBB231_27
; %bb.26:
	v_bfe_u32 v3, v19, 16, 1
	s_delay_alu instid0(VALU_DEP_3) | instskip(SKIP_1) | instid1(VALU_DEP_3)
	v_add_nc_u32_e32 v2, v0, v1
	v_cmp_o_f32_e32 vcc_lo, v19, v19
	v_add3_u32 v5, v19, v3, 0x7fff
	v_mov_b32_e32 v3, 0
	s_delay_alu instid0(VALU_DEP_2) | instskip(NEXT) | instid1(VALU_DEP_2)
	v_lshrrev_b32_e32 v5, 16, v5
	v_lshlrev_b64 v[2:3], 1, v[2:3]
	s_delay_alu instid0(VALU_DEP_2) | instskip(NEXT) | instid1(VALU_DEP_2)
	v_cndmask_b32_e32 v5, 0x7fc0, v5, vcc_lo
	v_add_co_u32 v2, vcc_lo, s8, v2
	s_delay_alu instid0(VALU_DEP_3)
	v_add_co_ci_u32_e32 v3, vcc_lo, s9, v3, vcc_lo
	global_store_b16 v[2:3], v5, off
.LBB231_27:
	s_or_b32 exec_lo, exec_lo, s0
	v_add_nc_u32_e32 v2, 32, v1
	s_mov_b32 s0, exec_lo
	s_delay_alu instid0(VALU_DEP_1)
	v_cmpx_gt_u32_e64 s6, v2
	s_cbranch_execz .LBB231_29
; %bb.28:
	v_bfe_u32 v3, v60, 16, 1
	v_add_nc_u32_e32 v2, v0, v2
	v_cmp_o_f32_e32 vcc_lo, v60, v60
	s_delay_alu instid0(VALU_DEP_3) | instskip(SKIP_1) | instid1(VALU_DEP_2)
	v_add3_u32 v5, v60, v3, 0x7fff
	v_mov_b32_e32 v3, 0
	v_lshrrev_b32_e32 v5, 16, v5
	s_delay_alu instid0(VALU_DEP_2) | instskip(NEXT) | instid1(VALU_DEP_2)
	v_lshlrev_b64 v[2:3], 1, v[2:3]
	v_cndmask_b32_e32 v5, 0x7fc0, v5, vcc_lo
	s_delay_alu instid0(VALU_DEP_2) | instskip(NEXT) | instid1(VALU_DEP_3)
	v_add_co_u32 v2, vcc_lo, s8, v2
	v_add_co_ci_u32_e32 v3, vcc_lo, s9, v3, vcc_lo
	global_store_b16 v[2:3], v5, off
.LBB231_29:
	s_or_b32 exec_lo, exec_lo, s0
	v_add_nc_u32_e32 v2, 64, v1
	s_mov_b32 s0, exec_lo
	s_delay_alu instid0(VALU_DEP_1)
	v_cmpx_gt_u32_e64 s6, v2
	s_cbranch_execz .LBB231_31
; %bb.30:
	v_bfe_u32 v3, v50, 16, 1
	v_add_nc_u32_e32 v2, v0, v2
	v_cmp_o_f32_e32 vcc_lo, v50, v50
	s_delay_alu instid0(VALU_DEP_3) | instskip(SKIP_1) | instid1(VALU_DEP_2)
	v_add3_u32 v5, v50, v3, 0x7fff
	v_mov_b32_e32 v3, 0
	v_lshrrev_b32_e32 v5, 16, v5
	s_delay_alu instid0(VALU_DEP_2) | instskip(NEXT) | instid1(VALU_DEP_2)
	v_lshlrev_b64 v[2:3], 1, v[2:3]
	v_cndmask_b32_e32 v5, 0x7fc0, v5, vcc_lo
	s_delay_alu instid0(VALU_DEP_2) | instskip(NEXT) | instid1(VALU_DEP_3)
	v_add_co_u32 v2, vcc_lo, s8, v2
	v_add_co_ci_u32_e32 v3, vcc_lo, s9, v3, vcc_lo
	global_store_b16 v[2:3], v5, off
.LBB231_31:
	s_or_b32 exec_lo, exec_lo, s0
	v_add_nc_u32_e32 v1, 0x60, v1
	s_delay_alu instid0(VALU_DEP_1)
	v_cmp_gt_u32_e32 vcc_lo, s6, v1
	s_and_b32 exec_lo, exec_lo, vcc_lo
	s_cbranch_execz .LBB231_33
; %bb.32:
	v_bfe_u32 v2, v4, 16, 1
	v_dual_mov_b32 v1, 0 :: v_dual_add_nc_u32 v0, v0, v1
	v_cmp_o_f32_e32 vcc_lo, v4, v4
	s_delay_alu instid0(VALU_DEP_3) | instskip(NEXT) | instid1(VALU_DEP_3)
	v_add3_u32 v2, v4, v2, 0x7fff
	v_lshlrev_b64 v[0:1], 1, v[0:1]
	s_delay_alu instid0(VALU_DEP_2) | instskip(NEXT) | instid1(VALU_DEP_1)
	v_lshrrev_b32_e32 v2, 16, v2
	v_cndmask_b32_e32 v2, 0x7fc0, v2, vcc_lo
	s_delay_alu instid0(VALU_DEP_3) | instskip(NEXT) | instid1(VALU_DEP_4)
	v_add_co_u32 v0, vcc_lo, s8, v0
	v_add_co_ci_u32_e32 v1, vcc_lo, s9, v1, vcc_lo
	global_store_b16 v[0:1], v2, off
.LBB231_33:
	s_endpgm
	.section	.rodata,"a",@progbits
	.p2align	6, 0x0
	.amdhsa_kernel _ZL8moe_q4_KIN3c108BFloat16ELb0EEvPKvS3_PT_PKiS7_S7_iiiiiii
		.amdhsa_group_segment_fixed_size 20688
		.amdhsa_private_segment_fixed_size 172
		.amdhsa_kernarg_size 76
		.amdhsa_user_sgpr_count 14
		.amdhsa_user_sgpr_dispatch_ptr 0
		.amdhsa_user_sgpr_queue_ptr 0
		.amdhsa_user_sgpr_kernarg_segment_ptr 1
		.amdhsa_user_sgpr_dispatch_id 0
		.amdhsa_user_sgpr_private_segment_size 0
		.amdhsa_wavefront_size32 1
		.amdhsa_uses_dynamic_stack 0
		.amdhsa_enable_private_segment 1
		.amdhsa_system_sgpr_workgroup_id_x 1
		.amdhsa_system_sgpr_workgroup_id_y 1
		.amdhsa_system_sgpr_workgroup_id_z 0
		.amdhsa_system_sgpr_workgroup_info 0
		.amdhsa_system_vgpr_workitem_id 1
		.amdhsa_next_free_vgpr 256
		.amdhsa_next_free_sgpr 23
		.amdhsa_reserve_vcc 1
		.amdhsa_float_round_mode_32 0
		.amdhsa_float_round_mode_16_64 0
		.amdhsa_float_denorm_mode_32 3
		.amdhsa_float_denorm_mode_16_64 3
		.amdhsa_dx10_clamp 1
		.amdhsa_ieee_mode 1
		.amdhsa_fp16_overflow 0
		.amdhsa_workgroup_processor_mode 1
		.amdhsa_memory_ordered 1
		.amdhsa_forward_progress 0
		.amdhsa_shared_vgpr_count 0
		.amdhsa_exception_fp_ieee_invalid_op 0
		.amdhsa_exception_fp_denorm_src 0
		.amdhsa_exception_fp_ieee_div_zero 0
		.amdhsa_exception_fp_ieee_overflow 0
		.amdhsa_exception_fp_ieee_underflow 0
		.amdhsa_exception_fp_ieee_inexact 0
		.amdhsa_exception_int_div_zero 0
	.end_amdhsa_kernel
	.section	.text._ZL8moe_q4_KIN3c108BFloat16ELb0EEvPKvS3_PT_PKiS7_S7_iiiiiii,"axG",@progbits,_ZL8moe_q4_KIN3c108BFloat16ELb0EEvPKvS3_PT_PKiS7_S7_iiiiiii,comdat
.Lfunc_end231:
	.size	_ZL8moe_q4_KIN3c108BFloat16ELb0EEvPKvS3_PT_PKiS7_S7_iiiiiii, .Lfunc_end231-_ZL8moe_q4_KIN3c108BFloat16ELb0EEvPKvS3_PT_PKiS7_S7_iiiiiii
                                        ; -- End function
	.section	.AMDGPU.csdata,"",@progbits
; Kernel info:
; codeLenInByte = 15636
; NumSgprs: 25
; NumVgprs: 256
; ScratchSize: 172
; MemoryBound: 0
; FloatMode: 240
; IeeeMode: 1
; LDSByteSize: 20688 bytes/workgroup (compile time only)
; SGPRBlocks: 3
; VGPRBlocks: 31
; NumSGPRsForWavesPerEU: 25
; NumVGPRsForWavesPerEU: 256
; Occupancy: 5
; WaveLimiterHint : 1
; COMPUTE_PGM_RSRC2:SCRATCH_EN: 1
; COMPUTE_PGM_RSRC2:USER_SGPR: 14
; COMPUTE_PGM_RSRC2:TRAP_HANDLER: 0
; COMPUTE_PGM_RSRC2:TGID_X_EN: 1
; COMPUTE_PGM_RSRC2:TGID_Y_EN: 1
; COMPUTE_PGM_RSRC2:TGID_Z_EN: 0
; COMPUTE_PGM_RSRC2:TIDIG_COMP_CNT: 1
	.section	.text._ZL8moe_q4_KIN3c108BFloat16ELb1EEvPKvS3_PT_PKiS7_S7_iiiiiii,"axG",@progbits,_ZL8moe_q4_KIN3c108BFloat16ELb1EEvPKvS3_PT_PKiS7_S7_iiiiiii,comdat
	.globl	_ZL8moe_q4_KIN3c108BFloat16ELb1EEvPKvS3_PT_PKiS7_S7_iiiiiii ; -- Begin function _ZL8moe_q4_KIN3c108BFloat16ELb1EEvPKvS3_PT_PKiS7_S7_iiiiiii
	.p2align	8
	.type	_ZL8moe_q4_KIN3c108BFloat16ELb1EEvPKvS3_PT_PKiS7_S7_iiiiiii,@function
_ZL8moe_q4_KIN3c108BFloat16ELb1EEvPKvS3_PT_PKiS7_S7_iiiiiii: ; @_ZL8moe_q4_KIN3c108BFloat16ELb1EEvPKvS3_PT_PKiS7_S7_iiiiiii
; %bb.0:
	s_load_b128 s[4:7], s[0:1], 0x18
	s_mov_b32 s2, s15
	s_mov_b32 s3, 0
	s_delay_alu instid0(SALU_CYCLE_1)
	s_lshl_b64 s[8:9], s[2:3], 2
	s_waitcnt lgkmcnt(0)
	s_add_u32 s6, s6, s8
	s_addc_u32 s7, s7, s9
	s_load_b32 s15, s[6:7], 0x0
	s_waitcnt lgkmcnt(0)
	s_cmpk_gt_u32 s15, 0xff
	s_cbranch_scc1 .LBB232_34
; %bb.1:
	s_load_b64 s[6:7], s[0:1], 0x28
	s_lshl_b32 s2, s2, 3
	s_waitcnt lgkmcnt(0)
	s_load_b32 s3, s[6:7], 0x0
	s_waitcnt lgkmcnt(0)
	s_cmp_gt_u32 s2, s3
	s_cbranch_scc1 .LBB232_34
; %bb.2:
	v_bfe_u32 v1, v0, 10, 10
	v_mov_b32_e32 v20, 0
	v_and_b32_e32 v0, 0x3ff, v0
	s_mov_b32 s18, 0
	s_delay_alu instid0(VALU_DEP_2) | instskip(SKIP_2) | instid1(VALU_DEP_3)
	v_dual_mov_b32 v58, v20 :: v_dual_add_nc_u32 v19, s2, v1
	v_mov_b32_e32 v62, v20
	v_mov_b32_e32 v36, v20
	v_lshlrev_b64 v[2:3], 2, v[19:20]
	s_delay_alu instid0(VALU_DEP_1) | instskip(NEXT) | instid1(VALU_DEP_2)
	v_add_co_u32 v2, vcc_lo, s4, v2
	v_add_co_ci_u32_e32 v3, vcc_lo, s5, v3, vcc_lo
	global_load_b32 v5, v[2:3], off
	s_clause 0x1
	s_load_b256 s[4:11], s[0:1], 0x30
	s_load_b64 s[12:13], s[0:1], 0x10
	s_waitcnt lgkmcnt(0)
	s_lshl_b32 s11, s14, 7
	scratch_store_b32 off, v0, off offset:156 ; 4-byte Folded Spill
	s_cmpk_lt_i32 s5, 0x100
	s_cbranch_scc1 .LBB232_25
; %bb.3:
	scratch_load_b32 v34, off, off offset:156 ; 4-byte Folded Reload
	s_load_b128 s[0:3], s[0:1], 0x0
	s_ashr_i32 s14, s5, 31
	s_mul_i32 s15, s15, s4
	s_lshr_b32 s4, s14, 24
	s_ashr_i32 s16, s8, 31
	s_add_i32 s4, s5, s4
	s_lshr_b32 s14, s16, 27
	s_ashr_i32 s4, s4, 8
	s_add_i32 s8, s8, s14
	s_mul_i32 s14, s4, s11
	s_ashr_i32 s16, s15, 31
	s_ashr_i32 s8, s8, 5
	s_mul_hi_i32 s17, s14, 0x90
	s_mulk_i32 s14, 0x90
	v_add_nc_u32_e32 v0, 8, v1
	v_dual_mov_b32 v36, 0 :: v_dual_add_nc_u32 v3, 16, v1
	v_add_nc_u32_e32 v8, 24, v1
	v_dual_mov_b32 v62, 0 :: v_dual_lshlrev_b32 v49, 5, v1
	s_waitcnt lgkmcnt(0)
	s_add_u32 s0, s0, s15
	s_addc_u32 s1, s1, s16
	s_add_u32 s19, s0, s14
	s_addc_u32 s20, s1, s17
	s_not_b32 s0, s11
	s_abs_i32 s1, s10
	s_add_i32 s0, s0, s6
	s_movk_i32 s6, 0x3180
	v_min_i32_e32 v2, s0, v1
	v_min_i32_e32 v0, s0, v0
	s_waitcnt vmcnt(1)
	scratch_store_b32 off, v5, off offset:196 ; 4-byte Folded Spill
	v_mul_lo_u32 v35, v2, s4
	s_waitcnt vmcnt(0)
	v_lshlrev_b32_e32 v4, 2, v34
	v_add_nc_u32_e32 v23, v49, v34
	v_lshrrev_b32_e32 v21, 2, v34
	v_lshrrev_b32_e32 v6, 5, v34
	v_add_nc_u32_e32 v32, 0x60, v34
	v_mad_u64_u32 v[9:10], null, 0x84, v2, v[4:5]
	v_min_i32_e32 v2, s0, v3
	v_add_nc_u32_e32 v3, 32, v1
	v_mad_u64_u32 v[11:12], null, 0x84, v0, v[4:5]
	v_mul_lo_u32 v10, v0, s4
	v_min_i32_e32 v0, s0, v8
	v_mul_lo_u32 v12, v2, s4
	v_mad_u64_u32 v[13:14], null, 0x84, v2, v[4:5]
	v_min_i32_e32 v2, s0, v3
	v_add_nc_u32_e32 v3, 40, v1
	v_mul_lo_u32 v14, v0, s4
	v_mad_u64_u32 v[15:16], null, 0x84, v0, v[4:5]
	v_add_nc_u32_e32 v0, 48, v1
	s_delay_alu instid0(VALU_DEP_4)
	v_min_i32_e32 v3, s0, v3
	v_mul_lo_u32 v16, v2, s4
	v_mad_u64_u32 v[17:18], null, 0x84, v2, v[4:5]
	v_add_nc_u32_e32 v2, 56, v1
	v_min_i32_e32 v0, s0, v0
	v_mul_lo_u32 v8, v3, s4
	v_mad_u64_u32 v[59:60], null, 0x84, v3, v[4:5]
	v_add_nc_u32_e32 v3, 64, v1
	;; [unrolled: 4-line block ×3, first 2 shown]
	v_min_i32_e32 v3, s0, v3
	v_mad_u64_u32 v[38:39], null, 0x84, v2, v[4:5]
	v_mul_lo_u32 v37, v2, s4
	s_delay_alu instid0(VALU_DEP_4)
	v_min_i32_e32 v0, s0, v0
	v_add_nc_u32_e32 v2, 0x50, v1
	v_mul_lo_u32 v87, v3, s4
	v_mad_u64_u32 v[39:40], null, 0x84, v3, v[4:5]
	v_add_nc_u32_e32 v3, 0x58, v1
	v_mul_lo_u32 v19, v0, s4
	v_min_i32_e32 v2, s0, v2
	v_mad_u64_u32 v[40:41], null, 0x84, v0, v[4:5]
	s_delay_alu instid0(VALU_DEP_4) | instskip(SKIP_1) | instid1(VALU_DEP_4)
	v_min_i32_e32 v0, s0, v3
	v_add_nc_u32_e32 v3, 0x60, v1
	v_mul_lo_u32 v41, v2, s4
	v_mad_u64_u32 v[42:43], null, 0x84, v2, v[4:5]
	v_and_b32_e32 v18, 0x7f, v23
	s_delay_alu instid0(VALU_DEP_4) | instskip(SKIP_4) | instid1(VALU_DEP_4)
	v_min_i32_e32 v2, s0, v3
	v_add_nc_u32_e32 v3, 0x68, v1
	v_mul_lo_u32 v43, v0, s4
	v_mad_u64_u32 v[44:45], null, 0x84, v0, v[4:5]
	v_min_i32_e32 v24, s0, v18
	v_min_i32_e32 v0, s0, v3
	v_add_nc_u32_e32 v3, 0x70, v1
	v_mul_lo_u32 v47, v2, s4
	v_mad_u64_u32 v[45:46], null, 0x84, v2, v[4:5]
	v_ashrrev_i32_e32 v20, 31, v24
	s_delay_alu instid0(VALU_DEP_4) | instskip(SKIP_4) | instid1(VALU_DEP_4)
	v_min_i32_e32 v2, s0, v3
	v_add_nc_u32_e32 v3, 0x78, v1
	v_mul_lo_u32 v18, v0, s4
	v_mad_u64_u32 v[50:51], null, 0x84, v0, v[4:5]
	v_lshl_add_u32 v21, v1, 3, v21
	v_min_i32_e32 v0, s0, v3
	v_lshrrev_b32_e32 v3, 27, v20
	v_cvt_f32_u32_e32 v20, s1
	v_mul_lo_u32 v46, v2, s4
	v_mad_u64_u32 v[51:52], null, 0x84, v2, v[4:5]
	v_mul_lo_u32 v48, v0, s4
	s_delay_alu instid0(VALU_DEP_4) | instskip(SKIP_4) | instid1(VALU_DEP_4)
	v_rcp_iflag_f32_e32 v20, v20
	v_add_nc_u32_e32 v2, v24, v3
	v_and_b32_e32 v3, 0x7f, v21
	v_mad_u64_u32 v[21:22], null, 0x84, v0, v[4:5]
	v_and_b32_e32 v0, 3, v34
	v_ashrrev_i32_e32 v2, 5, v2
	v_mul_lo_u32 v52, v24, s4
	v_lshlrev_b32_e32 v24, 2, v24
	v_min_i32_e32 v22, s0, v3
	v_add_nc_u32_e32 v25, 0xfe, v0
	v_cmp_gt_u32_e32 vcc_lo, 2, v0
	v_mul_f32_e32 v20, 0x4f7ffffe, v20
	v_lshlrev_b32_e32 v2, 2, v2
	v_xor_b32_e32 v3, 64, v3
	v_ashrrev_i32_e32 v26, 31, v22
	v_cndmask_b32_e32 v25, v25, v0, vcc_lo
	v_cvt_u32_f32_e32 v20, v20
	v_add3_u32 v53, v2, v24, 0x4e40
	v_cmp_ne_u32_e32 vcc_lo, 0, v0
	v_min_i32_e32 v3, s0, v3
	v_and_b32_e32 v24, 0xff, v25
	s_sub_i32 s0, 0, s1
	v_and_b32_e32 v25, 4, v4
	v_mul_lo_u32 v27, s0, v20
	v_lshrrev_b32_e32 v2, 29, v26
	v_add_co_ci_u32_e32 v28, vcc_lo, 0, v24, vcc_lo
	v_cmp_lt_u32_e32 vcc_lo, 1, v0
	v_ashrrev_i32_e32 v26, 31, v3
	v_and_b32_e32 v7, 0x7c, v4
	v_add_nc_u32_e32 v2, v22, v2
	v_mul_lo_u32 v56, v22, s4
	v_cndmask_b32_e32 v54, 0, v25, vcc_lo
	v_mul_hi_u32 v25, v20, v27
	v_sub_nc_u32_e32 v27, 0, v5
	v_lshrrev_b32_e32 v26, 29, v26
	v_ashrrev_i32_e32 v2, 3, v2
	v_lshlrev_b32_e32 v0, 2, v0
	v_lshlrev_b32_e32 v55, 1, v24
	v_max_i32_e32 v27, v5, v27
	v_add_nc_u32_e32 v26, v3, v26
	v_add_nc_u32_e32 v20, v20, v25
	v_lshlrev_b32_e32 v25, 4, v22
	v_and_b32_e32 v22, 28, v4
	v_lshlrev_b32_e32 v2, 2, v2
	v_ashrrev_i32_e32 v26, 3, v26
	v_mul_hi_u32 v20, v27, v20
	v_cndmask_b32_e64 v29, 0, 1, vcc_lo
	v_add_co_u32 v22, s0, s2, v22
	s_delay_alu instid0(VALU_DEP_4)
	v_lshlrev_b32_e32 v24, 2, v26
	v_add3_u32 v2, v2, v0, 0x4200
	v_mad_i32_i24 v26, 0xffffffe4, v1, v23
	v_add_co_ci_u32_e64 v23, null, s3, 0, s0
	v_mul_lo_u32 v30, v20, s1
	v_add3_u32 v0, v24, v0, 0x4200
	v_and_or_b32 v24, v34, 31, v49
	scratch_store_b64 off, v[22:23], off offset:160 ; 8-byte Folded Spill
	v_lshrrev_b32_e32 v33, 3, v32
	v_mul_lo_u32 v57, v3, s4
	v_lshlrev_b32_e32 v3, 4, v3
	v_lshl_add_u32 v22, v24, 2, 0x4a40
	v_sub_nc_u32_e32 v24, v27, v30
	v_lshlrev_b32_e32 v27, 2, v6
	v_add_nc_u32_e32 v30, 32, v34
	v_lshrrev_b32_e32 v66, 3, v34
	scratch_store_b32 off, v22, off offset:168 ; 4-byte Folded Spill
	v_lshl_add_u32 v22, v26, 2, 0x5050
	v_add_nc_u32_e32 v26, 1, v20
	v_subrev_nc_u32_e32 v31, s1, v24
	v_cmp_le_u32_e32 vcc_lo, s1, v24
	v_cmp_gt_u32_e64 s0, 4, v34
	scratch_store_b32 off, v22, off offset:188 ; 4-byte Folded Spill
	v_add3_u32 v22, v27, v4, 0x4e40
	v_mul_u32_u24_e32 v73, 0x84, v34
	v_cndmask_b32_e32 v20, v20, v26, vcc_lo
	v_dual_cndmask_b32 v24, v24, v31 :: v_dual_add_nc_u32 v31, 64, v34
	scratch_store_b32 off, v22, off         ; 4-byte Folded Spill
	v_lshrrev_b32_e32 v22, 3, v30
	v_add_nc_u32_e32 v27, 1, v20
	v_cmp_le_u32_e32 vcc_lo, s1, v24
	v_xor_b32_e32 v26, s10, v5
	v_lshrrev_b32_e32 v24, 3, v31
	v_lshlrev_b32_e32 v30, 2, v30
	v_lshlrev_b32_e32 v31, 2, v31
	v_dual_cndmask_b32 v20, v20, v27 :: v_dual_and_b32 v27, 60, v22
	v_ashrrev_i32_e32 v26, 31, v26
	v_and_b32_e32 v58, 60, v24
	s_movk_i32 s1, 0x1080
	v_mad_u32_u24 v76, 0x84, v34, s6
	v_add3_u32 v5, v4, v27, 0x4e40
	v_xor_b32_e32 v20, v20, v26
	v_and_b32_e32 v27, 60, v33
	v_mad_u32_u24 v74, 0x84, v34, s1
	s_movk_i32 s1, 0x2100
	s_clause 0x1
	scratch_store_b32 off, v5, off offset:4
	scratch_store_b32 off, v22, off offset:172
	v_add3_u32 v5, v4, v58, 0x4e40
	v_sub_nc_u32_e32 v20, v20, v26
	v_lshlrev_b32_e32 v26, 2, v32
	v_mad_u32_u24 v75, 0x84, v34, s1
	v_lshlrev_b32_e32 v81, 4, v34
	scratch_store_b32 off, v5, off offset:8 ; 4-byte Folded Spill
	v_add3_u32 v5, v4, v27, 0x4e40
	v_cmp_gt_i32_e64 s1, s7, v20
	v_lshlrev_b32_e32 v82, 2, v33
	v_lshlrev_b32_e32 v83, 2, v24
	;; [unrolled: 1-line block ×3, first 2 shown]
	scratch_store_b32 off, v5, off offset:12 ; 4-byte Folded Spill
	v_mul_lo_u32 v5, v20, s8
	v_lshl_or_b32 v85, v66, 2, 0x4200
	v_lshlrev_b32_e32 v22, 2, v29
	v_add_nc_u32_e32 v23, v2, v25
	v_lshlrev_b32_e32 v90, 2, v30
	v_lshlrev_b32_e32 v91, 2, v31
	;; [unrolled: 1-line block ×3, first 2 shown]
	v_mov_b32_e32 v58, 0
	scratch_store_b32 off, v5, off offset:16 ; 4-byte Folded Spill
	v_ashrrev_i32_e32 v5, 31, v5
	v_mov_b32_e32 v20, 0
	s_add_u32 s14, s2, 0x90
	s_addc_u32 s15, s3, 0
	scratch_store_b32 off, v5, off offset:192 ; 4-byte Folded Spill
	v_mad_u32_u24 v5, 0x84, v34, 64
	v_add_nc_u32_e32 v34, v0, v3
	scratch_store_b32 off, v5, off offset:176 ; 4-byte Folded Spill
	v_lshl_add_u32 v5, v1, 4, 0x5050
	v_lshl_add_u32 v1, v1, 7, 0x4a40
	s_clause 0x1
	scratch_store_b32 off, v5, off offset:180
	scratch_store_b32 off, v1, off offset:184
	v_lshlrev_b32_e32 v5, 2, v28
	s_clause 0x18
	scratch_store_b64 off, v[38:39], off offset:20
	scratch_store_b64 off, v[39:40], off offset:28
	;; [unrolled: 1-line block ×3, first 2 shown]
	scratch_store_b32 off, v41, off offset:44
	scratch_store_b64 off, v[42:43], off offset:48
	scratch_store_b32 off, v43, off offset:56
	scratch_store_b64 off, v[44:45], off offset:60
	scratch_store_b64 off, v[45:46], off offset:68
	scratch_store_b32 off, v47, off offset:76
	scratch_store_b32 off, v18, off offset:80
	scratch_store_b64 off, v[50:51], off offset:84
	scratch_store_b64 off, v[51:52], off offset:92
	scratch_store_b32 off, v46, off offset:100
	scratch_store_b32 off, v48, off offset:104
	scratch_store_b64 off, v[21:22], off offset:108
	scratch_store_b32 off, v52, off offset:116
	scratch_store_b32 off, v53, off offset:120
	scratch_store_b32 off, v54, off offset:124
	scratch_store_b32 off, v55, off offset:128
	scratch_store_b32 off, v56, off offset:132
	scratch_store_b32 off, v57, off offset:136
	scratch_store_b32 off, v5, off offset:140
	scratch_store_b32 off, v22, off offset:144
	scratch_store_b32 off, v23, off offset:148
	scratch_store_b32 off, v34, off offset:152
	s_branch .LBB232_7
.LBB232_4:                              ;   in Loop: Header=BB232_7 Depth=1
	s_clause 0xa
	scratch_load_b64 v[38:39], off, off offset:20
	scratch_load_b64 v[42:43], off, off offset:48
	;; [unrolled: 1-line block ×3, first 2 shown]
	scratch_load_b32 v47, off, off offset:76
	scratch_load_b64 v[50:51], off, off offset:84
	scratch_load_b32 v48, off, off offset:104
	scratch_load_b32 v53, off, off offset:120
	;; [unrolled: 1-line block ×6, first 2 shown]
.LBB232_5:                              ;   in Loop: Header=BB232_7 Depth=1
	v_dual_mov_b32 v35, v8 :: v_dual_mov_b32 v8, v18
	v_mov_b32_e32 v37, v21
	s_clause 0xd
	scratch_load_b32 v23, off, off offset:148
	scratch_load_b32 v34, off, off offset:152
	scratch_load_b64 v[39:40], off, off offset:28
	scratch_load_b64 v[40:41], off, off offset:36
	scratch_load_b32 v41, off, off offset:44
	scratch_load_b32 v43, off, off offset:56
	scratch_load_b64 v[45:46], off, off offset:68
	scratch_load_b32 v18, off, off offset:80
	scratch_load_b64 v[51:52], off, off offset:92
	;; [unrolled: 2-line block ×3, first 2 shown]
	scratch_load_b32 v52, off, off offset:116
	scratch_load_b32 v5, off, off offset:140
	;; [unrolled: 1-line block ×3, first 2 shown]
.LBB232_6:                              ;   in Loop: Header=BB232_7 Depth=1
	s_add_i32 s18, s18, 1
	s_delay_alu instid0(SALU_CYCLE_1)
	s_cmp_eq_u32 s18, s4
	s_cbranch_scc1 .LBB232_24
.LBB232_7:                              ; =>This Loop Header: Depth=1
                                        ;     Child Loop BB232_14 Depth 2
                                        ;     Child Loop BB232_22 Depth 2
	s_mul_i32 s6, s18, 0x90
	s_mul_hi_u32 s17, s18, 0x90
	s_add_u32 s16, s19, s6
	s_addc_u32 s17, s20, s17
	s_lshl_b32 s6, s18, 8
	v_mad_u64_u32 v[0:1], null, 0x90, v6, s[16:17]
	s_waitcnt vmcnt(15)
	v_mad_i64_i32 v[97:98], null, 0x90, v56, s[16:17]
	s_cmp_lt_i32 s6, s5
	s_delay_alu instid0(VALU_DEP_2) | instskip(NEXT) | instid1(VALU_DEP_3)
	v_add_co_u32 v0, vcc_lo, v0, v7
	v_add_co_ci_u32_e32 v1, vcc_lo, 0, v1, vcc_lo
	s_delay_alu instid0(VALU_DEP_2) | instskip(NEXT) | instid1(VALU_DEP_2)
	v_add_co_u32 v0, vcc_lo, v0, 16
	v_add_co_ci_u32_e32 v1, vcc_lo, 0, v1, vcc_lo
	s_delay_alu instid0(VALU_DEP_1)
	v_mad_i64_i32 v[2:3], null, 0x90, v35, v[0:1]
	v_mad_i64_i32 v[24:25], null, 0x90, v10, v[0:1]
	;; [unrolled: 1-line block ×8, first 2 shown]
	s_clause 0x7
	global_load_b32 v99, v[2:3], off
	global_load_b32 v100, v[24:25], off
	;; [unrolled: 1-line block ×8, first 2 shown]
	v_add_co_u32 v32, vcc_lo, v97, 4
	s_waitcnt vmcnt(22)
	v_mad_i64_i32 v[26:27], null, 0x90, v57, s[16:17]
	v_add_co_ci_u32_e32 v33, vcc_lo, 0, v98, vcc_lo
	s_waitcnt vmcnt(9)
	v_add_co_u32 v30, vcc_lo, v32, v5
	v_mad_i64_i32 v[2:3], null, 0x90, v87, v[0:1]
	s_delay_alu instid0(VALU_DEP_3)
	v_add_co_ci_u32_e32 v31, vcc_lo, 0, v33, vcc_lo
	v_add_co_u32 v93, vcc_lo, v26, 4
	v_add_co_ci_u32_e32 v94, vcc_lo, 0, v27, vcc_lo
	s_waitcnt vmcnt(8)
	v_add_co_u32 v26, vcc_lo, v32, v22
	v_add_co_ci_u32_e32 v27, vcc_lo, 0, v33, vcc_lo
	v_add_co_u32 v32, vcc_lo, v93, v5
	v_add_co_ci_u32_e32 v33, vcc_lo, 0, v94, vcc_lo
	v_add_co_u32 v93, vcc_lo, v93, v22
	v_add_co_ci_u32_e32 v94, vcc_lo, 0, v94, vcc_lo
	s_clause 0x2
	global_load_b32 v97, v[30:31], off
	global_load_b32 v98, v[26:27], off
	;; [unrolled: 1-line block ×3, first 2 shown]
	v_mad_i64_i32 v[24:25], null, 0x90, v19, v[0:1]
	v_mad_i64_i32 v[28:29], null, 0x90, v41, v[0:1]
	global_load_b32 v108, v[93:94], off
	v_mad_i64_i32 v[26:27], null, 0x90, v43, v[0:1]
	v_mad_i64_i32 v[30:31], null, 0x90, v47, v[0:1]
	;; [unrolled: 1-line block ×6, first 2 shown]
	s_clause 0x8
	global_load_b32 v2, v[2:3], off
	global_load_b32 v3, v[24:25], off
	;; [unrolled: 1-line block ×9, first 2 shown]
	s_waitcnt vmcnt(20)
	ds_store_b32 v9, v99
	s_waitcnt vmcnt(19)
	ds_store_b32 v11, v100
	;; [unrolled: 2-line block ×14, first 2 shown]
	v_ashrrev_i32_e32 v1, v54, v97
	v_ashrrev_i32_e32 v30, v54, v107
	;; [unrolled: 1-line block ×4, first 2 shown]
	s_delay_alu instid0(VALU_DEP_4) | instskip(NEXT) | instid1(VALU_DEP_4)
	v_and_b32_e32 v1, 0xf0f0f0f, v1
	v_and_b32_e32 v30, 0xf0f0f0f, v30
	s_delay_alu instid0(VALU_DEP_2) | instskip(NEXT) | instid1(VALU_DEP_2)
	v_and_or_b32 v1, 0x30303030, v31, v1
	v_and_or_b32 v2, 0x30303030, v32, v30
	s_waitcnt vmcnt(2)
	ds_store_b32 v51, v28
	s_waitcnt vmcnt(1)
	ds_store_b32 v21, v29
	;; [unrolled: 2-line block ×3, first 2 shown]
	ds_store_b32 v23, v1
	ds_store_b32 v34, v2
	s_cbranch_scc0 .LBB232_6
; %bb.8:                                ;   in Loop: Header=BB232_7 Depth=1
	s_lshl_b32 s16, s18, 3
	s_delay_alu instid0(SALU_CYCLE_1) | instskip(NEXT) | instid1(VALU_DEP_1)
	v_add_nc_u32_e32 v0, s16, v66
	v_cmp_gt_i32_e32 vcc_lo, s8, v0
	s_and_b32 s21, s1, vcc_lo
	s_delay_alu instid0(SALU_CYCLE_1)
	s_and_saveexec_b32 s17, s21
	s_cbranch_execz .LBB232_10
; %bb.9:                                ;   in Loop: Header=BB232_7 Depth=1
	s_clause 0x1
	scratch_load_b32 v1, off, off offset:16
	scratch_load_b64 v[22:23], off, off offset:160
	s_waitcnt vmcnt(1)
	v_add_nc_u32_e32 v2, v1, v0
	s_waitcnt vmcnt(0)
	s_delay_alu instid0(VALU_DEP_1)
	v_mad_i64_i32 v[0:1], null, v2, 36, v[22:23]
	global_load_b32 v0, v[0:1], off offset:4
	scratch_load_b32 v1, off, off offset:168 ; 4-byte Folded Reload
	s_waitcnt vmcnt(0)
	ds_store_b32 v1, v0
.LBB232_10:                             ;   in Loop: Header=BB232_7 Depth=1
	s_or_b32 exec_lo, exec_lo, s17
	v_dual_mov_b32 v21, v37 :: v_dual_mov_b32 v18, v8
	v_mov_b32_e32 v8, v35
	s_and_saveexec_b32 s17, s0
	s_cbranch_execz .LBB232_13
; %bb.11:                               ;   in Loop: Header=BB232_7 Depth=1
	scratch_load_b32 v0, off, off offset:156 ; 4-byte Folded Reload
	s_waitcnt vmcnt(0)
	v_or_b32_e32 v0, s16, v0
	s_delay_alu instid0(VALU_DEP_1) | instskip(SKIP_1) | instid1(SALU_CYCLE_1)
	v_cmp_gt_i32_e32 vcc_lo, s8, v0
	s_and_b32 s21, s1, vcc_lo
	s_and_b32 exec_lo, exec_lo, s21
	s_cbranch_execz .LBB232_13
; %bb.12:                               ;   in Loop: Header=BB232_7 Depth=1
	scratch_load_b32 v1, off, off offset:16 ; 4-byte Folded Reload
	s_waitcnt vmcnt(0)
	v_add_nc_u32_e32 v2, v1, v0
	s_delay_alu instid0(VALU_DEP_1)
	v_mad_i64_i32 v[0:1], null, v2, 36, s[2:3]
	global_load_b32 v0, v[0:1], off
	scratch_load_b32 v1, off, off offset:188 ; 4-byte Folded Reload
	s_waitcnt vmcnt(0)
	ds_store_b32 v1, v0
.LBB232_13:                             ;   in Loop: Header=BB232_7 Depth=1
	s_or_b32 exec_lo, exec_lo, s17
	s_waitcnt lgkmcnt(0)
	s_waitcnt_vscnt null, 0x0
	s_barrier
	buffer_gl0_inv
	s_clause 0x2
	scratch_load_b32 v0, off, off
	scratch_load_b32 v1, off, off offset:4
	scratch_load_b32 v2, off, off offset:8
	s_mov_b32 s22, 0
	s_mov_b32 s17, -1
	s_waitcnt vmcnt(2)
	ds_load_b32 v0, v0
	s_waitcnt vmcnt(1)
	ds_load_b32 v1, v1 offset:128
	s_waitcnt vmcnt(0)
	ds_load_b32 v25, v2 offset:256
	scratch_load_b32 v2, off, off offset:12 ; 4-byte Folded Reload
	s_waitcnt lgkmcnt(1)
	v_cvt_f32_f16_e32 v3, v1
	v_lshrrev_b32_e32 v1, 16, v1
	s_waitcnt lgkmcnt(0)
	v_lshrrev_b32_e32 v28, 16, v25
	v_cvt_f32_f16_e32 v24, v25
	s_delay_alu instid0(VALU_DEP_3) | instskip(NEXT) | instid1(VALU_DEP_3)
	v_cvt_f32_f16_e32 v27, v1
	v_cvt_f32_f16_e32 v28, v28
	s_waitcnt vmcnt(0)
	ds_load_b32 v26, v2 offset:384
	v_cvt_f32_f16_e32 v2, v0
	v_lshrrev_b32_e32 v0, 16, v0
	s_waitcnt lgkmcnt(0)
	v_lshrrev_b32_e32 v29, 16, v26
	v_cvt_f32_f16_e32 v25, v26
	s_delay_alu instid0(VALU_DEP_3) | instskip(NEXT) | instid1(VALU_DEP_3)
	v_cvt_f32_f16_e32 v26, v0
	v_cvt_f32_f16_e32 v29, v29
.LBB232_14:                             ;   Parent Loop BB232_7 Depth=1
                                        ; =>  This Inner Loop Header: Depth=2
	s_lshr_b32 s21, s22, 2
	v_lshl_or_b32 v0, s22, 1, v49
	s_lshl_b32 s22, s22, 2
	v_lshlrev_b32_e32 v1, 2, v66
	v_lshlrev_b32_e32 v30, 2, v4
	v_add_nc_u32_e32 v31, s22, v73
	s_addk_i32 s21, 0x4200
	v_add_nc_u32_e32 v32, s22, v74
	v_add_nc_u32_e32 v94, s22, v75
	;; [unrolled: 1-line block ×3, first 2 shown]
	v_add3_u32 v97, s21, v84, v90
	v_add3_u32 v105, s21, v83, v91
	;; [unrolled: 1-line block ×3, first 2 shown]
	v_lshlrev_b32_e32 v111, 2, v0
	v_add3_u32 v30, s21, v1, v30
	v_lshrrev_b32_e32 v147, 1, v0
	ds_load_2addr_b32 v[0:1], v31 offset1:1
	ds_load_2addr_b32 v[99:100], v31 offset0:2 offset1:3
	ds_load_2addr_b32 v[109:110], v31 offset0:4 offset1:5
	;; [unrolled: 1-line block ×3, first 2 shown]
	ds_load_2addr_b32 v[101:102], v94 offset1:1
	ds_load_2addr_b32 v[127:128], v94 offset0:2 offset1:3
	ds_load_2addr_b32 v[103:104], v32 offset1:1
	ds_load_2addr_b32 v[129:130], v33 offset0:4 offset1:5
	ds_load_2addr_b32 v[131:132], v32 offset0:2 offset1:3
	ds_load_2addr_b32 v[133:134], v32 offset0:4 offset1:5
	ds_load_2addr_b32 v[135:136], v32 offset0:6 offset1:7
	ds_load_2addr_b32 v[137:138], v94 offset0:4 offset1:5
	ds_load_2addr_b32 v[139:140], v33 offset0:6 offset1:7
	ds_load_2addr_b32 v[141:142], v33 offset0:2 offset1:3
	ds_load_u8 v31, v95 offset:9
	ds_load_2addr_b32 v[143:144], v33 offset1:1
	ds_load_u16 v93, v105
	ds_load_u8 v33, v95 offset:8
	ds_load_u16 v32, v95
	ds_load_2addr_b32 v[145:146], v94 offset0:6 offset1:7
	ds_load_u16 v95, v97
	ds_load_u8 v96, v97 offset:9
	ds_load_u8 v98, v97 offset:8
	;; [unrolled: 1-line block ×4, first 2 shown]
	ds_load_b128 v[105:108], v111 offset:19008
	ds_load_b128 v[113:116], v111 offset:19024
	;; [unrolled: 1-line block ×4, first 2 shown]
	s_waitcnt lgkmcnt(28)
	v_and_b32_e32 v148, 15, v0
	s_waitcnt lgkmcnt(24)
	v_and_b32_e32 v150, 15, v101
	v_ashrrev_i32_e32 v154, 4, v0
	v_bfe_u32 v160, v0, 8, 4
	v_bfe_u32 v171, v0, 16, 4
	;; [unrolled: 1-line block ×3, first 2 shown]
	v_and_b32_e32 v151, 15, v1
	v_and_b32_e32 v153, 15, v102
	v_ashrrev_i32_e32 v157, 4, v1
	v_bfe_u32 v164, v101, 8, 4
	s_waitcnt lgkmcnt(23)
	v_and_b32_e32 v165, 15, v127
	v_bfe_u32 v177, v1, 8, 4
	v_bfe_u32 v188, v1, 16, 4
	v_bfe_u32 v189, v1, 24, 4
	s_waitcnt lgkmcnt(22)
	v_and_b32_e32 v149, 15, v103
	v_ashrrev_i32_e32 v155, 4, v103
	s_waitcnt lgkmcnt(3)
	v_bfe_i32 v0, v105, 0, 8
	v_bfe_i32 v1, v105, 8, 8
	;; [unrolled: 1-line block ×4, first 2 shown]
	v_ashrrev_i32_e32 v156, 4, v101
	v_mul_i32_i24_e32 v150, v150, v0
	v_bfe_u32 v162, v103, 8, 4
	v_bfe_u32 v173, v103, 16, 4
	;; [unrolled: 1-line block ×5, first 2 shown]
	v_and_b32_e32 v178, 15, v100
	v_ashrrev_i32_e32 v184, 4, v100
	v_bfe_u32 v211, v100, 8, 4
	v_bfe_u32 v212, v100, 16, 4
	;; [unrolled: 1-line block ×3, first 2 shown]
	v_and_b32_e32 v249, 15, v136
	v_bfe_u32 v250, v136, 8, 4
	v_bfe_u32 v251, v136, 16, 4
	;; [unrolled: 1-line block ×3, first 2 shown]
	v_ashrrev_i32_e32 v100, 4, v136
	v_bfe_i32 v136, v105, 16, 8
	v_ashrrev_i32_e32 v253, 24, v105
	s_waitcnt lgkmcnt(0)
	v_bfe_i32 v111, v124, 0, 8
	v_bfe_i32 v105, v124, 8, 8
	;; [unrolled: 1-line block ×3, first 2 shown]
	v_ashrrev_i32_e32 v101, 24, v124
	v_and_b32_e32 v124, 15, v143
	v_mad_i32_i24 v150, v153, v254, v150
	v_mul_i32_i24_e32 v164, v164, v1
	v_mul_i32_i24_e32 v165, v165, v78
	v_and_b32_e32 v152, 15, v104
	v_and_b32_e32 v161, 15, v99
	;; [unrolled: 1-line block ×5, first 2 shown]
	v_mul_i32_i24_e32 v148, v148, v0
	v_mul_i32_i24_e32 v149, v149, v0
	;; [unrolled: 1-line block ×3, first 2 shown]
	v_ashrrev_i32_e32 v124, 4, v143
	v_add3_u32 v150, v150, v165, v164
	v_bfe_u32 v165, v143, 8, 4
	v_ashrrev_i32_e32 v167, 4, v99
	v_bfe_i32 v45, v117, 0, 8
	v_mad_i32_i24 v148, v151, v254, v148
	v_mad_i32_i24 v149, v152, v254, v149
	v_and_b32_e32 v152, 15, v154
	v_and_b32_e32 v153, 15, v155
	v_mad_i32_i24 v0, v89, v254, v0
	v_and_b32_e32 v89, 15, v156
	v_and_b32_e32 v254, 15, v124
	v_mul_i32_i24_e32 v160, v160, v1
	v_mul_i32_i24_e32 v161, v161, v78
	;; [unrolled: 1-line block ×6, first 2 shown]
	v_and_b32_e32 v214, 15, v110
	v_ashrrev_i32_e32 v222, 4, v110
	v_bfe_u32 v225, v110, 8, 4
	v_bfe_u32 v226, v110, 16, 4
	;; [unrolled: 1-line block ×3, first 2 shown]
	v_bfe_i32 v64, v108, 0, 8
	v_bfe_i32 v34, v108, 8, 8
	;; [unrolled: 1-line block ×3, first 2 shown]
	v_ashrrev_i32_e32 v67, 24, v108
	v_bfe_i32 v46, v117, 8, 8
	v_bfe_i32 v48, v118, 0, 8
	;; [unrolled: 1-line block ×4, first 2 shown]
	v_ashrrev_i32_e32 v108, 24, v118
	v_bfe_i32 v118, v119, 0, 8
	v_mul_i32_i24_e32 v152, v152, v45
	v_mul_i32_i24_e32 v153, v153, v45
	;; [unrolled: 1-line block ×4, first 2 shown]
	v_and_b32_e32 v254, 15, v157
	v_add3_u32 v78, v0, v78, v1
	v_bfe_u32 v0, v154, 8, 4
	v_and_b32_e32 v1, 15, v167
	v_ashrrev_i32_e32 v158, 4, v104
	v_ashrrev_i32_e32 v168, 4, v131
	v_mad_i32_i24 v152, v254, v48, v152
	v_mul_i32_i24_e32 v0, v0, v46
	v_mul_i32_i24_e32 v1, v1, v118
	v_and_b32_e32 v254, 15, v158
	v_ashrrev_i32_e32 v159, 4, v102
	v_ashrrev_i32_e32 v169, 4, v127
	v_ashrrev_i32_e32 v170, 4, v141
	v_add3_u32 v152, v152, v1, v0
	v_bfe_u32 v0, v155, 8, 4
	v_and_b32_e32 v1, 15, v168
	v_mad_i32_i24 v153, v254, v48, v153
	v_and_b32_e32 v254, 15, v159
	v_ashrrev_i32_e32 v151, 4, v144
	v_mul_i32_i24_e32 v0, v0, v46
	v_mul_i32_i24_e32 v1, v1, v118
	v_add3_u32 v148, v148, v161, v160
	v_mad_i32_i24 v89, v254, v48, v89
	v_and_b32_e32 v254, 15, v151
	v_bfe_i32 v47, v117, 16, 8
	v_add3_u32 v153, v153, v1, v0
	v_bfe_u32 v0, v156, 8, 4
	v_and_b32_e32 v1, 15, v169
	v_mad_i32_i24 v45, v254, v48, v45
	v_ashrrev_i32_e32 v117, 24, v117
	v_bfe_u32 v179, v104, 8, 4
	v_mul_i32_i24_e32 v0, v0, v46
	v_mul_i32_i24_e32 v1, v1, v118
	v_and_b32_e32 v180, 15, v132
	v_bfe_i32 v255, v106, 8, 8
	v_add3_u32 v149, v149, v163, v162
	v_ashrrev_i32_e32 v185, 4, v132
	v_add3_u32 v89, v89, v1, v0
	v_and_b32_e32 v0, 15, v170
	v_bfe_u32 v1, v124, 8, 4
	v_ashrrev_i32_e32 v186, 4, v128
	v_ashrrev_i32_e32 v187, 4, v142
	v_mul_i32_i24_e32 v177, v177, v255
	v_mul_i32_i24_e32 v0, v0, v118
	;; [unrolled: 1-line block ×6, first 2 shown]
	v_bfe_u32 v181, v102, 8, 4
	v_add3_u32 v45, v45, v0, v1
	ds_load_b64 v[0:1], v147 offset:20560
	v_mul_i32_i24_e32 v147, v171, v136
	v_mul_i32_i24_e32 v171, v172, v253
	;; [unrolled: 1-line block ×5, first 2 shown]
	v_bfe_u32 v176, v145, 16, 4
	v_add3_u32 v147, v148, v147, v171
	v_bfe_u32 v148, v143, 16, 4
	v_bfe_u32 v143, v143, 24, 4
	v_mul_i32_i24_e32 v171, v173, v136
	v_add3_u32 v150, v150, v174, v175
	v_and_b32_e32 v174, 15, v145
	v_mul_i32_i24_e32 v136, v148, v136
	v_mul_i32_i24_e32 v143, v143, v253
	v_ashrrev_i32_e32 v175, 4, v145
	v_bfe_u32 v148, v145, 8, 4
	v_add3_u32 v149, v149, v171, v172
	v_and_b32_e32 v182, 15, v128
	v_add3_u32 v78, v78, v136, v143
	v_bfe_u32 v136, v145, 24, 4
	v_bfe_u32 v143, v154, 16, 4
	;; [unrolled: 1-line block ×4, first 2 shown]
	v_bfe_i32 v53, v120, 0, 8
	v_add3_u32 v147, v147, v178, v177
	v_mul_i32_i24_e32 v143, v143, v47
	v_mul_i32_i24_e32 v145, v145, v117
	;; [unrolled: 1-line block ×3, first 2 shown]
	v_and_b32_e32 v178, 15, v186
	v_add3_u32 v149, v149, v180, v179
	v_and_b32_e32 v179, 15, v187
	v_add3_u32 v143, v152, v143, v145
	v_bfe_u32 v152, v155, 16, 4
	v_bfe_u32 v155, v156, 24, 4
	;; [unrolled: 1-line block ×5, first 2 shown]
	v_mul_i32_i24_e32 v152, v152, v47
	v_mul_i32_i24_e32 v155, v155, v117
	v_bfe_u32 v193, v102, 24, 4
	v_bfe_i32 v77, v106, 16, 8
	v_ashrrev_i32_e32 v65, 24, v106
	v_add3_u32 v152, v153, v152, v154
	v_bfe_u32 v154, v156, 16, 4
	v_bfe_u32 v156, v124, 16, 4
	;; [unrolled: 1-line block ×4, first 2 shown]
	v_mul_i32_i24_e32 v181, v181, v255
	v_mul_i32_i24_e32 v154, v154, v47
	;; [unrolled: 1-line block ×4, first 2 shown]
	v_and_b32_e32 v124, 15, v184
	v_bfe_u32 v156, v157, 8, 4
	v_mul_i32_i24_e32 v182, v182, v64
	v_mul_i32_i24_e32 v178, v178, v53
	v_add3_u32 v45, v45, v47, v117
	v_and_b32_e32 v117, 15, v185
	v_bfe_u32 v47, v158, 8, 4
	v_mul_i32_i24_e32 v124, v124, v53
	v_and_b32_e32 v183, 15, v142
	v_bfe_u32 v194, v99, 8, 4
	v_mul_i32_i24_e32 v117, v117, v53
	v_mul_i32_i24_e32 v53, v179, v53
	v_bfe_u32 v179, v151, 8, 4
	v_and_b32_e32 v195, 15, v109
	v_bfe_u32 v196, v131, 8, 4
	v_and_b32_e32 v197, 15, v133
	;; [unrolled: 2-line block ×4, first 2 shown]
	v_ashrrev_i32_e32 v202, 4, v109
	v_ashrrev_i32_e32 v203, 4, v133
	;; [unrolled: 1-line block ×4, first 2 shown]
	v_bfe_u32 v206, v99, 16, 4
	v_bfe_u32 v207, v99, 24, 4
	v_bfe_u32 v208, v131, 16, 4
	v_bfe_u32 v131, v131, 24, 4
	v_bfe_u32 v209, v127, 16, 4
	v_bfe_u32 v127, v127, 24, 4
	v_bfe_u32 v210, v141, 16, 4
	v_bfe_u32 v141, v141, 24, 4
	v_bfe_u32 v215, v132, 8, 4
	v_and_b32_e32 v216, 15, v134
	v_bfe_u32 v217, v128, 8, 4
	v_and_b32_e32 v218, 15, v138
	v_bfe_u32 v219, v142, 8, 4
	;; [unrolled: 2-line block ×3, first 2 shown]
	v_bfe_u32 v223, v109, 16, 4
	v_bfe_u32 v224, v109, 24, 4
	;; [unrolled: 1-line block ×6, first 2 shown]
	v_and_b32_e32 v234, 15, v126
	v_bfe_u32 v235, v142, 16, 4
	v_bfe_u32 v142, v142, 24, 4
	v_bfe_u32 v236, v126, 8, 4
	v_bfe_u32 v237, v126, 16, 4
	v_bfe_u32 v238, v126, 24, 4
	v_ashrrev_i32_e32 v99, 4, v126
	v_bfe_u32 v126, v133, 8, 4
	v_bfe_u32 v239, v133, 16, 4
	v_bfe_u32 v133, v133, 24, 4
	v_bfe_u32 v240, v134, 8, 4
	v_bfe_u32 v245, v137, 8, 4
	v_bfe_u32 v246, v129, 8, 4
	v_bfe_i32 v79, v107, 8, 8
	v_bfe_i32 v80, v107, 16, 8
	v_ashrrev_i32_e32 v68, 24, v107
	v_bfe_i32 v69, v113, 0, 8
	v_bfe_i32 v70, v113, 8, 8
	;; [unrolled: 1-line block ×3, first 2 shown]
	v_ashrrev_i32_e32 v22, 24, v113
	v_bfe_i32 v23, v114, 0, 8
	v_bfe_i32 v35, v114, 8, 8
	;; [unrolled: 1-line block ×6, first 2 shown]
	v_ashrrev_i32_e32 v106, 24, v123
	v_bfe_u32 v123, v137, 16, 4
	v_bfe_u32 v48, v137, 24, 4
	;; [unrolled: 1-line block ×6, first 2 shown]
	v_and_b32_e32 v166, 15, v140
	v_bfe_u32 v171, v144, 8, 4
	v_bfe_u32 v172, v144, 16, 4
	;; [unrolled: 1-line block ×3, first 2 shown]
	v_and_b32_e32 v145, 15, v146
	v_add3_u32 v89, v89, v154, v155
	v_add3_u32 v150, v150, v182, v181
	v_mul_i32_i24_e32 v156, v156, v50
	v_mul_i32_i24_e32 v47, v47, v50
	v_mul_i32_i24_e32 v177, v177, v50
	v_mul_i32_i24_e32 v50, v179, v50
	v_mul_i32_i24_e32 v188, v188, v77
	v_mul_i32_i24_e32 v189, v189, v65
	v_mul_i32_i24_e32 v190, v190, v77
	v_mul_i32_i24_e32 v191, v191, v65
	v_mul_i32_i24_e32 v192, v192, v77
	v_mul_i32_i24_e32 v193, v193, v65
	v_ashrrev_i32_e32 v112, 4, v134
	v_ashrrev_i32_e32 v104, 4, v138
	;; [unrolled: 1-line block ×3, first 2 shown]
	v_bfe_u32 v233, v125, 24, 4
	v_bfe_u32 v241, v134, 16, 4
	;; [unrolled: 1-line block ×3, first 2 shown]
	v_and_b32_e32 v247, 15, v139
	v_bfe_u32 v248, v135, 24, 4
	v_bfe_i32 v38, v114, 16, 8
	v_ashrrev_i32_e32 v114, 24, v114
	v_bfe_i32 v39, v115, 0, 8
	v_bfe_i32 v40, v115, 8, 8
	;; [unrolled: 1-line block ×3, first 2 shown]
	v_ashrrev_i32_e32 v115, 24, v115
	v_bfe_i32 v44, v116, 16, 8
	v_bfe_i32 v52, v119, 16, 8
	v_bfe_i32 v54, v120, 8, 8
	v_bfe_i32 v55, v120, 16, 8
	v_ashrrev_i32_e32 v120, 24, v120
	v_bfe_i32 v56, v121, 8, 8
	v_bfe_i32 v57, v121, 16, 8
	v_bfe_u32 v161, v138, 16, 4
	v_bfe_u32 v138, v138, 24, 4
	;; [unrolled: 1-line block ×4, first 2 shown]
	v_ashrrev_i32_e32 v254, 4, v139
	v_bfe_u32 v164, v139, 8, 4
	v_bfe_u32 v165, v139, 16, 4
	;; [unrolled: 1-line block ×5, first 2 shown]
	v_add3_u32 v47, v152, v117, v47
	v_bfe_u32 v117, v170, 8, 4
	v_add3_u32 v89, v89, v178, v177
	v_bfe_u32 v177, v167, 16, 4
	v_bfe_u32 v178, v168, 16, 4
	;; [unrolled: 1-line block ×3, first 2 shown]
	v_add3_u32 v45, v45, v53, v50
	v_bfe_u32 v50, v170, 16, 4
	v_bfe_u32 v53, v170, 24, 4
	;; [unrolled: 1-line block ×3, first 2 shown]
	v_add3_u32 v147, v147, v188, v189
	v_bfe_u32 v189, v185, 8, 4
	v_add3_u32 v149, v149, v190, v191
	v_bfe_u32 v191, v186, 8, 4
	;; [unrolled: 2-line block ×3, first 2 shown]
	v_mul_i32_i24_e32 v65, v144, v65
	v_bfe_u32 v144, v184, 16, 4
	v_bfe_u32 v184, v184, 24, 4
	v_mul_i32_i24_e32 v194, v194, v79
	v_mul_i32_i24_e32 v196, v196, v79
	v_mul_i32_i24_e32 v198, v198, v79
	v_mul_i32_i24_e32 v79, v200, v79
	v_bfe_u32 v200, v185, 16, 4
	v_bfe_u32 v185, v185, 24, 4
	v_mul_i32_i24_e32 v195, v195, v69
	v_mul_i32_i24_e32 v197, v197, v69
	v_mul_i32_i24_e32 v199, v199, v69
	;; [unrolled: 6-line block ×4, first 2 shown]
	v_mul_i32_i24_e32 v68, v141, v68
	v_bfe_u32 v141, v202, 8, 4
	v_mul_i32_i24_e32 v214, v214, v23
	v_mul_i32_i24_e32 v216, v216, v23
	v_mul_i32_i24_e32 v218, v218, v23
	v_mul_i32_i24_e32 v23, v220, v23
	v_bfe_u32 v220, v203, 8, 4
	v_mul_i32_i24_e32 v213, v213, v67
	v_mul_i32_i24_e32 v132, v132, v67
	v_mul_i32_i24_e32 v128, v128, v67
	;; [unrolled: 5-line block ×7, first 2 shown]
	v_mul_i32_i24_e32 v42, v166, v42
	v_bfe_u32 v166, v205, 16, 4
	v_bfe_i32 v61, v122, 0, 8
	v_bfe_i32 v63, v122, 8, 8
	;; [unrolled: 1-line block ×3, first 2 shown]
	v_ashrrev_i32_e32 v122, 24, v122
	v_mul_i32_i24_e32 v171, v171, v255
	v_mul_i32_i24_e32 v64, v183, v64
	v_and_b32_e32 v188, 15, v222
	v_and_b32_e32 v190, 15, v112
	v_and_b32_e32 v192, 15, v104
	v_mul_i32_i24_e32 v77, v172, v77
	v_and_b32_e32 v172, 15, v102
	v_mul_i32_i24_e32 v226, v226, v38
	v_mul_i32_i24_e32 v241, v241, v38
	;; [unrolled: 1-line block ×4, first 2 shown]
	v_bfe_u32 v163, v222, 8, 4
	v_mul_i32_i24_e32 v227, v227, v114
	v_mul_i32_i24_e32 v134, v134, v114
	;; [unrolled: 1-line block ×4, first 2 shown]
	v_bfe_u32 v130, v222, 16, 4
	v_bfe_u32 v222, v222, 24, 4
	v_mul_i32_i24_e32 v233, v233, v115
	v_mul_i32_i24_e32 v248, v248, v115
	v_mul_i32_i24_e32 v136, v136, v115
	v_mul_i32_i24_e32 v115, v139, v115
	v_bfe_u32 v139, v112, 8, 4
	v_mul_i32_i24_e32 v237, v237, v44
	v_mul_i32_i24_e32 v251, v251, v44
	v_mul_i32_i24_e32 v154, v154, v44
	v_mul_i32_i24_e32 v44, v118, v44
	;; [unrolled: 5-line block ×3, first 2 shown]
	v_bfe_u32 v52, v112, 16, 4
	v_bfe_u32 v112, v112, 24, 4
	v_mul_i32_i24_e32 v184, v184, v120
	v_mul_i32_i24_e32 v185, v185, v120
	;; [unrolled: 1-line block ×4, first 2 shown]
	v_bfe_u32 v187, v104, 16, 4
	v_bfe_u32 v104, v104, 24, 4
	v_mul_i32_i24_e32 v141, v141, v56
	v_mul_i32_i24_e32 v220, v220, v56
	;; [unrolled: 1-line block ×4, first 2 shown]
	v_bfe_u32 v246, v102, 8, 4
	v_mul_i32_i24_e32 v160, v160, v57
	v_mul_i32_i24_e32 v129, v129, v57
	;; [unrolled: 1-line block ×4, first 2 shown]
	v_bfe_u32 v166, v102, 16, 4
	v_bfe_u32 v102, v102, 24, 4
	;; [unrolled: 1-line block ×8, first 2 shown]
	v_add3_u32 v64, v78, v64, v171
	v_mul_i32_i24_e32 v222, v222, v122
	v_mul_i32_i24_e32 v112, v112, v122
	;; [unrolled: 1-line block ×4, first 2 shown]
	v_bfe_u32 v122, v151, 16, 4
	v_bfe_u32 v151, v151, 24, 4
	v_bfe_i32 v51, v119, 8, 8
	v_bfe_i32 v37, v121, 0, 8
	v_bfe_u32 v253, v167, 8, 4
	v_and_b32_e32 v183, 15, v202
	v_bfe_u32 v78, v168, 8, 4
	v_and_b32_e32 v171, 15, v203
	v_add3_u32 v124, v143, v124, v156
	v_bfe_u32 v143, v169, 8, 4
	v_and_b32_e32 v156, 15, v204
	v_and_b32_e32 v152, 15, v205
	v_mul_i32_i24_e32 v180, v180, v110
	v_mul_i32_i24_e32 v181, v181, v110
	;; [unrolled: 1-line block ×8, first 2 shown]
	v_add3_u32 v64, v64, v77, v65
	v_ashrrev_i32_e32 v119, 24, v119
	v_bfe_u32 v167, v167, 24, 4
	v_bfe_u32 v168, v168, 24, 4
	;; [unrolled: 1-line block ×3, first 2 shown]
	v_mul_i32_i24_e32 v253, v253, v51
	v_mul_i32_i24_e32 v78, v78, v51
	;; [unrolled: 1-line block ×8, first 2 shown]
	v_add3_u32 v65, v124, v180, v157
	v_add3_u32 v47, v47, v181, v158
	;; [unrolled: 1-line block ×8, first 2 shown]
	v_and_b32_e32 v228, 15, v125
	v_bfe_u32 v231, v125, 8, 4
	v_bfe_u32 v232, v125, 16, 4
	v_ashrrev_i32_e32 v125, 4, v125
	v_and_b32_e32 v242, 15, v135
	v_bfe_u32 v243, v135, 8, 4
	v_bfe_u32 v244, v135, 16, 4
	v_ashrrev_i32_e32 v135, 4, v135
	v_mul_i32_i24_e32 v211, v211, v34
	v_mul_i32_i24_e32 v215, v215, v34
	;; [unrolled: 1-line block ×8, first 2 shown]
	v_add3_u32 v65, v65, v183, v253
	v_add3_u32 v47, v47, v171, v78
	;; [unrolled: 1-line block ×8, first 2 shown]
	v_bfe_i32 v43, v116, 8, 8
	v_bfe_u32 v46, v140, 8, 4
	v_bfe_u32 v5, v140, 24, 4
	v_ashrrev_i32_e32 v140, 4, v140
	v_bfe_u32 v153, v146, 8, 4
	v_bfe_u32 v155, v146, 24, 4
	v_ashrrev_i32_e32 v146, 4, v146
	v_and_b32_e32 v219, 15, v125
	v_mul_i32_i24_e32 v212, v212, v72
	v_mul_i32_i24_e32 v229, v229, v72
	;; [unrolled: 1-line block ×4, first 2 shown]
	v_and_b32_e32 v235, 15, v135
	v_mul_i32_i24_e32 v228, v228, v39
	v_mul_i32_i24_e32 v242, v242, v39
	;; [unrolled: 1-line block ×4, first 2 shown]
	v_and_b32_e32 v247, 15, v254
	v_and_b32_e32 v151, 15, v175
	v_mul_i32_i24_e32 v170, v170, v54
	v_mul_i32_i24_e32 v189, v189, v54
	v_mul_i32_i24_e32 v191, v191, v54
	v_mul_i32_i24_e32 v54, v193, v54
	v_mul_i32_i24_e32 v188, v188, v61
	v_mul_i32_i24_e32 v190, v190, v61
	v_mul_i32_i24_e32 v192, v192, v61
	v_mul_i32_i24_e32 v61, v172, v61
	v_add3_u32 v65, v65, v177, v167
	v_add3_u32 v47, v47, v178, v168
	;; [unrolled: 1-line block ×8, first 2 shown]
	v_ashrrev_i32_e32 v121, 24, v121
	v_bfe_u32 v202, v202, 24, 4
	v_bfe_u32 v203, v203, 24, 4
	;; [unrolled: 1-line block ×4, first 2 shown]
	v_mul_i32_i24_e32 v232, v232, v41
	v_mul_i32_i24_e32 v244, v244, v41
	v_mul_i32_i24_e32 v176, v176, v41
	v_mul_i32_i24_e32 v41, v165, v41
	v_and_b32_e32 v165, 15, v99
	v_mul_i32_i24_e32 v236, v236, v43
	v_mul_i32_i24_e32 v250, v250, v43
	v_mul_i32_i24_e32 v153, v153, v43
	v_mul_i32_i24_e32 v43, v46, v43
	v_and_b32_e32 v46, 15, v100
	;; [unrolled: 5-line block ×4, first 2 shown]
	v_mul_i32_i24_e32 v144, v144, v55
	v_mul_i32_i24_e32 v200, v200, v55
	;; [unrolled: 1-line block ×4, first 2 shown]
	v_add3_u32 v34, v65, v188, v170
	v_add3_u32 v47, v47, v190, v189
	v_add3_u32 v53, v68, v192, v191
	v_add3_u32 v37, v37, v61, v54
	v_add3_u32 v45, v45, v212, v213
	v_add3_u32 v50, v50, v229, v132
	v_add3_u32 v51, v51, v230, v128
	v_add3_u32 v23, v23, v72, v67
	v_ashrrev_i32_e32 v116, 24, v116
	v_mul_i32_i24_e32 v231, v231, v40
	v_mul_i32_i24_e32 v243, v243, v40
	;; [unrolled: 1-line block ×4, first 2 shown]
	v_bfe_u32 v164, v125, 8, 4
	v_bfe_u32 v119, v135, 8, 4
	v_mul_i32_i24_e32 v202, v202, v121
	v_mul_i32_i24_e32 v203, v203, v121
	;; [unrolled: 1-line block ×4, first 2 shown]
	v_bfe_u32 v205, v254, 8, 4
	v_mul_i32_i24_e32 v165, v165, v111
	v_mul_i32_i24_e32 v46, v46, v111
	;; [unrolled: 1-line block ×4, first 2 shown]
	v_bfe_u32 v151, v175, 8, 4
	v_add3_u32 v34, v34, v144, v184
	v_add3_u32 v47, v47, v200, v185
	;; [unrolled: 1-line block ×8, first 2 shown]
	v_mul_i32_i24_e32 v238, v238, v116
	v_mul_i32_i24_e32 v252, v252, v116
	;; [unrolled: 1-line block ×4, first 2 shown]
	v_bfe_u32 v116, v125, 16, 4
	v_bfe_u32 v125, v125, 24, 4
	;; [unrolled: 1-line block ×4, first 2 shown]
	v_mul_i32_i24_e32 v163, v163, v63
	v_mul_i32_i24_e32 v139, v139, v63
	;; [unrolled: 1-line block ×4, first 2 shown]
	v_bfe_u32 v246, v254, 16, 4
	v_bfe_u32 v254, v254, 24, 4
	v_mul_i32_i24_e32 v164, v164, v109
	v_mul_i32_i24_e32 v119, v119, v109
	;; [unrolled: 1-line block ×4, first 2 shown]
	v_bfe_u32 v151, v175, 16, 4
	v_bfe_u32 v175, v175, 24, 4
	v_add3_u32 v34, v34, v219, v141
	v_add3_u32 v39, v47, v235, v220
	;; [unrolled: 1-line block ×8, first 2 shown]
	v_bfe_u32 v117, v99, 8, 4
	v_bfe_u32 v172, v100, 8, 4
	;; [unrolled: 1-line block ×3, first 2 shown]
	v_mul_i32_i24_e32 v125, v125, v106
	v_mul_i32_i24_e32 v135, v135, v106
	v_mul_i32_i24_e32 v254, v254, v106
	v_mul_i32_i24_e32 v106, v175, v106
	v_bfe_u32 v175, v146, 8, 4
	ds_load_u16 v173, v30
	v_add3_u32 v23, v34, v160, v202
	v_add3_u32 v34, v39, v129, v203
	;; [unrolled: 1-line block ×8, first 2 shown]
	v_bfe_u32 v152, v99, 16, 4
	v_bfe_u32 v210, v100, 16, 4
	v_mul_i32_i24_e32 v116, v116, v107
	v_mul_i32_i24_e32 v193, v193, v107
	;; [unrolled: 1-line block ×4, first 2 shown]
	v_bfe_u32 v151, v140, 16, 4
	v_mul_i32_i24_e32 v117, v117, v105
	v_mul_i32_i24_e32 v172, v172, v105
	v_mul_i32_i24_e32 v122, v122, v105
	v_mul_i32_i24_e32 v105, v175, v105
	v_bfe_u32 v175, v146, 16, 4
	v_add3_u32 v23, v23, v165, v163
	v_add3_u32 v34, v34, v46, v139
	;; [unrolled: 1-line block ×8, first 2 shown]
	v_mul_i32_i24_e32 v152, v152, v103
	v_mul_i32_i24_e32 v210, v210, v103
	v_mul_i32_i24_e32 v151, v151, v103
	v_mul_i32_i24_e32 v103, v175, v103
	ds_load_u8 v175, v30 offset:8
	ds_load_u8 v30, v30 offset:9
	v_cvt_f32_ubyte0_e32 v98, v98
	v_cvt_f32_ubyte0_e32 v97, v97
	v_cvt_f32_ubyte0_e32 v33, v33
	v_add3_u32 v23, v23, v130, v222
	v_add3_u32 v34, v34, v52, v112
	;; [unrolled: 1-line block ×8, first 2 shown]
	v_bfe_u32 v99, v99, 24, 4
	v_bfe_u32 v100, v100, 24, 4
	;; [unrolled: 1-line block ×4, first 2 shown]
	v_cvt_f32_ubyte0_e32 v96, v96
	s_waitcnt lgkmcnt(3)
	v_fma_mix_f32 v98, v0, v98, 0 op_sel:[1,0,0] op_sel_hi:[1,0,0]
	v_cvt_f32_ubyte0_e32 v94, v94
	v_fma_mix_f32 v97, v0, v97, 0 op_sel:[1,0,0] op_sel_hi:[1,0,0]
	v_cvt_f32_ubyte0_e32 v31, v31
	v_fma_mix_f32 v33, v0, v33, 0 op_sel:[1,0,0] op_sel_hi:[1,0,0]
	v_add3_u32 v23, v23, v164, v116
	v_add3_u32 v34, v34, v119, v193
	;; [unrolled: 1-line block ×8, first 2 shown]
	v_mul_i32_i24_e32 v99, v99, v101
	v_mul_i32_i24_e32 v100, v100, v101
	;; [unrolled: 1-line block ×4, first 2 shown]
	v_lshrrev_b16 v146, 8, v95
	v_and_b32_e32 v95, 0xff, v95
	v_fma_mix_f32 v96, v1, v96, v98 op_sel:[1,0,0] op_sel_hi:[1,0,0]
	v_lshrrev_b16 v98, 8, v93
	v_and_b32_e32 v93, 0xff, v93
	v_fma_mix_f32 v94, v1, v94, v97 op_sel:[1,0,0] op_sel_hi:[1,0,0]
	;; [unrolled: 3-line block ×3, first 2 shown]
	s_waitcnt lgkmcnt(2)
	v_lshrrev_b16 v33, 8, v173
	v_and_b32_e32 v173, 0xff, v173
	v_add3_u32 v23, v23, v125, v117
	v_add3_u32 v34, v34, v135, v172
	;; [unrolled: 1-line block ×8, first 2 shown]
	v_and_b32_e32 v146, 0xffff, v146
	v_and_b32_e32 v98, 0xffff, v98
	v_and_b32_e32 v97, 0xffff, v97
	v_and_b32_e32 v33, 0xffff, v33
	v_add3_u32 v22, v23, v152, v99
	v_add3_u32 v23, v34, v210, v100
	;; [unrolled: 1-line block ×4, first 2 shown]
	v_mul_lo_u32 v37, v38, v173
	v_mul_lo_u32 v38, v39, v95
	;; [unrolled: 1-line block ×4, first 2 shown]
	s_waitcnt lgkmcnt(1)
	v_cvt_f32_ubyte0_e32 v175, v175
	v_mul_lo_u32 v22, v22, v33
	v_mul_lo_u32 v23, v23, v146
	;; [unrolled: 1-line block ×4, first 2 shown]
	s_waitcnt lgkmcnt(0)
	v_cvt_f32_ubyte0_e32 v30, v30
	v_fma_mix_f32 v175, v0, v175, 0 op_sel:[1,0,0] op_sel_hi:[1,0,0]
	v_cvt_f32_i32_e32 v34, v37
	v_cvt_f32_i32_e32 v35, v38
	;; [unrolled: 1-line block ×4, first 2 shown]
	v_fma_mix_f32 v30, v1, v30, v175 op_sel:[1,0,0] op_sel_hi:[1,0,0]
	v_cvt_f32_i32_e32 v22, v22
	v_cvt_f32_i32_e32 v23, v23
	;; [unrolled: 1-line block ×4, first 2 shown]
	v_fma_mix_f32 v34, v0, v34, 0 op_sel_hi:[1,0,0]
	v_fma_mix_f32 v35, v0, v35, 0 op_sel_hi:[1,0,0]
	;; [unrolled: 1-line block ×4, first 2 shown]
	v_mul_f32_e32 v96, v96, v27
	v_dual_mul_f32 v94, v94, v28 :: v_dual_mul_f32 v31, v31, v29
	v_mul_f32_e32 v5, v30, v26
	v_fma_mix_f32 v22, v1, v22, v34 op_sel_hi:[1,0,0]
	v_fma_mix_f32 v23, v1, v23, v35 op_sel_hi:[1,0,0]
	v_fma_mix_f32 v30, v1, v32, v37 op_sel_hi:[1,0,0]
	v_fma_mix_f32 v0, v1, v33, v0 op_sel_hi:[1,0,0]
	s_mov_b32 s22, 8
	v_fma_f32 v1, v22, v2, -v5
	v_fma_f32 v5, v23, v3, -v96
	;; [unrolled: 1-line block ×4, first 2 shown]
	s_and_b32 vcc_lo, exec_lo, s17
	v_add_f32_e32 v36, v36, v1
	v_add_f32_e32 v62, v62, v5
	;; [unrolled: 1-line block ×4, first 2 shown]
	s_mov_b32 s17, 0
	s_cbranch_vccnz .LBB232_14
; %bb.15:                               ;   in Loop: Header=BB232_7 Depth=1
	s_bitset1_b32 s6, 7
	s_delay_alu instid0(SALU_CYCLE_1)
	s_cmp_ge_i32 s6, s5
	s_barrier
	buffer_gl0_inv
	s_cbranch_scc1 .LBB232_4
; %bb.16:                               ;   in Loop: Header=BB232_7 Depth=1
	scratch_load_b32 v0, off, off offset:172 ; 4-byte Folded Reload
	s_waitcnt vmcnt(0)
	v_add_nc_u32_e32 v0, s16, v0
	s_delay_alu instid0(VALU_DEP_1)
	v_cmp_gt_i32_e32 vcc_lo, s8, v0
	s_and_b32 s17, s1, vcc_lo
	s_mov_b32 s6, exec_lo
	s_clause 0x2
	scratch_load_b32 v55, off, off offset:128
	scratch_load_b32 v56, off, off offset:132
	;; [unrolled: 1-line block ×3, first 2 shown]
	s_and_b32 s17, s6, s17
	s_delay_alu instid0(SALU_CYCLE_1)
	s_mov_b32 exec_lo, s17
	s_cbranch_execz .LBB232_18
; %bb.17:                               ;   in Loop: Header=BB232_7 Depth=1
	s_clause 0x1
	scratch_load_b32 v1, off, off offset:16
	scratch_load_b64 v[22:23], off, off offset:160
	s_waitcnt vmcnt(1)
	v_add_nc_u32_e32 v2, v1, v0
	s_waitcnt vmcnt(0)
	s_delay_alu instid0(VALU_DEP_1)
	v_mad_i64_i32 v[0:1], null, v2, 36, v[22:23]
	global_load_b32 v0, v[0:1], off offset:4
	scratch_load_b32 v1, off, off offset:168 ; 4-byte Folded Reload
	s_waitcnt vmcnt(0)
	ds_store_b32 v1, v0
.LBB232_18:                             ;   in Loop: Header=BB232_7 Depth=1
	s_or_b32 exec_lo, exec_lo, s6
	s_and_saveexec_b32 s6, s0
	s_cbranch_execz .LBB232_21
; %bb.19:                               ;   in Loop: Header=BB232_7 Depth=1
	scratch_load_b32 v0, off, off offset:156 ; 4-byte Folded Reload
	s_waitcnt vmcnt(0)
	v_or_b32_e32 v0, s16, v0
	s_delay_alu instid0(VALU_DEP_1) | instskip(NEXT) | instid1(VALU_DEP_1)
	v_or_b32_e32 v1, 4, v0
	v_cmp_gt_i32_e32 vcc_lo, s8, v1
	s_and_b32 s16, s1, vcc_lo
	s_delay_alu instid0(SALU_CYCLE_1)
	s_and_b32 exec_lo, exec_lo, s16
	s_cbranch_execz .LBB232_21
; %bb.20:                               ;   in Loop: Header=BB232_7 Depth=1
	scratch_load_b32 v2, off, off offset:16 ; 4-byte Folded Reload
	v_ashrrev_i32_e32 v1, 31, v0
	s_waitcnt vmcnt(0)
	v_add_co_u32 v2, vcc_lo, v2, v0
	scratch_load_b32 v0, off, off offset:192 ; 4-byte Folded Reload
	s_waitcnt vmcnt(0)
	v_add_co_ci_u32_e32 v3, vcc_lo, v0, v1, vcc_lo
	v_mad_u64_u32 v[0:1], null, v2, 36, s[14:15]
	s_delay_alu instid0(VALU_DEP_1)
	v_mad_i32_i24 v1, v3, 36, v1
	global_load_b32 v0, v[0:1], off
	scratch_load_b32 v1, off, off offset:188 ; 4-byte Folded Reload
	s_waitcnt vmcnt(0)
	ds_store_b32 v1, v0
.LBB232_21:                             ;   in Loop: Header=BB232_7 Depth=1
	s_or_b32 exec_lo, exec_lo, s6
	s_waitcnt vmcnt(0) lgkmcnt(0)
	s_barrier
	buffer_gl0_inv
	s_clause 0x3
	scratch_load_b32 v0, off, off
	scratch_load_b32 v1, off, off offset:4
	scratch_load_b32 v2, off, off offset:8
	;; [unrolled: 1-line block ×3, first 2 shown]
	s_mov_b32 s6, 16
	s_mov_b32 s16, 0
	;; [unrolled: 1-line block ×3, first 2 shown]
	s_waitcnt vmcnt(3)
	ds_load_b32 v0, v0
	s_waitcnt vmcnt(2)
	ds_load_b32 v1, v1 offset:128
	s_waitcnt vmcnt(1)
	ds_load_b32 v2, v2 offset:256
	;; [unrolled: 2-line block ×3, first 2 shown]
	s_clause 0x2
	scratch_load_b32 v93, off, off offset:184
	scratch_load_b32 v94, off, off offset:180
	;; [unrolled: 1-line block ×3, first 2 shown]
	s_waitcnt lgkmcnt(3)
	v_cvt_f32_f16_e32 v95, v0
	v_lshrrev_b32_e32 v0, 16, v0
	s_waitcnt lgkmcnt(2)
	v_cvt_f32_f16_e32 v96, v1
	v_lshrrev_b32_e32 v1, 16, v1
	;; [unrolled: 3-line block ×3, first 2 shown]
	s_waitcnt lgkmcnt(0)
	v_lshrrev_b32_e32 v5, 16, v3
	v_cvt_f32_f16_e32 v98, v3
	v_cvt_f32_f16_e32 v99, v0
	;; [unrolled: 1-line block ×5, first 2 shown]
.LBB232_22:                             ;   Parent Loop BB232_7 Depth=1
                                        ; =>  This Inner Loop Header: Depth=2
	s_waitcnt vmcnt(2)
	ds_load_b128 v[0:3], v93
	ds_load_b128 v[24:27], v93 offset:16
	v_add_nc_u32_e32 v168, s16, v81
	s_lshr_b32 s21, s6, 2
	s_waitcnt vmcnt(0)
	v_add_nc_u32_e32 v31, 0x2108, v103
	s_and_b32 s21, s21, 0x3ffffffc
	v_add_nc_u32_e32 v34, 0x3180, v103
	v_add3_u32 v167, v84, s21, v168
	v_add_nc_u32_e32 v32, 0x2110, v103
	v_add_nc_u32_e32 v42, 0x3198, v103
	s_add_i32 s22, s17, 8
	s_add_i32 s17, s17, 16
	;; [unrolled: 1-line block ×4, first 2 shown]
	s_cmp_lt_u32 s17, 24
	s_mov_b32 s17, s22
	s_waitcnt lgkmcnt(1)
	v_bfe_i32 v30, v0, 0, 8
	v_bfe_i32 v28, v0, 8, 8
	v_bfe_i32 v157, v0, 16, 8
	v_ashrrev_i32_e32 v156, 24, v0
	v_bfe_i32 v29, v1, 0, 8
	v_bfe_i32 v152, v1, 8, 8
	v_bfe_i32 v148, v1, 16, 8
	v_ashrrev_i32_e32 v149, 24, v1
	;; [unrolled: 4-line block ×4, first 2 shown]
	s_waitcnt lgkmcnt(0)
	v_bfe_i32 v146, v24, 0, 8
	v_bfe_i32 v128, v24, 8, 8
	v_bfe_i32 v125, v24, 16, 8
	v_ashrrev_i32_e32 v124, 24, v24
	v_bfe_i32 v138, v25, 0, 8
	v_bfe_i32 v120, v25, 8, 8
	v_bfe_i32 v116, v25, 16, 8
	v_ashrrev_i32_e32 v117, 24, v25
	;; [unrolled: 4-line block ×4, first 2 shown]
	ds_load_b128 v[0:3], v93 offset:32
	ds_load_b128 v[24:27], v93 offset:48
	v_add_nc_u32_e32 v93, 64, v93
	s_waitcnt lgkmcnt(1)
	v_bfe_i32 v164, v0, 0, 8
	v_bfe_i32 v160, v0, 8, 8
	v_bfe_i32 v159, v0, 16, 8
	v_ashrrev_i32_e32 v158, 24, v0
	v_bfe_i32 v163, v1, 0, 8
	v_bfe_i32 v153, v1, 8, 8
	v_bfe_i32 v151, v1, 16, 8
	v_ashrrev_i32_e32 v150, 24, v1
	;; [unrolled: 4-line block ×4, first 2 shown]
	s_waitcnt lgkmcnt(0)
	v_bfe_i32 v147, v24, 0, 8
	v_bfe_i32 v129, v24, 8, 8
	v_bfe_i32 v127, v24, 16, 8
	v_ashrrev_i32_e32 v126, 24, v24
	v_bfe_i32 v139, v25, 0, 8
	v_bfe_i32 v121, v25, 8, 8
	v_bfe_i32 v119, v25, 16, 8
	v_ashrrev_i32_e32 v118, 24, v25
	;; [unrolled: 4-line block ×4, first 2 shown]
	ds_load_2addr_b32 v[2:3], v103 offset1:1
	ds_load_2addr_b32 v[0:1], v103 offset0:2 offset1:3
	ds_load_2addr_b32 v[24:25], v103 offset0:4 offset1:5
	ds_load_b64 v[26:27], v94
	ds_load_u16 v165, v167 offset:17416
	v_add_nc_u32_e32 v94, 8, v94
	s_waitcnt lgkmcnt(4)
	v_and_b32_e32 v5, 15, v2
	v_and_b32_e32 v22, 15, v3
	s_waitcnt lgkmcnt(3)
	v_and_b32_e32 v23, 15, v0
	v_ashrrev_i32_e32 v38, 4, v2
	v_ashrrev_i32_e32 v39, 4, v3
	v_mul_i32_i24_e32 v5, v5, v30
	v_ashrrev_i32_e32 v40, 4, v0
	v_mul_i32_i24_e32 v23, v23, v162
	v_and_b32_e32 v52, 15, v1
	s_delay_alu instid0(VALU_DEP_4) | instskip(SKIP_1) | instid1(VALU_DEP_3)
	v_mad_i32_i24 v5, v22, v29, v5
	v_bfe_u32 v22, v2, 8, 4
	v_mul_i32_i24_e32 v52, v52, v154
	s_delay_alu instid0(VALU_DEP_2) | instskip(NEXT) | instid1(VALU_DEP_1)
	v_mul_i32_i24_e32 v22, v22, v28
	v_add3_u32 v5, v5, v23, v22
	v_add_nc_u32_e32 v22, 0x1080, v103
	v_add_nc_u32_e32 v23, 0x2100, v103
	ds_load_2addr_b32 v[170:171], v22 offset1:1
	ds_load_2addr_b32 v[172:173], v23 offset1:1
	v_add3_u32 v23, v83, s21, v168
	ds_load_2addr_b32 v[174:175], v31 offset1:1
	ds_load_2addr_b32 v[32:33], v32 offset1:1
	ds_load_u16 v166, v23 offset:17928
	ds_load_2addr_b32 v[176:177], v34 offset1:1
	v_add3_u32 v34, v82, s21, v168
	ds_load_u16 v169, v34 offset:18440
	s_waitcnt lgkmcnt(6)
	v_and_b32_e32 v22, 15, v170
	s_waitcnt lgkmcnt(5)
	v_and_b32_e32 v31, 15, v172
	v_ashrrev_i32_e32 v47, 4, v171
	v_ashrrev_i32_e32 v43, 4, v172
	v_mul_i32_i24_e32 v22, v22, v30
	s_waitcnt lgkmcnt(1)
	v_and_b32_e32 v35, 15, v176
	v_mul_i32_i24_e32 v31, v31, v30
	v_and_b32_e32 v48, 15, v47
	v_and_b32_e32 v44, 15, v43
	v_ashrrev_i32_e32 v45, 4, v176
	v_mul_i32_i24_e32 v30, v35, v30
	v_and_b32_e32 v35, 15, v171
	s_delay_alu instid0(VALU_DEP_4) | instskip(NEXT) | instid1(VALU_DEP_4)
	v_mul_i32_i24_e32 v44, v44, v164
	v_and_b32_e32 v46, 15, v45
	s_delay_alu instid0(VALU_DEP_3) | instskip(SKIP_1) | instid1(VALU_DEP_3)
	v_mad_i32_i24 v22, v35, v29, v22
	v_and_b32_e32 v35, 15, v173
	v_mul_i32_i24_e32 v46, v46, v164
	s_delay_alu instid0(VALU_DEP_2) | instskip(SKIP_1) | instid1(VALU_DEP_1)
	v_mad_i32_i24 v35, v35, v29, v31
	v_and_b32_e32 v31, 15, v177
	v_mad_i32_i24 v37, v31, v29, v30
	v_bfe_u32 v29, v2, 16, 4
	v_bfe_u32 v30, v2, 24, 4
	v_and_b32_e32 v2, 15, v38
	v_add_nc_u32_e32 v31, 0x1098, v103
	s_delay_alu instid0(VALU_DEP_4) | instskip(NEXT) | instid1(VALU_DEP_4)
	v_mul_i32_i24_e32 v29, v29, v157
	v_mul_i32_i24_e32 v30, v30, v156
	s_delay_alu instid0(VALU_DEP_4) | instskip(NEXT) | instid1(VALU_DEP_2)
	v_mul_i32_i24_e32 v2, v2, v164
	v_add3_u32 v5, v5, v29, v30
	v_and_b32_e32 v29, 15, v39
	v_and_b32_e32 v30, 15, v40
	s_delay_alu instid0(VALU_DEP_2) | instskip(SKIP_1) | instid1(VALU_DEP_3)
	v_mad_i32_i24 v2, v29, v163, v2
	v_bfe_u32 v29, v38, 8, 4
	v_mul_i32_i24_e32 v30, v30, v161
	s_delay_alu instid0(VALU_DEP_2) | instskip(NEXT) | instid1(VALU_DEP_1)
	v_mul_i32_i24_e32 v29, v29, v160
	v_add3_u32 v41, v2, v30, v29
	v_add_nc_u32_e32 v29, 0x1088, v103
	v_add_nc_u32_e32 v30, 0x1090, v103
	ds_load_u16 v2, v23 offset:17920
	ds_load_2addr_b32 v[178:179], v29 offset1:1
	ds_load_2addr_b32 v[180:181], v30 offset1:1
	;; [unrolled: 1-line block ×3, first 2 shown]
	v_bfe_u32 v23, v170, 8, 4
	s_delay_alu instid0(VALU_DEP_1) | instskip(SKIP_2) | instid1(VALU_DEP_1)
	v_mul_i32_i24_e32 v23, v23, v28
	s_waitcnt lgkmcnt(2)
	v_and_b32_e32 v29, 15, v178
	v_mul_i32_i24_e32 v29, v29, v162
	s_delay_alu instid0(VALU_DEP_1) | instskip(SKIP_2) | instid1(VALU_DEP_2)
	v_add3_u32 v22, v22, v29, v23
	v_bfe_u32 v23, v172, 8, 4
	v_and_b32_e32 v29, 15, v174
	v_mul_i32_i24_e32 v23, v23, v28
	s_delay_alu instid0(VALU_DEP_2) | instskip(NEXT) | instid1(VALU_DEP_1)
	v_mul_i32_i24_e32 v29, v29, v162
	v_add3_u32 v23, v35, v29, v23
	v_bfe_u32 v29, v176, 8, 4
	s_delay_alu instid0(VALU_DEP_1)
	v_mul_i32_i24_e32 v35, v29, v28
	v_add_nc_u32_e32 v28, 0x3188, v103
	v_add_nc_u32_e32 v29, 0x3190, v103
	ds_load_2addr_b32 v[182:183], v28 offset1:1
	ds_load_2addr_b32 v[184:185], v29 offset1:1
	;; [unrolled: 1-line block ×3, first 2 shown]
	ds_load_u16 v34, v34 offset:18432
	s_waitcnt lgkmcnt(3)
	v_and_b32_e32 v42, 15, v182
	s_delay_alu instid0(VALU_DEP_1) | instskip(NEXT) | instid1(VALU_DEP_1)
	v_mul_i32_i24_e32 v42, v42, v162
	v_add3_u32 v35, v37, v42, v35
	v_ashrrev_i32_e32 v37, 4, v170
	s_delay_alu instid0(VALU_DEP_1) | instskip(NEXT) | instid1(VALU_DEP_1)
	v_and_b32_e32 v42, 15, v37
	v_mul_i32_i24_e32 v42, v42, v164
	s_delay_alu instid0(VALU_DEP_1) | instskip(SKIP_1) | instid1(VALU_DEP_1)
	v_mad_i32_i24 v42, v48, v163, v42
	v_ashrrev_i32_e32 v48, 4, v173
	v_and_b32_e32 v50, 15, v48
	s_delay_alu instid0(VALU_DEP_1) | instskip(SKIP_1) | instid1(VALU_DEP_1)
	v_mad_i32_i24 v44, v50, v163, v44
	v_ashrrev_i32_e32 v50, 4, v177
	v_and_b32_e32 v51, 15, v50
	s_delay_alu instid0(VALU_DEP_1) | instskip(SKIP_1) | instid1(VALU_DEP_1)
	v_mad_i32_i24 v46, v51, v163, v46
	v_bfe_u32 v51, v3, 8, 4
	v_mul_i32_i24_e32 v51, v51, v152
	s_delay_alu instid0(VALU_DEP_1) | instskip(SKIP_2) | instid1(VALU_DEP_2)
	v_add3_u32 v5, v5, v52, v51
	v_bfe_u32 v51, v38, 16, 4
	v_bfe_u32 v38, v38, 24, 4
	v_mul_i32_i24_e32 v51, v51, v159
	s_delay_alu instid0(VALU_DEP_2) | instskip(NEXT) | instid1(VALU_DEP_1)
	v_mul_i32_i24_e32 v38, v38, v158
	v_add3_u32 v38, v41, v51, v38
	v_bfe_u32 v41, v170, 16, 4
	v_bfe_u32 v51, v170, 24, 4
	s_delay_alu instid0(VALU_DEP_2) | instskip(NEXT) | instid1(VALU_DEP_2)
	v_mul_i32_i24_e32 v41, v41, v157
	v_mul_i32_i24_e32 v51, v51, v156
	s_delay_alu instid0(VALU_DEP_1) | instskip(SKIP_2) | instid1(VALU_DEP_2)
	v_add3_u32 v22, v22, v41, v51
	v_ashrrev_i32_e32 v51, 4, v178
	v_bfe_u32 v41, v37, 8, 4
	v_and_b32_e32 v52, 15, v51
	s_delay_alu instid0(VALU_DEP_2) | instskip(NEXT) | instid1(VALU_DEP_2)
	v_mul_i32_i24_e32 v41, v41, v160
	v_mul_i32_i24_e32 v52, v52, v161
	s_delay_alu instid0(VALU_DEP_1) | instskip(SKIP_2) | instid1(VALU_DEP_2)
	v_add3_u32 v41, v42, v52, v41
	v_bfe_u32 v42, v172, 16, 4
	v_bfe_u32 v52, v172, 24, 4
	v_mul_i32_i24_e32 v42, v42, v157
	s_delay_alu instid0(VALU_DEP_2) | instskip(NEXT) | instid1(VALU_DEP_1)
	v_mul_i32_i24_e32 v52, v52, v156
	v_add3_u32 v23, v23, v42, v52
	v_ashrrev_i32_e32 v52, 4, v174
	v_bfe_u32 v42, v43, 8, 4
	s_delay_alu instid0(VALU_DEP_2) | instskip(NEXT) | instid1(VALU_DEP_2)
	v_and_b32_e32 v53, 15, v52
	v_mul_i32_i24_e32 v42, v42, v160
	s_delay_alu instid0(VALU_DEP_2) | instskip(NEXT) | instid1(VALU_DEP_1)
	v_mul_i32_i24_e32 v53, v53, v161
	v_add3_u32 v42, v44, v53, v42
	v_bfe_u32 v44, v176, 16, 4
	v_bfe_u32 v53, v176, 24, 4
	s_delay_alu instid0(VALU_DEP_2) | instskip(NEXT) | instid1(VALU_DEP_2)
	v_mul_i32_i24_e32 v44, v44, v157
	v_mul_i32_i24_e32 v53, v53, v156
	s_delay_alu instid0(VALU_DEP_1) | instskip(SKIP_2) | instid1(VALU_DEP_2)
	v_add3_u32 v35, v35, v44, v53
	v_ashrrev_i32_e32 v53, 4, v182
	v_bfe_u32 v44, v45, 8, 4
	v_and_b32_e32 v54, 15, v53
	s_delay_alu instid0(VALU_DEP_2) | instskip(NEXT) | instid1(VALU_DEP_2)
	v_mul_i32_i24_e32 v44, v44, v160
	v_mul_i32_i24_e32 v54, v54, v161
	s_delay_alu instid0(VALU_DEP_1) | instskip(SKIP_2) | instid1(VALU_DEP_2)
	v_add3_u32 v44, v46, v54, v44
	v_bfe_u32 v46, v3, 16, 4
	v_bfe_u32 v3, v3, 24, 4
	v_mul_i32_i24_e32 v46, v46, v148
	s_delay_alu instid0(VALU_DEP_2) | instskip(NEXT) | instid1(VALU_DEP_1)
	v_mul_i32_i24_e32 v3, v3, v149
	v_add3_u32 v3, v5, v46, v3
	v_ashrrev_i32_e32 v46, 4, v1
	v_bfe_u32 v5, v39, 8, 4
	s_delay_alu instid0(VALU_DEP_2) | instskip(NEXT) | instid1(VALU_DEP_2)
	v_and_b32_e32 v54, 15, v46
	v_mul_i32_i24_e32 v5, v5, v153
	s_delay_alu instid0(VALU_DEP_2) | instskip(NEXT) | instid1(VALU_DEP_1)
	v_mul_i32_i24_e32 v54, v54, v155
	v_add3_u32 v5, v38, v54, v5
	v_bfe_u32 v38, v171, 8, 4
	v_and_b32_e32 v54, 15, v179
	s_delay_alu instid0(VALU_DEP_2) | instskip(NEXT) | instid1(VALU_DEP_2)
	v_mul_i32_i24_e32 v38, v38, v152
	v_mul_i32_i24_e32 v54, v54, v154
	s_delay_alu instid0(VALU_DEP_1) | instskip(SKIP_2) | instid1(VALU_DEP_2)
	v_add3_u32 v22, v22, v54, v38
	v_bfe_u32 v38, v37, 16, 4
	v_bfe_u32 v37, v37, 24, 4
	v_mul_i32_i24_e32 v38, v38, v159
	s_delay_alu instid0(VALU_DEP_2) | instskip(NEXT) | instid1(VALU_DEP_1)
	v_mul_i32_i24_e32 v37, v37, v158
	v_add3_u32 v37, v41, v38, v37
	v_bfe_u32 v38, v173, 8, 4
	v_and_b32_e32 v41, 15, v175
	s_delay_alu instid0(VALU_DEP_2) | instskip(NEXT) | instid1(VALU_DEP_2)
	v_mul_i32_i24_e32 v38, v38, v152
	v_mul_i32_i24_e32 v41, v41, v154
	s_delay_alu instid0(VALU_DEP_1) | instskip(SKIP_3) | instid1(VALU_DEP_3)
	v_add3_u32 v23, v23, v41, v38
	v_bfe_u32 v38, v43, 16, 4
	v_bfe_u32 v41, v43, 24, 4
	v_and_b32_e32 v43, 15, v24
	v_mul_i32_i24_e32 v38, v38, v159
	s_delay_alu instid0(VALU_DEP_3) | instskip(NEXT) | instid1(VALU_DEP_3)
	v_mul_i32_i24_e32 v41, v41, v158
	v_mul_i32_i24_e32 v43, v43, v146
	s_delay_alu instid0(VALU_DEP_2) | instskip(SKIP_2) | instid1(VALU_DEP_2)
	v_add3_u32 v38, v42, v38, v41
	v_bfe_u32 v41, v177, 8, 4
	v_and_b32_e32 v42, 15, v183
	v_mul_i32_i24_e32 v41, v41, v152
	s_delay_alu instid0(VALU_DEP_2) | instskip(NEXT) | instid1(VALU_DEP_1)
	v_mul_i32_i24_e32 v42, v42, v154
	v_add3_u32 v35, v35, v42, v41
	v_bfe_u32 v41, v45, 16, 4
	v_bfe_u32 v42, v45, 24, 4
	s_delay_alu instid0(VALU_DEP_2) | instskip(NEXT) | instid1(VALU_DEP_2)
	v_mul_i32_i24_e32 v41, v41, v159
	v_mul_i32_i24_e32 v42, v42, v158
	s_delay_alu instid0(VALU_DEP_1) | instskip(SKIP_1) | instid1(VALU_DEP_1)
	v_add3_u32 v41, v44, v41, v42
	v_bfe_u32 v42, v0, 8, 4
	v_mul_i32_i24_e32 v42, v42, v144
	s_delay_alu instid0(VALU_DEP_1) | instskip(SKIP_2) | instid1(VALU_DEP_2)
	v_add3_u32 v3, v3, v43, v42
	v_bfe_u32 v42, v39, 16, 4
	v_bfe_u32 v39, v39, 24, 4
	v_mul_i32_i24_e32 v42, v42, v151
	s_delay_alu instid0(VALU_DEP_2) | instskip(NEXT) | instid1(VALU_DEP_1)
	v_mul_i32_i24_e32 v39, v39, v150
	v_add3_u32 v5, v5, v42, v39
	v_bfe_u32 v39, v171, 16, 4
	v_bfe_u32 v42, v171, 24, 4
	s_delay_alu instid0(VALU_DEP_2) | instskip(NEXT) | instid1(VALU_DEP_2)
	v_mul_i32_i24_e32 v39, v39, v148
	v_mul_i32_i24_e32 v42, v42, v149
	s_delay_alu instid0(VALU_DEP_1) | instskip(SKIP_2) | instid1(VALU_DEP_2)
	v_add3_u32 v22, v22, v39, v42
	v_ashrrev_i32_e32 v42, 4, v179
	v_bfe_u32 v39, v47, 8, 4
	v_and_b32_e32 v43, 15, v42
	s_delay_alu instid0(VALU_DEP_2) | instskip(NEXT) | instid1(VALU_DEP_2)
	v_mul_i32_i24_e32 v39, v39, v153
	v_mul_i32_i24_e32 v43, v43, v155
	s_delay_alu instid0(VALU_DEP_1) | instskip(SKIP_2) | instid1(VALU_DEP_2)
	v_add3_u32 v37, v37, v43, v39
	v_bfe_u32 v39, v173, 16, 4
	v_bfe_u32 v43, v173, 24, 4
	v_mul_i32_i24_e32 v39, v39, v148
	s_delay_alu instid0(VALU_DEP_2) | instskip(NEXT) | instid1(VALU_DEP_1)
	v_mul_i32_i24_e32 v43, v43, v149
	v_add3_u32 v23, v23, v39, v43
	v_ashrrev_i32_e32 v43, 4, v175
	v_bfe_u32 v39, v48, 8, 4
	s_delay_alu instid0(VALU_DEP_2) | instskip(NEXT) | instid1(VALU_DEP_2)
	v_and_b32_e32 v44, 15, v43
	v_mul_i32_i24_e32 v39, v39, v153
	s_delay_alu instid0(VALU_DEP_2) | instskip(NEXT) | instid1(VALU_DEP_1)
	v_mul_i32_i24_e32 v44, v44, v155
	v_add3_u32 v38, v38, v44, v39
	v_bfe_u32 v39, v177, 16, 4
	v_bfe_u32 v44, v177, 24, 4
	s_delay_alu instid0(VALU_DEP_2) | instskip(NEXT) | instid1(VALU_DEP_2)
	v_mul_i32_i24_e32 v39, v39, v148
	v_mul_i32_i24_e32 v44, v44, v149
	s_delay_alu instid0(VALU_DEP_1) | instskip(SKIP_2) | instid1(VALU_DEP_2)
	v_add3_u32 v35, v35, v39, v44
	v_ashrrev_i32_e32 v44, 4, v183
	v_bfe_u32 v39, v50, 8, 4
	v_and_b32_e32 v45, 15, v44
	s_delay_alu instid0(VALU_DEP_2) | instskip(NEXT) | instid1(VALU_DEP_2)
	v_mul_i32_i24_e32 v39, v39, v153
	v_mul_i32_i24_e32 v45, v45, v155
	s_delay_alu instid0(VALU_DEP_1) | instskip(SKIP_2) | instid1(VALU_DEP_2)
	v_add3_u32 v39, v41, v45, v39
	v_bfe_u32 v41, v0, 16, 4
	v_bfe_u32 v0, v0, 24, 4
	v_mul_i32_i24_e32 v41, v41, v141
	s_delay_alu instid0(VALU_DEP_2) | instskip(NEXT) | instid1(VALU_DEP_1)
	v_mul_i32_i24_e32 v0, v0, v140
	v_add3_u32 v0, v3, v41, v0
	v_ashrrev_i32_e32 v41, 4, v24
	v_bfe_u32 v3, v40, 8, 4
	s_delay_alu instid0(VALU_DEP_2) | instskip(NEXT) | instid1(VALU_DEP_2)
	v_and_b32_e32 v45, 15, v41
	v_mul_i32_i24_e32 v3, v3, v145
	s_delay_alu instid0(VALU_DEP_2) | instskip(NEXT) | instid1(VALU_DEP_1)
	v_mul_i32_i24_e32 v45, v45, v147
	v_add3_u32 v3, v5, v45, v3
	v_bfe_u32 v5, v178, 8, 4
	v_and_b32_e32 v45, 15, v180
	s_delay_alu instid0(VALU_DEP_2) | instskip(NEXT) | instid1(VALU_DEP_2)
	v_mul_i32_i24_e32 v5, v5, v144
	v_mul_i32_i24_e32 v45, v45, v146
	s_delay_alu instid0(VALU_DEP_1) | instskip(SKIP_2) | instid1(VALU_DEP_2)
	v_add3_u32 v5, v22, v45, v5
	v_bfe_u32 v22, v47, 16, 4
	v_bfe_u32 v45, v47, 24, 4
	v_mul_i32_i24_e32 v22, v22, v151
	s_delay_alu instid0(VALU_DEP_2) | instskip(NEXT) | instid1(VALU_DEP_1)
	v_mul_i32_i24_e32 v45, v45, v150
	v_add3_u32 v22, v37, v22, v45
	v_bfe_u32 v37, v174, 8, 4
	v_and_b32_e32 v45, 15, v32
	s_delay_alu instid0(VALU_DEP_2) | instskip(NEXT) | instid1(VALU_DEP_2)
	v_mul_i32_i24_e32 v37, v37, v144
	v_mul_i32_i24_e32 v45, v45, v146
	s_delay_alu instid0(VALU_DEP_1) | instskip(SKIP_2) | instid1(VALU_DEP_2)
	v_add3_u32 v23, v23, v45, v37
	v_bfe_u32 v37, v48, 16, 4
	v_bfe_u32 v45, v48, 24, 4
	v_mul_i32_i24_e32 v37, v37, v151
	s_delay_alu instid0(VALU_DEP_2) | instskip(NEXT) | instid1(VALU_DEP_1)
	v_mul_i32_i24_e32 v45, v45, v150
	v_add3_u32 v37, v38, v37, v45
	v_bfe_u32 v38, v182, 8, 4
	s_waitcnt lgkmcnt(2)
	v_and_b32_e32 v45, 15, v184
	s_delay_alu instid0(VALU_DEP_2) | instskip(NEXT) | instid1(VALU_DEP_2)
	v_mul_i32_i24_e32 v38, v38, v144
	v_mul_i32_i24_e32 v45, v45, v146
	s_delay_alu instid0(VALU_DEP_1) | instskip(SKIP_2) | instid1(VALU_DEP_2)
	v_add3_u32 v35, v35, v45, v38
	v_bfe_u32 v38, v50, 16, 4
	v_bfe_u32 v45, v50, 24, 4
	v_mul_i32_i24_e32 v38, v38, v151
	s_delay_alu instid0(VALU_DEP_2) | instskip(NEXT) | instid1(VALU_DEP_1)
	v_mul_i32_i24_e32 v45, v45, v150
	v_add3_u32 v38, v39, v38, v45
	v_bfe_u32 v39, v1, 8, 4
	v_and_b32_e32 v45, 15, v25
	s_delay_alu instid0(VALU_DEP_2) | instskip(NEXT) | instid1(VALU_DEP_2)
	v_mul_i32_i24_e32 v39, v39, v136
	v_mul_i32_i24_e32 v45, v45, v138
	s_delay_alu instid0(VALU_DEP_1) | instskip(SKIP_2) | instid1(VALU_DEP_2)
	v_add3_u32 v0, v0, v45, v39
	v_bfe_u32 v39, v40, 16, 4
	v_bfe_u32 v40, v40, 24, 4
	v_mul_i32_i24_e32 v39, v39, v143
	s_delay_alu instid0(VALU_DEP_2) | instskip(NEXT) | instid1(VALU_DEP_1)
	v_mul_i32_i24_e32 v40, v40, v142
	v_add3_u32 v3, v3, v39, v40
	v_bfe_u32 v39, v178, 16, 4
	v_bfe_u32 v40, v178, 24, 4
	s_delay_alu instid0(VALU_DEP_2) | instskip(NEXT) | instid1(VALU_DEP_2)
	v_mul_i32_i24_e32 v39, v39, v141
	v_mul_i32_i24_e32 v40, v40, v140
	s_delay_alu instid0(VALU_DEP_1) | instskip(SKIP_2) | instid1(VALU_DEP_2)
	v_add3_u32 v5, v5, v39, v40
	v_ashrrev_i32_e32 v40, 4, v180
	v_bfe_u32 v39, v51, 8, 4
	v_and_b32_e32 v45, 15, v40
	s_delay_alu instid0(VALU_DEP_2) | instskip(NEXT) | instid1(VALU_DEP_2)
	v_mul_i32_i24_e32 v39, v39, v145
	v_mul_i32_i24_e32 v45, v45, v147
	s_delay_alu instid0(VALU_DEP_1) | instskip(SKIP_2) | instid1(VALU_DEP_2)
	v_add3_u32 v22, v22, v45, v39
	v_bfe_u32 v39, v174, 16, 4
	v_bfe_u32 v45, v174, 24, 4
	v_mul_i32_i24_e32 v39, v39, v141
	s_delay_alu instid0(VALU_DEP_2) | instskip(NEXT) | instid1(VALU_DEP_1)
	v_mul_i32_i24_e32 v45, v45, v140
	v_add3_u32 v23, v23, v39, v45
	v_ashrrev_i32_e32 v45, 4, v32
	v_bfe_u32 v39, v52, 8, 4
	s_delay_alu instid0(VALU_DEP_2) | instskip(NEXT) | instid1(VALU_DEP_2)
	v_and_b32_e32 v47, 15, v45
	v_mul_i32_i24_e32 v39, v39, v145
	s_delay_alu instid0(VALU_DEP_2) | instskip(NEXT) | instid1(VALU_DEP_1)
	v_mul_i32_i24_e32 v47, v47, v147
	v_add3_u32 v37, v37, v47, v39
	v_bfe_u32 v39, v182, 16, 4
	v_bfe_u32 v47, v182, 24, 4
	s_delay_alu instid0(VALU_DEP_2) | instskip(NEXT) | instid1(VALU_DEP_2)
	v_mul_i32_i24_e32 v39, v39, v141
	v_mul_i32_i24_e32 v47, v47, v140
	s_delay_alu instid0(VALU_DEP_1) | instskip(SKIP_2) | instid1(VALU_DEP_2)
	v_add3_u32 v35, v35, v39, v47
	v_ashrrev_i32_e32 v47, 4, v184
	v_bfe_u32 v39, v53, 8, 4
	v_and_b32_e32 v48, 15, v47
	s_delay_alu instid0(VALU_DEP_2) | instskip(NEXT) | instid1(VALU_DEP_2)
	v_mul_i32_i24_e32 v39, v39, v145
	v_mul_i32_i24_e32 v48, v48, v147
	s_delay_alu instid0(VALU_DEP_1) | instskip(SKIP_3) | instid1(VALU_DEP_3)
	v_add3_u32 v38, v38, v48, v39
	v_bfe_u32 v39, v1, 16, 4
	v_bfe_u32 v1, v1, 24, 4
	v_ashrrev_i32_e32 v48, 4, v25
	v_mul_i32_i24_e32 v39, v39, v134
	s_delay_alu instid0(VALU_DEP_3) | instskip(NEXT) | instid1(VALU_DEP_1)
	v_mul_i32_i24_e32 v1, v1, v135
	v_add3_u32 v39, v0, v39, v1
	v_bfe_u32 v0, v46, 8, 4
	v_and_b32_e32 v1, 15, v48
	s_delay_alu instid0(VALU_DEP_2) | instskip(NEXT) | instid1(VALU_DEP_2)
	v_mul_i32_i24_e32 v0, v0, v137
	v_mul_i32_i24_e32 v1, v1, v139
	s_delay_alu instid0(VALU_DEP_1) | instskip(SKIP_2) | instid1(VALU_DEP_2)
	v_add3_u32 v3, v3, v1, v0
	v_bfe_u32 v0, v179, 8, 4
	v_and_b32_e32 v1, 15, v181
	v_mul_i32_i24_e32 v0, v0, v136
	s_delay_alu instid0(VALU_DEP_2) | instskip(NEXT) | instid1(VALU_DEP_1)
	v_mul_i32_i24_e32 v1, v1, v138
	v_add3_u32 v5, v5, v1, v0
	v_bfe_u32 v0, v51, 16, 4
	v_bfe_u32 v1, v51, 24, 4
	s_delay_alu instid0(VALU_DEP_2) | instskip(NEXT) | instid1(VALU_DEP_2)
	v_mul_i32_i24_e32 v0, v0, v143
	v_mul_i32_i24_e32 v1, v1, v142
	s_delay_alu instid0(VALU_DEP_1) | instskip(SKIP_2) | instid1(VALU_DEP_2)
	v_add3_u32 v22, v22, v0, v1
	v_bfe_u32 v0, v175, 8, 4
	v_and_b32_e32 v1, 15, v33
	v_mul_i32_i24_e32 v0, v0, v136
	s_delay_alu instid0(VALU_DEP_2) | instskip(NEXT) | instid1(VALU_DEP_1)
	v_mul_i32_i24_e32 v1, v1, v138
	v_add3_u32 v23, v23, v1, v0
	v_bfe_u32 v0, v52, 16, 4
	v_bfe_u32 v1, v52, 24, 4
	;; [unrolled: 13-line block ×3, first 2 shown]
	s_delay_alu instid0(VALU_DEP_2) | instskip(NEXT) | instid1(VALU_DEP_2)
	v_mul_i32_i24_e32 v0, v0, v143
	v_mul_i32_i24_e32 v1, v1, v142
	s_delay_alu instid0(VALU_DEP_1) | instskip(SKIP_1) | instid1(VALU_DEP_1)
	v_add3_u32 v38, v38, v0, v1
	v_bfe_u32 v0, v24, 8, 4
	v_mul_i32_i24_e32 v50, v0, v128
	ds_load_2addr_b32 v[0:1], v103 offset0:6 offset1:7
	s_waitcnt lgkmcnt(0)
	v_and_b32_e32 v51, 15, v0
	s_delay_alu instid0(VALU_DEP_1) | instskip(NEXT) | instid1(VALU_DEP_1)
	v_mul_i32_i24_e32 v51, v51, v130
	v_add3_u32 v39, v39, v51, v50
	v_bfe_u32 v50, v46, 16, 4
	v_bfe_u32 v46, v46, 24, 4
	s_delay_alu instid0(VALU_DEP_2) | instskip(NEXT) | instid1(VALU_DEP_2)
	v_mul_i32_i24_e32 v50, v50, v133
	v_mul_i32_i24_e32 v46, v46, v132
	s_delay_alu instid0(VALU_DEP_1) | instskip(SKIP_2) | instid1(VALU_DEP_2)
	v_add3_u32 v3, v3, v50, v46
	v_bfe_u32 v46, v179, 16, 4
	v_bfe_u32 v50, v179, 24, 4
	v_mul_i32_i24_e32 v46, v46, v134
	s_delay_alu instid0(VALU_DEP_2) | instskip(NEXT) | instid1(VALU_DEP_1)
	v_mul_i32_i24_e32 v50, v50, v135
	v_add3_u32 v5, v5, v46, v50
	v_ashrrev_i32_e32 v50, 4, v181
	v_bfe_u32 v46, v42, 8, 4
	s_delay_alu instid0(VALU_DEP_2) | instskip(NEXT) | instid1(VALU_DEP_2)
	v_and_b32_e32 v51, 15, v50
	v_mul_i32_i24_e32 v46, v46, v137
	s_delay_alu instid0(VALU_DEP_2) | instskip(NEXT) | instid1(VALU_DEP_1)
	v_mul_i32_i24_e32 v51, v51, v139
	v_add3_u32 v22, v22, v51, v46
	v_bfe_u32 v46, v175, 16, 4
	v_bfe_u32 v51, v175, 24, 4
	s_delay_alu instid0(VALU_DEP_2) | instskip(NEXT) | instid1(VALU_DEP_2)
	v_mul_i32_i24_e32 v46, v46, v134
	v_mul_i32_i24_e32 v51, v51, v135
	s_delay_alu instid0(VALU_DEP_1) | instskip(SKIP_2) | instid1(VALU_DEP_2)
	v_add3_u32 v23, v23, v46, v51
	v_ashrrev_i32_e32 v51, 4, v33
	v_bfe_u32 v46, v43, 8, 4
	v_and_b32_e32 v52, 15, v51
	s_delay_alu instid0(VALU_DEP_2) | instskip(NEXT) | instid1(VALU_DEP_2)
	v_mul_i32_i24_e32 v46, v46, v137
	v_mul_i32_i24_e32 v52, v52, v139
	s_delay_alu instid0(VALU_DEP_1) | instskip(SKIP_2) | instid1(VALU_DEP_2)
	v_add3_u32 v37, v37, v52, v46
	v_bfe_u32 v46, v183, 16, 4
	v_bfe_u32 v52, v183, 24, 4
	v_mul_i32_i24_e32 v46, v46, v134
	s_delay_alu instid0(VALU_DEP_2) | instskip(NEXT) | instid1(VALU_DEP_1)
	v_mul_i32_i24_e32 v52, v52, v135
	v_add3_u32 v35, v35, v46, v52
	v_ashrrev_i32_e32 v52, 4, v185
	v_bfe_u32 v46, v44, 8, 4
	s_delay_alu instid0(VALU_DEP_2) | instskip(NEXT) | instid1(VALU_DEP_2)
	v_and_b32_e32 v53, 15, v52
	v_mul_i32_i24_e32 v46, v46, v137
	s_delay_alu instid0(VALU_DEP_2) | instskip(NEXT) | instid1(VALU_DEP_1)
	v_mul_i32_i24_e32 v53, v53, v139
	v_add3_u32 v38, v38, v53, v46
	v_bfe_u32 v46, v24, 16, 4
	v_bfe_u32 v24, v24, 24, 4
	s_delay_alu instid0(VALU_DEP_2) | instskip(NEXT) | instid1(VALU_DEP_2)
	v_mul_i32_i24_e32 v46, v46, v125
	v_mul_i32_i24_e32 v24, v24, v124
	s_delay_alu instid0(VALU_DEP_1) | instskip(SKIP_2) | instid1(VALU_DEP_2)
	v_add3_u32 v24, v39, v46, v24
	v_ashrrev_i32_e32 v46, 4, v0
	v_bfe_u32 v39, v41, 8, 4
	v_and_b32_e32 v53, 15, v46
	s_delay_alu instid0(VALU_DEP_2) | instskip(NEXT) | instid1(VALU_DEP_2)
	v_mul_i32_i24_e32 v39, v39, v129
	v_mul_i32_i24_e32 v53, v53, v131
	s_delay_alu instid0(VALU_DEP_1) | instskip(SKIP_2) | instid1(VALU_DEP_2)
	v_add3_u32 v3, v3, v53, v39
	v_bfe_u32 v39, v180, 8, 4
	v_and_b32_e32 v53, 15, v30
	v_mul_i32_i24_e32 v39, v39, v128
	s_delay_alu instid0(VALU_DEP_2) | instskip(NEXT) | instid1(VALU_DEP_1)
	v_mul_i32_i24_e32 v53, v53, v130
	v_add3_u32 v5, v5, v53, v39
	v_bfe_u32 v39, v42, 16, 4
	v_bfe_u32 v42, v42, 24, 4
	s_delay_alu instid0(VALU_DEP_2) | instskip(NEXT) | instid1(VALU_DEP_2)
	v_mul_i32_i24_e32 v39, v39, v133
	v_mul_i32_i24_e32 v42, v42, v132
	s_delay_alu instid0(VALU_DEP_1)
	v_add3_u32 v22, v22, v39, v42
	v_add_nc_u32_e32 v42, 0x2118, v103
	v_bfe_u32 v39, v32, 8, 4
	v_add_nc_u32_e32 v103, 32, v103
	ds_load_2addr_b32 v[134:135], v42 offset1:1
	v_mul_i32_i24_e32 v39, v39, v128
	s_waitcnt lgkmcnt(0)
	v_and_b32_e32 v42, 15, v134
	s_delay_alu instid0(VALU_DEP_1) | instskip(NEXT) | instid1(VALU_DEP_1)
	v_mul_i32_i24_e32 v42, v42, v130
	v_add3_u32 v23, v23, v42, v39
	v_bfe_u32 v39, v43, 16, 4
	v_bfe_u32 v42, v43, 24, 4
	s_delay_alu instid0(VALU_DEP_2) | instskip(NEXT) | instid1(VALU_DEP_2)
	v_mul_i32_i24_e32 v39, v39, v133
	v_mul_i32_i24_e32 v42, v42, v132
	s_delay_alu instid0(VALU_DEP_1) | instskip(SKIP_2) | instid1(VALU_DEP_2)
	v_add3_u32 v37, v37, v39, v42
	v_bfe_u32 v39, v184, 8, 4
	v_and_b32_e32 v42, 15, v28
	v_mul_i32_i24_e32 v39, v39, v128
	s_delay_alu instid0(VALU_DEP_2) | instskip(NEXT) | instid1(VALU_DEP_1)
	v_mul_i32_i24_e32 v42, v42, v130
	v_add3_u32 v35, v35, v42, v39
	v_bfe_u32 v39, v44, 16, 4
	v_bfe_u32 v42, v44, 24, 4
	s_delay_alu instid0(VALU_DEP_2) | instskip(NEXT) | instid1(VALU_DEP_2)
	v_mul_i32_i24_e32 v39, v39, v133
	v_mul_i32_i24_e32 v42, v42, v132
	s_delay_alu instid0(VALU_DEP_1) | instskip(SKIP_2) | instid1(VALU_DEP_2)
	v_add3_u32 v38, v38, v39, v42
	v_bfe_u32 v39, v25, 8, 4
	v_and_b32_e32 v42, 15, v1
	v_mul_i32_i24_e32 v39, v39, v120
	s_delay_alu instid0(VALU_DEP_2) | instskip(NEXT) | instid1(VALU_DEP_1)
	v_mul_i32_i24_e32 v42, v42, v122
	v_add3_u32 v24, v24, v42, v39
	v_bfe_u32 v39, v41, 16, 4
	v_bfe_u32 v41, v41, 24, 4
	s_delay_alu instid0(VALU_DEP_2) | instskip(NEXT) | instid1(VALU_DEP_2)
	v_mul_i32_i24_e32 v39, v39, v127
	v_mul_i32_i24_e32 v41, v41, v126
	s_delay_alu instid0(VALU_DEP_1) | instskip(SKIP_2) | instid1(VALU_DEP_2)
	v_add3_u32 v3, v3, v39, v41
	v_bfe_u32 v39, v180, 16, 4
	v_bfe_u32 v41, v180, 24, 4
	v_mul_i32_i24_e32 v39, v39, v125
	s_delay_alu instid0(VALU_DEP_2) | instskip(NEXT) | instid1(VALU_DEP_1)
	v_mul_i32_i24_e32 v41, v41, v124
	v_add3_u32 v5, v5, v39, v41
	v_ashrrev_i32_e32 v41, 4, v30
	v_bfe_u32 v39, v40, 8, 4
	s_delay_alu instid0(VALU_DEP_2) | instskip(NEXT) | instid1(VALU_DEP_2)
	v_and_b32_e32 v42, 15, v41
	v_mul_i32_i24_e32 v39, v39, v129
	s_delay_alu instid0(VALU_DEP_2) | instskip(NEXT) | instid1(VALU_DEP_1)
	v_mul_i32_i24_e32 v42, v42, v131
	v_add3_u32 v22, v22, v42, v39
	v_bfe_u32 v39, v32, 16, 4
	v_bfe_u32 v32, v32, 24, 4
	s_delay_alu instid0(VALU_DEP_2) | instskip(NEXT) | instid1(VALU_DEP_2)
	v_mul_i32_i24_e32 v39, v39, v125
	v_mul_i32_i24_e32 v32, v32, v124
	s_delay_alu instid0(VALU_DEP_1) | instskip(SKIP_2) | instid1(VALU_DEP_2)
	v_add3_u32 v23, v23, v39, v32
	v_ashrrev_i32_e32 v39, 4, v134
	v_bfe_u32 v32, v45, 8, 4
	v_and_b32_e32 v42, 15, v39
	s_delay_alu instid0(VALU_DEP_2) | instskip(NEXT) | instid1(VALU_DEP_2)
	v_mul_i32_i24_e32 v32, v32, v129
	v_mul_i32_i24_e32 v42, v42, v131
	s_delay_alu instid0(VALU_DEP_1) | instskip(SKIP_2) | instid1(VALU_DEP_2)
	v_add3_u32 v32, v37, v42, v32
	v_bfe_u32 v37, v184, 16, 4
	v_bfe_u32 v42, v184, 24, 4
	v_mul_i32_i24_e32 v37, v37, v125
	s_delay_alu instid0(VALU_DEP_2) | instskip(NEXT) | instid1(VALU_DEP_1)
	v_mul_i32_i24_e32 v42, v42, v124
	v_add3_u32 v35, v35, v37, v42
	v_ashrrev_i32_e32 v42, 4, v28
	v_bfe_u32 v37, v47, 8, 4
	s_delay_alu instid0(VALU_DEP_2) | instskip(NEXT) | instid1(VALU_DEP_2)
	v_and_b32_e32 v43, 15, v42
	v_mul_i32_i24_e32 v37, v37, v129
	s_delay_alu instid0(VALU_DEP_2) | instskip(NEXT) | instid1(VALU_DEP_1)
	v_mul_i32_i24_e32 v43, v43, v131
	v_add3_u32 v37, v38, v43, v37
	v_bfe_u32 v38, v25, 16, 4
	v_bfe_u32 v25, v25, 24, 4
	s_delay_alu instid0(VALU_DEP_2) | instskip(NEXT) | instid1(VALU_DEP_2)
	v_mul_i32_i24_e32 v38, v38, v116
	v_mul_i32_i24_e32 v25, v25, v117
	s_delay_alu instid0(VALU_DEP_1) | instskip(SKIP_2) | instid1(VALU_DEP_2)
	v_add3_u32 v24, v24, v38, v25
	v_ashrrev_i32_e32 v38, 4, v1
	v_bfe_u32 v25, v48, 8, 4
	v_and_b32_e32 v43, 15, v38
	s_delay_alu instid0(VALU_DEP_2) | instskip(NEXT) | instid1(VALU_DEP_2)
	v_mul_i32_i24_e32 v25, v25, v121
	v_mul_i32_i24_e32 v43, v43, v123
	s_delay_alu instid0(VALU_DEP_1) | instskip(SKIP_2) | instid1(VALU_DEP_2)
	v_add3_u32 v3, v3, v43, v25
	v_bfe_u32 v25, v181, 8, 4
	v_and_b32_e32 v43, 15, v31
	v_mul_i32_i24_e32 v25, v25, v120
	s_delay_alu instid0(VALU_DEP_2) | instskip(NEXT) | instid1(VALU_DEP_1)
	v_mul_i32_i24_e32 v43, v43, v122
	v_add3_u32 v5, v5, v43, v25
	v_bfe_u32 v25, v40, 16, 4
	v_bfe_u32 v40, v40, 24, 4
	s_delay_alu instid0(VALU_DEP_2) | instskip(NEXT) | instid1(VALU_DEP_2)
	v_mul_i32_i24_e32 v25, v25, v127
	v_mul_i32_i24_e32 v40, v40, v126
	s_delay_alu instid0(VALU_DEP_1) | instskip(SKIP_2) | instid1(VALU_DEP_2)
	v_add3_u32 v22, v22, v25, v40
	v_bfe_u32 v25, v33, 8, 4
	v_and_b32_e32 v40, 15, v135
	v_mul_i32_i24_e32 v25, v25, v120
	s_delay_alu instid0(VALU_DEP_2) | instskip(NEXT) | instid1(VALU_DEP_1)
	v_mul_i32_i24_e32 v40, v40, v122
	v_add3_u32 v23, v23, v40, v25
	v_bfe_u32 v25, v45, 16, 4
	v_bfe_u32 v40, v45, 24, 4
	;; [unrolled: 13-line block ×3, first 2 shown]
	s_delay_alu instid0(VALU_DEP_2) | instskip(NEXT) | instid1(VALU_DEP_2)
	v_mul_i32_i24_e32 v35, v35, v127
	v_mul_i32_i24_e32 v40, v40, v126
	s_delay_alu instid0(VALU_DEP_1) | instskip(SKIP_3) | instid1(VALU_DEP_3)
	v_add3_u32 v35, v37, v35, v40
	v_bfe_u32 v37, v0, 8, 4
	v_bfe_u32 v40, v0, 16, 4
	v_bfe_u32 v0, v0, 24, 4
	v_mul_i32_i24_e32 v37, v37, v113
	s_delay_alu instid0(VALU_DEP_3) | instskip(NEXT) | instid1(VALU_DEP_3)
	v_mul_i32_i24_e32 v40, v40, v112
	v_mul_i32_i24_e32 v0, v0, v108
	s_delay_alu instid0(VALU_DEP_2) | instskip(SKIP_2) | instid1(VALU_DEP_2)
	v_add3_u32 v24, v24, v37, v40
	v_bfe_u32 v37, v48, 16, 4
	v_bfe_u32 v40, v48, 24, 4
	v_mul_i32_i24_e32 v37, v37, v119
	s_delay_alu instid0(VALU_DEP_2) | instskip(NEXT) | instid1(VALU_DEP_1)
	v_mul_i32_i24_e32 v40, v40, v118
	v_add3_u32 v3, v3, v37, v40
	v_bfe_u32 v37, v181, 16, 4
	v_bfe_u32 v40, v181, 24, 4
	s_delay_alu instid0(VALU_DEP_2) | instskip(NEXT) | instid1(VALU_DEP_2)
	v_mul_i32_i24_e32 v37, v37, v116
	v_mul_i32_i24_e32 v40, v40, v117
	s_delay_alu instid0(VALU_DEP_1) | instskip(SKIP_2) | instid1(VALU_DEP_2)
	v_add3_u32 v5, v5, v37, v40
	v_ashrrev_i32_e32 v40, 4, v31
	v_bfe_u32 v37, v50, 8, 4
	v_and_b32_e32 v43, 15, v40
	s_delay_alu instid0(VALU_DEP_2) | instskip(NEXT) | instid1(VALU_DEP_2)
	v_mul_i32_i24_e32 v37, v37, v121
	v_mul_i32_i24_e32 v43, v43, v123
	s_delay_alu instid0(VALU_DEP_1) | instskip(SKIP_2) | instid1(VALU_DEP_2)
	v_add3_u32 v22, v22, v43, v37
	v_bfe_u32 v37, v33, 16, 4
	v_bfe_u32 v33, v33, 24, 4
	v_mul_i32_i24_e32 v37, v37, v116
	s_delay_alu instid0(VALU_DEP_2) | instskip(NEXT) | instid1(VALU_DEP_1)
	v_mul_i32_i24_e32 v33, v33, v117
	v_add3_u32 v23, v23, v37, v33
	v_ashrrev_i32_e32 v37, 4, v135
	v_bfe_u32 v33, v51, 8, 4
	s_delay_alu instid0(VALU_DEP_2) | instskip(NEXT) | instid1(VALU_DEP_2)
	v_and_b32_e32 v43, 15, v37
	v_mul_i32_i24_e32 v33, v33, v121
	s_delay_alu instid0(VALU_DEP_2) | instskip(NEXT) | instid1(VALU_DEP_1)
	v_mul_i32_i24_e32 v43, v43, v123
	v_add3_u32 v25, v25, v43, v33
	v_bfe_u32 v33, v185, 16, 4
	v_bfe_u32 v43, v185, 24, 4
	s_delay_alu instid0(VALU_DEP_2) | instskip(NEXT) | instid1(VALU_DEP_2)
	v_mul_i32_i24_e32 v33, v33, v116
	v_mul_i32_i24_e32 v43, v43, v117
	s_delay_alu instid0(VALU_DEP_1) | instskip(SKIP_2) | instid1(VALU_DEP_2)
	v_add3_u32 v32, v32, v33, v43
	v_ashrrev_i32_e32 v43, 4, v29
	v_bfe_u32 v33, v52, 8, 4
	v_and_b32_e32 v44, 15, v43
	s_delay_alu instid0(VALU_DEP_2) | instskip(NEXT) | instid1(VALU_DEP_2)
	v_mul_i32_i24_e32 v33, v33, v121
	v_mul_i32_i24_e32 v44, v44, v123
	s_delay_alu instid0(VALU_DEP_1) | instskip(SKIP_1) | instid1(VALU_DEP_1)
	v_add3_u32 v33, v35, v44, v33
	v_bfe_u32 v35, v1, 8, 4
	v_mul_i32_i24_e32 v35, v35, v109
	s_delay_alu instid0(VALU_DEP_1) | instskip(SKIP_2) | instid1(VALU_DEP_2)
	v_add3_u32 v0, v24, v0, v35
	v_bfe_u32 v24, v46, 8, 4
	v_bfe_u32 v35, v46, 16, 4
	v_mul_i32_i24_e32 v24, v24, v115
	s_delay_alu instid0(VALU_DEP_2) | instskip(NEXT) | instid1(VALU_DEP_1)
	v_mul_i32_i24_e32 v35, v35, v114
	v_add3_u32 v3, v3, v24, v35
	v_bfe_u32 v24, v30, 8, 4
	v_bfe_u32 v35, v30, 16, 4
	s_delay_alu instid0(VALU_DEP_2) | instskip(NEXT) | instid1(VALU_DEP_2)
	v_mul_i32_i24_e32 v24, v24, v113
	v_mul_i32_i24_e32 v35, v35, v112
	s_delay_alu instid0(VALU_DEP_1) | instskip(SKIP_2) | instid1(VALU_DEP_2)
	v_add3_u32 v5, v5, v24, v35
	v_bfe_u32 v24, v50, 16, 4
	v_bfe_u32 v35, v50, 24, 4
	v_mul_i32_i24_e32 v24, v24, v119
	s_delay_alu instid0(VALU_DEP_2) | instskip(NEXT) | instid1(VALU_DEP_1)
	v_mul_i32_i24_e32 v35, v35, v118
	v_add3_u32 v22, v22, v24, v35
	v_bfe_u32 v24, v134, 8, 4
	v_bfe_u32 v35, v134, 16, 4
	s_delay_alu instid0(VALU_DEP_2) | instskip(NEXT) | instid1(VALU_DEP_2)
	v_mul_i32_i24_e32 v24, v24, v113
	;; [unrolled: 13-line block ×3, first 2 shown]
	v_mul_i32_i24_e32 v35, v35, v112
	s_delay_alu instid0(VALU_DEP_1) | instskip(SKIP_2) | instid1(VALU_DEP_2)
	v_add3_u32 v25, v32, v25, v35
	v_bfe_u32 v32, v52, 16, 4
	v_bfe_u32 v35, v52, 24, 4
	v_mul_i32_i24_e32 v32, v32, v119
	s_delay_alu instid0(VALU_DEP_2) | instskip(NEXT) | instid1(VALU_DEP_1)
	v_mul_i32_i24_e32 v35, v35, v118
	v_add3_u32 v32, v33, v32, v35
	v_bfe_u32 v33, v1, 16, 4
	v_bfe_u32 v1, v1, 24, 4
	v_cvt_f32_ubyte0_e32 v35, v165
	s_delay_alu instid0(VALU_DEP_3) | instskip(NEXT) | instid1(VALU_DEP_3)
	v_mul_i32_i24_e32 v33, v33, v106
	v_mul_i32_i24_e32 v1, v1, v107
	s_delay_alu instid0(VALU_DEP_3) | instskip(NEXT) | instid1(VALU_DEP_2)
	v_fma_mix_f32 v35, v26, v35, 0 op_sel:[1,0,0] op_sel_hi:[1,0,0]
	v_add3_u32 v0, v0, v33, v1
	v_bfe_u32 v1, v46, 24, 4
	v_bfe_u32 v33, v38, 8, 4
	s_delay_alu instid0(VALU_DEP_2) | instskip(NEXT) | instid1(VALU_DEP_2)
	v_mul_i32_i24_e32 v1, v1, v110
	v_mul_i32_i24_e32 v33, v33, v111
	s_delay_alu instid0(VALU_DEP_1) | instskip(SKIP_2) | instid1(VALU_DEP_2)
	v_add3_u32 v1, v3, v1, v33
	v_bfe_u32 v3, v30, 24, 4
	v_bfe_u32 v30, v31, 8, 4
	v_mul_i32_i24_e32 v3, v3, v108
	s_delay_alu instid0(VALU_DEP_2) | instskip(NEXT) | instid1(VALU_DEP_1)
	v_mul_i32_i24_e32 v30, v30, v109
	v_add3_u32 v3, v5, v3, v30
	v_bfe_u32 v5, v41, 8, 4
	v_bfe_u32 v30, v41, 16, 4
	s_delay_alu instid0(VALU_DEP_2) | instskip(NEXT) | instid1(VALU_DEP_2)
	v_mul_i32_i24_e32 v5, v5, v115
	v_mul_i32_i24_e32 v30, v30, v114
	s_delay_alu instid0(VALU_DEP_1) | instskip(SKIP_2) | instid1(VALU_DEP_2)
	v_add3_u32 v5, v22, v5, v30
	v_bfe_u32 v22, v134, 24, 4
	v_bfe_u32 v30, v135, 8, 4
	v_mul_i32_i24_e32 v22, v22, v108
	s_delay_alu instid0(VALU_DEP_2) | instskip(NEXT) | instid1(VALU_DEP_1)
	v_mul_i32_i24_e32 v30, v30, v109
	v_add3_u32 v22, v23, v22, v30
	v_bfe_u32 v23, v39, 8, 4
	v_bfe_u32 v30, v39, 16, 4
	s_delay_alu instid0(VALU_DEP_2) | instskip(NEXT) | instid1(VALU_DEP_2)
	v_mul_i32_i24_e32 v23, v23, v115
	v_mul_i32_i24_e32 v30, v30, v114
	s_delay_alu instid0(VALU_DEP_1) | instskip(SKIP_3) | instid1(VALU_DEP_3)
	v_add3_u32 v23, v24, v23, v30
	v_bfe_u32 v24, v28, 24, 4
	v_bfe_u32 v28, v29, 8, 4
	;; [unrolled: 1-line block ×3, first 2 shown]
	v_mul_i32_i24_e32 v24, v24, v108
	s_delay_alu instid0(VALU_DEP_3) | instskip(NEXT) | instid1(VALU_DEP_3)
	v_mul_i32_i24_e32 v28, v28, v109
	v_mul_i32_i24_e32 v30, v30, v104
	s_delay_alu instid0(VALU_DEP_2) | instskip(SKIP_2) | instid1(VALU_DEP_2)
	v_add3_u32 v24, v25, v24, v28
	v_bfe_u32 v25, v42, 8, 4
	v_bfe_u32 v28, v42, 16, 4
	v_mul_i32_i24_e32 v25, v25, v115
	s_delay_alu instid0(VALU_DEP_2) | instskip(NEXT) | instid1(VALU_DEP_1)
	v_mul_i32_i24_e32 v28, v28, v114
	v_add3_u32 v25, v32, v25, v28
	v_bfe_u32 v28, v38, 16, 4
	v_bfe_u32 v32, v37, 24, 4
	v_cvt_f32_ubyte0_e32 v38, v166
	s_delay_alu instid0(VALU_DEP_3) | instskip(NEXT) | instid1(VALU_DEP_3)
	v_mul_i32_i24_e32 v28, v28, v105
	v_mul_i32_i24_e32 v32, v32, v104
	s_delay_alu instid0(VALU_DEP_3) | instskip(NEXT) | instid1(VALU_DEP_3)
	v_fma_mix_f32 v38, v26, v38, 0 op_sel:[1,0,0] op_sel_hi:[1,0,0]
	v_add3_u32 v1, v1, v28, v30
	v_bfe_u32 v28, v31, 16, 4
	v_bfe_u32 v30, v31, 24, 4
	;; [unrolled: 1-line block ×3, first 2 shown]
	s_delay_alu instid0(VALU_DEP_3) | instskip(NEXT) | instid1(VALU_DEP_3)
	v_mul_i32_i24_e32 v28, v28, v106
	v_mul_i32_i24_e32 v30, v30, v107
	s_delay_alu instid0(VALU_DEP_3) | instskip(NEXT) | instid1(VALU_DEP_2)
	v_mul_i32_i24_e32 v31, v31, v105
	v_add3_u32 v3, v3, v28, v30
	v_bfe_u32 v28, v41, 24, 4
	v_bfe_u32 v30, v40, 8, 4
	s_delay_alu instid0(VALU_DEP_2) | instskip(NEXT) | instid1(VALU_DEP_2)
	v_mul_i32_i24_e32 v28, v28, v110
	v_mul_i32_i24_e32 v30, v30, v111
	s_delay_alu instid0(VALU_DEP_1) | instskip(SKIP_2) | instid1(VALU_DEP_2)
	v_add3_u32 v5, v5, v28, v30
	v_bfe_u32 v28, v135, 16, 4
	v_bfe_u32 v30, v135, 24, 4
	v_mul_i32_i24_e32 v28, v28, v106
	s_delay_alu instid0(VALU_DEP_2) | instskip(NEXT) | instid1(VALU_DEP_1)
	v_mul_i32_i24_e32 v30, v30, v107
	v_add3_u32 v22, v22, v28, v30
	v_bfe_u32 v28, v39, 24, 4
	v_bfe_u32 v30, v37, 8, 4
	v_cvt_f32_ubyte1_e32 v37, v165
	v_cvt_f32_ubyte1_e32 v39, v166
	s_delay_alu instid0(VALU_DEP_4) | instskip(NEXT) | instid1(VALU_DEP_4)
	v_mul_i32_i24_e32 v28, v28, v110
	v_mul_i32_i24_e32 v30, v30, v111
	s_delay_alu instid0(VALU_DEP_4) | instskip(NEXT) | instid1(VALU_DEP_4)
	v_fma_mix_f32 v35, v27, v37, v35 op_sel:[1,0,0] op_sel_hi:[1,0,0]
	v_fma_mix_f32 v38, v27, v39, v38 op_sel:[1,0,0] op_sel_hi:[1,0,0]
	s_delay_alu instid0(VALU_DEP_3)
	v_add3_u32 v23, v23, v28, v30
	v_bfe_u32 v28, v29, 16, 4
	v_bfe_u32 v29, v29, 24, 4
	;; [unrolled: 1-line block ×3, first 2 shown]
	v_mul_f32_e32 v35, v35, v100
	v_add3_u32 v23, v23, v31, v32
	v_mul_i32_i24_e32 v28, v28, v106
	v_mul_i32_i24_e32 v29, v29, v107
	v_mul_i32_i24_e32 v30, v30, v104
	v_bfe_u32 v31, v43, 16, 4
	v_bfe_u32 v32, v43, 24, 4
	v_mul_f32_e32 v38, v38, v101
	v_add3_u32 v24, v24, v28, v29
	v_bfe_u32 v28, v42, 24, 4
	v_bfe_u32 v29, v43, 8, 4
	v_mul_i32_i24_e32 v31, v31, v105
	v_mul_i32_i24_e32 v32, v32, v104
	s_delay_alu instid0(VALU_DEP_4) | instskip(NEXT) | instid1(VALU_DEP_4)
	v_mul_i32_i24_e32 v28, v28, v110
	v_mul_i32_i24_e32 v29, v29, v111
	s_delay_alu instid0(VALU_DEP_1) | instskip(SKIP_3) | instid1(VALU_DEP_4)
	v_add3_u32 v25, v25, v28, v29
	v_bfe_u32 v29, v40, 16, 4
	v_add3_u32 v28, v85, s21, v168
	v_cvt_f32_ubyte1_e32 v40, v169
	v_add3_u32 v25, v25, v31, v32
	s_delay_alu instid0(VALU_DEP_4) | instskip(NEXT) | instid1(VALU_DEP_1)
	v_mul_i32_i24_e32 v29, v29, v105
	v_add3_u32 v5, v5, v29, v30
	ds_load_u16 v29, v28 offset:8
	ds_load_u16 v30, v167 offset:17408
	ds_load_u16 v28, v28
	s_waitcnt lgkmcnt(2)
	v_cvt_f32_ubyte0_e32 v33, v29
	v_cvt_f32_ubyte1_e32 v29, v29
	s_waitcnt lgkmcnt(0)
	v_and_b32_e32 v37, 0xff, v28
	v_lshrrev_b16 v28, 8, v28
	v_and_b32_e32 v39, 0xff, v30
	v_fma_mix_f32 v33, v26, v33, 0 op_sel:[1,0,0] op_sel_hi:[1,0,0]
	v_lshrrev_b16 v30, 8, v30
	v_mul_lo_u32 v0, v0, v37
	v_lshrrev_b16 v37, 8, v34
	v_and_b32_e32 v34, 0xff, v34
	v_fma_mix_f32 v29, v27, v29, v33 op_sel:[1,0,0] op_sel_hi:[1,0,0]
	v_cvt_f32_ubyte0_e32 v33, v169
	v_and_b32_e32 v28, 0xffff, v28
	v_and_b32_e32 v30, 0xffff, v30
	;; [unrolled: 1-line block ×3, first 2 shown]
	v_mul_lo_u32 v3, v3, v39
	v_fma_mix_f32 v33, v26, v33, 0 op_sel:[1,0,0] op_sel_hi:[1,0,0]
	v_mul_lo_u32 v24, v24, v34
	v_mul_lo_u32 v1, v1, v28
	;; [unrolled: 1-line block ×3, first 2 shown]
	v_cvt_f32_i32_e32 v0, v0
	v_fma_mix_f32 v33, v27, v40, v33 op_sel:[1,0,0] op_sel_hi:[1,0,0]
	v_and_b32_e32 v40, 0xff, v2
	v_lshrrev_b16 v2, 8, v2
	v_cvt_f32_i32_e32 v3, v3
	v_cvt_f32_i32_e32 v24, v24
	v_fma_mix_f32 v0, v26, v0, 0 op_sel_hi:[1,0,0]
	v_mul_lo_u32 v22, v22, v40
	v_and_b32_e32 v2, 0xffff, v2
	v_cvt_f32_i32_e32 v1, v1
	v_fma_mix_f32 v3, v26, v3, 0 op_sel_hi:[1,0,0]
	v_cvt_f32_i32_e32 v5, v5
	v_fma_mix_f32 v24, v26, v24, 0 op_sel_hi:[1,0,0]
	v_mul_lo_u32 v2, v23, v2
	v_mul_lo_u32 v23, v25, v37
	v_cvt_f32_i32_e32 v22, v22
	v_mul_f32_e32 v29, v29, v99
	v_mul_f32_e32 v25, v33, v102
	v_fma_mix_f32 v0, v27, v1, v0 op_sel_hi:[1,0,0]
	v_fma_mix_f32 v1, v27, v5, v3 op_sel_hi:[1,0,0]
	;; [unrolled: 1-line block ×3, first 2 shown]
	v_cvt_f32_i32_e32 v2, v2
	v_cvt_f32_i32_e32 v23, v23
	v_fma_f32 v0, v0, v95, -v29
	v_fma_f32 v1, v1, v96, -v35
	s_delay_alu instid0(VALU_DEP_4) | instskip(NEXT) | instid1(VALU_DEP_4)
	v_fma_mix_f32 v2, v27, v2, v22 op_sel_hi:[1,0,0]
	v_fma_mix_f32 v3, v27, v23, v24 op_sel_hi:[1,0,0]
	s_delay_alu instid0(VALU_DEP_4) | instskip(NEXT) | instid1(VALU_DEP_4)
	v_add_f32_e32 v36, v36, v0
	v_add_f32_e32 v62, v62, v1
	s_delay_alu instid0(VALU_DEP_4) | instskip(NEXT) | instid1(VALU_DEP_4)
	v_fma_f32 v2, v2, v97, -v38
	v_fma_f32 v3, v3, v98, -v25
	s_delay_alu instid0(VALU_DEP_2) | instskip(NEXT) | instid1(VALU_DEP_2)
	v_add_f32_e32 v58, v58, v2
	v_add_f32_e32 v20, v20, v3
	s_cbranch_scc1 .LBB232_22
; %bb.23:                               ;   in Loop: Header=BB232_7 Depth=1
	s_barrier
	buffer_gl0_inv
	s_clause 0x7
	scratch_load_b64 v[38:39], off, off offset:20
	scratch_load_b64 v[42:43], off, off offset:48
	;; [unrolled: 1-line block ×3, first 2 shown]
	scratch_load_b32 v47, off, off offset:76
	scratch_load_b64 v[50:51], off, off offset:84
	scratch_load_b32 v48, off, off offset:104
	scratch_load_b32 v53, off, off offset:120
	scratch_load_b32 v54, off, off offset:124
	s_branch .LBB232_5
.LBB232_24:
	scratch_load_b32 v5, off, off offset:196 ; 4-byte Folded Reload
.LBB232_25:
	s_mul_i32 s0, s10, s7
	s_waitcnt vmcnt(0)
	v_cmp_gt_i32_e32 vcc_lo, s0, v5
	s_and_saveexec_b32 s0, vcc_lo
	s_cbranch_execz .LBB232_34
; %bb.26:
	scratch_load_b32 v0, off, off offset:156 ; 4-byte Folded Reload
	s_mov_b32 s0, exec_lo
	s_waitcnt vmcnt(0)
	v_add_nc_u32_e32 v1, s11, v0
	v_mul_lo_u32 v0, v5, s9
	s_delay_alu instid0(VALU_DEP_2)
	v_cmpx_gt_u32_e64 s9, v1
	s_cbranch_execz .LBB232_28
; %bb.27:
	v_bfe_u32 v3, v36, 16, 1
	s_delay_alu instid0(VALU_DEP_3) | instskip(SKIP_1) | instid1(VALU_DEP_3)
	v_add_nc_u32_e32 v2, v0, v1
	v_cmp_o_f32_e32 vcc_lo, v36, v36
	v_add3_u32 v4, v36, v3, 0x7fff
	v_mov_b32_e32 v3, 0
	s_delay_alu instid0(VALU_DEP_2) | instskip(NEXT) | instid1(VALU_DEP_2)
	v_lshrrev_b32_e32 v4, 16, v4
	v_lshlrev_b64 v[2:3], 1, v[2:3]
	s_delay_alu instid0(VALU_DEP_2) | instskip(NEXT) | instid1(VALU_DEP_2)
	v_cndmask_b32_e32 v4, 0x7fc0, v4, vcc_lo
	v_add_co_u32 v2, vcc_lo, s12, v2
	s_delay_alu instid0(VALU_DEP_3)
	v_add_co_ci_u32_e32 v3, vcc_lo, s13, v3, vcc_lo
	global_store_b16 v[2:3], v4, off
.LBB232_28:
	s_or_b32 exec_lo, exec_lo, s0
	v_add_nc_u32_e32 v2, 32, v1
	s_mov_b32 s0, exec_lo
	s_delay_alu instid0(VALU_DEP_1)
	v_cmpx_gt_u32_e64 s9, v2
	s_cbranch_execz .LBB232_30
; %bb.29:
	v_bfe_u32 v3, v62, 16, 1
	v_add_nc_u32_e32 v2, v0, v2
	v_cmp_o_f32_e32 vcc_lo, v62, v62
	s_delay_alu instid0(VALU_DEP_3) | instskip(SKIP_1) | instid1(VALU_DEP_2)
	v_add3_u32 v4, v62, v3, 0x7fff
	v_mov_b32_e32 v3, 0
	v_lshrrev_b32_e32 v4, 16, v4
	s_delay_alu instid0(VALU_DEP_2) | instskip(NEXT) | instid1(VALU_DEP_2)
	v_lshlrev_b64 v[2:3], 1, v[2:3]
	v_cndmask_b32_e32 v4, 0x7fc0, v4, vcc_lo
	s_delay_alu instid0(VALU_DEP_2) | instskip(NEXT) | instid1(VALU_DEP_3)
	v_add_co_u32 v2, vcc_lo, s12, v2
	v_add_co_ci_u32_e32 v3, vcc_lo, s13, v3, vcc_lo
	global_store_b16 v[2:3], v4, off
.LBB232_30:
	s_or_b32 exec_lo, exec_lo, s0
	v_add_nc_u32_e32 v2, 64, v1
	s_mov_b32 s0, exec_lo
	s_delay_alu instid0(VALU_DEP_1)
	v_cmpx_gt_u32_e64 s9, v2
	s_cbranch_execz .LBB232_32
; %bb.31:
	v_bfe_u32 v3, v58, 16, 1
	v_add_nc_u32_e32 v2, v0, v2
	v_cmp_o_f32_e32 vcc_lo, v58, v58
	s_delay_alu instid0(VALU_DEP_3) | instskip(SKIP_1) | instid1(VALU_DEP_2)
	v_add3_u32 v4, v58, v3, 0x7fff
	v_mov_b32_e32 v3, 0
	v_lshrrev_b32_e32 v4, 16, v4
	s_delay_alu instid0(VALU_DEP_2) | instskip(NEXT) | instid1(VALU_DEP_2)
	v_lshlrev_b64 v[2:3], 1, v[2:3]
	v_cndmask_b32_e32 v4, 0x7fc0, v4, vcc_lo
	s_delay_alu instid0(VALU_DEP_2) | instskip(NEXT) | instid1(VALU_DEP_3)
	v_add_co_u32 v2, vcc_lo, s12, v2
	v_add_co_ci_u32_e32 v3, vcc_lo, s13, v3, vcc_lo
	global_store_b16 v[2:3], v4, off
.LBB232_32:
	s_or_b32 exec_lo, exec_lo, s0
	v_add_nc_u32_e32 v1, 0x60, v1
	s_delay_alu instid0(VALU_DEP_1)
	v_cmp_gt_u32_e32 vcc_lo, s9, v1
	s_and_b32 exec_lo, exec_lo, vcc_lo
	s_cbranch_execz .LBB232_34
; %bb.33:
	v_bfe_u32 v2, v20, 16, 1
	v_dual_mov_b32 v1, 0 :: v_dual_add_nc_u32 v0, v0, v1
	v_cmp_o_f32_e32 vcc_lo, v20, v20
	s_delay_alu instid0(VALU_DEP_3) | instskip(NEXT) | instid1(VALU_DEP_3)
	v_add3_u32 v2, v20, v2, 0x7fff
	v_lshlrev_b64 v[0:1], 1, v[0:1]
	s_delay_alu instid0(VALU_DEP_2) | instskip(NEXT) | instid1(VALU_DEP_1)
	v_lshrrev_b32_e32 v2, 16, v2
	v_cndmask_b32_e32 v2, 0x7fc0, v2, vcc_lo
	s_delay_alu instid0(VALU_DEP_3) | instskip(NEXT) | instid1(VALU_DEP_4)
	v_add_co_u32 v0, vcc_lo, s12, v0
	v_add_co_ci_u32_e32 v1, vcc_lo, s13, v1, vcc_lo
	global_store_b16 v[0:1], v2, off
.LBB232_34:
	s_endpgm
	.section	.rodata,"a",@progbits
	.p2align	6, 0x0
	.amdhsa_kernel _ZL8moe_q4_KIN3c108BFloat16ELb1EEvPKvS3_PT_PKiS7_S7_iiiiiii
		.amdhsa_group_segment_fixed_size 20688
		.amdhsa_private_segment_fixed_size 204
		.amdhsa_kernarg_size 76
		.amdhsa_user_sgpr_count 14
		.amdhsa_user_sgpr_dispatch_ptr 0
		.amdhsa_user_sgpr_queue_ptr 0
		.amdhsa_user_sgpr_kernarg_segment_ptr 1
		.amdhsa_user_sgpr_dispatch_id 0
		.amdhsa_user_sgpr_private_segment_size 0
		.amdhsa_wavefront_size32 1
		.amdhsa_uses_dynamic_stack 0
		.amdhsa_enable_private_segment 1
		.amdhsa_system_sgpr_workgroup_id_x 1
		.amdhsa_system_sgpr_workgroup_id_y 1
		.amdhsa_system_sgpr_workgroup_id_z 0
		.amdhsa_system_sgpr_workgroup_info 0
		.amdhsa_system_vgpr_workitem_id 1
		.amdhsa_next_free_vgpr 256
		.amdhsa_next_free_sgpr 23
		.amdhsa_reserve_vcc 1
		.amdhsa_float_round_mode_32 0
		.amdhsa_float_round_mode_16_64 0
		.amdhsa_float_denorm_mode_32 3
		.amdhsa_float_denorm_mode_16_64 3
		.amdhsa_dx10_clamp 1
		.amdhsa_ieee_mode 1
		.amdhsa_fp16_overflow 0
		.amdhsa_workgroup_processor_mode 1
		.amdhsa_memory_ordered 1
		.amdhsa_forward_progress 0
		.amdhsa_shared_vgpr_count 0
		.amdhsa_exception_fp_ieee_invalid_op 0
		.amdhsa_exception_fp_denorm_src 0
		.amdhsa_exception_fp_ieee_div_zero 0
		.amdhsa_exception_fp_ieee_overflow 0
		.amdhsa_exception_fp_ieee_underflow 0
		.amdhsa_exception_fp_ieee_inexact 0
		.amdhsa_exception_int_div_zero 0
	.end_amdhsa_kernel
	.section	.text._ZL8moe_q4_KIN3c108BFloat16ELb1EEvPKvS3_PT_PKiS7_S7_iiiiiii,"axG",@progbits,_ZL8moe_q4_KIN3c108BFloat16ELb1EEvPKvS3_PT_PKiS7_S7_iiiiiii,comdat
.Lfunc_end232:
	.size	_ZL8moe_q4_KIN3c108BFloat16ELb1EEvPKvS3_PT_PKiS7_S7_iiiiiii, .Lfunc_end232-_ZL8moe_q4_KIN3c108BFloat16ELb1EEvPKvS3_PT_PKiS7_S7_iiiiiii
                                        ; -- End function
	.section	.AMDGPU.csdata,"",@progbits
; Kernel info:
; codeLenInByte = 15832
; NumSgprs: 25
; NumVgprs: 256
; ScratchSize: 204
; MemoryBound: 0
; FloatMode: 240
; IeeeMode: 1
; LDSByteSize: 20688 bytes/workgroup (compile time only)
; SGPRBlocks: 3
; VGPRBlocks: 31
; NumSGPRsForWavesPerEU: 25
; NumVGPRsForWavesPerEU: 256
; Occupancy: 5
; WaveLimiterHint : 1
; COMPUTE_PGM_RSRC2:SCRATCH_EN: 1
; COMPUTE_PGM_RSRC2:USER_SGPR: 14
; COMPUTE_PGM_RSRC2:TRAP_HANDLER: 0
; COMPUTE_PGM_RSRC2:TGID_X_EN: 1
; COMPUTE_PGM_RSRC2:TGID_Y_EN: 1
; COMPUTE_PGM_RSRC2:TGID_Z_EN: 0
; COMPUTE_PGM_RSRC2:TIDIG_COMP_CNT: 1
	.section	.text._ZL8moe_q5_KIN3c108BFloat16ELb0EEvPKvS3_PT_PKiS7_S7_iiiiiii,"axG",@progbits,_ZL8moe_q5_KIN3c108BFloat16ELb0EEvPKvS3_PT_PKiS7_S7_iiiiiii,comdat
	.globl	_ZL8moe_q5_KIN3c108BFloat16ELb0EEvPKvS3_PT_PKiS7_S7_iiiiiii ; -- Begin function _ZL8moe_q5_KIN3c108BFloat16ELb0EEvPKvS3_PT_PKiS7_S7_iiiiiii
	.p2align	8
	.type	_ZL8moe_q5_KIN3c108BFloat16ELb0EEvPKvS3_PT_PKiS7_S7_iiiiiii,@function
_ZL8moe_q5_KIN3c108BFloat16ELb0EEvPKvS3_PT_PKiS7_S7_iiiiiii: ; @_ZL8moe_q5_KIN3c108BFloat16ELb0EEvPKvS3_PT_PKiS7_S7_iiiiiii
; %bb.0:
	s_load_b128 s[4:7], s[0:1], 0x18
	s_mov_b32 s2, s15
	s_mov_b32 s3, 0
	s_delay_alu instid0(SALU_CYCLE_1)
	s_lshl_b64 s[8:9], s[2:3], 2
	s_waitcnt lgkmcnt(0)
	s_add_u32 s6, s6, s8
	s_addc_u32 s7, s7, s9
	s_load_b32 s12, s[6:7], 0x0
	s_waitcnt lgkmcnt(0)
	s_cmpk_gt_u32 s12, 0xff
	s_cbranch_scc1 .LBB233_31
; %bb.1:
	s_load_b64 s[6:7], s[0:1], 0x28
	s_lshl_b32 s2, s2, 3
	s_waitcnt lgkmcnt(0)
	s_load_b32 s3, s[6:7], 0x0
	s_waitcnt lgkmcnt(0)
	s_cmp_gt_u32 s2, s3
	s_cbranch_scc1 .LBB233_31
; %bb.2:
	v_bfe_u32 v70, v0, 10, 10
	v_mov_b32_e32 v2, 0
	s_lshl_b32 s16, s14, 7
	s_mov_b32 s17, 0
	s_delay_alu instid0(VALU_DEP_2) | instskip(NEXT) | instid1(VALU_DEP_2)
	v_add_nc_u32_e32 v1, s2, v70
	v_mov_b32_e32 v49, v2
	v_mov_b32_e32 v5, v2
	;; [unrolled: 1-line block ×3, first 2 shown]
	s_delay_alu instid0(VALU_DEP_4) | instskip(NEXT) | instid1(VALU_DEP_1)
	v_lshlrev_b64 v[3:4], 2, v[1:2]
	v_add_co_u32 v3, vcc_lo, s4, v3
	s_delay_alu instid0(VALU_DEP_2)
	v_add_co_ci_u32_e32 v4, vcc_lo, s5, v4, vcc_lo
	global_load_b32 v3, v[3:4], off
	s_clause 0x2
	s_load_b64 s[10:11], s[0:1], 0x30
	s_load_b64 s[8:9], s[0:1], 0x10
	s_load_b128 s[4:7], s[0:1], 0x3c
	v_and_b32_e32 v4, 0x3ff, v0
	s_waitcnt lgkmcnt(0)
	s_cmpk_lt_i32 s11, 0x100
	s_cbranch_scc1 .LBB233_22
; %bb.3:
	s_load_b128 s[0:3], s[0:1], 0x0
	s_ashr_i32 s13, s11, 31
	s_mul_i32 s12, s12, s10
	s_lshr_b32 s10, s13, 24
	s_ashr_i32 s14, s5, 31
	s_add_i32 s10, s11, s10
	s_lshr_b32 s13, s14, 27
	s_ashr_i32 s10, s10, 8
	s_add_i32 s5, s5, s13
	s_mul_i32 s13, s10, s16
	s_ashr_i32 s14, s12, 31
	s_ashr_i32 s5, s5, 5
	s_mul_hi_i32 s15, s13, 0xb0
	s_mulk_i32 s13, 0xb0
	v_dual_mov_b32 v5, 0 :: v_dual_lshlrev_b32 v0, 1, v4
	v_and_b32_e32 v14, 7, v4
	v_lshlrev_b32_e32 v8, 5, v70
	v_mul_u32_u24_e32 v18, 0x41, v70
	s_waitcnt vmcnt(0)
	v_sub_nc_u32_e32 v48, 0, v3
	s_waitcnt lgkmcnt(0)
	s_add_u32 s0, s0, s12
	s_addc_u32 s1, s1, s14
	s_add_u32 s18, s0, s13
	s_addc_u32 s19, s1, s15
	s_abs_i32 s12, s7
	v_and_or_b32 v0, v0, 48, v14
	v_cvt_f32_u32_e32 v26, s12
	v_add_nc_u32_e32 v49, v8, v4
	v_max_i32_e32 v55, v3, v48
	v_lshrrev_b32_e32 v1, 2, v4
	v_add_lshl_u32 v18, v0, v18, 2
	v_rcp_iflag_f32_e32 v35, v26
	v_and_b32_e32 v39, 3, v4
	v_and_b32_e32 v0, 0x7f, v49
	v_lshrrev_b32_e32 v42, 3, v49
	v_and_b32_e32 v12, 6, v1
	v_mad_i32_i24 v49, 0xffffffe4, v70, v49
	v_lshrrev_b32_e32 v6, 5, v4
	v_lshlrev_b32_e32 v52, 2, v0
	v_and_b32_e32 v46, 12, v42
	v_mul_i32_i24_e32 v44, s10, v0
	v_mul_f32_e32 v40, 0x4f7ffffe, v35
	v_add_nc_u32_e32 v20, 0xfe, v39
	v_cmp_gt_u32_e64 s0, 2, v39
	v_cmp_lt_u32_e32 vcc_lo, 1, v39
	v_add_nc_u32_e32 v59, 32, v4
	v_cvt_u32_f32_e32 v51, v40
	v_xor_b32_e32 v61, s7, v3
	v_cndmask_b32_e64 v45, v20, v39, s0
	s_sub_i32 s0, 0, s12
	v_cndmask_b32_e64 v77, 0, 1, vcc_lo
	v_mul_lo_u32 v47, s0, v51
	v_add_nc_u32_e32 v62, 64, v4
	v_and_b32_e32 v0, 0xff, v45
	v_add3_u32 v45, v52, v46, 0x8e40
	v_add_nc_u32_e32 v63, 0x60, v4
	s_lshl_b32 s1, s10, 3
	v_lshlrev_b32_e32 v60, 2, v6
	v_mad_i32_i24 v7, s10, v70, s1
	v_mul_hi_u32 v52, v51, v47
	v_ashrrev_i32_e32 v61, 31, v61
	v_lshrrev_b32_e32 v72, 3, v63
	v_lshlrev_b32_e32 v78, 2, v59
	v_add_nc_u32_e32 v9, s1, v7
	v_lshlrev_b32_e32 v79, 2, v62
	v_lshlrev_b32_e32 v80, 2, v63
	v_and_b32_e32 v65, 60, v72
	v_add_nc_u32_e32 v48, v51, v52
	v_add_nc_u32_e32 v24, 0x1040, v18
	v_add_nc_u32_e32 v25, 0x1860, v18
	v_add_nc_u32_e32 v26, 0x2080, v18
	v_add_nc_u32_e32 v28, 0x28a0, v18
	v_mul_hi_u32 v57, v55, v48
	v_lshlrev_b32_e32 v2, 2, v4
	v_lshlrev_b32_e32 v48, 1, v0
	v_add_nc_u32_e32 v29, 0x30c0, v18
	v_add_nc_u32_e32 v30, 0x38e0, v18
	;; [unrolled: 1-line block ×3, first 2 shown]
	v_and_b32_e32 v21, 4, v2
	v_lshlrev_b32_e32 v15, 3, v70
	v_mul_lo_u32 v56, v57, s12
	v_add_nc_u32_e32 v33, 0x4920, v18
	v_add_nc_u32_e32 v34, 0x5140, v18
	v_cndmask_b32_e32 v20, 0, v21, vcc_lo
	v_add_nc_u32_e32 v22, v1, v15
	v_add_nc_u16 v1, v1, v15
	v_cmp_ne_u32_e32 vcc_lo, 0, v39
	v_lshlrev_b32_e32 v39, 2, v39
	v_mul_i32_i24_e32 v15, s10, v70
	v_and_b32_e32 v50, 0x7f, v22
	v_lshrrev_b16 v1, 1, v1
	v_add_co_ci_u32_e32 v76, vcc_lo, 0, v0, vcc_lo
	v_add_nc_u32_e32 v22, 0x820, v18
	s_delay_alu instid0(VALU_DEP_4)
	v_xor_b32_e32 v53, 64, v50
	v_lshl_or_b32 v52, v50, 4, v39
	v_and_b32_e32 v1, 60, v1
	v_add_nc_u32_e32 v35, 0x5960, v18
	v_add_nc_u32_e32 v37, 0x6180, v18
	v_lshrrev_b32_e32 v51, 1, v53
	v_lshl_or_b32 v39, v53, 4, v39
	v_add_nc_u32_e32 v38, 0x69a0, v18
	v_add_nc_u32_e32 v40, 0x71c0, v18
	;; [unrolled: 1-line block ×3, first 2 shown]
	v_and_b32_e32 v54, 60, v51
	v_add3_u32 v51, v52, v1, 0x8200
	v_mul_i32_i24_e32 v52, s10, v53
	v_mul_i32_i24_e32 v50, s10, v50
	v_mul_u32_u24_e32 v63, 0x104, v4
	v_add3_u32 v53, v39, v54, 0x8200
	v_and_or_b32 v39, v4, 31, v8
	v_lshl_add_u32 v69, v70, 4, 0x9050
	v_lshl_add_u32 v70, v70, 7, 0x8a40
	v_lshlrev_b32_e32 v71, 4, v4
	v_lshlrev_b32_e32 v72, 2, v72
	v_lshl_add_u32 v54, v39, 2, 0x8a40
	v_sub_nc_u32_e32 v39, v55, v56
	v_lshl_add_u32 v55, v49, 2, 0x9050
	v_add_nc_u32_e32 v49, 1, v57
	v_lshrrev_b32_e32 v56, 3, v4
	v_lshlrev_b32_e32 v76, 2, v76
	v_subrev_nc_u32_e32 v58, s12, v39
	v_cmp_le_u32_e32 vcc_lo, s12, v39
	v_lshlrev_b32_e32 v77, 2, v77
	v_lshl_or_b32 v75, v56, 2, 0x8200
	v_lshlrev_b32_e32 v78, 2, v78
	v_lshlrev_b32_e32 v79, 2, v79
	v_cndmask_b32_e32 v49, v57, v49, vcc_lo
	v_cndmask_b32_e32 v39, v39, v58, vcc_lo
	v_lshrrev_b32_e32 v57, 3, v59
	v_and_b32_e32 v10, 0x7c, v2
	v_and_b32_e32 v11, 28, v2
	v_add_nc_u32_e32 v58, 1, v49
	v_cmp_le_u32_e32 vcc_lo, s12, v39
	v_lshlrev_b32_e32 v82, 2, v2
	s_movk_i32 s12, 0x80
	v_add_co_u32 v0, s0, s2, v11
	v_cndmask_b32_e32 v39, v49, v58, vcc_lo
	v_lshrrev_b32_e32 v49, 3, v62
	v_add3_u32 v58, v60, v2, 0x8e40
	v_and_b32_e32 v60, 60, v57
	v_or_b32_e32 v17, 1, v12
	v_xor_b32_e32 v39, v39, v61
	v_and_b32_e32 v64, 60, v49
	v_add_co_ci_u32_e64 v1, null, s3, 0, s0
	v_add3_u32 v59, v2, v60, 0x8e40
	s_delay_alu instid0(VALU_DEP_4) | instskip(NEXT) | instid1(VALU_DEP_4)
	v_sub_nc_u32_e32 v39, v39, v61
	v_add3_u32 v60, v2, v64, 0x8e40
	v_add3_u32 v61, v2, v65, 0x8e40
	v_dual_mov_b32 v2, 0 :: v_dual_add_nc_u32 v13, s1, v9
	s_delay_alu instid0(VALU_DEP_4)
	v_mul_lo_u32 v62, v39, s5
	v_cmp_gt_u32_e64 s0, 4, v4
	v_mad_u32_u24 v68, 0x104, v4, s12
	v_lshlrev_b32_e32 v73, 2, v49
	v_add_nc_u32_e32 v14, s1, v13
	v_lshlrev_b32_e32 v74, 2, v57
	v_lshlrev_b32_e32 v80, 2, v80
	;; [unrolled: 1-line block ×3, first 2 shown]
	v_ashrrev_i32_e32 v67, 31, v62
	v_dual_mov_b32 v49, 0 :: v_dual_add_nc_u32 v16, s1, v14
	s_add_u32 s12, s2, 0x90
	s_addc_u32 s13, s3, 0
	s_delay_alu instid0(VALU_DEP_1) | instskip(NEXT) | instid1(VALU_DEP_1)
	v_add_nc_u32_e32 v19, s1, v16
	v_add_nc_u32_e32 v21, s1, v19
	s_delay_alu instid0(VALU_DEP_1) | instskip(NEXT) | instid1(VALU_DEP_1)
	v_add_nc_u32_e32 v23, s1, v21
	v_add_nc_u32_e32 v27, s1, v23
	;; [unrolled: 3-line block ×5, first 2 shown]
	s_movk_i32 s1, 0x104
	s_delay_alu instid0(SALU_CYCLE_1)
	v_mad_u32_u24 v64, v4, s1, 0x2080
	v_mad_u32_u24 v65, v4, s1, 0x4100
	v_mad_u32_u24 v66, v4, s1, 0x6180
	v_cmp_gt_i32_e64 s1, s4, v39
	v_mov_b32_e32 v39, 0
	s_branch .LBB233_5
.LBB233_4:                              ;   in Loop: Header=BB233_5 Depth=1
	s_add_i32 s17, s17, 1
	s_delay_alu instid0(SALU_CYCLE_1)
	s_cmp_eq_u32 s17, s10
	s_cbranch_scc1 .LBB233_22
.LBB233_5:                              ; =>This Loop Header: Depth=1
                                        ;     Child Loop BB233_12 Depth 2
                                        ;     Child Loop BB233_20 Depth 2
	s_mul_i32 s14, s17, 0xb0
	s_mul_hi_u32 s15, s17, 0xb0
	s_add_u32 s14, s18, s14
	s_addc_u32 s15, s19, s15
	s_delay_alu instid0(SALU_CYCLE_1) | instskip(NEXT) | instid1(VALU_DEP_1)
	v_mad_u64_u32 v[83:84], null, 0xb0, v6, s[14:15]
	v_mad_u64_u32 v[85:86], null, 0xb0, v15, v[83:84]
	;; [unrolled: 1-line block ×5, first 2 shown]
	s_delay_alu instid0(VALU_DEP_4)
	v_add_co_u32 v89, vcc_lo, v85, v10
	v_add_co_ci_u32_e32 v90, vcc_lo, 0, v86, vcc_lo
	v_add_co_u32 v85, vcc_lo, v85, v11
	v_add_co_ci_u32_e32 v86, vcc_lo, 0, v86, vcc_lo
	v_add_co_u32 v91, vcc_lo, v87, v10
	v_add_co_ci_u32_e32 v92, vcc_lo, 0, v88, vcc_lo
	v_add_co_u32 v87, vcc_lo, v87, v11
	v_add_co_ci_u32_e32 v88, vcc_lo, 0, v88, vcc_lo
	v_add_co_u32 v97, vcc_lo, v93, v10
	v_add_co_ci_u32_e32 v98, vcc_lo, 0, v94, vcc_lo
	v_add_co_u32 v93, vcc_lo, v93, v11
	v_add_co_ci_u32_e32 v94, vcc_lo, 0, v94, vcc_lo
	v_mad_u64_u32 v[101:102], null, 0xb0, v14, v[83:84]
	v_add_co_u32 v99, vcc_lo, v95, v10
	v_add_co_ci_u32_e32 v100, vcc_lo, 0, v96, vcc_lo
	v_add_co_u32 v95, vcc_lo, v95, v11
	v_add_co_ci_u32_e32 v96, vcc_lo, 0, v96, vcc_lo
	s_clause 0x7
	global_load_b32 v107, v[89:90], off offset:48
	global_load_b32 v108, v[85:86], off offset:16
	;; [unrolled: 1-line block ×8, first 2 shown]
	v_mad_u64_u32 v[85:86], null, 0xb0, v16, v[83:84]
	v_add_co_u32 v87, vcc_lo, v101, v10
	v_add_co_ci_u32_e32 v88, vcc_lo, 0, v102, vcc_lo
	v_add_co_u32 v89, vcc_lo, v101, v11
	v_mad_u64_u32 v[93:94], null, 0xb0, v19, v[83:84]
	v_add_co_ci_u32_e32 v90, vcc_lo, 0, v102, vcc_lo
	v_add_co_u32 v91, vcc_lo, v85, v10
	v_add_co_ci_u32_e32 v92, vcc_lo, 0, v86, vcc_lo
	v_add_co_u32 v85, vcc_lo, v85, v11
	v_mad_u64_u32 v[95:96], null, 0xb0, v21, v[83:84]
	v_add_co_ci_u32_e32 v86, vcc_lo, 0, v86, vcc_lo
	v_add_co_u32 v97, vcc_lo, v93, v10
	v_add_co_ci_u32_e32 v98, vcc_lo, 0, v94, vcc_lo
	v_add_co_u32 v93, vcc_lo, v93, v11
	v_add_co_ci_u32_e32 v94, vcc_lo, 0, v94, vcc_lo
	v_mad_u64_u32 v[101:102], null, 0xb0, v23, v[83:84]
	v_add_co_u32 v99, vcc_lo, v95, v10
	v_add_co_ci_u32_e32 v100, vcc_lo, 0, v96, vcc_lo
	v_add_co_u32 v95, vcc_lo, v95, v11
	v_add_co_ci_u32_e32 v96, vcc_lo, 0, v96, vcc_lo
	s_clause 0x7
	global_load_b32 v115, v[87:88], off offset:48
	global_load_b32 v116, v[89:90], off offset:16
	;; [unrolled: 1-line block ×8, first 2 shown]
	v_mad_u64_u32 v[87:88], null, 0xb0, v27, v[83:84]
	v_add_co_u32 v85, vcc_lo, v101, v10
	v_add_co_ci_u32_e32 v86, vcc_lo, 0, v102, vcc_lo
	v_add_co_u32 v89, vcc_lo, v101, v11
	v_mad_u64_u32 v[91:92], null, 0xb0, v32, v[83:84]
	v_add_co_ci_u32_e32 v90, vcc_lo, 0, v102, vcc_lo
	v_add_co_u32 v93, vcc_lo, v87, v10
	v_add_co_ci_u32_e32 v94, vcc_lo, 0, v88, vcc_lo
	v_add_co_u32 v87, vcc_lo, v87, v11
	v_mad_u64_u32 v[97:98], null, 0xb0, v36, v[83:84]
	v_add_co_ci_u32_e32 v88, vcc_lo, 0, v88, vcc_lo
	;; [unrolled: 5-line block ×4, first 2 shown]
	v_add_co_u32 v103, vcc_lo, v99, v10
	v_add_co_ci_u32_e32 v104, vcc_lo, 0, v100, vcc_lo
	s_clause 0x8
	global_load_b32 v123, v[85:86], off offset:48
	global_load_b32 v124, v[89:90], off offset:16
	;; [unrolled: 1-line block ×9, first 2 shown]
	v_add_co_u32 v85, vcc_lo, v99, v11
	v_add_co_ci_u32_e32 v86, vcc_lo, 0, v100, vcc_lo
	v_add_co_u32 v87, vcc_lo, v105, v10
	v_add_co_ci_u32_e32 v88, vcc_lo, 0, v106, vcc_lo
	;; [unrolled: 2-line block ×3, first 2 shown]
	s_clause 0x2
	global_load_b32 v99, v[85:86], off offset:16
	global_load_b32 v100, v[87:88], off offset:48
	;; [unrolled: 1-line block ×3, first 2 shown]
	v_mad_u64_u32 v[85:86], null, 0xb0, v46, v[83:84]
	v_mad_u64_u32 v[89:90], null, 0xb0, v47, v[83:84]
	s_delay_alu instid0(VALU_DEP_2) | instskip(NEXT) | instid1(VALU_DEP_3)
	v_add_co_u32 v87, vcc_lo, v85, v10
	v_add_co_ci_u32_e32 v88, vcc_lo, 0, v86, vcc_lo
	v_add_co_u32 v83, vcc_lo, v85, v11
	v_add_co_ci_u32_e32 v84, vcc_lo, 0, v86, vcc_lo
	v_mad_u64_u32 v[85:86], null, 0xb0, v50, s[14:15]
	v_add_co_u32 v91, vcc_lo, v89, v10
	v_add_co_ci_u32_e32 v92, vcc_lo, 0, v90, vcc_lo
	v_add_co_u32 v89, vcc_lo, v89, v11
	v_add_co_ci_u32_e32 v90, vcc_lo, 0, v90, vcc_lo
	;; [unrolled: 2-line block ×3, first 2 shown]
	v_mad_u64_u32 v[85:86], null, 0xb0, v52, s[14:15]
	s_clause 0x3
	global_load_b32 v87, v[87:88], off offset:48
	global_load_b32 v88, v[83:84], off offset:16
	;; [unrolled: 1-line block ×4, first 2 shown]
	v_add_co_u32 v83, vcc_lo, v103, v76
	v_add_co_ci_u32_e32 v84, vcc_lo, 0, v104, vcc_lo
	v_add_co_u32 v90, vcc_lo, v85, 4
	v_add_co_ci_u32_e32 v92, vcc_lo, 0, v86, vcc_lo
	global_load_b32 v105, v[83:84], off
	v_add_co_u32 v83, vcc_lo, v90, v76
	v_add_co_ci_u32_e32 v84, vcc_lo, 0, v92, vcc_lo
	v_add_co_u32 v85, vcc_lo, v103, v77
	v_add_co_ci_u32_e32 v86, vcc_lo, 0, v104, vcc_lo
	global_load_b32 v103, v[83:84], off
	v_add_co_u32 v83, vcc_lo, v90, v77
	v_add_co_ci_u32_e32 v84, vcc_lo, 0, v92, vcc_lo
	s_clause 0x1
	global_load_b32 v85, v[85:86], off
	global_load_b32 v86, v[83:84], off
	v_mad_u64_u32 v[83:84], null, 0xb0, v44, s[14:15]
	s_lshl_b32 s15, s17, 8
	s_delay_alu instid0(SALU_CYCLE_1)
	s_cmp_lt_i32 s15, s11
	global_load_b32 v83, v[83:84], off
	s_waitcnt vmcnt(36)
	v_lshrrev_b32_e32 v90, 4, v107
	s_waitcnt vmcnt(35)
	v_ashrrev_i32_e32 v92, v12, v108
	v_ashrrev_i32_e32 v104, v17, v108
	v_and_b32_e32 v84, 0xf0f0f0f, v107
	s_waitcnt vmcnt(34)
	v_and_b32_e32 v106, 0xf0f0f0f, v109
	v_lshrrev_b32_e32 v107, 4, v109
	s_waitcnt vmcnt(33)
	v_ashrrev_i32_e32 v108, v12, v110
	v_ashrrev_i32_e32 v109, v17, v110
	s_waitcnt vmcnt(32)
	v_and_b32_e32 v110, 0xf0f0f0f, v111
	v_lshrrev_b32_e32 v111, 4, v111
	s_waitcnt vmcnt(31)
	v_ashrrev_i32_e32 v125, v12, v112
	v_ashrrev_i32_e32 v112, v17, v112
	;; [unrolled: 6-line block ×3, first 2 shown]
	v_and_b32_e32 v90, 0xf0f0f0f, v90
	v_lshlrev_b32_e32 v92, 4, v92
	v_lshlrev_b32_e32 v104, 4, v104
	v_and_b32_e32 v107, 0xf0f0f0f, v107
	v_lshlrev_b32_e32 v108, 4, v108
	v_lshlrev_b32_e32 v109, 4, v109
	;; [unrolled: 3-line block ×4, first 2 shown]
	v_and_or_b32 v84, 0x10101010, v92, v84
	v_and_or_b32 v90, 0x10101010, v104, v90
	;; [unrolled: 1-line block ×8, first 2 shown]
	s_waitcnt vmcnt(28)
	v_and_b32_e32 v128, 0xf0f0f0f, v115
	v_lshrrev_b32_e32 v115, 4, v115
	s_waitcnt vmcnt(27)
	v_ashrrev_i32_e32 v129, v12, v116
	v_ashrrev_i32_e32 v116, v17, v116
	s_waitcnt vmcnt(26)
	v_and_b32_e32 v130, 0xf0f0f0f, v117
	v_lshrrev_b32_e32 v117, 4, v117
	s_waitcnt vmcnt(25)
	v_ashrrev_i32_e32 v131, v12, v118
	v_ashrrev_i32_e32 v118, v17, v118
	;; [unrolled: 6-line block ×4, first 2 shown]
	v_and_b32_e32 v115, 0xf0f0f0f, v115
	v_lshlrev_b32_e32 v129, 4, v129
	v_lshlrev_b32_e32 v116, 4, v116
	v_and_b32_e32 v117, 0xf0f0f0f, v117
	v_lshlrev_b32_e32 v131, 4, v131
	v_lshlrev_b32_e32 v118, 4, v118
	v_and_b32_e32 v119, 0xf0f0f0f, v119
	v_lshlrev_b32_e32 v133, 4, v133
	v_lshlrev_b32_e32 v120, 4, v120
	v_and_b32_e32 v121, 0xf0f0f0f, v121
	v_lshlrev_b32_e32 v135, 4, v135
	v_lshlrev_b32_e32 v122, 4, v122
	v_and_or_b32 v110, 0x10101010, v129, v128
	v_and_or_b32 v111, 0x10101010, v116, v115
	;; [unrolled: 1-line block ×8, first 2 shown]
	s_waitcnt vmcnt(20)
	v_and_b32_e32 v136, 0xf0f0f0f, v123
	v_lshrrev_b32_e32 v123, 4, v123
	s_waitcnt vmcnt(19)
	v_ashrrev_i32_e32 v137, v12, v124
	v_ashrrev_i32_e32 v124, v17, v124
	s_waitcnt vmcnt(18)
	v_and_b32_e32 v138, 0xf0f0f0f, v93
	v_lshrrev_b32_e32 v93, 4, v93
	s_waitcnt vmcnt(17)
	v_ashrrev_i32_e32 v139, v12, v94
	v_ashrrev_i32_e32 v94, v17, v94
	;; [unrolled: 6-line block ×3, first 2 shown]
	s_waitcnt vmcnt(12)
	v_and_b32_e32 v144, 0xf0f0f0f, v98
	v_lshrrev_b32_e32 v98, 4, v98
	v_and_b32_e32 v123, 0xf0f0f0f, v123
	v_lshlrev_b32_e32 v137, 4, v137
	v_lshlrev_b32_e32 v124, 4, v124
	v_and_b32_e32 v93, 0xf0f0f0f, v93
	v_lshlrev_b32_e32 v139, 4, v139
	v_lshlrev_b32_e32 v94, 4, v94
	s_waitcnt vmcnt(11)
	v_ashrrev_i32_e32 v145, v12, v99
	v_ashrrev_i32_e32 v99, v17, v99
	v_and_b32_e32 v95, 0xf0f0f0f, v95
	v_lshlrev_b32_e32 v141, 4, v141
	v_lshlrev_b32_e32 v96, 4, v96
	v_and_b32_e32 v142, 0xf0f0f0f, v101
	v_lshrrev_b32_e32 v101, 4, v101
	v_ashrrev_i32_e32 v143, v12, v97
	v_ashrrev_i32_e32 v97, v17, v97
	s_waitcnt vmcnt(10)
	v_and_b32_e32 v146, 0xf0f0f0f, v100
	v_lshrrev_b32_e32 v100, 4, v100
	v_and_b32_e32 v98, 0xf0f0f0f, v98
	v_lshlrev_b32_e32 v99, 4, v99
	v_and_or_b32 v118, 0x10101010, v137, v136
	v_and_or_b32 v119, 0x10101010, v124, v123
	;; [unrolled: 1-line block ×6, first 2 shown]
	ds_store_2addr_b32 v18, v84, v90 offset1:8
	ds_store_2addr_b32 v22, v92, v104 offset1:8
	;; [unrolled: 1-line block ×11, first 2 shown]
	s_waitcnt vmcnt(9)
	v_ashrrev_i32_e32 v84, v17, v102
	v_ashrrev_i32_e32 v147, v12, v102
	v_and_b32_e32 v101, 0xf0f0f0f, v101
	v_lshlrev_b32_e32 v143, 4, v143
	v_lshlrev_b32_e32 v97, 4, v97
	v_and_or_b32 v93, 0x10101010, v99, v98
	v_and_b32_e32 v94, 0xf0f0f0f, v100
	v_lshlrev_b32_e32 v84, 4, v84
	v_lshlrev_b32_e32 v145, 4, v145
	;; [unrolled: 1-line block ×3, first 2 shown]
	v_and_or_b32 v96, 0x10101010, v143, v142
	v_and_or_b32 v97, 0x10101010, v97, v101
	s_waitcnt vmcnt(8)
	v_lshrrev_b32_e32 v95, 4, v87
	s_waitcnt vmcnt(7)
	v_ashrrev_i32_e32 v98, v12, v88
	v_ashrrev_i32_e32 v88, v17, v88
	v_and_or_b32 v84, 0x10101010, v84, v94
	v_and_b32_e32 v87, 0xf0f0f0f, v87
	v_and_b32_e32 v94, 0xf0f0f0f, v95
	v_lshlrev_b32_e32 v95, 4, v98
	v_lshlrev_b32_e32 v88, 4, v88
	v_and_or_b32 v92, 0x10101010, v145, v144
	v_and_or_b32 v90, 0x10101010, v90, v146
	ds_store_2addr_b32 v35, v96, v97 offset1:8
	ds_store_2addr_b32 v37, v92, v93 offset1:8
	;; [unrolled: 1-line block ×3, first 2 shown]
	v_and_or_b32 v84, 0x10101010, v95, v87
	v_and_or_b32 v87, 0x10101010, v88, v94
	s_waitcnt vmcnt(6)
	v_lshrrev_b32_e32 v88, 4, v91
	v_and_b32_e32 v90, 0xf0f0f0f, v91
	s_waitcnt vmcnt(5)
	v_ashrrev_i32_e32 v91, v12, v89
	v_ashrrev_i32_e32 v89, v17, v89
	s_waitcnt vmcnt(4)
	v_ashrrev_i32_e32 v92, v20, v105
	v_and_b32_e32 v88, 0xf0f0f0f, v88
	ds_store_2addr_b32 v40, v84, v87 offset1:8
	s_waitcnt vmcnt(3)
	v_ashrrev_i32_e32 v93, v20, v103
	v_lshlrev_b32_e32 v91, 4, v91
	v_lshlrev_b32_e32 v89, 4, v89
	v_and_b32_e32 v92, 0xf0f0f0f, v92
	s_delay_alu instid0(VALU_DEP_4)
	v_and_b32_e32 v93, 0xf0f0f0f, v93
	s_waitcnt vmcnt(2)
	v_ashrrev_i32_e32 v85, v48, v85
	s_waitcnt vmcnt(1)
	v_ashrrev_i32_e32 v86, v48, v86
	v_and_or_b32 v90, 0x10101010, v91, v90
	v_and_or_b32 v88, 0x10101010, v89, v88
	;; [unrolled: 1-line block ×3, first 2 shown]
	s_delay_alu instid0(VALU_DEP_4)
	v_and_or_b32 v85, 0x30303030, v86, v93
	ds_store_2addr_b32 v43, v90, v88 offset1:8
	s_waitcnt vmcnt(0)
	ds_store_b32 v45, v83
	ds_store_b32 v51, v84
	;; [unrolled: 1-line block ×3, first 2 shown]
	s_cbranch_scc0 .LBB233_4
; %bb.6:                                ;   in Loop: Header=BB233_5 Depth=1
	s_lshl_b32 s14, s17, 3
	s_delay_alu instid0(SALU_CYCLE_1) | instskip(NEXT) | instid1(VALU_DEP_1)
	v_add_nc_u32_e32 v83, s14, v56
	v_cmp_gt_i32_e32 vcc_lo, s5, v83
	s_and_b32 s21, s1, vcc_lo
	s_delay_alu instid0(SALU_CYCLE_1)
	s_and_saveexec_b32 s20, s21
	s_cbranch_execz .LBB233_8
; %bb.7:                                ;   in Loop: Header=BB233_5 Depth=1
	v_add_nc_u32_e32 v85, v62, v83
	s_delay_alu instid0(VALU_DEP_1)
	v_mad_i64_i32 v[83:84], null, v85, 36, v[0:1]
	global_load_b32 v83, v[83:84], off offset:4
	s_waitcnt vmcnt(0)
	ds_store_b32 v54, v83
.LBB233_8:                              ;   in Loop: Header=BB233_5 Depth=1
	s_or_b32 exec_lo, exec_lo, s20
	s_and_saveexec_b32 s20, s0
	s_cbranch_execz .LBB233_11
; %bb.9:                                ;   in Loop: Header=BB233_5 Depth=1
	v_or_b32_e32 v83, s14, v4
	s_delay_alu instid0(VALU_DEP_1) | instskip(SKIP_1) | instid1(SALU_CYCLE_1)
	v_cmp_gt_i32_e32 vcc_lo, s5, v83
	s_and_b32 s21, s1, vcc_lo
	s_and_b32 exec_lo, exec_lo, s21
	s_cbranch_execz .LBB233_11
; %bb.10:                               ;   in Loop: Header=BB233_5 Depth=1
	v_add_nc_u32_e32 v85, v62, v83
	s_delay_alu instid0(VALU_DEP_1)
	v_mad_i64_i32 v[83:84], null, v85, 36, s[2:3]
	global_load_b32 v83, v[83:84], off
	s_waitcnt vmcnt(0)
	ds_store_b32 v55, v83
.LBB233_11:                             ;   in Loop: Header=BB233_5 Depth=1
	s_or_b32 exec_lo, exec_lo, s20
	s_waitcnt lgkmcnt(0)
	s_barrier
	buffer_gl0_inv
	ds_load_b32 v84, v58
	ds_load_b32 v85, v59 offset:128
	ds_load_b32 v86, v60 offset:256
	;; [unrolled: 1-line block ×3, first 2 shown]
	s_mov_b32 s21, 0
	s_mov_b32 s20, -1
	s_waitcnt lgkmcnt(3)
	v_lshrrev_b32_e32 v88, 16, v84
	s_waitcnt lgkmcnt(2)
	v_lshrrev_b32_e32 v89, 16, v85
	;; [unrolled: 2-line block ×4, first 2 shown]
	v_cvt_f32_f16_e32 v83, v84
	v_cvt_f32_f16_e32 v84, v85
	;; [unrolled: 1-line block ×8, first 2 shown]
.LBB233_12:                             ;   Parent Loop BB233_5 Depth=1
                                        ; =>  This Inner Loop Header: Depth=2
	s_lshr_b32 s22, s21, 2
	v_lshl_or_b32 v91, s21, 1, v8
	s_lshl_b32 s21, s21, 3
	s_add_i32 s22, s22, 0x8200
	v_add_nc_u32_e32 v92, s21, v63
	v_add_nc_u32_e32 v93, s21, v64
	;; [unrolled: 1-line block ×4, first 2 shown]
	v_add3_u32 v99, s22, v81, v82
	v_add3_u32 v96, s22, v74, v78
	;; [unrolled: 1-line block ×4, first 2 shown]
	v_lshlrev_b32_e32 v103, 2, v91
	v_lshrrev_b32_e32 v100, 1, v91
	ds_load_2addr_b32 v[107:108], v92 offset1:1
	ds_load_2addr_b32 v[109:110], v92 offset0:2 offset1:3
	ds_load_2addr_b32 v[111:112], v92 offset0:4 offset1:5
	ds_load_2addr_b32 v[113:114], v92 offset0:6 offset1:7
	ds_load_2addr_b32 v[115:116], v92 offset0:8 offset1:9
	ds_load_2addr_b32 v[117:118], v92 offset0:10 offset1:11
	ds_load_2addr_b32 v[119:120], v92 offset0:12 offset1:13
	ds_load_2addr_b32 v[121:122], v92 offset0:14 offset1:15
	ds_load_2addr_b32 v[123:124], v93 offset1:1
	ds_load_2addr_b32 v[125:126], v93 offset0:2 offset1:3
	ds_load_2addr_b32 v[127:128], v93 offset0:4 offset1:5
	ds_load_2addr_b32 v[129:130], v93 offset0:6 offset1:7
	ds_load_2addr_b32 v[131:132], v93 offset0:8 offset1:9
	ds_load_2addr_b32 v[133:134], v93 offset0:10 offset1:11
	ds_load_2addr_b32 v[135:136], v93 offset0:12 offset1:13
	ds_load_2addr_b32 v[137:138], v93 offset0:14 offset1:15
	;; [unrolled: 8-line block ×4, first 2 shown]
	ds_load_u16 v173, v96
	ds_load_u8 v174, v96 offset:8
	ds_load_u8 v175, v96 offset:9
	ds_load_u16 v176, v97
	ds_load_u8 v177, v97 offset:8
	ds_load_u8 v178, v97 offset:9
	;; [unrolled: 3-line block ×3, first 2 shown]
	ds_load_b128 v[91:94], v103 offset:35392
	ds_load_u16 v182, v99
	ds_load_b64 v[171:172], v100 offset:36944
	ds_load_u8 v183, v99 offset:8
	ds_load_b128 v[95:98], v103 offset:35424
	ds_load_u8 v184, v99 offset:9
	ds_load_b128 v[99:102], v103 offset:35408
	ds_load_b128 v[103:106], v103 offset:35440
	s_mov_b32 s21, 8
	s_and_b32 vcc_lo, exec_lo, s20
	s_mov_b32 s20, 0
	s_waitcnt lgkmcnt(16)
	v_lshrrev_b16 v185, 8, v173
	s_waitcnt lgkmcnt(15)
	v_cvt_f32_ubyte0_e32 v174, v174
	s_waitcnt lgkmcnt(14)
	v_cvt_f32_ubyte0_e32 v175, v175
	s_waitcnt lgkmcnt(13)
	v_lshrrev_b16 v186, 8, v176
	s_waitcnt lgkmcnt(12)
	v_cvt_f32_ubyte0_e32 v177, v177
	s_waitcnt lgkmcnt(11)
	v_cvt_f32_ubyte0_e32 v178, v178
	s_waitcnt lgkmcnt(10)
	v_lshrrev_b16 v187, 8, v179
	v_and_b32_e32 v179, 0xff, v179
	s_waitcnt lgkmcnt(9)
	v_cvt_f32_ubyte0_e32 v180, v180
	s_waitcnt lgkmcnt(7)
	v_dot4_i32_iu8 v107, v107, v91, 0 neg_lo:[1,1,0]
	v_dot4_i32_iu8 v123, v123, v91, 0 neg_lo:[1,1,0]
	;; [unrolled: 1-line block ×4, first 2 shown]
	s_waitcnt lgkmcnt(3)
	v_dot4_i32_iu8 v115, v115, v95, 0 neg_lo:[1,1,0]
	v_dot4_i32_iu8 v131, v131, v95, 0 neg_lo:[1,1,0]
	;; [unrolled: 1-line block ×20, first 2 shown]
	s_waitcnt lgkmcnt(1)
	v_dot4_i32_iu8 v91, v159, v99, v91 neg_lo:[1,1,0]
	v_and_b32_e32 v163, 0xffff, v185
	v_and_b32_e32 v185, 0xffff, v187
	v_dot4_i32_iu8 v117, v133, v97, v124 neg_lo:[1,1,0]
	s_waitcnt lgkmcnt(0)
	v_dot4_i32_iu8 v92, v167, v103, v92 neg_lo:[1,1,0]
	v_dot4_i32_iu8 v91, v160, v100, v91 neg_lo:[1,1,0]
	;; [unrolled: 1-line block ×9, first 2 shown]
	v_cvt_f32_ubyte0_e32 v181, v181
	v_dot4_i32_iu8 v92, v169, v105, v92 neg_lo:[1,1,0]
	v_dot4_i32_iu8 v91, v162, v102, v91 neg_lo:[1,1,0]
	v_fma_mix_f32 v155, v171, v174, 0 op_sel:[1,0,0] op_sel_hi:[1,0,0]
	v_fma_mix_f32 v174, v171, v177, 0 op_sel:[1,0,0] op_sel_hi:[1,0,0]
	;; [unrolled: 1-line block ×3, first 2 shown]
	v_dot4_i32_iu8 v92, v170, v106, v92 neg_lo:[1,1,0]
	v_mul_lo_u32 v91, v91, v179
	v_dot4_i32_iu8 v110, v134, v98, v117 neg_lo:[1,1,0]
	v_dot4_i32_iu8 v117, v150, v98, v124 neg_lo:[1,1,0]
	;; [unrolled: 1-line block ×3, first 2 shown]
	v_mul_lo_u32 v92, v92, v185
	v_dot4_i32_iu8 v98, v127, v99, v109 neg_lo:[1,1,0]
	v_dot4_i32_iu8 v109, v143, v99, v115 neg_lo:[1,1,0]
	v_fma_mix_f32 v95, v172, v175, v155 op_sel:[1,0,0] op_sel_hi:[1,0,0]
	v_cvt_f32_i32_e32 v91, v91
	v_fma_mix_f32 v96, v172, v178, v174 op_sel:[1,0,0] op_sel_hi:[1,0,0]
	v_fma_mix_f32 v139, v172, v181, v180 op_sel:[1,0,0] op_sel_hi:[1,0,0]
	v_dot4_i32_iu8 v97, v119, v103, v107 neg_lo:[1,1,0]
	v_dot4_i32_iu8 v107, v135, v103, v110 neg_lo:[1,1,0]
	;; [unrolled: 1-line block ×6, first 2 shown]
	v_cvt_f32_i32_e32 v92, v92
	v_fma_mix_f32 v91, v171, v91, 0 op_sel_hi:[1,0,0]
	v_and_b32_e32 v176, 0xff, v176
	v_mul_f32_e32 v93, v95, v88
	v_dual_mul_f32 v95, v96, v89 :: v_dual_mul_f32 v96, v139, v90
	v_dot4_i32_iu8 v97, v120, v104, v97 neg_lo:[1,1,0]
	v_dot4_i32_iu8 v99, v136, v104, v107 neg_lo:[1,1,0]
	;; [unrolled: 1-line block ×6, first 2 shown]
	v_fma_mix_f32 v91, v172, v92, v91 op_sel_hi:[1,0,0]
	v_lshrrev_b16 v188, 8, v182
	v_and_b32_e32 v182, 0xff, v182
	v_dot4_i32_iu8 v97, v121, v105, v97 neg_lo:[1,1,0]
	v_dot4_i32_iu8 v99, v137, v105, v99 neg_lo:[1,1,0]
	;; [unrolled: 1-line block ×6, first 2 shown]
	v_fma_f32 v91, v91, v86, -v96
	v_and_b32_e32 v173, 0xff, v173
	v_and_b32_e32 v177, 0xffff, v186
	;; [unrolled: 1-line block ×3, first 2 shown]
	v_dot4_i32_iu8 v97, v122, v106, v97 neg_lo:[1,1,0]
	v_dot4_i32_iu8 v99, v138, v106, v99 neg_lo:[1,1,0]
	;; [unrolled: 1-line block ×3, first 2 shown]
	v_mul_lo_u32 v94, v94, v182
	v_mul_lo_u32 v100, v100, v176
	v_add_f32_e32 v2, v2, v91
	v_mul_lo_u32 v98, v98, v173
	v_cvt_f32_ubyte0_e32 v183, v183
	v_mul_lo_u32 v97, v97, v116
	v_mul_lo_u32 v99, v99, v163
	;; [unrolled: 1-line block ×3, first 2 shown]
	v_cvt_f32_ubyte0_e32 v184, v184
	v_fma_mix_f32 v108, v171, v183, 0 op_sel:[1,0,0] op_sel_hi:[1,0,0]
	v_cvt_f32_i32_e32 v94, v94
	v_cvt_f32_i32_e32 v98, v98
	;; [unrolled: 1-line block ×4, first 2 shown]
	v_fma_mix_f32 v108, v172, v184, v108 op_sel:[1,0,0] op_sel_hi:[1,0,0]
	v_cvt_f32_i32_e32 v99, v99
	v_cvt_f32_i32_e32 v101, v101
	v_fma_mix_f32 v94, v171, v94, 0 op_sel_hi:[1,0,0]
	v_fma_mix_f32 v98, v171, v98, 0 op_sel_hi:[1,0,0]
	v_fma_mix_f32 v100, v171, v100, 0 op_sel_hi:[1,0,0]
	v_mul_f32_e32 v102, v108, v87
	s_delay_alu instid0(VALU_DEP_4) | instskip(NEXT) | instid1(VALU_DEP_4)
	v_fma_mix_f32 v94, v172, v97, v94 op_sel_hi:[1,0,0]
	v_fma_mix_f32 v97, v172, v99, v98 op_sel_hi:[1,0,0]
	s_delay_alu instid0(VALU_DEP_4) | instskip(NEXT) | instid1(VALU_DEP_3)
	v_fma_mix_f32 v98, v172, v101, v100 op_sel_hi:[1,0,0]
	v_fma_f32 v92, v94, v83, -v102
	s_delay_alu instid0(VALU_DEP_3) | instskip(NEXT) | instid1(VALU_DEP_3)
	v_fma_f32 v93, v97, v84, -v93
	v_fma_f32 v94, v98, v85, -v95
	s_delay_alu instid0(VALU_DEP_3) | instskip(NEXT) | instid1(VALU_DEP_3)
	v_add_f32_e32 v5, v5, v92
	v_add_f32_e32 v49, v49, v93
	s_delay_alu instid0(VALU_DEP_3)
	v_add_f32_e32 v39, v39, v94
	s_cbranch_vccnz .LBB233_12
; %bb.13:                               ;   in Loop: Header=BB233_5 Depth=1
	s_bitset1_b32 s15, 7
	s_delay_alu instid0(SALU_CYCLE_1)
	s_cmp_ge_i32 s15, s11
	s_barrier
	buffer_gl0_inv
	s_cbranch_scc1 .LBB233_4
; %bb.14:                               ;   in Loop: Header=BB233_5 Depth=1
	v_add_nc_u32_e32 v83, s14, v57
	s_delay_alu instid0(VALU_DEP_1) | instskip(SKIP_1) | instid1(SALU_CYCLE_1)
	v_cmp_gt_i32_e32 vcc_lo, s5, v83
	s_and_b32 s20, s1, vcc_lo
	s_and_saveexec_b32 s15, s20
	s_cbranch_execz .LBB233_16
; %bb.15:                               ;   in Loop: Header=BB233_5 Depth=1
	v_add_nc_u32_e32 v85, v62, v83
	s_delay_alu instid0(VALU_DEP_1)
	v_mad_i64_i32 v[83:84], null, v85, 36, v[0:1]
	global_load_b32 v83, v[83:84], off offset:4
	s_waitcnt vmcnt(0)
	ds_store_b32 v54, v83
.LBB233_16:                             ;   in Loop: Header=BB233_5 Depth=1
	s_or_b32 exec_lo, exec_lo, s15
	s_and_saveexec_b32 s15, s0
	s_cbranch_execz .LBB233_19
; %bb.17:                               ;   in Loop: Header=BB233_5 Depth=1
	v_or_b32_e32 v83, s14, v4
	s_delay_alu instid0(VALU_DEP_1) | instskip(NEXT) | instid1(VALU_DEP_1)
	v_or_b32_e32 v84, 4, v83
	v_cmp_gt_i32_e32 vcc_lo, s5, v84
	s_and_b32 s14, s1, vcc_lo
	s_delay_alu instid0(SALU_CYCLE_1)
	s_and_b32 exec_lo, exec_lo, s14
	s_cbranch_execz .LBB233_19
; %bb.18:                               ;   in Loop: Header=BB233_5 Depth=1
	v_ashrrev_i32_e32 v84, 31, v83
	v_add_co_u32 v85, vcc_lo, v62, v83
	s_delay_alu instid0(VALU_DEP_2) | instskip(NEXT) | instid1(VALU_DEP_2)
	v_add_co_ci_u32_e32 v86, vcc_lo, v67, v84, vcc_lo
	v_mad_u64_u32 v[83:84], null, v85, 36, s[12:13]
	s_delay_alu instid0(VALU_DEP_1)
	v_mad_i32_i24 v84, v86, 36, v84
	global_load_b32 v83, v[83:84], off
	s_waitcnt vmcnt(0)
	ds_store_b32 v55, v83
.LBB233_19:                             ;   in Loop: Header=BB233_5 Depth=1
	s_or_b32 exec_lo, exec_lo, s15
	s_waitcnt lgkmcnt(0)
	s_barrier
	buffer_gl0_inv
	ds_load_b32 v86, v58
	ds_load_b32 v87, v59 offset:128
	ds_load_b32 v88, v60 offset:256
	;; [unrolled: 1-line block ×3, first 2 shown]
	v_dual_mov_b32 v83, v70 :: v_dual_mov_b32 v84, v69
	s_mov_b32 s14, 16
	s_mov_b32 s15, 0
	;; [unrolled: 1-line block ×3, first 2 shown]
	s_waitcnt lgkmcnt(3)
	v_lshrrev_b32_e32 v90, 16, v86
	s_waitcnt lgkmcnt(2)
	v_lshrrev_b32_e32 v91, 16, v87
	;; [unrolled: 2-line block ×4, first 2 shown]
	v_cvt_f32_f16_e32 v85, v86
	v_cvt_f32_f16_e32 v86, v87
	;; [unrolled: 1-line block ×8, first 2 shown]
	v_mov_b32_e32 v93, v68
.LBB233_20:                             ;   Parent Loop BB233_5 Depth=1
                                        ; =>  This Inner Loop Header: Depth=2
	ds_load_b128 v[94:97], v83
	ds_load_b128 v[98:101], v83 offset:16
	ds_load_b128 v[102:105], v83 offset:32
	;; [unrolled: 1-line block ×3, first 2 shown]
	ds_load_b64 v[110:111], v84
	ds_load_2addr_b32 v[112:113], v93 offset1:1
	ds_load_2addr_b32 v[114:115], v93 offset0:2 offset1:3
	ds_load_2addr_b32 v[116:117], v93 offset0:4 offset1:5
	;; [unrolled: 1-line block ×7, first 2 shown]
	v_add_nc_u32_e32 v128, 0x2080, v93
	v_add_nc_u32_e32 v130, 0x2088, v93
	v_add_nc_u32_e32 v132, 0x2090, v93
	v_add_nc_u32_e32 v134, 0x2098, v93
	v_add_nc_u32_e32 v136, 0x20a0, v93
	v_add_nc_u32_e32 v138, 0x20a8, v93
	v_add_nc_u32_e32 v140, 0x20b0, v93
	v_add_nc_u32_e32 v142, 0x20b8, v93
	v_add_nc_u32_e32 v144, 0x4100, v93
	v_add_nc_u32_e32 v146, 0x4108, v93
	ds_load_2addr_b32 v[128:129], v128 offset1:1
	ds_load_2addr_b32 v[130:131], v130 offset1:1
	;; [unrolled: 1-line block ×8, first 2 shown]
	v_add_nc_u32_e32 v160, s15, v71
	v_add_nc_u32_e32 v148, 0x4110, v93
	s_lshr_b32 s21, s14, 2
	v_add_nc_u32_e32 v150, 0x4118, v93
	v_add_nc_u32_e32 v161, 0x6180, v93
	;; [unrolled: 1-line block ×8, first 2 shown]
	s_and_b32 s21, s21, 0x3ffffffc
	ds_load_2addr_b32 v[144:145], v144 offset1:1
	ds_load_2addr_b32 v[146:147], v146 offset1:1
	;; [unrolled: 1-line block ×8, first 2 shown]
	v_add_nc_u32_e32 v166, 0x6198, v93
	v_add_nc_u32_e32 v168, 0x61a0, v93
	v_add_nc_u32_e32 v170, 0x61a8, v93
	v_add_nc_u32_e32 v172, 0x61b0, v93
	v_add_nc_u32_e32 v174, 0x61b8, v93
	v_add3_u32 v176, v75, s21, v160
	v_add3_u32 v177, v74, s21, v160
	;; [unrolled: 1-line block ×4, first 2 shown]
	ds_load_2addr_b32 v[160:161], v161 offset1:1
	ds_load_2addr_b32 v[162:163], v162 offset1:1
	;; [unrolled: 1-line block ×8, first 2 shown]
	ds_load_u16 v180, v176
	ds_load_u16 v176, v176 offset:8
	ds_load_u16 v181, v177 offset:33792
	;; [unrolled: 1-line block ×7, first 2 shown]
	s_waitcnt lgkmcnt(39)
	v_dot4_i32_iu8 v112, v112, v94, 0 neg_lo:[1,1,0]
	s_waitcnt lgkmcnt(35)
	v_dot4_i32_iu8 v120, v120, v102, 0 neg_lo:[1,1,0]
	v_add_nc_u32_e32 v84, 8, v84
	v_add_nc_u32_e32 v83, 64, v83
	s_add_i32 s22, s20, 8
	v_dot4_i32_iu8 v112, v113, v95, v112 neg_lo:[1,1,0]
	v_dot4_i32_iu8 v113, v121, v103, v120 neg_lo:[1,1,0]
	s_waitcnt lgkmcnt(31)
	v_dot4_i32_iu8 v120, v128, v94, 0 neg_lo:[1,1,0]
	s_waitcnt lgkmcnt(27)
	;; [unrolled: 2-line block ×4, first 2 shown]
	v_dot4_i32_iu8 v94, v160, v94, 0 neg_lo:[1,1,0]
	v_dot4_i32_iu8 v136, v152, v102, 0 neg_lo:[1,1,0]
	s_waitcnt lgkmcnt(11)
	v_dot4_i32_iu8 v102, v168, v102, 0 neg_lo:[1,1,0]
	v_dot4_i32_iu8 v112, v114, v96, v112 neg_lo:[1,1,0]
	s_waitcnt lgkmcnt(6)
	v_cvt_f32_ubyte0_e32 v152, v176
	v_dot4_i32_iu8 v113, v122, v104, v113 neg_lo:[1,1,0]
	v_dot4_i32_iu8 v120, v129, v95, v120 neg_lo:[1,1,0]
	;; [unrolled: 1-line block ×5, first 2 shown]
	v_cvt_f32_ubyte1_e32 v122, v176
	s_waitcnt lgkmcnt(4)
	v_cvt_f32_ubyte0_e32 v168, v177
	v_cvt_f32_ubyte1_e32 v137, v177
	s_waitcnt lgkmcnt(2)
	v_cvt_f32_ubyte0_e32 v177, v178
	v_dot4_i32_iu8 v136, v153, v103, v136 neg_lo:[1,1,0]
	v_cvt_f32_ubyte1_e32 v153, v178
	s_waitcnt lgkmcnt(0)
	v_cvt_f32_ubyte0_e32 v178, v179
	v_dot4_i32_iu8 v102, v169, v103, v102 neg_lo:[1,1,0]
	v_dot4_i32_iu8 v112, v115, v97, v112 neg_lo:[1,1,0]
	v_fma_mix_f32 v115, v110, v152, 0 op_sel:[1,0,0] op_sel_hi:[1,0,0]
	v_dot4_i32_iu8 v113, v123, v105, v113 neg_lo:[1,1,0]
	v_dot4_i32_iu8 v120, v130, v96, v120 neg_lo:[1,1,0]
	;; [unrolled: 1-line block ×5, first 2 shown]
	v_cvt_f32_ubyte1_e32 v103, v179
	v_dot4_i32_iu8 v136, v154, v104, v136 neg_lo:[1,1,0]
	v_fma_mix_f32 v96, v110, v178, 0 op_sel:[1,0,0] op_sel_hi:[1,0,0]
	v_dot4_i32_iu8 v102, v170, v104, v102 neg_lo:[1,1,0]
	v_dot4_i32_iu8 v104, v116, v98, v112 neg_lo:[1,1,0]
	;; [unrolled: 1-line block ×3, first 2 shown]
	v_fma_mix_f32 v113, v111, v122, v115 op_sel:[1,0,0] op_sel_hi:[1,0,0]
	v_dot4_i32_iu8 v115, v131, v97, v120 neg_lo:[1,1,0]
	v_dot4_i32_iu8 v116, v139, v105, v121 neg_lo:[1,1,0]
	;; [unrolled: 1-line block ×6, first 2 shown]
	v_fma_mix_f32 v96, v111, v103, v96 op_sel:[1,0,0] op_sel_hi:[1,0,0]
	v_dot4_i32_iu8 v102, v117, v99, v104 neg_lo:[1,1,0]
	v_dot4_i32_iu8 v103, v125, v107, v112 neg_lo:[1,1,0]
	v_dot4_i32_iu8 v105, v132, v98, v115 neg_lo:[1,1,0]
	v_dot4_i32_iu8 v112, v140, v106, v116 neg_lo:[1,1,0]
	v_mul_f32_e32 v96, v96, v92
	v_dot4_i32_iu8 v115, v148, v98, v121 neg_lo:[1,1,0]
	v_dot4_i32_iu8 v94, v164, v98, v94 neg_lo:[1,1,0]
	;; [unrolled: 1-line block ×10, first 2 shown]
	v_lshrrev_b16 v114, 8, v180
	v_lshrrev_b16 v129, 8, v181
	v_dot4_i32_iu8 v112, v157, v107, v116 neg_lo:[1,1,0]
	v_dot4_i32_iu8 v97, v173, v107, v97 neg_lo:[1,1,0]
	;; [unrolled: 1-line block ×7, first 2 shown]
	v_and_b32_e32 v144, 0xff, v180
	v_and_b32_e32 v160, 0xff, v181
	v_lshrrev_b16 v145, 8, v182
	v_and_b32_e32 v176, 0xff, v182
	v_lshrrev_b16 v95, 8, v183
	v_dual_mul_f32 v104, v113, v89 :: v_dual_and_b32 v161, 0xff, v183
	v_and_b32_e32 v114, 0xffff, v114
	v_and_b32_e32 v129, 0xffff, v129
	v_dot4_i32_iu8 v98, v119, v101, v98 neg_lo:[1,1,0]
	v_dot4_i32_iu8 v106, v158, v108, v112 neg_lo:[1,1,0]
	;; [unrolled: 1-line block ×7, first 2 shown]
	v_and_b32_e32 v138, 0xffff, v145
	v_and_b32_e32 v95, 0xffff, v95
	v_mul_lo_u32 v98, v98, v144
	v_mul_lo_u32 v99, v99, v114
	v_dot4_i32_iu8 v105, v159, v109, v106 neg_lo:[1,1,0]
	v_dot4_i32_iu8 v97, v175, v109, v97 neg_lo:[1,1,0]
	v_mul_lo_u32 v100, v100, v160
	v_mul_lo_u32 v101, v102, v129
	;; [unrolled: 1-line block ×6, first 2 shown]
	v_fma_mix_f32 v123, v110, v168, 0 op_sel:[1,0,0] op_sel_hi:[1,0,0]
	v_fma_mix_f32 v130, v110, v177, 0 op_sel:[1,0,0] op_sel_hi:[1,0,0]
	v_cvt_f32_i32_e32 v97, v98
	v_cvt_f32_i32_e32 v98, v99
	;; [unrolled: 1-line block ×6, first 2 shown]
	v_fma_mix_f32 v120, v111, v137, v123 op_sel:[1,0,0] op_sel_hi:[1,0,0]
	v_fma_mix_f32 v123, v111, v153, v130 op_sel:[1,0,0] op_sel_hi:[1,0,0]
	v_fma_mix_f32 v97, v110, v97, 0 op_sel_hi:[1,0,0]
	v_cvt_f32_i32_e32 v102, v103
	v_cvt_f32_i32_e32 v95, v95
	v_fma_mix_f32 v99, v110, v99, 0 op_sel_hi:[1,0,0]
	v_fma_mix_f32 v101, v110, v101, 0 op_sel_hi:[1,0,0]
	;; [unrolled: 1-line block ×3, first 2 shown]
	v_mul_f32_e32 v113, v120, v90
	v_mul_f32_e32 v117, v123, v91
	v_fma_mix_f32 v97, v111, v98, v97 op_sel_hi:[1,0,0]
	v_fma_mix_f32 v98, v111, v100, v99 op_sel_hi:[1,0,0]
	;; [unrolled: 1-line block ×4, first 2 shown]
	s_add_i32 s20, s20, 16
	v_fma_f32 v95, v97, v85, -v104
	v_fma_f32 v97, v98, v86, -v113
	;; [unrolled: 1-line block ×4, first 2 shown]
	v_add_nc_u32_e32 v93, 64, v93
	v_add_f32_e32 v5, v5, v95
	v_add_f32_e32 v49, v49, v97
	;; [unrolled: 1-line block ×4, first 2 shown]
	s_add_i32 s14, s14, 8
	s_add_i32 s15, s15, 2
	s_cmp_lt_u32 s20, 24
	s_mov_b32 s20, s22
	s_cbranch_scc1 .LBB233_20
; %bb.21:                               ;   in Loop: Header=BB233_5 Depth=1
	s_barrier
	buffer_gl0_inv
	s_branch .LBB233_4
.LBB233_22:
	s_mul_i32 s0, s7, s4
	s_waitcnt vmcnt(0)
	v_cmp_gt_i32_e32 vcc_lo, s0, v3
	s_and_saveexec_b32 s0, vcc_lo
	s_cbranch_execz .LBB233_31
; %bb.23:
	v_mul_lo_u32 v0, v3, s6
	v_add_nc_u32_e32 v1, s16, v4
	s_mov_b32 s0, exec_lo
	s_delay_alu instid0(VALU_DEP_1)
	v_cmpx_gt_u32_e64 s6, v1
	s_cbranch_execz .LBB233_25
; %bb.24:
	v_bfe_u32 v4, v5, 16, 1
	s_delay_alu instid0(VALU_DEP_4) | instskip(SKIP_1) | instid1(VALU_DEP_3)
	v_add_nc_u32_e32 v3, v0, v1
	v_cmp_o_f32_e32 vcc_lo, v5, v5
	v_add3_u32 v6, v5, v4, 0x7fff
	v_mov_b32_e32 v4, 0
	s_delay_alu instid0(VALU_DEP_2) | instskip(NEXT) | instid1(VALU_DEP_2)
	v_lshrrev_b32_e32 v6, 16, v6
	v_lshlrev_b64 v[3:4], 1, v[3:4]
	s_delay_alu instid0(VALU_DEP_2) | instskip(NEXT) | instid1(VALU_DEP_2)
	v_cndmask_b32_e32 v5, 0x7fc0, v6, vcc_lo
	v_add_co_u32 v3, vcc_lo, s8, v3
	s_delay_alu instid0(VALU_DEP_3)
	v_add_co_ci_u32_e32 v4, vcc_lo, s9, v4, vcc_lo
	global_store_b16 v[3:4], v5, off
.LBB233_25:
	s_or_b32 exec_lo, exec_lo, s0
	v_add_nc_u32_e32 v3, 32, v1
	s_mov_b32 s0, exec_lo
	s_delay_alu instid0(VALU_DEP_1)
	v_cmpx_gt_u32_e64 s6, v3
	s_cbranch_execz .LBB233_27
; %bb.26:
	v_bfe_u32 v4, v49, 16, 1
	v_add_nc_u32_e32 v3, v0, v3
	v_cmp_o_f32_e32 vcc_lo, v49, v49
	s_delay_alu instid0(VALU_DEP_3) | instskip(SKIP_1) | instid1(VALU_DEP_2)
	v_add3_u32 v5, v49, v4, 0x7fff
	v_mov_b32_e32 v4, 0
	v_lshrrev_b32_e32 v5, 16, v5
	s_delay_alu instid0(VALU_DEP_2) | instskip(NEXT) | instid1(VALU_DEP_2)
	v_lshlrev_b64 v[3:4], 1, v[3:4]
	v_cndmask_b32_e32 v5, 0x7fc0, v5, vcc_lo
	s_delay_alu instid0(VALU_DEP_2) | instskip(NEXT) | instid1(VALU_DEP_3)
	v_add_co_u32 v3, vcc_lo, s8, v3
	v_add_co_ci_u32_e32 v4, vcc_lo, s9, v4, vcc_lo
	global_store_b16 v[3:4], v5, off
.LBB233_27:
	s_or_b32 exec_lo, exec_lo, s0
	v_add_nc_u32_e32 v3, 64, v1
	s_mov_b32 s0, exec_lo
	s_delay_alu instid0(VALU_DEP_1)
	v_cmpx_gt_u32_e64 s6, v3
	s_cbranch_execz .LBB233_29
; %bb.28:
	v_bfe_u32 v4, v39, 16, 1
	v_add_nc_u32_e32 v3, v0, v3
	v_cmp_o_f32_e32 vcc_lo, v39, v39
	s_delay_alu instid0(VALU_DEP_3) | instskip(SKIP_1) | instid1(VALU_DEP_2)
	v_add3_u32 v5, v39, v4, 0x7fff
	v_mov_b32_e32 v4, 0
	v_lshrrev_b32_e32 v5, 16, v5
	s_delay_alu instid0(VALU_DEP_2) | instskip(NEXT) | instid1(VALU_DEP_2)
	v_lshlrev_b64 v[3:4], 1, v[3:4]
	v_cndmask_b32_e32 v5, 0x7fc0, v5, vcc_lo
	s_delay_alu instid0(VALU_DEP_2) | instskip(NEXT) | instid1(VALU_DEP_3)
	v_add_co_u32 v3, vcc_lo, s8, v3
	v_add_co_ci_u32_e32 v4, vcc_lo, s9, v4, vcc_lo
	global_store_b16 v[3:4], v5, off
.LBB233_29:
	s_or_b32 exec_lo, exec_lo, s0
	v_add_nc_u32_e32 v1, 0x60, v1
	s_delay_alu instid0(VALU_DEP_1)
	v_cmp_gt_u32_e32 vcc_lo, s6, v1
	s_and_b32 exec_lo, exec_lo, vcc_lo
	s_cbranch_execz .LBB233_31
; %bb.30:
	v_bfe_u32 v3, v2, 16, 1
	v_dual_mov_b32 v1, 0 :: v_dual_add_nc_u32 v0, v0, v1
	v_cmp_o_f32_e32 vcc_lo, v2, v2
	s_delay_alu instid0(VALU_DEP_3) | instskip(NEXT) | instid1(VALU_DEP_3)
	v_add3_u32 v3, v2, v3, 0x7fff
	v_lshlrev_b64 v[0:1], 1, v[0:1]
	s_delay_alu instid0(VALU_DEP_2) | instskip(NEXT) | instid1(VALU_DEP_1)
	v_lshrrev_b32_e32 v3, 16, v3
	v_cndmask_b32_e32 v2, 0x7fc0, v3, vcc_lo
	s_delay_alu instid0(VALU_DEP_3) | instskip(NEXT) | instid1(VALU_DEP_4)
	v_add_co_u32 v0, vcc_lo, s8, v0
	v_add_co_ci_u32_e32 v1, vcc_lo, s9, v1, vcc_lo
	global_store_b16 v[0:1], v2, off
.LBB233_31:
	s_nop 0
	s_sendmsg sendmsg(MSG_DEALLOC_VGPRS)
	s_endpgm
	.section	.rodata,"a",@progbits
	.p2align	6, 0x0
	.amdhsa_kernel _ZL8moe_q5_KIN3c108BFloat16ELb0EEvPKvS3_PT_PKiS7_S7_iiiiiii
		.amdhsa_group_segment_fixed_size 37072
		.amdhsa_private_segment_fixed_size 0
		.amdhsa_kernarg_size 76
		.amdhsa_user_sgpr_count 14
		.amdhsa_user_sgpr_dispatch_ptr 0
		.amdhsa_user_sgpr_queue_ptr 0
		.amdhsa_user_sgpr_kernarg_segment_ptr 1
		.amdhsa_user_sgpr_dispatch_id 0
		.amdhsa_user_sgpr_private_segment_size 0
		.amdhsa_wavefront_size32 1
		.amdhsa_uses_dynamic_stack 0
		.amdhsa_enable_private_segment 0
		.amdhsa_system_sgpr_workgroup_id_x 1
		.amdhsa_system_sgpr_workgroup_id_y 1
		.amdhsa_system_sgpr_workgroup_id_z 0
		.amdhsa_system_sgpr_workgroup_info 0
		.amdhsa_system_vgpr_workitem_id 1
		.amdhsa_next_free_vgpr 189
		.amdhsa_next_free_sgpr 23
		.amdhsa_reserve_vcc 1
		.amdhsa_float_round_mode_32 0
		.amdhsa_float_round_mode_16_64 0
		.amdhsa_float_denorm_mode_32 3
		.amdhsa_float_denorm_mode_16_64 3
		.amdhsa_dx10_clamp 1
		.amdhsa_ieee_mode 1
		.amdhsa_fp16_overflow 0
		.amdhsa_workgroup_processor_mode 1
		.amdhsa_memory_ordered 1
		.amdhsa_forward_progress 0
		.amdhsa_shared_vgpr_count 0
		.amdhsa_exception_fp_ieee_invalid_op 0
		.amdhsa_exception_fp_denorm_src 0
		.amdhsa_exception_fp_ieee_div_zero 0
		.amdhsa_exception_fp_ieee_overflow 0
		.amdhsa_exception_fp_ieee_underflow 0
		.amdhsa_exception_fp_ieee_inexact 0
		.amdhsa_exception_int_div_zero 0
	.end_amdhsa_kernel
	.section	.text._ZL8moe_q5_KIN3c108BFloat16ELb0EEvPKvS3_PT_PKiS7_S7_iiiiiii,"axG",@progbits,_ZL8moe_q5_KIN3c108BFloat16ELb0EEvPKvS3_PT_PKiS7_S7_iiiiiii,comdat
.Lfunc_end233:
	.size	_ZL8moe_q5_KIN3c108BFloat16ELb0EEvPKvS3_PT_PKiS7_S7_iiiiiii, .Lfunc_end233-_ZL8moe_q5_KIN3c108BFloat16ELb0EEvPKvS3_PT_PKiS7_S7_iiiiiii
                                        ; -- End function
	.section	.AMDGPU.csdata,"",@progbits
; Kernel info:
; codeLenInByte = 7900
; NumSgprs: 25
; NumVgprs: 189
; ScratchSize: 0
; MemoryBound: 0
; FloatMode: 240
; IeeeMode: 1
; LDSByteSize: 37072 bytes/workgroup (compile time only)
; SGPRBlocks: 3
; VGPRBlocks: 23
; NumSGPRsForWavesPerEU: 25
; NumVGPRsForWavesPerEU: 189
; Occupancy: 6
; WaveLimiterHint : 1
; COMPUTE_PGM_RSRC2:SCRATCH_EN: 0
; COMPUTE_PGM_RSRC2:USER_SGPR: 14
; COMPUTE_PGM_RSRC2:TRAP_HANDLER: 0
; COMPUTE_PGM_RSRC2:TGID_X_EN: 1
; COMPUTE_PGM_RSRC2:TGID_Y_EN: 1
; COMPUTE_PGM_RSRC2:TGID_Z_EN: 0
; COMPUTE_PGM_RSRC2:TIDIG_COMP_CNT: 1
	.section	.text._ZL8moe_q5_KIN3c108BFloat16ELb1EEvPKvS3_PT_PKiS7_S7_iiiiiii,"axG",@progbits,_ZL8moe_q5_KIN3c108BFloat16ELb1EEvPKvS3_PT_PKiS7_S7_iiiiiii,comdat
	.globl	_ZL8moe_q5_KIN3c108BFloat16ELb1EEvPKvS3_PT_PKiS7_S7_iiiiiii ; -- Begin function _ZL8moe_q5_KIN3c108BFloat16ELb1EEvPKvS3_PT_PKiS7_S7_iiiiiii
	.p2align	8
	.type	_ZL8moe_q5_KIN3c108BFloat16ELb1EEvPKvS3_PT_PKiS7_S7_iiiiiii,@function
_ZL8moe_q5_KIN3c108BFloat16ELb1EEvPKvS3_PT_PKiS7_S7_iiiiiii: ; @_ZL8moe_q5_KIN3c108BFloat16ELb1EEvPKvS3_PT_PKiS7_S7_iiiiiii
; %bb.0:
	s_load_b128 s[4:7], s[0:1], 0x18
	s_mov_b32 s2, s15
	s_mov_b32 s3, 0
	s_delay_alu instid0(SALU_CYCLE_1)
	s_lshl_b64 s[8:9], s[2:3], 2
	s_waitcnt lgkmcnt(0)
	s_add_u32 s6, s6, s8
	s_addc_u32 s7, s7, s9
	s_load_b32 s15, s[6:7], 0x0
	s_waitcnt lgkmcnt(0)
	s_cmpk_gt_u32 s15, 0xff
	s_cbranch_scc1 .LBB234_31
; %bb.1:
	s_load_b64 s[6:7], s[0:1], 0x28
	s_lshl_b32 s2, s2, 3
	s_waitcnt lgkmcnt(0)
	s_load_b32 s3, s[6:7], 0x0
	s_waitcnt lgkmcnt(0)
	s_cmp_gt_u32 s2, s3
	s_cbranch_scc1 .LBB234_31
; %bb.2:
	v_bfe_u32 v69, v0, 10, 10
	v_mov_b32_e32 v14, 0
	s_mov_b32 s18, 0
	s_delay_alu instid0(VALU_DEP_2) | instskip(NEXT) | instid1(VALU_DEP_2)
	v_add_nc_u32_e32 v13, s2, v69
	v_dual_mov_b32 v47, v14 :: v_dual_and_b32 v20, 0x3ff, v0
	v_mov_b32_e32 v52, v14
	v_mov_b32_e32 v21, v14
	s_delay_alu instid0(VALU_DEP_4) | instskip(NEXT) | instid1(VALU_DEP_1)
	v_lshlrev_b64 v[1:2], 2, v[13:14]
	v_add_co_u32 v1, vcc_lo, s4, v1
	s_delay_alu instid0(VALU_DEP_2)
	v_add_co_ci_u32_e32 v2, vcc_lo, s5, v2, vcc_lo
	global_load_b32 v19, v[1:2], off
	s_clause 0x1
	s_load_b256 s[4:11], s[0:1], 0x30
	s_load_b64 s[12:13], s[0:1], 0x10
	s_waitcnt lgkmcnt(0)
	s_lshl_b32 s11, s14, 7
	s_cmpk_lt_i32 s5, 0x100
	s_cbranch_scc1 .LBB234_22
; %bb.3:
	s_load_b128 s[0:3], s[0:1], 0x0
	s_ashr_i32 s14, s5, 31
	s_mul_i32 s15, s15, s4
	s_lshr_b32 s4, s14, 24
	s_ashr_i32 s16, s8, 31
	s_add_i32 s4, s5, s4
	s_lshr_b32 s14, s16, 27
	s_ashr_i32 s4, s4, 8
	v_dual_mov_b32 v21, 0 :: v_dual_lshlrev_b32 v0, 1, v20
	s_add_i32 s8, s8, s14
	v_and_b32_e32 v1, 7, v20
	s_mul_i32 s14, s4, s11
	s_ashr_i32 s16, s15, 31
	s_ashr_i32 s8, s8, 5
	s_mul_hi_i32 s17, s14, 0xb0
	s_mulk_i32 s14, 0xb0
	v_and_or_b32 v0, v0, 48, v1
	v_add_nc_u32_e32 v1, 8, v69
	v_add_nc_u32_e32 v3, 16, v69
	s_waitcnt lgkmcnt(0)
	s_add_u32 s0, s0, s15
	s_addc_u32 s1, s1, s16
	s_add_u32 s19, s0, s14
	s_addc_u32 s20, s1, s17
	s_not_b32 s0, s11
	v_lshlrev_b32_e32 v18, 2, v0
	s_add_i32 s0, s0, s6
	v_lshlrev_b32_e32 v37, 5, v69
	v_min_i32_e32 v2, s0, v69
	v_min_i32_e32 v4, s0, v1
	;; [unrolled: 1-line block ×3, first 2 shown]
	v_add_nc_u32_e32 v3, 24, v69
	v_add_nc_u32_e32 v47, v37, v20
	s_waitcnt vmcnt(0)
	v_mad_u64_u32 v[0:1], null, 0x104, v2, v[18:19]
	v_mul_lo_u32 v28, v2, s4
	v_mul_lo_u32 v29, v4, s4
	v_mad_u64_u32 v[1:2], null, 0x104, v4, v[18:19]
	v_add_nc_u32_e32 v4, 32, v69
	v_min_i32_e32 v6, s0, v3
	v_mul_lo_u32 v30, v5, s4
	v_mad_u64_u32 v[2:3], null, 0x104, v5, v[18:19]
	v_add_nc_u32_e32 v5, 40, v69
	v_min_i32_e32 v7, s0, v4
	;; [unrolled: 4-line block ×5, first 2 shown]
	v_and_b32_e32 v16, 0x7f, v47
	v_mul_lo_u32 v34, v9, s4
	v_mad_u64_u32 v[6:7], null, 0x104, v9, v[18:19]
	v_add_nc_u32_e32 v9, 0x48, v69
	v_min_i32_e32 v11, s0, v8
	v_mul_lo_u32 v35, v10, s4
	v_mad_u64_u32 v[7:8], null, 0x104, v10, v[18:19]
	v_add_nc_u32_e32 v10, 0x50, v69
	v_min_i32_e32 v46, s0, v16
	v_min_i32_e32 v12, s0, v9
	v_mul_lo_u32 v36, v11, s4
	v_mad_u64_u32 v[8:9], null, 0x104, v11, v[18:19]
	v_min_i32_e32 v13, s0, v10
	v_add_nc_u32_e32 v11, 0x58, v69
	v_ashrrev_i32_e32 v43, 31, v46
	s_abs_i32 s1, s10
	v_mul_lo_u32 v38, v12, s4
	v_mad_u64_u32 v[9:10], null, 0x104, v12, v[18:19]
	v_add_nc_u32_e32 v12, 0x60, v69
	v_cvt_f32_u32_e32 v49, s1
	v_mul_lo_u32 v39, v13, s4
	v_min_i32_e32 v14, s0, v11
	v_mad_u64_u32 v[10:11], null, 0x104, v13, v[18:19]
	v_add_nc_u32_e32 v13, 0x68, v69
	v_lshrrev_b32_e32 v15, 2, v20
	v_lshrrev_b32_e32 v45, 27, v43
	v_min_i32_e32 v17, s0, v12
	v_rcp_iflag_f32_e32 v49, v49
	v_mul_lo_u32 v40, v14, s4
	v_mad_u64_u32 v[11:12], null, 0x104, v14, v[18:19]
	v_min_i32_e32 v16, s0, v13
	v_add_nc_u32_e32 v14, 0x70, v69
	v_add_nc_u32_e32 v44, 0x78, v69
	;; [unrolled: 1-line block ×3, first 2 shown]
	v_lshl_add_u32 v48, v69, 3, v15
	v_mad_u64_u32 v[12:13], null, 0x104, v17, v[18:19]
	v_mul_lo_u32 v41, v17, s4
	v_min_i32_e32 v17, s0, v14
	v_mad_u64_u32 v[13:14], null, 0x104, v16, v[18:19]
	v_min_i32_e32 v14, s0, v44
	v_ashrrev_i32_e32 v50, 5, v45
	v_and_b32_e32 v48, 0x7f, v48
	v_dual_mul_f32 v49, 0x4f7ffffe, v49 :: v_dual_and_b32 v24, 6, v15
	v_mul_lo_u32 v42, v16, s4
	v_mad_u64_u32 v[15:16], null, 0x104, v17, v[18:19]
	v_mul_lo_u32 v43, v17, s4
	v_mad_u64_u32 v[16:17], null, 0x104, v14, v[18:19]
	v_min_i32_e32 v17, s0, v48
	v_mul_lo_u32 v45, v46, s4
	v_lshlrev_b32_e32 v18, 2, v50
	v_lshlrev_b32_e32 v46, 2, v46
	v_xor_b32_e32 v48, 64, v48
	v_cvt_u32_f32_e32 v49, v49
	v_ashrrev_i32_e32 v51, 31, v17
	v_mul_lo_u32 v44, v14, s4
	v_add3_u32 v46, v18, v46, 0x8e40
	v_min_i32_e32 v18, s0, v48
	s_sub_i32 s0, 0, s1
	v_and_b32_e32 v14, 3, v20
	v_mul_lo_u32 v52, s0, v49
	v_lshrrev_b32_e32 v51, 29, v51
	v_sub_nc_u32_e32 v55, 0, v19
	v_mad_i32_i24 v47, 0xffffffe4, v69, v47
	v_add_nc_u32_e32 v50, 0xfe, v14
	v_cmp_gt_u32_e32 vcc_lo, 2, v14
	v_add_nc_u32_e32 v48, v17, v51
	v_ashrrev_i32_e32 v51, 31, v18
	v_mul_hi_u32 v52, v49, v52
	v_dual_cndmask_b32 v50, v50, v14 :: v_dual_lshlrev_b32 v23, 2, v20
	v_max_i32_e32 v55, v19, v55
	s_delay_alu instid0(VALU_DEP_4) | instskip(SKIP_1) | instid1(VALU_DEP_4)
	v_lshrrev_b32_e32 v51, 29, v51
	v_cmp_ne_u32_e32 vcc_lo, 0, v14
	v_and_b32_e32 v53, 4, v23
	v_and_b32_e32 v50, 0xff, v50
	v_add_nc_u32_e32 v52, v49, v52
	v_add_nc_u32_e32 v51, v18, v51
	v_ashrrev_i32_e32 v54, 3, v48
	v_lshrrev_b32_e32 v22, 5, v20
	v_add_co_ci_u32_e32 v75, vcc_lo, 0, v50, vcc_lo
	v_mul_hi_u32 v52, v55, v52
	v_cmp_lt_u32_e32 vcc_lo, 1, v14
	v_ashrrev_i32_e32 v51, 3, v51
	v_lshlrev_b32_e32 v14, 2, v14
	v_lshlrev_b32_e32 v57, 2, v22
	v_dual_cndmask_b32 v48, 0, v53 :: v_dual_add_nc_u32 v59, 32, v20
	v_lshlrev_b32_e32 v53, 2, v54
	v_mul_lo_u32 v56, v52, s1
	v_lshlrev_b32_e32 v54, 2, v51
	v_cndmask_b32_e64 v76, 0, 1, vcc_lo
	v_add_nc_u32_e32 v58, 1, v52
	v_add3_u32 v77, v53, v14, 0x8200
	v_add_nc_u32_e32 v61, 64, v20
	v_add3_u32 v14, v54, v14, 0x8200
	v_lshl_add_u32 v54, v47, 2, 0x9050
	v_sub_nc_u32_e32 v47, v55, v56
	v_add3_u32 v56, v57, v23, 0x8e40
	v_lshrrev_b32_e32 v57, 3, v59
	v_add_nc_u32_e32 v62, 0x60, v20
	v_lshrrev_b32_e32 v72, 3, v61
	v_subrev_nc_u32_e32 v60, s1, v47
	v_cmp_le_u32_e32 vcc_lo, s1, v47
	v_and_b32_e32 v25, 0x7c, v23
	v_and_b32_e32 v26, 28, v23
	v_lshrrev_b32_e32 v71, 3, v62
	v_dual_cndmask_b32 v47, v47, v60 :: v_dual_lshlrev_b32 v82, 2, v62
	v_cndmask_b32_e32 v52, v52, v58, vcc_lo
	v_xor_b32_e32 v58, s10, v19
	v_lshlrev_b32_e32 v78, 4, v17
	v_lshlrev_b32_e32 v79, 4, v18
	v_cmp_le_u32_e32 vcc_lo, s1, v47
	v_add_nc_u32_e32 v60, 1, v52
	v_ashrrev_i32_e32 v63, 31, v58
	v_and_or_b32 v53, v20, 31, v37
	v_lshrrev_b32_e32 v55, 3, v20
	s_delay_alu instid0(VALU_DEP_4)
	v_dual_cndmask_b32 v47, v52, v60 :: v_dual_lshlrev_b32 v80, 2, v59
	v_and_b32_e32 v52, 60, v57
	v_and_b32_e32 v59, 60, v72
	v_lshlrev_b32_e32 v81, 2, v61
	s_movk_i32 s1, 0x2080
	v_xor_b32_e32 v47, v47, v63
	v_add3_u32 v58, v23, v52, 0x8e40
	v_and_b32_e32 v52, 60, v71
	s_movk_i32 s6, 0x6180
	v_lshlrev_b32_e32 v49, 1, v50
	v_sub_nc_u32_e32 v47, v47, v63
	v_mul_lo_u32 v50, v17, s4
	v_mul_lo_u32 v51, v18, s4
	v_add_co_u32 v17, s0, s2, v26
	s_delay_alu instid0(VALU_DEP_4)
	v_mul_lo_u32 v62, v47, s8
	v_mad_u32_u24 v63, 0x104, v20, s1
	s_movk_i32 s1, 0x4100
	v_mad_u32_u24 v65, 0x104, v20, s6
	s_movk_i32 s6, 0x80
	v_or_b32_e32 v27, 1, v24
	v_add_co_ci_u32_e64 v18, null, s3, 0, s0
	v_lshl_add_u32 v53, v53, 2, 0x8a40
	v_cmp_gt_u32_e64 s0, 4, v20
	v_add3_u32 v59, v23, v59, 0x8e40
	v_add3_u32 v60, v23, v52, 0x8e40
	v_mul_u32_u24_e32 v61, 0x104, v20
	v_mad_u32_u24 v64, 0x104, v20, s1
	v_cmp_gt_i32_e64 s1, s7, v47
	v_ashrrev_i32_e32 v66, 31, v62
	v_mad_u32_u24 v67, 0x104, v20, s6
	v_lshl_add_u32 v68, v69, 4, 0x9050
	v_lshl_add_u32 v69, v69, 7, 0x8a40
	v_lshlrev_b32_e32 v70, 4, v20
	v_lshlrev_b32_e32 v71, 2, v71
	;; [unrolled: 1-line block ×4, first 2 shown]
	v_lshl_or_b32 v74, v55, 2, 0x8200
	v_lshlrev_b32_e32 v75, 2, v75
	v_lshlrev_b32_e32 v76, 2, v76
	v_add_nc_u32_e32 v77, v77, v78
	v_add_nc_u32_e32 v78, v14, v79
	v_lshlrev_b32_e32 v79, 2, v80
	v_lshlrev_b32_e32 v80, 2, v81
	v_dual_mov_b32 v52, 0 :: v_dual_lshlrev_b32 v81, 2, v82
	v_dual_mov_b32 v47, 0 :: v_dual_mov_b32 v14, 0
	s_add_u32 s14, s2, 0x90
	s_addc_u32 s15, s3, 0
	s_branch .LBB234_5
.LBB234_4:                              ;   in Loop: Header=BB234_5 Depth=1
	s_add_i32 s18, s18, 1
	s_delay_alu instid0(SALU_CYCLE_1)
	s_cmp_eq_u32 s18, s4
	s_cbranch_scc1 .LBB234_22
.LBB234_5:                              ; =>This Loop Header: Depth=1
                                        ;     Child Loop BB234_12 Depth 2
                                        ;     Child Loop BB234_20 Depth 2
	s_mul_i32 s6, s18, 0xb0
	s_mul_hi_u32 s17, s18, 0xb0
	s_add_u32 s16, s19, s6
	s_addc_u32 s17, s20, s17
	s_delay_alu instid0(SALU_CYCLE_1) | instskip(NEXT) | instid1(VALU_DEP_1)
	v_mad_u64_u32 v[82:83], null, 0xb0, v22, s[16:17]
	v_mad_i64_i32 v[84:85], null, 0xb0, v28, v[82:83]
	v_mad_i64_i32 v[86:87], null, 0xb0, v29, v[82:83]
	;; [unrolled: 1-line block ×4, first 2 shown]
	s_delay_alu instid0(VALU_DEP_4)
	v_add_co_u32 v88, vcc_lo, v84, v25
	v_add_co_ci_u32_e32 v89, vcc_lo, 0, v85, vcc_lo
	v_add_co_u32 v84, vcc_lo, v84, v26
	v_add_co_ci_u32_e32 v85, vcc_lo, 0, v85, vcc_lo
	v_add_co_u32 v90, vcc_lo, v86, v25
	v_add_co_ci_u32_e32 v91, vcc_lo, 0, v87, vcc_lo
	v_add_co_u32 v86, vcc_lo, v86, v26
	v_add_co_ci_u32_e32 v87, vcc_lo, 0, v87, vcc_lo
	v_add_co_u32 v96, vcc_lo, v92, v25
	v_add_co_ci_u32_e32 v97, vcc_lo, 0, v93, vcc_lo
	v_add_co_u32 v92, vcc_lo, v92, v26
	v_add_co_ci_u32_e32 v93, vcc_lo, 0, v93, vcc_lo
	v_mad_i64_i32 v[100:101], null, 0xb0, v32, v[82:83]
	v_add_co_u32 v98, vcc_lo, v94, v25
	v_add_co_ci_u32_e32 v99, vcc_lo, 0, v95, vcc_lo
	v_add_co_u32 v94, vcc_lo, v94, v26
	v_add_co_ci_u32_e32 v95, vcc_lo, 0, v95, vcc_lo
	s_clause 0x7
	global_load_b32 v102, v[88:89], off offset:48
	global_load_b32 v103, v[84:85], off offset:16
	;; [unrolled: 1-line block ×8, first 2 shown]
	v_mad_i64_i32 v[84:85], null, 0xb0, v33, v[82:83]
	v_add_co_u32 v86, vcc_lo, v100, v25
	v_add_co_ci_u32_e32 v87, vcc_lo, 0, v101, vcc_lo
	v_add_co_u32 v88, vcc_lo, v100, v26
	v_mad_i64_i32 v[92:93], null, 0xb0, v34, v[82:83]
	v_add_co_ci_u32_e32 v89, vcc_lo, 0, v101, vcc_lo
	v_add_co_u32 v90, vcc_lo, v84, v25
	v_add_co_ci_u32_e32 v91, vcc_lo, 0, v85, vcc_lo
	v_add_co_u32 v84, vcc_lo, v84, v26
	v_mad_i64_i32 v[94:95], null, 0xb0, v35, v[82:83]
	v_add_co_ci_u32_e32 v85, vcc_lo, 0, v85, vcc_lo
	v_add_co_u32 v96, vcc_lo, v92, v25
	v_add_co_ci_u32_e32 v97, vcc_lo, 0, v93, vcc_lo
	v_add_co_u32 v92, vcc_lo, v92, v26
	v_add_co_ci_u32_e32 v93, vcc_lo, 0, v93, vcc_lo
	v_mad_i64_i32 v[100:101], null, 0xb0, v36, v[82:83]
	v_add_co_u32 v98, vcc_lo, v94, v25
	v_add_co_ci_u32_e32 v99, vcc_lo, 0, v95, vcc_lo
	v_add_co_u32 v94, vcc_lo, v94, v26
	v_add_co_ci_u32_e32 v95, vcc_lo, 0, v95, vcc_lo
	s_clause 0x7
	global_load_b32 v110, v[86:87], off offset:48
	global_load_b32 v111, v[88:89], off offset:16
	;; [unrolled: 1-line block ×8, first 2 shown]
	v_mad_i64_i32 v[84:85], null, 0xb0, v38, v[82:83]
	v_add_co_u32 v86, vcc_lo, v100, v25
	v_add_co_ci_u32_e32 v87, vcc_lo, 0, v101, vcc_lo
	v_add_co_u32 v88, vcc_lo, v100, v26
	v_mad_i64_i32 v[92:93], null, 0xb0, v39, v[82:83]
	v_add_co_ci_u32_e32 v89, vcc_lo, 0, v101, vcc_lo
	v_add_co_u32 v90, vcc_lo, v84, v25
	v_add_co_ci_u32_e32 v91, vcc_lo, 0, v85, vcc_lo
	v_add_co_u32 v84, vcc_lo, v84, v26
	v_mad_i64_i32 v[94:95], null, 0xb0, v40, v[82:83]
	v_add_co_ci_u32_e32 v85, vcc_lo, 0, v85, vcc_lo
	v_add_co_u32 v96, vcc_lo, v92, v25
	v_add_co_ci_u32_e32 v97, vcc_lo, 0, v93, vcc_lo
	v_add_co_u32 v92, vcc_lo, v92, v26
	v_add_co_ci_u32_e32 v93, vcc_lo, 0, v93, vcc_lo
	v_mad_i64_i32 v[100:101], null, 0xb0, v41, v[82:83]
	v_add_co_u32 v98, vcc_lo, v94, v25
	v_add_co_ci_u32_e32 v99, vcc_lo, 0, v95, vcc_lo
	v_add_co_u32 v94, vcc_lo, v94, v26
	v_add_co_ci_u32_e32 v95, vcc_lo, 0, v95, vcc_lo
	s_clause 0x7
	global_load_b32 v118, v[86:87], off offset:48
	global_load_b32 v119, v[88:89], off offset:16
	;; [unrolled: 1-line block ×8, first 2 shown]
	v_mad_i64_i32 v[84:85], null, 0xb0, v42, v[82:83]
	v_add_co_u32 v86, vcc_lo, v100, v25
	v_add_co_ci_u32_e32 v87, vcc_lo, 0, v101, vcc_lo
	v_add_co_u32 v88, vcc_lo, v100, v26
	v_add_co_ci_u32_e32 v89, vcc_lo, 0, v101, vcc_lo
	;; [unrolled: 2-line block ×3, first 2 shown]
	s_clause 0x2
	global_load_b32 v95, v[86:87], off offset:48
	global_load_b32 v97, v[88:89], off offset:16
	;; [unrolled: 1-line block ×3, first 2 shown]
	v_mad_i64_i32 v[86:87], null, 0xb0, v43, v[82:83]
	v_add_co_u32 v84, vcc_lo, v84, v25
	v_add_co_ci_u32_e32 v85, vcc_lo, 0, v85, vcc_lo
	v_mad_i64_i32 v[88:89], null, 0xb0, v44, v[82:83]
	global_load_b32 v99, v[84:85], off offset:48
	v_add_co_u32 v84, vcc_lo, v86, v25
	v_add_co_ci_u32_e32 v85, vcc_lo, 0, v87, vcc_lo
	v_add_co_u32 v82, vcc_lo, v86, v26
	v_add_co_ci_u32_e32 v83, vcc_lo, 0, v87, vcc_lo
	v_mad_i64_i32 v[86:87], null, 0xb0, v50, s[16:17]
	v_add_co_u32 v90, vcc_lo, v88, v25
	v_add_co_ci_u32_e32 v91, vcc_lo, 0, v89, vcc_lo
	v_add_co_u32 v88, vcc_lo, v88, v26
	v_add_co_ci_u32_e32 v89, vcc_lo, 0, v89, vcc_lo
	;; [unrolled: 2-line block ×3, first 2 shown]
	v_mad_i64_i32 v[86:87], null, 0xb0, v51, s[16:17]
	s_clause 0x3
	global_load_b32 v122, v[84:85], off offset:48
	global_load_b32 v123, v[82:83], off offset:16
	;; [unrolled: 1-line block ×4, first 2 shown]
	v_add_co_u32 v82, vcc_lo, v100, v75
	v_add_co_ci_u32_e32 v83, vcc_lo, 0, v101, vcc_lo
	v_add_co_u32 v86, vcc_lo, v86, 4
	v_add_co_ci_u32_e32 v87, vcc_lo, 0, v87, vcc_lo
	global_load_b32 v89, v[82:83], off
	v_add_co_u32 v82, vcc_lo, v86, v75
	v_add_co_ci_u32_e32 v83, vcc_lo, 0, v87, vcc_lo
	v_add_co_u32 v84, vcc_lo, v100, v76
	v_add_co_ci_u32_e32 v85, vcc_lo, 0, v101, vcc_lo
	global_load_b32 v91, v[82:83], off
	v_add_co_u32 v82, vcc_lo, v86, v76
	global_load_b32 v86, v[84:85], off
	v_mad_i64_i32 v[84:85], null, 0xb0, v45, s[16:17]
	v_add_co_ci_u32_e32 v83, vcc_lo, 0, v87, vcc_lo
	s_clause 0x1
	global_load_b32 v82, v[82:83], off
	global_load_b32 v83, v[84:85], off
	s_lshl_b32 s16, s18, 8
	s_delay_alu instid0(SALU_CYCLE_1)
	s_cmp_lt_i32 s16, s5
	s_waitcnt vmcnt(36)
	v_lshrrev_b32_e32 v85, 4, v102
	s_waitcnt vmcnt(35)
	v_ashrrev_i32_e32 v87, v24, v103
	v_ashrrev_i32_e32 v100, v27, v103
	v_and_b32_e32 v84, 0xf0f0f0f, v102
	s_waitcnt vmcnt(34)
	v_and_b32_e32 v101, 0xf0f0f0f, v104
	v_lshrrev_b32_e32 v102, 4, v104
	s_waitcnt vmcnt(33)
	v_ashrrev_i32_e32 v103, v24, v105
	v_ashrrev_i32_e32 v104, v27, v105
	s_waitcnt vmcnt(32)
	v_and_b32_e32 v105, 0xf0f0f0f, v106
	v_lshrrev_b32_e32 v106, 4, v106
	s_waitcnt vmcnt(31)
	v_ashrrev_i32_e32 v124, v24, v107
	v_ashrrev_i32_e32 v107, v27, v107
	s_waitcnt vmcnt(30)
	v_and_b32_e32 v125, 0xf0f0f0f, v108
	v_lshrrev_b32_e32 v108, 4, v108
	s_waitcnt vmcnt(29)
	v_ashrrev_i32_e32 v126, v24, v109
	v_ashrrev_i32_e32 v109, v27, v109
	v_and_b32_e32 v85, 0xf0f0f0f, v85
	v_lshlrev_b32_e32 v87, 4, v87
	v_lshlrev_b32_e32 v100, 4, v100
	v_and_b32_e32 v102, 0xf0f0f0f, v102
	v_lshlrev_b32_e32 v103, 4, v103
	v_lshlrev_b32_e32 v104, 4, v104
	;; [unrolled: 3-line block ×4, first 2 shown]
	v_and_or_b32 v84, 0x10101010, v87, v84
	v_and_or_b32 v85, 0x10101010, v100, v85
	;; [unrolled: 1-line block ×8, first 2 shown]
	s_waitcnt vmcnt(28)
	v_and_b32_e32 v127, 0xf0f0f0f, v110
	v_lshrrev_b32_e32 v110, 4, v110
	s_waitcnt vmcnt(27)
	v_ashrrev_i32_e32 v128, v24, v111
	v_ashrrev_i32_e32 v111, v27, v111
	s_waitcnt vmcnt(26)
	v_and_b32_e32 v129, 0xf0f0f0f, v112
	v_lshrrev_b32_e32 v112, 4, v112
	s_waitcnt vmcnt(25)
	v_ashrrev_i32_e32 v130, v24, v113
	v_ashrrev_i32_e32 v113, v27, v113
	;; [unrolled: 6-line block ×4, first 2 shown]
	v_and_b32_e32 v110, 0xf0f0f0f, v110
	v_lshlrev_b32_e32 v128, 4, v128
	v_lshlrev_b32_e32 v111, 4, v111
	v_and_b32_e32 v112, 0xf0f0f0f, v112
	v_lshlrev_b32_e32 v130, 4, v130
	v_lshlrev_b32_e32 v113, 4, v113
	;; [unrolled: 3-line block ×4, first 2 shown]
	v_and_or_b32 v105, 0x10101010, v128, v127
	v_and_or_b32 v106, 0x10101010, v111, v110
	;; [unrolled: 1-line block ×8, first 2 shown]
	s_waitcnt vmcnt(20)
	v_and_b32_e32 v135, 0xf0f0f0f, v118
	v_lshrrev_b32_e32 v118, 4, v118
	s_waitcnt vmcnt(19)
	v_ashrrev_i32_e32 v136, v24, v119
	v_ashrrev_i32_e32 v119, v27, v119
	s_waitcnt vmcnt(18)
	v_and_b32_e32 v137, 0xf0f0f0f, v120
	v_lshrrev_b32_e32 v120, 4, v120
	s_waitcnt vmcnt(17)
	v_ashrrev_i32_e32 v138, v24, v121
	v_ashrrev_i32_e32 v121, v27, v121
	;; [unrolled: 6-line block ×4, first 2 shown]
	v_and_b32_e32 v118, 0xf0f0f0f, v118
	v_lshlrev_b32_e32 v136, 4, v136
	v_lshlrev_b32_e32 v119, 4, v119
	v_and_b32_e32 v120, 0xf0f0f0f, v120
	v_lshlrev_b32_e32 v138, 4, v138
	s_waitcnt vmcnt(12)
	v_and_b32_e32 v143, 0xf0f0f0f, v95
	v_lshrrev_b32_e32 v95, 4, v95
	s_waitcnt vmcnt(11)
	v_ashrrev_i32_e32 v144, v24, v97
	v_ashrrev_i32_e32 v97, v27, v97
	v_lshlrev_b32_e32 v121, 4, v121
	v_and_b32_e32 v96, 0xf0f0f0f, v96
	v_lshlrev_b32_e32 v140, 4, v140
	v_lshlrev_b32_e32 v92, 4, v92
	v_and_b32_e32 v93, 0xf0f0f0f, v93
	v_lshlrev_b32_e32 v142, 4, v142
	;; [unrolled: 3-line block ×3, first 2 shown]
	v_lshlrev_b32_e32 v97, 4, v97
	s_waitcnt vmcnt(10)
	v_ashrrev_i32_e32 v145, v24, v98
	v_and_or_b32 v113, 0x10101010, v136, v135
	v_and_or_b32 v114, 0x10101010, v119, v118
	;; [unrolled: 1-line block ×8, first 2 shown]
	ds_store_2addr_b32 v0, v84, v85 offset1:8
	ds_store_2addr_b32 v1, v87, v100 offset1:8
	;; [unrolled: 1-line block ×11, first 2 shown]
	s_waitcnt vmcnt(9)
	v_lshrrev_b32_e32 v85, 4, v99
	v_ashrrev_i32_e32 v87, v27, v98
	v_and_or_b32 v94, 0x10101010, v144, v143
	v_and_or_b32 v95, 0x10101010, v97, v95
	v_and_b32_e32 v84, 0xf0f0f0f, v99
	v_lshlrev_b32_e32 v92, 4, v145
	ds_store_2addr_b32 v11, v96, v93 offset1:8
	ds_store_2addr_b32 v12, v94, v95 offset1:8
	v_and_b32_e32 v85, 0xf0f0f0f, v85
	v_lshlrev_b32_e32 v87, 4, v87
	v_and_or_b32 v84, 0x10101010, v92, v84
	s_waitcnt vmcnt(7)
	v_ashrrev_i32_e32 v93, v24, v123
	v_lshrrev_b32_e32 v92, 4, v122
	v_ashrrev_i32_e32 v94, v27, v123
	v_and_or_b32 v85, 0x10101010, v87, v85
	v_and_b32_e32 v87, 0xf0f0f0f, v122
	v_lshlrev_b32_e32 v93, 4, v93
	s_waitcnt vmcnt(6)
	v_lshrrev_b32_e32 v95, 4, v90
	s_waitcnt vmcnt(5)
	v_ashrrev_i32_e32 v96, v24, v88
	v_ashrrev_i32_e32 v88, v27, v88
	v_and_b32_e32 v92, 0xf0f0f0f, v92
	v_lshlrev_b32_e32 v94, 4, v94
	v_and_or_b32 v87, 0x10101010, v93, v87
	s_waitcnt vmcnt(4)
	v_ashrrev_i32_e32 v89, v48, v89
	v_and_b32_e32 v90, 0xf0f0f0f, v90
	v_and_b32_e32 v93, 0xf0f0f0f, v95
	v_lshlrev_b32_e32 v95, 4, v96
	v_lshlrev_b32_e32 v88, 4, v88
	v_and_b32_e32 v89, 0xf0f0f0f, v89
	v_and_or_b32 v92, 0x10101010, v94, v92
	s_delay_alu instid0(VALU_DEP_4)
	v_and_or_b32 v90, 0x10101010, v95, v90
	s_waitcnt vmcnt(3)
	v_ashrrev_i32_e32 v91, v48, v91
	v_and_or_b32 v88, 0x10101010, v88, v93
	ds_store_2addr_b32 v13, v84, v85 offset1:8
	ds_store_2addr_b32 v15, v87, v92 offset1:8
	;; [unrolled: 1-line block ×3, first 2 shown]
	s_waitcnt vmcnt(2)
	v_ashrrev_i32_e32 v86, v49, v86
	v_and_b32_e32 v91, 0xf0f0f0f, v91
	s_waitcnt vmcnt(1)
	v_ashrrev_i32_e32 v82, v49, v82
	s_delay_alu instid0(VALU_DEP_3)
	v_and_or_b32 v84, 0x30303030, v86, v89
	s_waitcnt vmcnt(0)
	ds_store_b32 v46, v83
	v_and_or_b32 v82, 0x30303030, v82, v91
	ds_store_b32 v77, v84
	ds_store_b32 v78, v82
	s_cbranch_scc0 .LBB234_4
; %bb.6:                                ;   in Loop: Header=BB234_5 Depth=1
	s_lshl_b32 s6, s18, 3
	s_delay_alu instid0(SALU_CYCLE_1) | instskip(NEXT) | instid1(VALU_DEP_1)
	v_add_nc_u32_e32 v82, s6, v55
	v_cmp_gt_i32_e32 vcc_lo, s8, v82
	s_and_b32 s21, s1, vcc_lo
	s_delay_alu instid0(SALU_CYCLE_1)
	s_and_saveexec_b32 s17, s21
	s_cbranch_execz .LBB234_8
; %bb.7:                                ;   in Loop: Header=BB234_5 Depth=1
	v_add_nc_u32_e32 v84, v62, v82
	s_delay_alu instid0(VALU_DEP_1)
	v_mad_i64_i32 v[82:83], null, v84, 36, v[17:18]
	global_load_b32 v82, v[82:83], off offset:4
	s_waitcnt vmcnt(0)
	ds_store_b32 v53, v82
.LBB234_8:                              ;   in Loop: Header=BB234_5 Depth=1
	s_or_b32 exec_lo, exec_lo, s17
	s_and_saveexec_b32 s17, s0
	s_cbranch_execz .LBB234_11
; %bb.9:                                ;   in Loop: Header=BB234_5 Depth=1
	v_or_b32_e32 v82, s6, v20
	s_delay_alu instid0(VALU_DEP_1) | instskip(SKIP_1) | instid1(SALU_CYCLE_1)
	v_cmp_gt_i32_e32 vcc_lo, s8, v82
	s_and_b32 s21, s1, vcc_lo
	s_and_b32 exec_lo, exec_lo, s21
	s_cbranch_execz .LBB234_11
; %bb.10:                               ;   in Loop: Header=BB234_5 Depth=1
	v_add_nc_u32_e32 v84, v62, v82
	s_delay_alu instid0(VALU_DEP_1)
	v_mad_i64_i32 v[82:83], null, v84, 36, s[2:3]
	global_load_b32 v82, v[82:83], off
	s_waitcnt vmcnt(0)
	ds_store_b32 v54, v82
.LBB234_11:                             ;   in Loop: Header=BB234_5 Depth=1
	s_or_b32 exec_lo, exec_lo, s17
	s_waitcnt lgkmcnt(0)
	s_barrier
	buffer_gl0_inv
	ds_load_b32 v83, v56
	ds_load_b32 v84, v58 offset:128
	ds_load_b32 v85, v59 offset:256
	;; [unrolled: 1-line block ×3, first 2 shown]
	s_mov_b32 s21, 0
	s_mov_b32 s17, -1
	s_waitcnt lgkmcnt(3)
	v_lshrrev_b32_e32 v87, 16, v83
	s_waitcnt lgkmcnt(2)
	v_lshrrev_b32_e32 v88, 16, v84
	;; [unrolled: 2-line block ×4, first 2 shown]
	v_cvt_f32_f16_e32 v82, v83
	v_cvt_f32_f16_e32 v83, v84
	;; [unrolled: 1-line block ×8, first 2 shown]
.LBB234_12:                             ;   Parent Loop BB234_5 Depth=1
                                        ; =>  This Inner Loop Header: Depth=2
	s_lshr_b32 s22, s21, 2
	v_lshl_or_b32 v90, s21, 1, v37
	s_lshl_b32 s21, s21, 3
	v_lshlrev_b32_e32 v91, 2, v55
	v_lshlrev_b32_e32 v92, 2, v23
	v_add_nc_u32_e32 v93, s21, v61
	s_add_i32 s22, s22, 0x8200
	v_add_nc_u32_e32 v94, s21, v63
	v_add_nc_u32_e32 v95, s21, v64
	;; [unrolled: 1-line block ×3, first 2 shown]
	v_add3_u32 v97, s22, v73, v79
	v_add3_u32 v98, s22, v72, v80
	;; [unrolled: 1-line block ×3, first 2 shown]
	v_lshlrev_b32_e32 v102, 2, v90
	v_lshrrev_b32_e32 v100, 1, v90
	v_add3_u32 v101, s22, v91, v92
	ds_load_2addr_b32 v[106:107], v93 offset1:1
	ds_load_2addr_b32 v[108:109], v93 offset0:2 offset1:3
	ds_load_2addr_b32 v[110:111], v93 offset0:4 offset1:5
	ds_load_2addr_b32 v[112:113], v93 offset0:6 offset1:7
	ds_load_2addr_b32 v[114:115], v93 offset0:8 offset1:9
	ds_load_2addr_b32 v[116:117], v93 offset0:10 offset1:11
	ds_load_2addr_b32 v[118:119], v93 offset0:12 offset1:13
	ds_load_2addr_b32 v[120:121], v93 offset0:14 offset1:15
	ds_load_2addr_b32 v[122:123], v94 offset1:1
	ds_load_2addr_b32 v[124:125], v94 offset0:2 offset1:3
	ds_load_2addr_b32 v[126:127], v94 offset0:4 offset1:5
	ds_load_2addr_b32 v[128:129], v94 offset0:6 offset1:7
	ds_load_2addr_b32 v[130:131], v94 offset0:8 offset1:9
	ds_load_2addr_b32 v[132:133], v94 offset0:10 offset1:11
	ds_load_2addr_b32 v[134:135], v94 offset0:12 offset1:13
	ds_load_2addr_b32 v[136:137], v94 offset0:14 offset1:15
	;; [unrolled: 8-line block ×4, first 2 shown]
	ds_load_u16 v172, v97
	ds_load_u8 v173, v97 offset:8
	ds_load_u8 v174, v97 offset:9
	ds_load_u16 v175, v98
	ds_load_u8 v176, v98 offset:8
	ds_load_u8 v177, v98 offset:9
	;; [unrolled: 3-line block ×3, first 2 shown]
	ds_load_b128 v[90:93], v102 offset:35392
	ds_load_u16 v181, v101
	ds_load_b64 v[170:171], v100 offset:36944
	ds_load_u8 v182, v101 offset:8
	ds_load_b128 v[94:97], v102 offset:35424
	ds_load_u8 v183, v101 offset:9
	ds_load_b128 v[98:101], v102 offset:35408
	ds_load_b128 v[102:105], v102 offset:35440
	s_mov_b32 s21, 8
	s_and_b32 vcc_lo, exec_lo, s17
	s_mov_b32 s17, 0
	s_waitcnt lgkmcnt(16)
	v_lshrrev_b16 v184, 8, v172
	v_and_b32_e32 v172, 0xff, v172
	s_waitcnt lgkmcnt(15)
	v_cvt_f32_ubyte0_e32 v173, v173
	s_waitcnt lgkmcnt(14)
	v_cvt_f32_ubyte0_e32 v174, v174
	s_waitcnt lgkmcnt(13)
	v_lshrrev_b16 v185, 8, v175
	s_waitcnt lgkmcnt(12)
	v_cvt_f32_ubyte0_e32 v176, v176
	s_waitcnt lgkmcnt(10)
	v_lshrrev_b16 v186, 8, v178
	v_and_b32_e32 v178, 0xff, v178
	s_waitcnt lgkmcnt(9)
	v_cvt_f32_ubyte0_e32 v179, v179
	s_waitcnt lgkmcnt(7)
	v_dot4_i32_iu8 v106, v106, v90, 0 neg_lo:[1,1,0]
	v_dot4_i32_iu8 v122, v122, v90, 0 neg_lo:[1,1,0]
	;; [unrolled: 1-line block ×4, first 2 shown]
	s_waitcnt lgkmcnt(3)
	v_dot4_i32_iu8 v114, v114, v94, 0 neg_lo:[1,1,0]
	v_dot4_i32_iu8 v130, v130, v94, 0 neg_lo:[1,1,0]
	;; [unrolled: 1-line block ×28, first 2 shown]
	s_waitcnt lgkmcnt(1)
	v_dot4_i32_iu8 v93, v110, v98, v96 neg_lo:[1,1,0]
	v_dot4_i32_iu8 v97, v126, v98, v108 neg_lo:[1,1,0]
	s_waitcnt lgkmcnt(0)
	v_dot4_i32_iu8 v96, v118, v102, v106 neg_lo:[1,1,0]
	v_dot4_i32_iu8 v106, v134, v102, v109 neg_lo:[1,1,0]
	;; [unrolled: 1-line block ×10, first 2 shown]
	v_lshrrev_b16 v187, 8, v181
	v_and_b32_e32 v181, 0xff, v181
	v_dot4_i32_iu8 v96, v120, v104, v96 neg_lo:[1,1,0]
	v_dot4_i32_iu8 v98, v136, v104, v98 neg_lo:[1,1,0]
	;; [unrolled: 1-line block ×4, first 2 shown]
	v_and_b32_e32 v162, 0xffff, v184
	v_and_b32_e32 v115, 0xffff, v187
	v_dot4_i32_iu8 v96, v121, v105, v96 neg_lo:[1,1,0]
	v_dot4_i32_iu8 v98, v137, v105, v98 neg_lo:[1,1,0]
	v_mul_lo_u32 v93, v93, v181
	v_mul_lo_u32 v97, v97, v172
	v_fma_mix_f32 v154, v170, v173, 0 op_sel:[1,0,0] op_sel_hi:[1,0,0]
	v_mul_lo_u32 v96, v96, v115
	v_mul_lo_u32 v98, v98, v162
	v_dot4_i32_iu8 v109, v150, v102, v116 neg_lo:[1,1,0]
	v_dot4_i32_iu8 v91, v166, v102, v91 neg_lo:[1,1,0]
	v_fma_mix_f32 v94, v171, v174, v154 op_sel:[1,0,0] op_sel_hi:[1,0,0]
	v_cvt_f32_i32_e32 v93, v93
	v_cvt_f32_i32_e32 v97, v97
	v_dot4_i32_iu8 v102, v143, v99, v108 neg_lo:[1,1,0]
	v_dot4_i32_iu8 v90, v159, v99, v90 neg_lo:[1,1,0]
	v_cvt_f32_i32_e32 v96, v96
	v_cvt_f32_i32_e32 v98, v98
	v_fma_mix_f32 v93, v170, v93, 0 op_sel_hi:[1,0,0]
	v_fma_mix_f32 v97, v170, v97, 0 op_sel_hi:[1,0,0]
	v_mul_f32_e32 v92, v94, v87
	v_dot4_i32_iu8 v106, v151, v103, v109 neg_lo:[1,1,0]
	v_dot4_i32_iu8 v91, v167, v103, v91 neg_lo:[1,1,0]
	;; [unrolled: 1-line block ×4, first 2 shown]
	v_fma_mix_f32 v93, v171, v96, v93 op_sel_hi:[1,0,0]
	v_fma_mix_f32 v96, v171, v98, v97 op_sel_hi:[1,0,0]
	v_dot4_i32_iu8 v102, v152, v104, v106 neg_lo:[1,1,0]
	v_dot4_i32_iu8 v91, v168, v104, v91 neg_lo:[1,1,0]
	;; [unrolled: 1-line block ×4, first 2 shown]
	v_fma_f32 v92, v96, v83, -v92
	v_and_b32_e32 v175, 0xff, v175
	v_fma_mix_f32 v173, v170, v176, 0 op_sel:[1,0,0] op_sel_hi:[1,0,0]
	v_and_b32_e32 v176, 0xffff, v185
	v_and_b32_e32 v184, 0xffff, v186
	v_add_f32_e32 v52, v52, v92
	v_dot4_i32_iu8 v100, v153, v105, v102 neg_lo:[1,1,0]
	v_dot4_i32_iu8 v91, v169, v105, v91 neg_lo:[1,1,0]
	v_mul_lo_u32 v99, v99, v175
	v_mul_lo_u32 v90, v90, v178
	v_cvt_f32_ubyte0_e32 v182, v182
	v_mul_lo_u32 v100, v100, v176
	v_mul_lo_u32 v91, v91, v184
	v_cvt_f32_ubyte0_e32 v177, v177
	v_cvt_f32_ubyte0_e32 v180, v180
	;; [unrolled: 1-line block ×3, first 2 shown]
	v_fma_mix_f32 v179, v170, v179, 0 op_sel:[1,0,0] op_sel_hi:[1,0,0]
	v_fma_mix_f32 v107, v170, v182, 0 op_sel:[1,0,0] op_sel_hi:[1,0,0]
	v_cvt_f32_i32_e32 v99, v99
	v_cvt_f32_i32_e32 v90, v90
	v_fma_mix_f32 v95, v171, v177, v173 op_sel:[1,0,0] op_sel_hi:[1,0,0]
	v_fma_mix_f32 v138, v171, v180, v179 op_sel:[1,0,0] op_sel_hi:[1,0,0]
	;; [unrolled: 1-line block ×3, first 2 shown]
	v_cvt_f32_i32_e32 v100, v100
	v_cvt_f32_i32_e32 v91, v91
	v_fma_mix_f32 v99, v170, v99, 0 op_sel_hi:[1,0,0]
	v_fma_mix_f32 v90, v170, v90, 0 op_sel_hi:[1,0,0]
	v_dual_mul_f32 v94, v95, v88 :: v_dual_mul_f32 v95, v138, v89
	v_mul_f32_e32 v101, v107, v86
	s_delay_alu instid0(VALU_DEP_4) | instskip(NEXT) | instid1(VALU_DEP_4)
	v_fma_mix_f32 v97, v171, v100, v99 op_sel_hi:[1,0,0]
	v_fma_mix_f32 v90, v171, v91, v90 op_sel_hi:[1,0,0]
	s_delay_alu instid0(VALU_DEP_3) | instskip(NEXT) | instid1(VALU_DEP_3)
	v_fma_f32 v91, v93, v82, -v101
	v_fma_f32 v93, v97, v84, -v94
	s_delay_alu instid0(VALU_DEP_3) | instskip(NEXT) | instid1(VALU_DEP_3)
	v_fma_f32 v90, v90, v85, -v95
	v_add_f32_e32 v21, v21, v91
	s_delay_alu instid0(VALU_DEP_2)
	v_dual_add_f32 v47, v47, v93 :: v_dual_add_f32 v14, v14, v90
	s_cbranch_vccnz .LBB234_12
; %bb.13:                               ;   in Loop: Header=BB234_5 Depth=1
	s_bitset1_b32 s16, 7
	s_delay_alu instid0(SALU_CYCLE_1)
	s_cmp_ge_i32 s16, s5
	s_barrier
	buffer_gl0_inv
	s_cbranch_scc1 .LBB234_4
; %bb.14:                               ;   in Loop: Header=BB234_5 Depth=1
	v_add_nc_u32_e32 v82, s6, v57
	s_delay_alu instid0(VALU_DEP_1) | instskip(SKIP_1) | instid1(SALU_CYCLE_1)
	v_cmp_gt_i32_e32 vcc_lo, s8, v82
	s_and_b32 s17, s1, vcc_lo
	s_and_saveexec_b32 s16, s17
	s_cbranch_execz .LBB234_16
; %bb.15:                               ;   in Loop: Header=BB234_5 Depth=1
	v_add_nc_u32_e32 v84, v62, v82
	s_delay_alu instid0(VALU_DEP_1)
	v_mad_i64_i32 v[82:83], null, v84, 36, v[17:18]
	global_load_b32 v82, v[82:83], off offset:4
	s_waitcnt vmcnt(0)
	ds_store_b32 v53, v82
.LBB234_16:                             ;   in Loop: Header=BB234_5 Depth=1
	s_or_b32 exec_lo, exec_lo, s16
	s_and_saveexec_b32 s16, s0
	s_cbranch_execz .LBB234_19
; %bb.17:                               ;   in Loop: Header=BB234_5 Depth=1
	v_or_b32_e32 v82, s6, v20
	s_delay_alu instid0(VALU_DEP_1) | instskip(NEXT) | instid1(VALU_DEP_1)
	v_or_b32_e32 v83, 4, v82
	v_cmp_gt_i32_e32 vcc_lo, s8, v83
	s_and_b32 s6, s1, vcc_lo
	s_delay_alu instid0(SALU_CYCLE_1)
	s_and_b32 exec_lo, exec_lo, s6
	s_cbranch_execz .LBB234_19
; %bb.18:                               ;   in Loop: Header=BB234_5 Depth=1
	v_ashrrev_i32_e32 v83, 31, v82
	v_add_co_u32 v84, vcc_lo, v62, v82
	s_delay_alu instid0(VALU_DEP_2) | instskip(NEXT) | instid1(VALU_DEP_2)
	v_add_co_ci_u32_e32 v85, vcc_lo, v66, v83, vcc_lo
	v_mad_u64_u32 v[82:83], null, v84, 36, s[14:15]
	s_delay_alu instid0(VALU_DEP_1)
	v_mad_i32_i24 v83, v85, 36, v83
	global_load_b32 v82, v[82:83], off
	s_waitcnt vmcnt(0)
	ds_store_b32 v54, v82
.LBB234_19:                             ;   in Loop: Header=BB234_5 Depth=1
	s_or_b32 exec_lo, exec_lo, s16
	s_waitcnt lgkmcnt(0)
	s_barrier
	buffer_gl0_inv
	ds_load_b32 v85, v56
	ds_load_b32 v86, v58 offset:128
	ds_load_b32 v87, v59 offset:256
	;; [unrolled: 1-line block ×3, first 2 shown]
	v_dual_mov_b32 v82, v69 :: v_dual_mov_b32 v83, v68
	s_mov_b32 s6, 16
	s_mov_b32 s16, 0
	s_mov_b32 s17, 0
	s_waitcnt lgkmcnt(3)
	v_lshrrev_b32_e32 v89, 16, v85
	s_waitcnt lgkmcnt(2)
	v_lshrrev_b32_e32 v90, 16, v86
	;; [unrolled: 2-line block ×4, first 2 shown]
	v_cvt_f32_f16_e32 v84, v85
	v_cvt_f32_f16_e32 v85, v86
	;; [unrolled: 1-line block ×8, first 2 shown]
	v_mov_b32_e32 v92, v67
.LBB234_20:                             ;   Parent Loop BB234_5 Depth=1
                                        ; =>  This Inner Loop Header: Depth=2
	ds_load_b128 v[93:96], v82
	ds_load_b128 v[97:100], v82 offset:16
	ds_load_b128 v[101:104], v82 offset:32
	;; [unrolled: 1-line block ×3, first 2 shown]
	ds_load_b64 v[109:110], v83
	ds_load_2addr_b32 v[111:112], v92 offset1:1
	ds_load_2addr_b32 v[113:114], v92 offset0:2 offset1:3
	ds_load_2addr_b32 v[115:116], v92 offset0:4 offset1:5
	;; [unrolled: 1-line block ×7, first 2 shown]
	v_add_nc_u32_e32 v127, 0x2080, v92
	v_add_nc_u32_e32 v129, 0x2088, v92
	;; [unrolled: 1-line block ×10, first 2 shown]
	ds_load_2addr_b32 v[127:128], v127 offset1:1
	ds_load_2addr_b32 v[129:130], v129 offset1:1
	;; [unrolled: 1-line block ×8, first 2 shown]
	v_add_nc_u32_e32 v159, s16, v70
	v_add_nc_u32_e32 v147, 0x4110, v92
	s_lshr_b32 s21, s6, 2
	v_add_nc_u32_e32 v149, 0x4118, v92
	v_add_nc_u32_e32 v160, 0x6180, v92
	;; [unrolled: 1-line block ×8, first 2 shown]
	s_and_b32 s21, s21, 0x3ffffffc
	ds_load_2addr_b32 v[143:144], v143 offset1:1
	ds_load_2addr_b32 v[145:146], v145 offset1:1
	;; [unrolled: 1-line block ×8, first 2 shown]
	v_add_nc_u32_e32 v165, 0x6198, v92
	v_add_nc_u32_e32 v167, 0x61a0, v92
	;; [unrolled: 1-line block ×5, first 2 shown]
	v_add3_u32 v175, v74, s21, v159
	v_add3_u32 v176, v73, s21, v159
	;; [unrolled: 1-line block ×4, first 2 shown]
	ds_load_2addr_b32 v[159:160], v160 offset1:1
	ds_load_2addr_b32 v[161:162], v161 offset1:1
	;; [unrolled: 1-line block ×8, first 2 shown]
	ds_load_u16 v179, v175
	ds_load_u16 v175, v175 offset:8
	ds_load_u16 v180, v176 offset:33792
	;; [unrolled: 1-line block ×7, first 2 shown]
	s_waitcnt lgkmcnt(39)
	v_dot4_i32_iu8 v111, v111, v93, 0 neg_lo:[1,1,0]
	s_waitcnt lgkmcnt(35)
	v_dot4_i32_iu8 v119, v119, v101, 0 neg_lo:[1,1,0]
	v_add_nc_u32_e32 v83, 8, v83
	v_add_nc_u32_e32 v82, 64, v82
	s_add_i32 s22, s17, 8
	v_dot4_i32_iu8 v111, v112, v94, v111 neg_lo:[1,1,0]
	v_dot4_i32_iu8 v112, v120, v102, v119 neg_lo:[1,1,0]
	s_waitcnt lgkmcnt(31)
	v_dot4_i32_iu8 v119, v127, v93, 0 neg_lo:[1,1,0]
	s_waitcnt lgkmcnt(27)
	;; [unrolled: 2-line block ×4, first 2 shown]
	v_dot4_i32_iu8 v93, v159, v93, 0 neg_lo:[1,1,0]
	v_dot4_i32_iu8 v135, v151, v101, 0 neg_lo:[1,1,0]
	s_waitcnt lgkmcnt(11)
	v_dot4_i32_iu8 v101, v167, v101, 0 neg_lo:[1,1,0]
	v_dot4_i32_iu8 v111, v113, v95, v111 neg_lo:[1,1,0]
	s_waitcnt lgkmcnt(6)
	v_cvt_f32_ubyte0_e32 v151, v175
	v_dot4_i32_iu8 v112, v121, v103, v112 neg_lo:[1,1,0]
	v_dot4_i32_iu8 v119, v128, v94, v119 neg_lo:[1,1,0]
	v_dot4_i32_iu8 v120, v136, v102, v120 neg_lo:[1,1,0]
	v_dot4_i32_iu8 v127, v144, v94, v127 neg_lo:[1,1,0]
	v_dot4_i32_iu8 v93, v160, v94, v93 neg_lo:[1,1,0]
	v_cvt_f32_ubyte1_e32 v121, v175
	s_waitcnt lgkmcnt(4)
	v_cvt_f32_ubyte0_e32 v167, v176
	v_cvt_f32_ubyte1_e32 v136, v176
	s_waitcnt lgkmcnt(2)
	v_cvt_f32_ubyte0_e32 v176, v177
	v_dot4_i32_iu8 v135, v152, v102, v135 neg_lo:[1,1,0]
	v_cvt_f32_ubyte1_e32 v152, v177
	s_waitcnt lgkmcnt(0)
	v_cvt_f32_ubyte0_e32 v177, v178
	v_dot4_i32_iu8 v101, v168, v102, v101 neg_lo:[1,1,0]
	v_dot4_i32_iu8 v111, v114, v96, v111 neg_lo:[1,1,0]
	v_fma_mix_f32 v114, v109, v151, 0 op_sel:[1,0,0] op_sel_hi:[1,0,0]
	v_dot4_i32_iu8 v112, v122, v104, v112 neg_lo:[1,1,0]
	v_dot4_i32_iu8 v119, v129, v95, v119 neg_lo:[1,1,0]
	;; [unrolled: 1-line block ×5, first 2 shown]
	v_cvt_f32_ubyte1_e32 v102, v178
	v_dot4_i32_iu8 v135, v153, v103, v135 neg_lo:[1,1,0]
	v_fma_mix_f32 v95, v109, v177, 0 op_sel:[1,0,0] op_sel_hi:[1,0,0]
	v_dot4_i32_iu8 v101, v169, v103, v101 neg_lo:[1,1,0]
	v_dot4_i32_iu8 v103, v115, v97, v111 neg_lo:[1,1,0]
	;; [unrolled: 1-line block ×3, first 2 shown]
	v_fma_mix_f32 v112, v110, v121, v114 op_sel:[1,0,0] op_sel_hi:[1,0,0]
	v_dot4_i32_iu8 v114, v130, v96, v119 neg_lo:[1,1,0]
	v_dot4_i32_iu8 v115, v138, v104, v120 neg_lo:[1,1,0]
	;; [unrolled: 1-line block ×6, first 2 shown]
	v_fma_mix_f32 v95, v110, v102, v95 op_sel:[1,0,0] op_sel_hi:[1,0,0]
	v_dot4_i32_iu8 v101, v116, v98, v103 neg_lo:[1,1,0]
	v_dot4_i32_iu8 v102, v124, v106, v111 neg_lo:[1,1,0]
	;; [unrolled: 1-line block ×4, first 2 shown]
	v_mul_f32_e32 v95, v95, v91
	v_dot4_i32_iu8 v114, v147, v97, v120 neg_lo:[1,1,0]
	v_dot4_i32_iu8 v93, v163, v97, v93 neg_lo:[1,1,0]
	v_dot4_i32_iu8 v115, v155, v105, v121 neg_lo:[1,1,0]
	v_dot4_i32_iu8 v96, v171, v105, v96 neg_lo:[1,1,0]
	v_dot4_i32_iu8 v97, v117, v99, v101 neg_lo:[1,1,0]
	v_dot4_i32_iu8 v101, v125, v107, v102 neg_lo:[1,1,0]
	v_dot4_i32_iu8 v102, v132, v98, v104 neg_lo:[1,1,0]
	v_dot4_i32_iu8 v104, v140, v106, v111 neg_lo:[1,1,0]
	v_dot4_i32_iu8 v105, v148, v98, v114 neg_lo:[1,1,0]
	v_dot4_i32_iu8 v93, v164, v98, v93 neg_lo:[1,1,0]
	v_lshrrev_b16 v113, 8, v179
	v_lshrrev_b16 v128, 8, v180
	v_dot4_i32_iu8 v111, v156, v106, v115 neg_lo:[1,1,0]
	v_dot4_i32_iu8 v96, v172, v106, v96 neg_lo:[1,1,0]
	;; [unrolled: 1-line block ×7, first 2 shown]
	v_and_b32_e32 v143, 0xff, v179
	v_and_b32_e32 v159, 0xff, v180
	v_lshrrev_b16 v144, 8, v181
	v_and_b32_e32 v175, 0xff, v181
	v_lshrrev_b16 v94, 8, v182
	v_dual_mul_f32 v103, v112, v88 :: v_dual_and_b32 v160, 0xff, v182
	v_and_b32_e32 v113, 0xffff, v113
	v_and_b32_e32 v128, 0xffff, v128
	v_dot4_i32_iu8 v97, v118, v100, v97 neg_lo:[1,1,0]
	v_dot4_i32_iu8 v105, v157, v107, v111 neg_lo:[1,1,0]
	v_dot4_i32_iu8 v96, v173, v107, v96 neg_lo:[1,1,0]
	v_dot4_i32_iu8 v99, v134, v100, v101 neg_lo:[1,1,0]
	v_dot4_i32_iu8 v101, v142, v108, v102 neg_lo:[1,1,0]
	v_dot4_i32_iu8 v102, v150, v100, v104 neg_lo:[1,1,0]
	v_dot4_i32_iu8 v93, v166, v100, v93 neg_lo:[1,1,0]
	v_and_b32_e32 v137, 0xffff, v144
	v_and_b32_e32 v94, 0xffff, v94
	v_mul_lo_u32 v97, v97, v143
	v_mul_lo_u32 v98, v98, v113
	v_dot4_i32_iu8 v104, v158, v108, v105 neg_lo:[1,1,0]
	v_dot4_i32_iu8 v96, v174, v108, v96 neg_lo:[1,1,0]
	v_mul_lo_u32 v99, v99, v159
	v_mul_lo_u32 v100, v101, v128
	;; [unrolled: 1-line block ×6, first 2 shown]
	v_fma_mix_f32 v122, v109, v167, 0 op_sel:[1,0,0] op_sel_hi:[1,0,0]
	v_fma_mix_f32 v129, v109, v176, 0 op_sel:[1,0,0] op_sel_hi:[1,0,0]
	v_cvt_f32_i32_e32 v96, v97
	v_cvt_f32_i32_e32 v97, v98
	;; [unrolled: 1-line block ×6, first 2 shown]
	v_fma_mix_f32 v119, v110, v136, v122 op_sel:[1,0,0] op_sel_hi:[1,0,0]
	v_fma_mix_f32 v122, v110, v152, v129 op_sel:[1,0,0] op_sel_hi:[1,0,0]
	v_fma_mix_f32 v96, v109, v96, 0 op_sel_hi:[1,0,0]
	v_cvt_f32_i32_e32 v101, v102
	v_cvt_f32_i32_e32 v94, v94
	v_fma_mix_f32 v98, v109, v98, 0 op_sel_hi:[1,0,0]
	v_fma_mix_f32 v100, v109, v100, 0 op_sel_hi:[1,0,0]
	;; [unrolled: 1-line block ×3, first 2 shown]
	v_mul_f32_e32 v112, v119, v89
	v_mul_f32_e32 v116, v122, v90
	v_fma_mix_f32 v96, v110, v97, v96 op_sel_hi:[1,0,0]
	v_fma_mix_f32 v97, v110, v99, v98 op_sel_hi:[1,0,0]
	;; [unrolled: 1-line block ×4, first 2 shown]
	s_add_i32 s17, s17, 16
	v_fma_f32 v94, v96, v84, -v103
	v_fma_f32 v96, v97, v85, -v112
	;; [unrolled: 1-line block ×4, first 2 shown]
	s_delay_alu instid0(VALU_DEP_4) | instskip(NEXT) | instid1(VALU_DEP_3)
	v_dual_add_f32 v21, v21, v94 :: v_dual_add_nc_u32 v92, 64, v92
	v_dual_add_f32 v52, v52, v96 :: v_dual_add_f32 v47, v47, v97
	s_delay_alu instid0(VALU_DEP_3)
	v_add_f32_e32 v14, v14, v93
	s_add_i32 s6, s6, 8
	s_add_i32 s16, s16, 2
	s_cmp_lt_u32 s17, 24
	s_mov_b32 s17, s22
	s_cbranch_scc1 .LBB234_20
; %bb.21:                               ;   in Loop: Header=BB234_5 Depth=1
	s_barrier
	buffer_gl0_inv
	s_branch .LBB234_4
.LBB234_22:
	s_mul_i32 s0, s10, s7
	s_waitcnt vmcnt(0)
	v_cmp_gt_i32_e32 vcc_lo, s0, v19
	s_and_saveexec_b32 s0, vcc_lo
	s_cbranch_execz .LBB234_31
; %bb.23:
	v_mul_lo_u32 v0, v19, s9
	v_add_nc_u32_e32 v1, s11, v20
	s_mov_b32 s0, exec_lo
	s_delay_alu instid0(VALU_DEP_1)
	v_cmpx_gt_u32_e64 s9, v1
	s_cbranch_execz .LBB234_25
; %bb.24:
	v_bfe_u32 v3, v21, 16, 1
	s_delay_alu instid0(VALU_DEP_4) | instskip(SKIP_1) | instid1(VALU_DEP_3)
	v_add_nc_u32_e32 v2, v0, v1
	v_cmp_o_f32_e32 vcc_lo, v21, v21
	v_add3_u32 v4, v21, v3, 0x7fff
	v_mov_b32_e32 v3, 0
	s_delay_alu instid0(VALU_DEP_2) | instskip(NEXT) | instid1(VALU_DEP_2)
	v_lshrrev_b32_e32 v4, 16, v4
	v_lshlrev_b64 v[2:3], 1, v[2:3]
	s_delay_alu instid0(VALU_DEP_2) | instskip(NEXT) | instid1(VALU_DEP_2)
	v_cndmask_b32_e32 v4, 0x7fc0, v4, vcc_lo
	v_add_co_u32 v2, vcc_lo, s12, v2
	s_delay_alu instid0(VALU_DEP_3)
	v_add_co_ci_u32_e32 v3, vcc_lo, s13, v3, vcc_lo
	global_store_b16 v[2:3], v4, off
.LBB234_25:
	s_or_b32 exec_lo, exec_lo, s0
	v_add_nc_u32_e32 v2, 32, v1
	s_mov_b32 s0, exec_lo
	s_delay_alu instid0(VALU_DEP_1)
	v_cmpx_gt_u32_e64 s9, v2
	s_cbranch_execz .LBB234_27
; %bb.26:
	v_bfe_u32 v3, v52, 16, 1
	v_add_nc_u32_e32 v2, v0, v2
	v_cmp_o_f32_e32 vcc_lo, v52, v52
	s_delay_alu instid0(VALU_DEP_3) | instskip(SKIP_1) | instid1(VALU_DEP_2)
	v_add3_u32 v4, v52, v3, 0x7fff
	v_mov_b32_e32 v3, 0
	v_lshrrev_b32_e32 v4, 16, v4
	s_delay_alu instid0(VALU_DEP_2) | instskip(NEXT) | instid1(VALU_DEP_2)
	v_lshlrev_b64 v[2:3], 1, v[2:3]
	v_cndmask_b32_e32 v4, 0x7fc0, v4, vcc_lo
	s_delay_alu instid0(VALU_DEP_2) | instskip(NEXT) | instid1(VALU_DEP_3)
	v_add_co_u32 v2, vcc_lo, s12, v2
	v_add_co_ci_u32_e32 v3, vcc_lo, s13, v3, vcc_lo
	global_store_b16 v[2:3], v4, off
.LBB234_27:
	s_or_b32 exec_lo, exec_lo, s0
	v_add_nc_u32_e32 v2, 64, v1
	s_mov_b32 s0, exec_lo
	s_delay_alu instid0(VALU_DEP_1)
	v_cmpx_gt_u32_e64 s9, v2
	s_cbranch_execz .LBB234_29
; %bb.28:
	v_bfe_u32 v3, v47, 16, 1
	v_add_nc_u32_e32 v2, v0, v2
	v_cmp_o_f32_e32 vcc_lo, v47, v47
	s_delay_alu instid0(VALU_DEP_3) | instskip(SKIP_1) | instid1(VALU_DEP_2)
	v_add3_u32 v4, v47, v3, 0x7fff
	v_mov_b32_e32 v3, 0
	v_lshrrev_b32_e32 v4, 16, v4
	s_delay_alu instid0(VALU_DEP_2) | instskip(NEXT) | instid1(VALU_DEP_2)
	v_lshlrev_b64 v[2:3], 1, v[2:3]
	v_cndmask_b32_e32 v4, 0x7fc0, v4, vcc_lo
	s_delay_alu instid0(VALU_DEP_2) | instskip(NEXT) | instid1(VALU_DEP_3)
	v_add_co_u32 v2, vcc_lo, s12, v2
	v_add_co_ci_u32_e32 v3, vcc_lo, s13, v3, vcc_lo
	global_store_b16 v[2:3], v4, off
.LBB234_29:
	s_or_b32 exec_lo, exec_lo, s0
	v_add_nc_u32_e32 v1, 0x60, v1
	s_delay_alu instid0(VALU_DEP_1)
	v_cmp_gt_u32_e32 vcc_lo, s9, v1
	s_and_b32 exec_lo, exec_lo, vcc_lo
	s_cbranch_execz .LBB234_31
; %bb.30:
	v_bfe_u32 v2, v14, 16, 1
	v_dual_mov_b32 v1, 0 :: v_dual_add_nc_u32 v0, v0, v1
	v_cmp_o_f32_e32 vcc_lo, v14, v14
	s_delay_alu instid0(VALU_DEP_3) | instskip(NEXT) | instid1(VALU_DEP_3)
	v_add3_u32 v2, v14, v2, 0x7fff
	v_lshlrev_b64 v[0:1], 1, v[0:1]
	s_delay_alu instid0(VALU_DEP_2) | instskip(NEXT) | instid1(VALU_DEP_1)
	v_lshrrev_b32_e32 v2, 16, v2
	v_cndmask_b32_e32 v2, 0x7fc0, v2, vcc_lo
	s_delay_alu instid0(VALU_DEP_3) | instskip(NEXT) | instid1(VALU_DEP_4)
	v_add_co_u32 v0, vcc_lo, s12, v0
	v_add_co_ci_u32_e32 v1, vcc_lo, s13, v1, vcc_lo
	global_store_b16 v[0:1], v2, off
.LBB234_31:
	s_nop 0
	s_sendmsg sendmsg(MSG_DEALLOC_VGPRS)
	s_endpgm
	.section	.rodata,"a",@progbits
	.p2align	6, 0x0
	.amdhsa_kernel _ZL8moe_q5_KIN3c108BFloat16ELb1EEvPKvS3_PT_PKiS7_S7_iiiiiii
		.amdhsa_group_segment_fixed_size 37072
		.amdhsa_private_segment_fixed_size 0
		.amdhsa_kernarg_size 76
		.amdhsa_user_sgpr_count 14
		.amdhsa_user_sgpr_dispatch_ptr 0
		.amdhsa_user_sgpr_queue_ptr 0
		.amdhsa_user_sgpr_kernarg_segment_ptr 1
		.amdhsa_user_sgpr_dispatch_id 0
		.amdhsa_user_sgpr_private_segment_size 0
		.amdhsa_wavefront_size32 1
		.amdhsa_uses_dynamic_stack 0
		.amdhsa_enable_private_segment 0
		.amdhsa_system_sgpr_workgroup_id_x 1
		.amdhsa_system_sgpr_workgroup_id_y 1
		.amdhsa_system_sgpr_workgroup_id_z 0
		.amdhsa_system_sgpr_workgroup_info 0
		.amdhsa_system_vgpr_workitem_id 1
		.amdhsa_next_free_vgpr 188
		.amdhsa_next_free_sgpr 23
		.amdhsa_reserve_vcc 1
		.amdhsa_float_round_mode_32 0
		.amdhsa_float_round_mode_16_64 0
		.amdhsa_float_denorm_mode_32 3
		.amdhsa_float_denorm_mode_16_64 3
		.amdhsa_dx10_clamp 1
		.amdhsa_ieee_mode 1
		.amdhsa_fp16_overflow 0
		.amdhsa_workgroup_processor_mode 1
		.amdhsa_memory_ordered 1
		.amdhsa_forward_progress 0
		.amdhsa_shared_vgpr_count 0
		.amdhsa_exception_fp_ieee_invalid_op 0
		.amdhsa_exception_fp_denorm_src 0
		.amdhsa_exception_fp_ieee_div_zero 0
		.amdhsa_exception_fp_ieee_overflow 0
		.amdhsa_exception_fp_ieee_underflow 0
		.amdhsa_exception_fp_ieee_inexact 0
		.amdhsa_exception_int_div_zero 0
	.end_amdhsa_kernel
	.section	.text._ZL8moe_q5_KIN3c108BFloat16ELb1EEvPKvS3_PT_PKiS7_S7_iiiiiii,"axG",@progbits,_ZL8moe_q5_KIN3c108BFloat16ELb1EEvPKvS3_PT_PKiS7_S7_iiiiiii,comdat
.Lfunc_end234:
	.size	_ZL8moe_q5_KIN3c108BFloat16ELb1EEvPKvS3_PT_PKiS7_S7_iiiiiii, .Lfunc_end234-_ZL8moe_q5_KIN3c108BFloat16ELb1EEvPKvS3_PT_PKiS7_S7_iiiiiii
                                        ; -- End function
	.section	.AMDGPU.csdata,"",@progbits
; Kernel info:
; codeLenInByte = 8192
; NumSgprs: 25
; NumVgprs: 188
; ScratchSize: 0
; MemoryBound: 0
; FloatMode: 240
; IeeeMode: 1
; LDSByteSize: 37072 bytes/workgroup (compile time only)
; SGPRBlocks: 3
; VGPRBlocks: 23
; NumSGPRsForWavesPerEU: 25
; NumVGPRsForWavesPerEU: 188
; Occupancy: 6
; WaveLimiterHint : 1
; COMPUTE_PGM_RSRC2:SCRATCH_EN: 0
; COMPUTE_PGM_RSRC2:USER_SGPR: 14
; COMPUTE_PGM_RSRC2:TRAP_HANDLER: 0
; COMPUTE_PGM_RSRC2:TGID_X_EN: 1
; COMPUTE_PGM_RSRC2:TGID_Y_EN: 1
; COMPUTE_PGM_RSRC2:TGID_Z_EN: 0
; COMPUTE_PGM_RSRC2:TIDIG_COMP_CNT: 1
	.section	.text._ZL8moe_q6_KIN3c108BFloat16ELb0EEvPKvS3_PT_PKiS7_S7_iiiiiii,"axG",@progbits,_ZL8moe_q6_KIN3c108BFloat16ELb0EEvPKvS3_PT_PKiS7_S7_iiiiiii,comdat
	.globl	_ZL8moe_q6_KIN3c108BFloat16ELb0EEvPKvS3_PT_PKiS7_S7_iiiiiii ; -- Begin function _ZL8moe_q6_KIN3c108BFloat16ELb0EEvPKvS3_PT_PKiS7_S7_iiiiiii
	.p2align	8
	.type	_ZL8moe_q6_KIN3c108BFloat16ELb0EEvPKvS3_PT_PKiS7_S7_iiiiiii,@function
_ZL8moe_q6_KIN3c108BFloat16ELb0EEvPKvS3_PT_PKiS7_S7_iiiiiii: ; @_ZL8moe_q6_KIN3c108BFloat16ELb0EEvPKvS3_PT_PKiS7_S7_iiiiiii
; %bb.0:
	s_load_b128 s[4:7], s[0:1], 0x18
	s_mov_b32 s2, s15
	s_mov_b32 s3, 0
	s_delay_alu instid0(SALU_CYCLE_1)
	s_lshl_b64 s[8:9], s[2:3], 2
	s_waitcnt lgkmcnt(0)
	s_add_u32 s6, s6, s8
	s_addc_u32 s7, s7, s9
	s_load_b32 s12, s[6:7], 0x0
	s_waitcnt lgkmcnt(0)
	s_cmpk_gt_u32 s12, 0xff
	s_cbranch_scc1 .LBB235_31
; %bb.1:
	s_load_b64 s[6:7], s[0:1], 0x28
	s_lshl_b32 s2, s2, 3
	s_waitcnt lgkmcnt(0)
	s_load_b32 s3, s[6:7], 0x0
	s_waitcnt lgkmcnt(0)
	s_cmp_gt_u32 s2, s3
	s_cbranch_scc1 .LBB235_31
; %bb.2:
	v_bfe_u32 v3, v0, 10, 10
	v_mov_b32_e32 v2, 0
	s_lshl_b32 s16, s14, 7
	s_mov_b32 s17, 0
	s_delay_alu instid0(VALU_DEP_2) | instskip(NEXT) | instid1(VALU_DEP_2)
	v_add_nc_u32_e32 v1, s2, v3
	v_dual_mov_b32 v53, v2 :: v_dual_and_b32 v6, 0x3ff, v0
	v_mov_b32_e32 v36, v2
	v_mov_b32_e32 v7, v2
	s_delay_alu instid0(VALU_DEP_4) | instskip(NEXT) | instid1(VALU_DEP_1)
	v_lshlrev_b64 v[4:5], 2, v[1:2]
	v_add_co_u32 v4, vcc_lo, s4, v4
	s_delay_alu instid0(VALU_DEP_2)
	v_add_co_ci_u32_e32 v5, vcc_lo, s5, v5, vcc_lo
	global_load_b32 v5, v[4:5], off
	s_clause 0x2
	s_load_b64 s[10:11], s[0:1], 0x30
	s_load_b64 s[8:9], s[0:1], 0x10
	s_load_b128 s[4:7], s[0:1], 0x3c
	s_waitcnt lgkmcnt(0)
	s_cmpk_lt_i32 s11, 0x100
	s_cbranch_scc1 .LBB235_22
; %bb.3:
	s_load_b128 s[0:3], s[0:1], 0x0
	s_ashr_i32 s13, s11, 31
	s_mul_i32 s12, s12, s10
	s_lshr_b32 s10, s13, 24
	s_ashr_i32 s14, s5, 31
	s_add_i32 s10, s11, s10
	s_lshr_b32 s13, s14, 27
	s_ashr_i32 s10, s10, 8
	s_add_i32 s5, s5, s13
	s_mul_i32 s13, s10, s16
	v_dual_mov_b32 v7, 0 :: v_dual_and_b32 v0, 31, v6
	s_ashr_i32 s14, s12, 31
	s_ashr_i32 s5, s5, 5
	s_mul_hi_i32 s15, s13, 0xd2
	s_mulk_i32 s13, 0xd2
	v_cmp_lt_u32_e32 vcc_lo, 15, v0
	v_add_nc_u16 v18, v0, -16
	v_lshlrev_b32_e32 v9, 5, v3
	v_lshrrev_b32_e32 v15, 2, v6
	s_waitcnt lgkmcnt(0)
	s_add_u32 s0, s0, s12
	s_addc_u32 s1, s1, s14
	s_add_u32 s18, s0, s13
	s_addc_u32 s19, s1, s15
	s_lshl_b32 s0, s10, 3
	v_cndmask_b32_e64 v17, 0, 1, vcc_lo
	v_mad_i32_i24 v10, s10, v3, s0
	v_cmp_gt_u32_e32 vcc_lo, 16, v0
	v_lshlrev_b32_e32 v4, 3, v3
	v_and_b32_e32 v1, 7, v6
	v_and_b32_e32 v14, 3, v6
	v_dual_cndmask_b32 v21, v18, v0 :: v_dual_add_nc_u32 v12, s0, v10
	v_add_nc_u32_e32 v36, v9, v6
	v_add_nc_u32_e32 v19, v15, v4
	v_lshlrev_b32_e32 v20, 5, v17
	s_delay_alu instid0(VALU_DEP_4)
	v_add_nc_u32_e32 v13, s0, v12
	v_cmp_lt_u16_e32 vcc_lo, 7, v21
	v_lshlrev_b32_e32 v14, 2, v14
	v_and_b32_e32 v22, 0x7f, v36
	v_and_b32_e32 v24, 0x7f, v19
	v_add_nc_u32_e32 v16, s0, v13
	v_lshl_or_b32 v18, v1, 2, v20
	v_cndmask_b32_e64 v1, 0, 1, vcc_lo
	s_abs_i32 s1, s7
	v_and_or_b32 v26, v6, 15, v20
	v_add_nc_u32_e32 v17, s0, v16
	v_mul_i32_i24_e32 v20, s10, v22
	v_lshlrev_b32_e32 v28, 2, v22
	v_mul_i32_i24_e32 v22, s10, v24
	v_lshl_or_b32 v50, v24, 4, v14
	v_xor_b32_e32 v51, 64, v24
	v_lshlrev_b32_e32 v24, 1, v1
	v_cvt_f32_u32_e32 v1, s1
	v_add_nc_u32_e32 v19, s0, v17
	v_lshrrev_b32_e32 v23, 3, v36
	v_add_nc_u16 v4, v15, v4
	s_sub_i32 s12, 0, s1
	v_rcp_iflag_f32_e32 v1, v1
	v_add_nc_u32_e32 v21, s0, v19
	v_and_b32_e32 v27, 12, v23
	v_mul_u32_u24_e32 v2, 0x41, v3
	v_lshrrev_b16 v4, 1, v4
	v_lshl_or_b32 v53, v51, 4, v14
	v_add_nc_u32_e32 v23, s0, v21
	v_add3_u32 v27, v28, v27, 0x8e40
	v_add_lshl_u32 v26, v26, v2, 2
	s_delay_alu instid0(TRANS32_DEP_1) | instskip(NEXT) | instid1(VALU_DEP_4)
	v_dual_mul_f32 v1, 0x4f7ffffe, v1 :: v_dual_and_b32 v4, 60, v4
	v_add_nc_u32_e32 v25, s0, v23
	v_lshrrev_b32_e32 v2, 1, v51
	v_lshlrev_b32_e32 v61, 2, v6
	s_delay_alu instid0(VALU_DEP_4)
	v_add3_u32 v50, v50, v4, 0x8200
	v_cvt_u32_f32_e32 v1, v1
	v_add_nc_u32_e32 v28, s0, v25
	v_and_b32_e32 v2, 60, v2
	s_waitcnt vmcnt(0)
	v_sub_nc_u32_e32 v4, 0, v5
	v_lshlrev_b32_e32 v11, 2, v0
	v_mul_lo_u32 v52, s12, v1
	v_add_nc_u32_e32 v32, s0, v28
	v_mad_i32_i24 v36, 0xffffffe4, v3, v36
	v_max_i32_e32 v4, v5, v4
	v_xor_b32_e32 v64, s7, v5
	v_add_nc_u32_e32 v65, 64, v6
	v_add_nc_u32_e32 v38, s0, v32
	v_lshl_add_u32 v56, v36, 2, 0x9050
	v_mul_hi_u32 v54, v1, v52
	v_add3_u32 v52, v53, v2, 0x8200
	v_and_b32_e32 v2, 28, v61
	v_add_nc_u32_e32 v42, s0, v38
	v_or_b32_e32 v53, v9, v0
	v_ashrrev_i32_e32 v67, 31, v64
	v_add_nc_u32_e32 v66, 0x60, v6
	v_lshrrev_b32_e32 v8, 5, v6
	v_add_nc_u32_e32 v45, s0, v42
	v_add_nc_u32_e32 v54, v1, v54
	v_lshrrev_b32_e32 v60, 3, v65
	v_lshrrev_b32_e32 v57, 3, v6
	;; [unrolled: 1-line block ×3, first 2 shown]
	v_add_nc_u32_e32 v49, s0, v45
	v_add_co_u32 v0, s0, s2, v2
	v_mul_hi_u32 v2, v4, v54
	v_lshl_add_u32 v54, v53, 2, 0x8a40
	v_add_nc_u32_e32 v53, 32, v6
	v_lshrrev_b32_e32 v68, 1, v65
	v_lshrrev_b32_e32 v69, 1, v66
	v_lshlrev_b32_e32 v58, 2, v8
	v_and_b32_e32 v60, 60, v60
	v_lshrrev_b32_e32 v55, 3, v53
	v_mul_lo_u32 v59, v2, s1
	v_lshlrev_b32_e32 v53, 4, v53
	v_and_b32_e32 v62, 60, v62
	v_and_b32_e32 v75, 0xfc, v69
	;; [unrolled: 1-line block ×3, first 2 shown]
	v_lshlrev_b32_e32 v69, 4, v66
	s_movk_i32 s12, 0x80
	v_mul_i32_i24_e32 v15, s10, v3
	v_sub_nc_u32_e32 v4, v4, v59
	v_add3_u32 v59, v61, v36, 0x8e40
	v_add_nc_u32_e32 v36, 1, v2
	v_add_nc_u32_e32 v29, 0x820, v26
	v_add_nc_u32_e32 v30, 0x1040, v26
	v_subrev_nc_u32_e32 v63, s1, v4
	v_cmp_le_u32_e32 vcc_lo, s1, v4
	v_add_nc_u32_e32 v31, 0x1860, v26
	v_add_nc_u32_e32 v33, 0x2080, v26
	;; [unrolled: 1-line block ×3, first 2 shown]
	v_dual_cndmask_b32 v4, v4, v63 :: v_dual_add_nc_u32 v35, 0x30c0, v26
	v_cndmask_b32_e32 v2, v2, v36, vcc_lo
	v_lshlrev_b32_e32 v36, 4, v6
	v_add_nc_u32_e32 v37, 0x38e0, v26
	v_add_nc_u32_e32 v39, 0x4100, v26
	v_cmp_le_u32_e32 vcc_lo, s1, v4
	v_add_nc_u32_e32 v63, 1, v2
	v_lshlrev_b32_e32 v4, 2, v55
	v_lshl_add_u32 v78, v57, 2, v36
	s_movk_i32 s1, 0x104
	v_add_nc_u32_e32 v40, 0x4920, v26
	v_cndmask_b32_e32 v2, v2, v63, vcc_lo
	v_add3_u32 v64, v4, v53, 0x8200
	v_and_b32_e32 v53, 0xfc, v68
	v_add_nc_u32_e32 v41, 0x5140, v26
	v_add_nc_u32_e32 v43, 0x5960, v26
	v_xor_b32_e32 v2, v2, v67
	v_add_nc_u32_e32 v44, 0x6180, v26
	v_add_nc_u32_e32 v46, 0x69a0, v26
	;; [unrolled: 1-line block ×4, first 2 shown]
	v_sub_nc_u32_e32 v2, v2, v67
	v_lshlrev_b32_e32 v67, 4, v65
	v_mul_i32_i24_e32 v51, s10, v51
	v_add_co_ci_u32_e64 v1, null, s3, 0, s0
	s_delay_alu instid0(VALU_DEP_4)
	v_mul_lo_u32 v65, v2, s5
	v_cmp_gt_u32_e64 s0, 4, v6
	v_add3_u32 v58, v58, v61, 0x8e40
	v_add3_u32 v60, v61, v60, 0x8e40
	;; [unrolled: 1-line block ×3, first 2 shown]
	v_add_nc_u32_e32 v62, 0x8200, v78
	v_mul_u32_u24_e32 v63, 0x104, v6
	v_mad_u32_u24 v66, v6, s1, 0x2080
	v_add3_u32 v67, v67, v53, 0x8200
	v_mad_u32_u24 v68, v6, s1, 0x4100
	v_add3_u32 v69, v69, v75, 0x8200
	v_mad_u32_u24 v70, v6, s1, 0x6180
	v_cmp_gt_i32_e64 s1, s4, v2
	v_ashrrev_i32_e32 v71, 31, v65
	v_mad_u32_u24 v72, 0x104, v6, s12
	v_lshl_add_u32 v73, v3, 4, 0x9050
	v_lshl_add_u32 v74, v3, 7, 0x8a40
	v_add3_u32 v75, v36, v75, 0x8808
	v_add3_u32 v76, v36, v53, 0x8608
	;; [unrolled: 1-line block ×3, first 2 shown]
	v_dual_mov_b32 v53, 0 :: v_dual_add_nc_u32 v78, 0x8208, v78
	v_mov_b32_e32 v36, 0
	v_mov_b32_e32 v2, 0
	s_add_u32 s12, s2, 0x90
	s_addc_u32 s13, s3, 0
	s_branch .LBB235_5
.LBB235_4:                              ;   in Loop: Header=BB235_5 Depth=1
	s_add_i32 s17, s17, 1
	s_delay_alu instid0(SALU_CYCLE_1)
	s_cmp_eq_u32 s17, s10
	s_cbranch_scc1 .LBB235_22
.LBB235_5:                              ; =>This Loop Header: Depth=1
                                        ;     Child Loop BB235_12 Depth 2
                                        ;     Child Loop BB235_20 Depth 2
	s_mul_i32 s14, s17, 0xd2
	s_mul_hi_u32 s15, s17, 0xd2
	s_add_u32 s14, s18, s14
	s_addc_u32 s15, s19, s15
	s_delay_alu instid0(SALU_CYCLE_1) | instskip(NEXT) | instid1(VALU_DEP_1)
	v_mad_u64_u32 v[3:4], null, 0xd2, v8, s[14:15]
	v_mad_u64_u32 v[79:80], null, 0xd2, v15, v[3:4]
	;; [unrolled: 1-line block ×5, first 2 shown]
	s_delay_alu instid0(VALU_DEP_4)
	v_add_co_u32 v83, vcc_lo, v79, v11
	v_add_co_ci_u32_e32 v84, vcc_lo, 0, v80, vcc_lo
	v_add_co_u32 v79, vcc_lo, v79, v18
	v_add_co_ci_u32_e32 v80, vcc_lo, 0, v80, vcc_lo
	;; [unrolled: 2-line block ×3, first 2 shown]
	global_load_b32 v83, v[83:84], off
	global_load_b32 v84, v[79:80], off offset:128
	v_add_co_u32 v79, vcc_lo, v81, v18
	v_add_co_ci_u32_e32 v80, vcc_lo, 0, v82, vcc_lo
	v_add_co_u32 v81, vcc_lo, v85, v11
	v_add_co_ci_u32_e32 v82, vcc_lo, 0, v86, vcc_lo
	;; [unrolled: 2-line block ×3, first 2 shown]
	global_load_b32 v90, v[87:88], off
	global_load_b32 v91, v[79:80], off offset:128
	global_load_b32 v88, v[81:82], off
	global_load_b32 v89, v[85:86], off offset:128
	v_mad_u64_u32 v[79:80], null, 0xd2, v16, v[3:4]
	v_add_co_u32 v81, vcc_lo, v92, v11
	v_add_co_ci_u32_e32 v82, vcc_lo, 0, v93, vcc_lo
	v_add_co_u32 v85, vcc_lo, v92, v18
	v_add_co_ci_u32_e32 v86, vcc_lo, 0, v93, vcc_lo
	v_add_co_u32 v92, vcc_lo, v79, v11
	v_mad_u64_u32 v[94:95], null, 0xd2, v17, v[3:4]
	v_add_co_ci_u32_e32 v93, vcc_lo, 0, v80, vcc_lo
	v_add_co_u32 v79, vcc_lo, v79, v18
	v_add_co_ci_u32_e32 v80, vcc_lo, 0, v80, vcc_lo
	global_load_b32 v114, v[81:82], off
	global_load_b32 v115, v[85:86], off offset:128
	global_load_b32 v116, v[92:93], off
	global_load_b32 v117, v[79:80], off offset:128
	v_mad_u64_u32 v[79:80], null, 0xd2, v19, v[3:4]
	v_add_co_u32 v81, vcc_lo, v94, v11
	v_add_co_ci_u32_e32 v82, vcc_lo, 0, v95, vcc_lo
	v_add_co_u32 v85, vcc_lo, v94, v18
	v_add_co_ci_u32_e32 v86, vcc_lo, 0, v95, vcc_lo
	;; [unrolled: 2-line block ×4, first 2 shown]
	global_load_b32 v118, v[81:82], off
	global_load_b32 v119, v[85:86], off offset:128
	global_load_b32 v82, v[92:93], off
	global_load_b32 v120, v[79:80], off offset:128
	v_mad_u64_u32 v[79:80], null, 0xd2, v21, v[3:4]
	v_mad_u64_u32 v[85:86], null, 0xd2, v23, v[3:4]
	;; [unrolled: 1-line block ×4, first 2 shown]
	s_delay_alu instid0(VALU_DEP_4)
	v_add_co_u32 v102, vcc_lo, v79, v11
	v_add_co_ci_u32_e32 v103, vcc_lo, 0, v80, vcc_lo
	v_add_co_u32 v79, vcc_lo, v79, v18
	v_add_co_ci_u32_e32 v80, vcc_lo, 0, v80, vcc_lo
	global_load_b32 v121, v[102:103], off
	global_load_b32 v122, v[79:80], off offset:128
	v_add_co_u32 v104, vcc_lo, v85, v11
	v_add_co_ci_u32_e32 v105, vcc_lo, 0, v86, vcc_lo
	v_add_co_u32 v85, vcc_lo, v85, v18
	v_add_co_ci_u32_e32 v86, vcc_lo, 0, v86, vcc_lo
	;; [unrolled: 2-line block ×3, first 2 shown]
	v_add_co_u32 v92, vcc_lo, v92, v18
	v_mad_u64_u32 v[96:97], null, 0xd2, v32, v[3:4]
	v_add_co_ci_u32_e32 v93, vcc_lo, 0, v93, vcc_lo
	v_add_co_u32 v108, vcc_lo, v94, v11
	v_add_co_ci_u32_e32 v109, vcc_lo, 0, v95, vcc_lo
	v_add_co_u32 v79, vcc_lo, v94, v18
	v_mad_u64_u32 v[98:99], null, 0xd2, v38, v[3:4]
	v_add_co_ci_u32_e32 v80, vcc_lo, 0, v95, vcc_lo
	v_add_co_u32 v102, vcc_lo, v96, v11
	v_add_co_ci_u32_e32 v103, vcc_lo, 0, v97, vcc_lo
	v_add_co_u32 v96, vcc_lo, v96, v18
	v_mad_u64_u32 v[100:101], null, 0xd2, v42, v[3:4]
	v_add_co_ci_u32_e32 v97, vcc_lo, 0, v97, vcc_lo
	v_add_co_u32 v110, vcc_lo, v98, v11
	v_add_co_ci_u32_e32 v111, vcc_lo, 0, v99, vcc_lo
	v_add_co_u32 v98, vcc_lo, v98, v18
	v_add_co_ci_u32_e32 v99, vcc_lo, 0, v99, vcc_lo
	v_add_co_u32 v112, vcc_lo, v100, v11
	v_add_co_ci_u32_e32 v113, vcc_lo, 0, v101, vcc_lo
	;; [unrolled: 2-line block ×3, first 2 shown]
	global_load_b32 v104, v[104:105], off
	global_load_b32 v105, v[85:86], off offset:128
	global_load_b32 v94, v[106:107], off
	global_load_b32 v95, v[92:93], off offset:128
	;; [unrolled: 2-line block ×6, first 2 shown]
	s_waitcnt vmcnt(27)
	v_and_b32_e32 v96, 0xf0f0f0f, v83
	s_waitcnt vmcnt(26)
	v_ashrrev_i32_e32 v84, v24, v84
	v_lshrrev_b32_e32 v83, 4, v83
	s_delay_alu instid0(VALU_DEP_2)
	v_lshlrev_b32_e32 v112, 4, v84
	v_and_b32_e32 v84, 0x30303030, v84
	s_waitcnt vmcnt(25)
	v_and_b32_e32 v97, 0xf0f0f0f, v90
	s_waitcnt vmcnt(24)
	v_ashrrev_i32_e32 v91, v24, v91
	v_lshrrev_b32_e32 v90, 4, v90
	s_waitcnt vmcnt(22)
	v_ashrrev_i32_e32 v89, v24, v89
	v_and_b32_e32 v98, 0xf0f0f0f, v88
	v_lshrrev_b32_e32 v88, 4, v88
	v_lshlrev_b32_e32 v113, 4, v91
	v_and_b32_e32 v91, 0x30303030, v91
	v_and_or_b32 v96, 0x30303030, v112, v96
	v_and_or_b32 v83, 0xf0f0f0f, v83, v84
	s_delay_alu instid0(VALU_DEP_4) | instskip(NEXT) | instid1(VALU_DEP_4)
	v_and_or_b32 v84, 0x30303030, v113, v97
	v_and_or_b32 v90, 0xf0f0f0f, v90, v91
	s_delay_alu instid0(VALU_DEP_1)
	v_lshrrev_b32_e32 v112, 16, v90
	v_and_b32_e32 v113, 0x3f00, v90
	v_lshlrev_b16 v90, 8, v90
	s_waitcnt vmcnt(21)
	v_and_b32_e32 v99, 0xf0f0f0f, v114
	s_waitcnt vmcnt(20)
	v_ashrrev_i32_e32 v101, v24, v115
	v_lshrrev_b32_e32 v100, 4, v114
	s_waitcnt vmcnt(18)
	v_ashrrev_i32_e32 v106, v24, v117
	v_lshlrev_b32_e32 v114, 4, v89
	v_and_b32_e32 v89, 0x30303030, v89
	v_lshlrev_b32_e32 v115, 4, v101
	v_and_b32_e32 v101, 0x30303030, v101
	v_and_b32_e32 v102, 0xf0f0f0f, v116
	v_lshrrev_b32_e32 v103, 4, v116
	v_lshlrev_b32_e32 v116, 4, v106
	v_and_b32_e32 v106, 0x30303030, v106
	v_and_or_b32 v91, 0x30303030, v114, v98
	v_and_or_b32 v88, 0xf0f0f0f, v88, v89
	;; [unrolled: 1-line block ×6, first 2 shown]
	v_lshrrev_b32_e32 v102, 16, v96
	s_waitcnt vmcnt(17)
	v_and_b32_e32 v107, 0xf0f0f0f, v118
	s_waitcnt vmcnt(16)
	v_ashrrev_i32_e32 v109, v24, v119
	v_lshrrev_b32_e32 v108, 4, v118
	v_and_b32_e32 v103, 0x3f00, v96
	v_lshlrev_b16 v96, 8, v96
	v_lshrrev_b32_e32 v106, 16, v83
	v_lshlrev_b32_e32 v117, 4, v109
	v_and_b32_e32 v109, 0x30303030, v109
	v_lshrrev_b32_e32 v114, 16, v91
	v_lshrrev_b32_e32 v116, 16, v88
	;; [unrolled: 1-line block ×3, first 2 shown]
	v_and_or_b32 v100, 0x30303030, v117, v107
	v_and_or_b32 v101, 0xf0f0f0f, v108, v109
	v_and_b32_e32 v107, 0x3f00, v83
	v_lshlrev_b16 v83, 8, v83
	v_lshrrev_b32_e32 v108, 16, v84
	v_and_b32_e32 v109, 0x3f00, v84
	v_lshlrev_b16 v84, 8, v84
	v_lshrrev_b32_e32 v123, 16, v97
	v_and_b32_e32 v115, 0x3f00, v91
	v_lshlrev_b16 v91, 8, v91
	v_lshrrev_b32_e32 v125, 16, v98
	v_lshrrev_b32_e32 v127, 16, v99
	v_add_nc_u16 v96, v96, 0xe000
	v_and_b32_e32 v133, 0x3f00, v102
	v_lshlrev_b16 v102, 8, v102
	v_and_b32_e32 v134, 0x3f00, v106
	v_lshlrev_b16 v106, 8, v106
	v_add_nc_u16 v83, v83, 0xe000
	v_and_b32_e32 v135, 0x3f00, v108
	v_lshlrev_b16 v108, 8, v108
	v_and_b32_e32 v136, 0x3f00, v112
	v_lshlrev_b16 v112, 8, v112
	;; [unrolled: 2-line block ×3, first 2 shown]
	v_add_nc_u16 v84, v84, 0xe000
	v_and_b32_e32 v137, 0x3f00, v114
	v_lshlrev_b16 v114, 8, v114
	v_and_b32_e32 v138, 0x3f00, v116
	v_lshlrev_b16 v116, 8, v116
	s_waitcnt vmcnt(14)
	v_ashrrev_i32_e32 v111, v24, v120
	v_and_b32_e32 v120, 0x3f00, v89
	v_lshlrev_b16 v89, 8, v89
	v_and_b32_e32 v124, 0x3f00, v97
	v_lshlrev_b16 v97, 8, v97
	v_add_nc_u16 v90, v90, 0xe000
	v_and_b32_e32 v139, 0x3f00, v119
	v_lshlrev_b16 v119, 8, v119
	v_and_b32_e32 v140, 0x3f00, v123
	v_lshlrev_b16 v123, 8, v123
	;; [unrolled: 2-line block ×4, first 2 shown]
	v_add_nc_u16 v91, v91, 0xe000
	v_and_b32_e32 v141, 0x3f00, v125
	v_lshlrev_b16 v125, 8, v125
	v_and_b32_e32 v142, 0x3f00, v127
	v_lshlrev_b16 v127, 8, v127
	v_lshrrev_b16 v96, 8, v96
	v_add_nc_u16 v102, v102, 0xe000
	v_add_nc_u16 v106, v106, 0xe000
	v_lshrrev_b16 v83, 8, v83
	v_add_nc_u16 v108, v108, 0xe000
	v_add_nc_u16 v112, v112, 0xe000
	v_add_nc_u16 v88, v88, 0xe000
	v_lshrrev_b16 v84, 8, v84
	v_add_nc_u16 v114, v114, 0xe000
	v_add_nc_u16 v116, v116, 0xe000
	v_add_nc_u16 v89, v89, 0xe000
	v_add_nc_u16 v97, v97, 0xe000
	v_lshrrev_b16 v90, 8, v90
	v_add_nc_u16 v119, v119, 0xe000
	;; [unrolled: 5-line block ×3, first 2 shown]
	v_add_nc_u16 v127, v127, 0xe000
	v_or_b32_e32 v96, v103, v96
	v_lshrrev_b16 v102, 8, v102
	v_lshrrev_b16 v103, 8, v106
	v_or_b32_e32 v83, v107, v83
	v_lshrrev_b16 v106, 8, v108
	v_lshrrev_b16 v107, 8, v112
	v_lshrrev_b16 v88, 8, v88
	v_or_b32_e32 v84, v109, v84
	v_lshrrev_b16 v108, 8, v114
	v_lshrrev_b16 v109, 8, v116
	v_lshrrev_b16 v89, 8, v89
	v_lshrrev_b16 v97, 8, v97
	v_or_b32_e32 v90, v113, v90
	v_lshrrev_b16 v112, 8, v119
	;; [unrolled: 5-line block ×3, first 2 shown]
	v_lshrrev_b16 v115, 8, v127
	v_or_b32_e32 v102, v133, v102
	v_or_b32_e32 v103, v134, v103
	;; [unrolled: 1-line block ×15, first 2 shown]
	v_add_nc_u16 v96, v96, 0xe000
	v_add_nc_u16 v83, v83, 0xe000
	v_add_nc_u16 v102, v102, 0xe000
	v_add_nc_u16 v103, v103, 0xe000
	v_add_nc_u16 v84, v84, 0xe000
	v_add_nc_u16 v90, v90, 0xe000
	v_add_nc_u16 v106, v106, 0xe000
	v_add_nc_u16 v107, v107, 0xe000
	v_add_nc_u16 v91, v91, 0xe000
	v_add_nc_u16 v88, v88, 0xe000
	v_add_nc_u16 v108, v108, 0xe000
	v_add_nc_u16 v109, v109, 0xe000
	v_add_nc_u16 v89, v89, 0xe000
	v_add_nc_u16 v97, v97, 0xe000
	v_add_nc_u16 v112, v112, 0xe000
	v_add_nc_u16 v113, v113, 0xe000
	v_add_nc_u16 v98, v98, 0xe000
	v_add_nc_u16 v99, v99, 0xe000
	v_add_nc_u16 v114, v114, 0xe000
	v_add_nc_u16 v115, v115, 0xe000
	v_and_b32_e32 v96, 0xffff, v96
	v_and_b32_e32 v83, 0xffff, v83
	v_lshlrev_b32_e32 v102, 16, v102
	v_lshlrev_b32_e32 v103, 16, v103
	v_and_b32_e32 v84, 0xffff, v84
	v_and_b32_e32 v90, 0xffff, v90
	v_lshlrev_b32_e32 v106, 16, v106
	v_lshlrev_b32_e32 v107, 16, v107
	;; [unrolled: 4-line block ×5, first 2 shown]
	v_lshrrev_b32_e32 v129, 16, v100
	v_and_b32_e32 v130, 0x3f00, v100
	v_lshlrev_b16 v100, 8, v100
	v_lshrrev_b32_e32 v131, 16, v101
	v_or_b32_e32 v96, v96, v102
	v_or_b32_e32 v83, v83, v103
	;; [unrolled: 1-line block ×10, first 2 shown]
	v_and_b32_e32 v110, 0xf0f0f0f, v82
	v_lshlrev_b32_e32 v118, 4, v111
	v_and_b32_e32 v132, 0x3f00, v101
	v_lshlrev_b16 v101, 8, v101
	v_add_nc_u16 v100, v100, 0xe000
	ds_store_2addr_b32 v26, v96, v83 offset1:16
	ds_store_2addr_b32 v29, v84, v90 offset1:16
	;; [unrolled: 1-line block ×5, first 2 shown]
	v_lshlrev_b16 v83, 8, v131
	v_and_or_b32 v88, 0x30303030, v118, v110
	v_add_nc_u16 v101, v101, 0xe000
	v_lshrrev_b16 v100, 8, v100
	v_lshrrev_b32_e32 v99, 4, v82
	v_add_nc_u16 v83, v83, 0xe000
	v_lshlrev_b16 v89, 8, v88
	v_lshrrev_b16 v101, 8, v101
	v_or_b32_e32 v100, v130, v100
	v_and_b32_e32 v97, 0x3f00, v131
	v_lshrrev_b16 v98, 8, v83
	v_mad_u64_u32 v[82:83], null, 0xd2, v45, v[3:4]
	s_delay_alu instid0(VALU_DEP_4)
	v_add_nc_u16 v100, v100, 0xe000
	v_or_b32_e32 v84, v132, v101
	v_lshrrev_b32_e32 v96, 16, v88
	v_add_nc_u16 v89, v89, 0xe000
	v_and_b32_e32 v101, 0x30303030, v111
	v_and_b32_e32 v143, 0x3f00, v129
	v_lshlrev_b16 v129, 8, v129
	v_or_b32_e32 v97, v97, v98
	v_and_b32_e32 v98, 0x3f00, v88
	v_add_co_u32 v88, vcc_lo, v82, v18
	v_and_b32_e32 v90, 0xffff, v100
	v_lshlrev_b16 v100, 8, v96
	v_lshrrev_b16 v102, 8, v89
	v_and_or_b32 v99, 0xf0f0f0f, v99, v101
	v_add_co_ci_u32_e32 v89, vcc_lo, 0, v83, vcc_lo
	v_add_nc_u16 v129, v129, 0xe000
	v_add_co_u32 v82, vcc_lo, v82, v11
	v_add_nc_u16 v100, v100, 0xe000
	v_add_co_ci_u32_e32 v83, vcc_lo, 0, v83, vcc_lo
	global_load_b32 v101, v[88:89], off offset:128
	v_lshlrev_b16 v88, 8, v99
	v_lshrrev_b16 v116, 8, v129
	v_add_nc_u16 v84, v84, 0xe000
	v_and_b32_e32 v89, 0x3f00, v96
	v_lshrrev_b16 v96, 8, v100
	global_load_b32 v100, v[82:83], off
	v_add_nc_u16 v83, v88, 0xe000
	v_or_b32_e32 v116, v143, v116
	v_and_b32_e32 v82, 0xffff, v84
	v_add_nc_u16 v84, v97, 0xe000
	v_or_b32_e32 v89, v89, v96
	v_and_b32_e32 v96, 0x3f00, v99
	v_lshrrev_b16 v83, 8, v83
	v_add_nc_u16 v116, v116, 0xe000
	v_lshlrev_b32_e32 v84, 16, v84
	s_waitcnt vmcnt(14)
	v_ashrrev_i32_e32 v97, v24, v122
	v_or_b32_e32 v88, v98, v102
	v_or_b32_e32 v83, v96, v83
	v_lshlrev_b32_e32 v91, 16, v116
	v_or_b32_e32 v84, v82, v84
	v_add_nc_u16 v89, v89, 0xe000
	v_add_nc_u16 v88, v88, 0xe000
	;; [unrolled: 1-line block ×3, first 2 shown]
	v_mad_u64_u32 v[82:83], null, 0xd2, v49, v[3:4]
	v_or_b32_e32 v90, v90, v91
	v_lshrrev_b32_e32 v91, 16, v99
	v_and_b32_e32 v99, 0xf0f0f0f, v121
	v_lshlrev_b32_e32 v3, 4, v97
	v_and_b32_e32 v88, 0xffff, v88
	ds_store_2addr_b32 v34, v90, v84 offset1:16
	v_lshlrev_b32_e32 v89, 16, v89
	v_lshlrev_b16 v98, 8, v91
	v_and_or_b32 v90, 0x30303030, v3, v99
	v_add_co_u32 v3, vcc_lo, v82, v18
	v_add_co_ci_u32_e32 v4, vcc_lo, 0, v83, vcc_lo
	v_add_co_u32 v82, vcc_lo, v82, v11
	v_or_b32_e32 v84, v88, v89
	v_and_b32_e32 v88, 0xffff, v96
	v_add_co_ci_u32_e32 v83, vcc_lo, 0, v83, vcc_lo
	global_load_b32 v96, v[3:4], off offset:128
	v_add_nc_u16 v89, v98, 0xe000
	v_lshrrev_b32_e32 v3, 16, v90
	global_load_b32 v98, v[82:83], off
	v_and_b32_e32 v4, 0x3f00, v91
	v_lshlrev_b16 v91, 8, v90
	v_lshrrev_b16 v82, 8, v89
	v_lshlrev_b16 v83, 8, v3
	v_lshrrev_b32_e32 v89, 4, v121
	v_and_b32_e32 v97, 0x30303030, v97
	v_add_nc_u16 v91, v91, 0xe000
	v_or_b32_e32 v4, v4, v82
	v_add_nc_u16 v82, v83, 0xe000
	v_and_b32_e32 v83, 0x3f00, v90
	v_and_or_b32 v89, 0xf0f0f0f, v89, v97
	v_lshrrev_b16 v90, 8, v91
	v_and_b32_e32 v3, 0x3f00, v3
	v_lshrrev_b16 v82, 8, v82
	v_add_nc_u16 v4, v4, 0xe000
	v_lshlrev_b16 v91, 8, v89
	v_or_b32_e32 v83, v83, v90
	v_lshrrev_b32_e32 v90, 16, v89
	v_or_b32_e32 v3, v3, v82
	v_and_b32_e32 v89, 0x3f00, v89
	v_add_nc_u16 v82, v91, 0xe000
	v_add_nc_u16 v83, v83, 0xe000
	v_lshlrev_b16 v91, 8, v90
	v_add_nc_u16 v3, v3, 0xe000
	v_lshlrev_b32_e32 v4, 16, v4
	v_lshrrev_b16 v82, 8, v82
	v_and_b32_e32 v83, 0xffff, v83
	v_add_nc_u16 v91, v91, 0xe000
	v_lshlrev_b32_e32 v3, 16, v3
	s_waitcnt vmcnt(14)
	v_ashrrev_i32_e32 v97, v24, v105
	v_or_b32_e32 v82, v89, v82
	v_and_b32_e32 v89, 0x3f00, v90
	v_lshrrev_b16 v90, 8, v91
	v_or_b32_e32 v102, v88, v4
	v_or_b32_e32 v103, v83, v3
	v_add_nc_u16 v88, v82, 0xe000
	v_mad_u64_u32 v[3:4], null, 0xd2, v20, s[14:15]
	v_add_co_u32 v82, s14, s14, v14
	v_or_b32_e32 v89, v89, v90
	v_add_co_ci_u32_e64 v83, null, s15, 0, s14
	v_and_b32_e32 v91, 0xf0f0f0f, v104
	v_lshlrev_b32_e32 v99, 4, v97
	v_and_b32_e32 v105, 0xffff, v88
	v_add_nc_u16 v106, v89, 0xe000
	v_mad_u64_u32 v[88:89], null, 0xd2, v22, v[82:83]
	s_delay_alu instid0(VALU_DEP_4)
	v_and_or_b32 v99, 0x30303030, v99, v91
	v_mad_u64_u32 v[90:91], null, 0xd2, v51, v[82:83]
	s_clause 0x2
	global_load_u16 v3, v[3:4], off offset:208
	global_load_b32 v88, v[88:89], off offset:192
	global_load_b32 v89, v[90:91], off offset:192
	v_lshlrev_b16 v107, 8, v99
	v_lshlrev_b32_e32 v4, 16, v106
	v_lshrrev_b32_e32 v82, 4, v104
	v_and_b32_e32 v83, 0x30303030, v97
	v_lshrrev_b32_e32 v97, 16, v99
	v_add_nc_u16 v104, v107, 0xe000
	v_or_b32_e32 v4, v105, v4
	v_and_b32_e32 v91, 0x3f00, v99
	v_and_or_b32 v82, 0xf0f0f0f, v82, v83
	v_lshlrev_b16 v90, 8, v97
	v_lshrrev_b16 v83, 8, v104
	ds_store_2addr_b32 v35, v84, v102 offset1:16
	ds_store_2addr_b32 v37, v103, v4 offset1:16
	v_lshrrev_b32_e32 v4, 16, v82
	v_add_nc_u16 v84, v90, 0xe000
	v_or_b32_e32 v83, v91, v83
	v_and_b32_e32 v90, 0x3f00, v97
	v_lshlrev_b16 v91, 8, v82
	v_lshlrev_b16 v97, 8, v4
	v_lshrrev_b16 v84, 8, v84
	s_waitcnt vmcnt(15)
	v_ashrrev_i32_e32 v95, v24, v95
	v_and_b32_e32 v4, 0x3f00, v4
	v_and_b32_e32 v82, 0x3f00, v82
	v_add_nc_u16 v83, v83, 0xe000
	v_or_b32_e32 v84, v90, v84
	v_add_nc_u16 v90, v91, 0xe000
	v_add_nc_u16 v91, v97, 0xe000
	v_and_b32_e32 v97, 0xf0f0f0f, v94
	v_lshlrev_b32_e32 v99, 4, v95
	v_add_nc_u16 v84, v84, 0xe000
	v_lshrrev_b16 v90, 8, v90
	v_lshrrev_b16 v91, 8, v91
	v_lshrrev_b32_e32 v94, 4, v94
	v_and_or_b32 v97, 0x30303030, v99, v97
	v_and_b32_e32 v95, 0x30303030, v95
	v_or_b32_e32 v82, v82, v90
	v_or_b32_e32 v4, v4, v91
	v_and_b32_e32 v83, 0xffff, v83
	v_lshrrev_b32_e32 v91, 16, v97
	v_lshlrev_b16 v90, 8, v97
	v_lshlrev_b32_e32 v84, 16, v84
	v_add_nc_u16 v82, v82, 0xe000
	v_add_nc_u16 v4, v4, 0xe000
	v_lshlrev_b16 v99, 8, v91
	v_add_nc_u16 v90, v90, 0xe000
	v_and_or_b32 v94, 0xf0f0f0f, v94, v95
	v_and_b32_e32 v97, 0x3f00, v97
	v_and_b32_e32 v82, 0xffff, v82
	v_add_nc_u16 v99, v99, 0xe000
	v_lshrrev_b16 v90, 8, v90
	v_lshlrev_b32_e32 v4, 16, v4
	v_and_b32_e32 v91, 0x3f00, v91
	v_or_b32_e32 v83, v83, v84
	v_lshrrev_b16 v95, 8, v99
	v_lshrrev_b32_e32 v84, 16, v94
	v_or_b32_e32 v90, v97, v90
	v_or_b32_e32 v4, v82, v4
	s_waitcnt vmcnt(13)
	v_ashrrev_i32_e32 v93, v24, v93
	v_or_b32_e32 v82, v91, v95
	v_lshlrev_b16 v95, 8, v84
	v_add_nc_u16 v90, v90, 0xe000
	v_lshlrev_b16 v91, 8, v94
	v_and_b32_e32 v97, 0xf0f0f0f, v92
	v_add_nc_u16 v82, v82, 0xe000
	v_add_nc_u16 v95, v95, 0xe000
	v_lshlrev_b32_e32 v99, 4, v93
	v_and_b32_e32 v90, 0xffff, v90
	v_add_nc_u16 v91, v91, 0xe000
	v_and_b32_e32 v84, 0x3f00, v84
	v_lshrrev_b16 v95, 8, v95
	v_and_or_b32 v97, 0x30303030, v99, v97
	v_lshlrev_b32_e32 v82, 16, v82
	v_and_b32_e32 v94, 0x3f00, v94
	v_lshrrev_b16 v91, 8, v91
	ds_store_2addr_b32 v39, v83, v4 offset1:16
	v_or_b32_e32 v83, v84, v95
	v_lshlrev_b16 v84, 8, v97
	v_or_b32_e32 v82, v90, v82
	v_lshrrev_b32_e32 v90, 16, v97
	v_or_b32_e32 v4, v94, v91
	v_lshrrev_b32_e32 v91, 4, v92
	v_add_nc_u16 v84, v84, 0xe000
	v_and_b32_e32 v93, 0x30303030, v93
	v_lshlrev_b16 v92, 8, v90
	v_add_nc_u16 v4, v4, 0xe000
	v_add_nc_u16 v83, v83, 0xe000
	v_and_b32_e32 v94, 0x3f00, v97
	v_lshrrev_b16 v84, 8, v84
	v_add_nc_u16 v92, v92, 0xe000
	v_and_or_b32 v91, 0xf0f0f0f, v91, v93
	v_and_b32_e32 v4, 0xffff, v4
	v_lshlrev_b32_e32 v83, 16, v83
	v_or_b32_e32 v84, v94, v84
	v_and_b32_e32 v90, 0x3f00, v90
	v_lshrrev_b16 v92, 8, v92
	v_lshrrev_b32_e32 v93, 16, v91
	v_or_b32_e32 v4, v4, v83
	v_lshlrev_b16 v83, 8, v91
	v_add_nc_u16 v84, v84, 0xe000
	v_or_b32_e32 v90, v90, v92
	v_lshlrev_b16 v92, 8, v93
	ds_store_2addr_b32 v40, v82, v4 offset1:16
	v_add_nc_u16 v4, v83, 0xe000
	v_and_b32_e32 v82, 0xffff, v84
	s_waitcnt vmcnt(11)
	v_ashrrev_i32_e32 v87, v24, v87
	v_add_nc_u16 v84, v92, 0xe000
	v_add_nc_u16 v83, v90, 0xe000
	v_and_b32_e32 v90, 0x3f00, v91
	v_lshrrev_b16 v4, 8, v4
	v_and_b32_e32 v91, 0x3f00, v93
	v_lshrrev_b16 v84, 8, v84
	v_and_b32_e32 v92, 0xf0f0f0f, v86
	v_lshlrev_b32_e32 v93, 4, v87
	v_lshlrev_b32_e32 v83, 16, v83
	v_or_b32_e32 v4, v90, v4
	v_or_b32_e32 v84, v91, v84
	v_lshrrev_b32_e32 v86, 4, v86
	v_and_b32_e32 v87, 0x30303030, v87
	v_and_or_b32 v90, 0x30303030, v93, v92
	v_or_b32_e32 v82, v82, v83
	v_add_nc_u16 v83, v84, 0xe000
	s_waitcnt vmcnt(9)
	v_ashrrev_i32_e32 v85, v24, v85
	v_and_or_b32 v84, 0xf0f0f0f, v86, v87
	v_lshrrev_b32_e32 v86, 16, v90
	v_lshlrev_b16 v87, 8, v90
	v_and_b32_e32 v90, 0x3f00, v90
	v_add_nc_u16 v4, v4, 0xe000
	v_lshrrev_b32_e32 v91, 16, v84
	v_lshlrev_b16 v92, 8, v86
	v_add_nc_u16 v87, v87, 0xe000
	v_lshlrev_b16 v93, 8, v84
	v_and_b32_e32 v86, 0x3f00, v86
	v_lshlrev_b16 v94, 8, v91
	v_add_nc_u16 v92, v92, 0xe000
	v_lshrrev_b16 v87, 8, v87
	v_add_nc_u16 v93, v93, 0xe000
	v_and_b32_e32 v84, 0x3f00, v84
	v_add_nc_u16 v94, v94, 0xe000
	v_lshrrev_b16 v92, 8, v92
	v_and_b32_e32 v91, 0x3f00, v91
	v_lshrrev_b16 v93, 8, v93
	v_or_b32_e32 v87, v90, v87
	v_lshrrev_b16 v94, 8, v94
	v_or_b32_e32 v86, v86, v92
	v_lshlrev_b32_e32 v92, 4, v85
	v_or_b32_e32 v84, v84, v93
	v_add_nc_u16 v87, v87, 0xe000
	v_or_b32_e32 v90, v91, v94
	v_and_b32_e32 v91, 0xf0f0f0f, v81
	v_add_nc_u16 v86, v86, 0xe000
	v_and_b32_e32 v4, 0xffff, v4
	v_lshlrev_b32_e32 v83, 16, v83
	v_add_nc_u16 v84, v84, 0xe000
	v_add_nc_u16 v90, v90, 0xe000
	v_and_or_b32 v91, 0x30303030, v92, v91
	v_and_b32_e32 v87, 0xffff, v87
	v_lshlrev_b32_e32 v86, 16, v86
	v_and_b32_e32 v84, 0xffff, v84
	v_lshlrev_b32_e32 v90, 16, v90
	v_or_b32_e32 v4, v4, v83
	v_lshrrev_b32_e32 v81, 4, v81
	v_or_b32_e32 v83, v87, v86
	v_lshrrev_b32_e32 v86, 16, v91
	v_and_b32_e32 v85, 0x30303030, v85
	v_lshlrev_b16 v92, 8, v91
	v_or_b32_e32 v84, v84, v90
	ds_store_2addr_b32 v41, v82, v4 offset1:16
	v_lshlrev_b16 v90, 8, v86
	v_and_or_b32 v4, 0xf0f0f0f, v81, v85
	v_add_nc_u16 v87, v92, 0xe000
	ds_store_2addr_b32 v43, v83, v84 offset1:16
	v_and_b32_e32 v91, 0x3f00, v91
	v_add_nc_u16 v81, v90, 0xe000
	v_lshrrev_b32_e32 v84, 16, v4
	v_lshrrev_b16 v87, 8, v87
	v_and_b32_e32 v83, 0x3f00, v86
	v_lshlrev_b16 v85, 8, v4
	v_lshrrev_b16 v81, 8, v81
	s_waitcnt vmcnt(7)
	v_ashrrev_i32_e32 v80, v24, v80
	v_lshlrev_b16 v86, 8, v84
	v_or_b32_e32 v82, v91, v87
	v_and_b32_e32 v4, 0x3f00, v4
	v_or_b32_e32 v81, v83, v81
	v_add_nc_u16 v83, v85, 0xe000
	v_and_b32_e32 v85, 0xf0f0f0f, v79
	v_lshlrev_b32_e32 v87, 4, v80
	v_add_nc_u16 v86, v86, 0xe000
	v_and_b32_e32 v84, 0x3f00, v84
	v_lshrrev_b16 v83, 8, v83
	v_lshrrev_b32_e32 v79, 4, v79
	v_and_or_b32 v85, 0x30303030, v87, v85
	v_lshrrev_b16 v86, 8, v86
	v_and_b32_e32 v80, 0x30303030, v80
	v_or_b32_e32 v4, v4, v83
	v_add_nc_u16 v82, v82, 0xe000
	v_lshrrev_b32_e32 v83, 16, v85
	v_or_b32_e32 v84, v84, v86
	v_lshlrev_b16 v86, 8, v85
	v_add_nc_u16 v4, v4, 0xe000
	v_and_b32_e32 v85, 0x3f00, v85
	v_lshlrev_b16 v87, 8, v83
	v_add_nc_u16 v84, v84, 0xe000
	v_add_nc_u16 v86, v86, 0xe000
	v_and_or_b32 v79, 0xf0f0f0f, v79, v80
	v_add_nc_u16 v81, v81, 0xe000
	v_add_nc_u16 v87, v87, 0xe000
	v_and_b32_e32 v83, 0x3f00, v83
	v_lshrrev_b16 v86, 8, v86
	v_and_b32_e32 v4, 0xffff, v4
	v_lshlrev_b32_e32 v84, 16, v84
	v_lshrrev_b16 v80, 8, v87
	v_and_b32_e32 v82, 0xffff, v82
	v_or_b32_e32 v85, v85, v86
	v_lshlrev_b16 v86, 8, v79
	v_lshlrev_b32_e32 v81, 16, v81
	v_or_b32_e32 v80, v83, v80
	v_or_b32_e32 v4, v4, v84
	s_waitcnt vmcnt(6)
	v_ashrrev_i32_e32 v84, v24, v101
	v_add_nc_u16 v83, v86, 0xe000
	v_or_b32_e32 v81, v82, v81
	v_add_nc_u16 v82, v85, 0xe000
	v_add_nc_u16 v80, v80, 0xe000
	v_lshrrev_b32_e32 v85, 16, v79
	v_and_b32_e32 v79, 0x3f00, v79
	v_lshrrev_b16 v83, 8, v83
	s_waitcnt vmcnt(5)
	v_and_b32_e32 v86, 0xf0f0f0f, v100
	v_lshlrev_b32_e32 v87, 4, v84
	v_and_b32_e32 v82, 0xffff, v82
	v_lshlrev_b32_e32 v80, 16, v80
	v_or_b32_e32 v79, v79, v83
	v_lshlrev_b16 v83, 8, v85
	v_and_or_b32 v86, 0x30303030, v87, v86
	ds_store_2addr_b32 v44, v81, v4 offset1:16
	v_or_b32_e32 v4, v82, v80
	v_lshrrev_b32_e32 v82, 4, v100
	v_add_nc_u16 v80, v83, 0xe000
	v_lshlrev_b16 v81, 8, v86
	v_and_b32_e32 v83, 0x30303030, v84
	v_and_b32_e32 v84, 0x3f00, v85
	v_lshrrev_b32_e32 v85, 16, v86
	v_lshrrev_b16 v80, 8, v80
	v_add_nc_u16 v81, v81, 0xe000
	v_and_or_b32 v82, 0xf0f0f0f, v82, v83
	v_and_b32_e32 v83, 0x3f00, v86
	v_lshlrev_b16 v86, 8, v85
	v_or_b32_e32 v80, v84, v80
	v_lshrrev_b16 v81, 8, v81
	v_lshlrev_b16 v84, 8, v82
	v_add_nc_u16 v79, v79, 0xe000
	v_add_nc_u16 v86, v86, 0xe000
	;; [unrolled: 1-line block ×3, first 2 shown]
	v_or_b32_e32 v81, v83, v81
	v_add_nc_u16 v83, v84, 0xe000
	v_and_b32_e32 v84, 0x3f00, v85
	v_lshrrev_b16 v85, 8, v86
	v_and_b32_e32 v86, 0x3f00, v82
	v_lshrrev_b32_e32 v82, 16, v82
	v_lshrrev_b16 v83, 8, v83
	v_add_nc_u16 v81, v81, 0xe000
	v_or_b32_e32 v84, v84, v85
	s_waitcnt vmcnt(4)
	v_ashrrev_i32_e32 v85, v24, v96
	s_waitcnt vmcnt(3)
	v_lshrrev_b32_e32 v91, 4, v98
	v_or_b32_e32 v83, v86, v83
	v_and_b32_e32 v86, 0xf0f0f0f, v98
	v_lshlrev_b16 v90, 8, v82
	v_lshlrev_b32_e32 v87, 4, v85
	v_and_b32_e32 v85, 0x30303030, v85
	v_and_b32_e32 v82, 0x3f00, v82
	v_add_nc_u16 v84, v84, 0xe000
	v_add_nc_u16 v83, v83, 0xe000
	v_and_or_b32 v86, 0x30303030, v87, v86
	v_and_or_b32 v85, 0xf0f0f0f, v91, v85
	v_add_nc_u16 v87, v90, 0xe000
	v_and_b32_e32 v79, 0xffff, v79
	v_lshlrev_b32_e32 v80, 16, v80
	v_lshrrev_b32_e32 v90, 16, v86
	v_lshrrev_b32_e32 v92, 16, v85
	v_lshlrev_b16 v91, 8, v86
	v_lshlrev_b16 v94, 8, v85
	v_lshrrev_b16 v87, 8, v87
	v_lshlrev_b16 v93, 8, v90
	v_lshlrev_b16 v95, 8, v92
	v_add_nc_u16 v91, v91, 0xe000
	v_add_nc_u16 v94, v94, 0xe000
	v_and_b32_e32 v86, 0x3f00, v86
	v_add_nc_u16 v93, v93, 0xe000
	v_add_nc_u16 v95, v95, 0xe000
	v_lshrrev_b16 v91, 8, v91
	v_and_b32_e32 v90, 0x3f00, v90
	v_and_b32_e32 v85, 0x3f00, v85
	v_lshrrev_b16 v93, 8, v93
	v_lshrrev_b16 v94, 8, v94
	v_and_b32_e32 v92, 0x3f00, v92
	v_lshrrev_b16 v95, 8, v95
	v_or_b32_e32 v82, v82, v87
	v_or_b32_e32 v86, v86, v91
	;; [unrolled: 1-line block ×5, first 2 shown]
	v_add_nc_u16 v82, v82, 0xe000
	v_add_nc_u16 v86, v86, 0xe000
	;; [unrolled: 1-line block ×5, first 2 shown]
	v_and_b32_e32 v81, 0xffff, v81
	v_lshlrev_b32_e32 v84, 16, v84
	v_and_b32_e32 v83, 0xffff, v83
	v_lshlrev_b32_e32 v82, 16, v82
	;; [unrolled: 2-line block ×4, first 2 shown]
	v_or_b32_e32 v79, v79, v80
	v_or_b32_e32 v80, v81, v84
	;; [unrolled: 1-line block ×5, first 2 shown]
	s_waitcnt vmcnt(2)
	v_cvt_f32_f16_e32 v3, v3
	s_lshl_b32 s15, s17, 8
	ds_store_2addr_b32 v46, v4, v79 offset1:16
	s_cmp_lt_i32 s15, s11
	ds_store_2addr_b32 v47, v80, v81 offset1:16
	ds_store_2addr_b32 v48, v82, v83 offset1:16
	ds_store_b32 v27, v3
	s_waitcnt vmcnt(1)
	ds_store_b32 v50, v88
	s_waitcnt vmcnt(0)
	ds_store_b32 v52, v89
	s_cbranch_scc0 .LBB235_4
; %bb.6:                                ;   in Loop: Header=BB235_5 Depth=1
	s_lshl_b32 s14, s17, 3
	s_delay_alu instid0(SALU_CYCLE_1) | instskip(NEXT) | instid1(VALU_DEP_1)
	v_add_nc_u32_e32 v3, s14, v57
	v_cmp_gt_i32_e32 vcc_lo, s5, v3
	s_and_b32 s21, s1, vcc_lo
	s_delay_alu instid0(SALU_CYCLE_1)
	s_and_saveexec_b32 s20, s21
	s_cbranch_execz .LBB235_8
; %bb.7:                                ;   in Loop: Header=BB235_5 Depth=1
	v_add_nc_u32_e32 v79, v65, v3
	s_delay_alu instid0(VALU_DEP_1)
	v_mad_i64_i32 v[3:4], null, v79, 36, v[0:1]
	global_load_b32 v3, v[3:4], off offset:4
	s_waitcnt vmcnt(0)
	ds_store_b32 v54, v3
.LBB235_8:                              ;   in Loop: Header=BB235_5 Depth=1
	s_or_b32 exec_lo, exec_lo, s20
	s_and_saveexec_b32 s20, s0
	s_cbranch_execz .LBB235_11
; %bb.9:                                ;   in Loop: Header=BB235_5 Depth=1
	v_or_b32_e32 v3, s14, v6
	s_delay_alu instid0(VALU_DEP_1) | instskip(SKIP_1) | instid1(SALU_CYCLE_1)
	v_cmp_gt_i32_e32 vcc_lo, s5, v3
	s_and_b32 s21, s1, vcc_lo
	s_and_b32 exec_lo, exec_lo, s21
	s_cbranch_execz .LBB235_11
; %bb.10:                               ;   in Loop: Header=BB235_5 Depth=1
	v_add_nc_u32_e32 v79, v65, v3
	s_delay_alu instid0(VALU_DEP_1)
	v_mad_i64_i32 v[3:4], null, v79, 36, s[2:3]
	global_load_b32 v3, v[3:4], off
	s_waitcnt vmcnt(0)
	v_cvt_f32_f16_e32 v3, v3
	ds_store_b32 v56, v3
.LBB235_11:                             ;   in Loop: Header=BB235_5 Depth=1
	s_or_b32 exec_lo, exec_lo, s20
	s_waitcnt lgkmcnt(0)
	s_barrier
	buffer_gl0_inv
	ds_load_b32 v3, v58
	ds_load_b32 v4, v59 offset:128
	ds_load_b32 v79, v60 offset:256
	;; [unrolled: 1-line block ×3, first 2 shown]
	s_mov_b32 s21, 0
	s_mov_b32 s20, -1
.LBB235_12:                             ;   Parent Loop BB235_5 Depth=1
                                        ; =>  This Inner Loop Header: Depth=2
	v_lshl_or_b32 v81, s21, 1, v9
	s_lshr_b32 s22, s21, 1
	s_lshl_b32 s21, s21, 3
	v_add_nc_u32_e32 v93, s22, v62
	v_add_nc_u32_e32 v82, s21, v63
	;; [unrolled: 1-line block ×8, first 2 shown]
	v_lshlrev_b32_e32 v94, 2, v81
	v_lshrrev_b32_e32 v161, 1, v81
	ds_load_2addr_b32 v[97:98], v82 offset0:10 offset1:11
	ds_load_2addr_b32 v[99:100], v82 offset0:8 offset1:9
	;; [unrolled: 1-line block ×5, first 2 shown]
	ds_load_2addr_b32 v[107:108], v82 offset1:1
	ds_load_2addr_b32 v[109:110], v84 offset1:1
	ds_load_b32 v163, v83
	ds_load_2addr_b32 v[111:112], v82 offset0:14 offset1:15
	ds_load_2addr_b32 v[113:114], v82 offset0:12 offset1:13
	;; [unrolled: 1-line block ×6, first 2 shown]
	ds_load_b32 v164, v85
	ds_load_2addr_b32 v[123:124], v84 offset0:14 offset1:15
	ds_load_2addr_b32 v[125:126], v84 offset0:12 offset1:13
	;; [unrolled: 1-line block ×6, first 2 shown]
	ds_load_2addr_b32 v[135:136], v86 offset1:1
	ds_load_2addr_b32 v[137:138], v86 offset0:14 offset1:15
	ds_load_2addr_b32 v[139:140], v86 offset0:12 offset1:13
	;; [unrolled: 1-line block ×7, first 2 shown]
	ds_load_2addr_b32 v[151:152], v88 offset1:1
	ds_load_b32 v165, v87
	ds_load_2addr_b32 v[153:154], v88 offset0:14 offset1:15
	ds_load_2addr_b32 v[155:156], v88 offset0:12 offset1:13
	;; [unrolled: 1-line block ×4, first 2 shown]
	ds_load_b128 v[81:84], v94 offset:35440
	ds_load_b128 v[85:88], v94 offset:35424
	;; [unrolled: 1-line block ×3, first 2 shown]
	ds_load_b32 v166, v93
	ds_load_b128 v[93:96], v94 offset:35392
	ds_load_b64 v[161:162], v161 offset:36944
	s_waitcnt lgkmcnt(33)
	v_bfe_i32 v167, v163, 8, 8
	v_bfe_i32 v168, v163, 0, 8
	;; [unrolled: 1-line block ×3, first 2 shown]
	v_ashrrev_i32_e32 v163, 24, v163
	s_waitcnt lgkmcnt(26)
	v_bfe_i32 v170, v164, 8, 8
	v_bfe_i32 v171, v164, 0, 8
	;; [unrolled: 1-line block ×3, first 2 shown]
	v_ashrrev_i32_e32 v164, 24, v164
	s_mov_b32 s21, 8
	s_waitcnt lgkmcnt(10)
	v_bfe_i32 v173, v165, 8, 8
	v_bfe_i32 v174, v165, 0, 8
	;; [unrolled: 1-line block ×3, first 2 shown]
	v_ashrrev_i32_e32 v165, 24, v165
	s_and_b32 vcc_lo, exec_lo, s20
	s_waitcnt lgkmcnt(5)
	v_dot4_i32_iu8 v111, v111, v83, 0 neg_lo:[1,1,0]
	s_waitcnt lgkmcnt(4)
	v_dot4_i32_iu8 v97, v97, v87, 0 neg_lo:[1,1,0]
	s_waitcnt lgkmcnt(3)
	v_dot4_i32_iu8 v101, v101, v91, 0 neg_lo:[1,1,0]
	v_dot4_i32_iu8 v123, v123, v83, 0 neg_lo:[1,1,0]
	s_waitcnt lgkmcnt(1)
	v_dot4_i32_iu8 v105, v105, v95, 0 neg_lo:[1,1,0]
	v_dot4_i32_iu8 v117, v117, v91, 0 neg_lo:[1,1,0]
	;; [unrolled: 1-line block ×40, first 2 shown]
	v_bfe_i32 v176, v166, 8, 8
	v_bfe_i32 v177, v166, 0, 8
	;; [unrolled: 1-line block ×3, first 2 shown]
	v_ashrrev_i32_e32 v166, 24, v166
	v_dot4_i32_iu8 v95, v108, v94, v101 neg_lo:[1,1,0]
	v_dot4_i32_iu8 v101, v110, v94, v109 neg_lo:[1,1,0]
	;; [unrolled: 1-line block ×18, first 2 shown]
	v_mul_lo_u32 v81, v87, v176
	v_mul_lo_u32 v82, v86, v166
	;; [unrolled: 1-line block ×4, first 2 shown]
	v_dot4_i32_iu8 v92, v150, v96, v85 neg_lo:[1,1,0]
	v_mul_lo_u32 v85, v99, v170
	v_mul_lo_u32 v86, v97, v164
	;; [unrolled: 1-line block ×4, first 2 shown]
	v_dot4_i32_iu8 v100, v134, v96, v107 neg_lo:[1,1,0]
	v_mad_u64_u32 v[89:90], null, v91, v177, v[81:82]
	v_mad_u64_u32 v[90:91], null, v94, v178, v[82:83]
	;; [unrolled: 1-line block ×8, first 2 shown]
	v_cvt_f32_i32_e32 v87, v89
	v_cvt_f32_i32_e32 v81, v81
	;; [unrolled: 1-line block ×8, first 2 shown]
	s_waitcnt lgkmcnt(0)
	v_fma_f32 v87, v161, v87, 0
	v_fma_f32 v81, v161, v81, 0
	;; [unrolled: 1-line block ×4, first 2 shown]
	s_mov_b32 s20, 0
	v_fmac_f32_e32 v87, v162, v88
	v_fmac_f32_e32 v81, v162, v82
	v_fmac_f32_e32 v83, v162, v84
	v_fmac_f32_e32 v85, v162, v86
	s_delay_alu instid0(VALU_DEP_4) | instskip(NEXT) | instid1(VALU_DEP_3)
	v_fmac_f32_e32 v7, v3, v87
	v_dual_fmac_f32 v53, v4, v81 :: v_dual_fmac_f32 v36, v79, v83
	s_delay_alu instid0(VALU_DEP_3)
	v_fmac_f32_e32 v2, v80, v85
	s_cbranch_vccnz .LBB235_12
; %bb.13:                               ;   in Loop: Header=BB235_5 Depth=1
	s_bitset1_b32 s15, 7
	s_delay_alu instid0(SALU_CYCLE_1)
	s_cmp_ge_i32 s15, s11
	s_barrier
	buffer_gl0_inv
	s_cbranch_scc1 .LBB235_4
; %bb.14:                               ;   in Loop: Header=BB235_5 Depth=1
	v_add_nc_u32_e32 v3, s14, v55
	s_delay_alu instid0(VALU_DEP_1) | instskip(SKIP_1) | instid1(SALU_CYCLE_1)
	v_cmp_gt_i32_e32 vcc_lo, s5, v3
	s_and_b32 s20, s1, vcc_lo
	s_and_saveexec_b32 s15, s20
	s_cbranch_execz .LBB235_16
; %bb.15:                               ;   in Loop: Header=BB235_5 Depth=1
	v_add_nc_u32_e32 v79, v65, v3
	s_delay_alu instid0(VALU_DEP_1)
	v_mad_i64_i32 v[3:4], null, v79, 36, v[0:1]
	global_load_b32 v3, v[3:4], off offset:4
	s_waitcnt vmcnt(0)
	ds_store_b32 v54, v3
.LBB235_16:                             ;   in Loop: Header=BB235_5 Depth=1
	s_or_b32 exec_lo, exec_lo, s15
	s_and_saveexec_b32 s15, s0
	s_cbranch_execz .LBB235_19
; %bb.17:                               ;   in Loop: Header=BB235_5 Depth=1
	v_or_b32_e32 v3, s14, v6
	s_delay_alu instid0(VALU_DEP_1) | instskip(NEXT) | instid1(VALU_DEP_1)
	v_or_b32_e32 v4, 4, v3
	v_cmp_gt_i32_e32 vcc_lo, s5, v4
	s_and_b32 s14, s1, vcc_lo
	s_delay_alu instid0(SALU_CYCLE_1)
	s_and_b32 exec_lo, exec_lo, s14
	s_cbranch_execz .LBB235_19
; %bb.18:                               ;   in Loop: Header=BB235_5 Depth=1
	v_ashrrev_i32_e32 v4, 31, v3
	v_add_co_u32 v79, vcc_lo, v65, v3
	s_delay_alu instid0(VALU_DEP_2) | instskip(NEXT) | instid1(VALU_DEP_2)
	v_add_co_ci_u32_e32 v80, vcc_lo, v71, v4, vcc_lo
	v_mad_u64_u32 v[3:4], null, v79, 36, s[12:13]
	s_delay_alu instid0(VALU_DEP_1)
	v_mad_i32_i24 v4, v80, 36, v4
	global_load_b32 v3, v[3:4], off
	s_waitcnt vmcnt(0)
	v_cvt_f32_f16_e32 v3, v3
	ds_store_b32 v56, v3
.LBB235_19:                             ;   in Loop: Header=BB235_5 Depth=1
	s_or_b32 exec_lo, exec_lo, s15
	s_waitcnt lgkmcnt(0)
	s_barrier
	buffer_gl0_inv
	ds_load_b32 v3, v58
	ds_load_b32 v4, v59 offset:128
	ds_load_b32 v79, v60 offset:256
	;; [unrolled: 1-line block ×3, first 2 shown]
	v_dual_mov_b32 v81, v78 :: v_dual_mov_b32 v82, v77
	v_dual_mov_b32 v83, v76 :: v_dual_mov_b32 v84, v75
	;; [unrolled: 1-line block ×3, first 2 shown]
	v_mov_b32_e32 v87, v72
	s_mov_b32 s14, 8
.LBB235_20:                             ;   Parent Loop BB235_5 Depth=1
                                        ; =>  This Inner Loop Header: Depth=2
	ds_load_b128 v[88:91], v85
	ds_load_b128 v[92:95], v85 offset:16
	ds_load_b128 v[96:99], v85 offset:32
	;; [unrolled: 1-line block ×3, first 2 shown]
	ds_load_b64 v[104:105], v86
	ds_load_2addr_b32 v[106:107], v87 offset0:6 offset1:7
	ds_load_2addr_b32 v[108:109], v87 offset0:4 offset1:5
	;; [unrolled: 1-line block ×3, first 2 shown]
	ds_load_2addr_b32 v[112:113], v87 offset1:1
	ds_load_2addr_b32 v[114:115], v87 offset0:14 offset1:15
	ds_load_2addr_b32 v[116:117], v87 offset0:12 offset1:13
	;; [unrolled: 1-line block ×4, first 2 shown]
	v_add_nc_u32_e32 v122, 0x2090, v87
	v_add_nc_u32_e32 v124, 0x2088, v87
	;; [unrolled: 1-line block ×24, first 2 shown]
	ds_load_b32 v170, v81
	ds_load_b32 v171, v82
	ds_load_b32 v172, v83
	ds_load_b32 v173, v84
	ds_load_2addr_b32 v[122:123], v122 offset1:1
	ds_load_2addr_b32 v[124:125], v124 offset1:1
	;; [unrolled: 1-line block ×24, first 2 shown]
	s_waitcnt lgkmcnt(31)
	v_dot4_i32_iu8 v114, v114, v102, 0 neg_lo:[1,1,0]
	s_waitcnt lgkmcnt(29)
	v_dot4_i32_iu8 v118, v118, v98, 0 neg_lo:[1,1,0]
	v_dot4_i32_iu8 v106, v106, v94, 0 neg_lo:[1,1,0]
	;; [unrolled: 1-line block ×3, first 2 shown]
	v_add_nc_u32_e32 v86, 8, v86
	v_dot4_i32_iu8 v114, v116, v100, v114 neg_lo:[1,1,0]
	s_waitcnt lgkmcnt(28)
	v_dot4_i32_iu8 v116, v120, v96, v118 neg_lo:[1,1,0]
	v_dot4_i32_iu8 v106, v108, v92, v106 neg_lo:[1,1,0]
	;; [unrolled: 1-line block ×3, first 2 shown]
	s_waitcnt lgkmcnt(19)
	v_dot4_i32_iu8 v110, v130, v102, 0 neg_lo:[1,1,0]
	s_waitcnt lgkmcnt(17)
	v_dot4_i32_iu8 v112, v134, v98, 0 neg_lo:[1,1,0]
	v_dot4_i32_iu8 v118, v126, v94, 0 neg_lo:[1,1,0]
	;; [unrolled: 1-line block ×3, first 2 shown]
	s_waitcnt lgkmcnt(13)
	v_dot4_i32_iu8 v130, v142, v94, 0 neg_lo:[1,1,0]
	s_waitcnt lgkmcnt(11)
	v_dot4_i32_iu8 v124, v146, v102, 0 neg_lo:[1,1,0]
	;; [unrolled: 2-line block ×4, first 2 shown]
	v_dot4_i32_iu8 v126, v150, v98, 0 neg_lo:[1,1,0]
	v_dot4_i32_iu8 v134, v140, v90, 0 neg_lo:[1,1,0]
	s_waitcnt lgkmcnt(1)
	v_dot4_i32_iu8 v98, v166, v98, 0 neg_lo:[1,1,0]
	v_dot4_i32_iu8 v90, v156, v90, 0 neg_lo:[1,1,0]
	;; [unrolled: 1-line block ×13, first 2 shown]
	v_bfe_i32 v174, v170, 8, 8
	v_bfe_i32 v175, v170, 0, 8
	;; [unrolled: 1-line block ×3, first 2 shown]
	v_ashrrev_i32_e32 v170, 24, v170
	v_dot4_i32_iu8 v116, v121, v97, v116 neg_lo:[1,1,0]
	v_dot4_i32_iu8 v118, v152, v96, v126 neg_lo:[1,1,0]
	;; [unrolled: 1-line block ×3, first 2 shown]
	s_waitcnt lgkmcnt(0)
	v_dot4_i32_iu8 v96, v168, v96, v98 neg_lo:[1,1,0]
	v_dot4_i32_iu8 v88, v160, v88, v90 neg_lo:[1,1,0]
	;; [unrolled: 1-line block ×12, first 2 shown]
	v_bfe_i32 v177, v171, 8, 8
	v_bfe_i32 v178, v171, 0, 8
	;; [unrolled: 1-line block ×3, first 2 shown]
	v_ashrrev_i32_e32 v171, 24, v171
	v_dot4_i32_iu8 v109, v129, v89, v113 neg_lo:[1,1,0]
	v_dot4_i32_iu8 v113, v145, v89, v121 neg_lo:[1,1,0]
	;; [unrolled: 1-line block ×3, first 2 shown]
	v_mul_lo_u32 v88, v94, v174
	v_mul_lo_u32 v89, v90, v170
	v_dot4_i32_iu8 v94, v131, v103, v106 neg_lo:[1,1,0]
	v_dot4_i32_iu8 v90, v127, v95, v108 neg_lo:[1,1,0]
	v_bfe_i32 v180, v172, 8, 8
	v_dot4_i32_iu8 v108, v143, v95, v112 neg_lo:[1,1,0]
	v_bfe_i32 v181, v172, 0, 8
	v_bfe_i32 v182, v172, 16, 8
	v_ashrrev_i32_e32 v172, 24, v172
	v_dot4_i32_iu8 v111, v153, v97, v118 neg_lo:[1,1,0]
	v_dot4_i32_iu8 v96, v169, v97, v96 neg_lo:[1,1,0]
	;; [unrolled: 1-line block ×3, first 2 shown]
	v_bfe_i32 v183, v173, 8, 8
	v_dot4_i32_iu8 v95, v159, v95, v92 neg_lo:[1,1,0]
	v_bfe_i32 v184, v173, 0, 8
	v_bfe_i32 v185, v173, 16, 8
	v_ashrrev_i32_e32 v173, 24, v173
	v_dot4_i32_iu8 v100, v163, v103, v100 neg_lo:[1,1,0]
	v_dot4_i32_iu8 v106, v125, v91, v109 neg_lo:[1,1,0]
	;; [unrolled: 1-line block ×4, first 2 shown]
	v_mul_lo_u32 v90, v90, v177
	v_mul_lo_u32 v91, v94, v171
	;; [unrolled: 1-line block ×4, first 2 shown]
	v_dot4_i32_iu8 v102, v119, v99, v116 neg_lo:[1,1,0]
	v_mul_lo_u32 v94, v95, v183
	v_dot4_i32_iu8 v101, v135, v99, v107 neg_lo:[1,1,0]
	v_mul_lo_u32 v95, v100, v173
	v_dot4_i32_iu8 v107, v151, v99, v111 neg_lo:[1,1,0]
	v_dot4_i32_iu8 v99, v167, v99, v96 neg_lo:[1,1,0]
	v_mad_u64_u32 v[96:97], null, v98, v175, v[88:89]
	v_mad_u64_u32 v[97:98], null, v102, v176, v[89:90]
	;; [unrolled: 1-line block ×8, first 2 shown]
	v_cvt_f32_i32_e32 v94, v96
	v_cvt_f32_i32_e32 v88, v88
	;; [unrolled: 1-line block ×5, first 2 shown]
	v_fma_f32 v94, v104, v94, 0
	v_cvt_f32_i32_e32 v89, v89
	v_cvt_f32_i32_e32 v91, v91
	;; [unrolled: 1-line block ×3, first 2 shown]
	v_fma_f32 v88, v104, v88, 0
	v_fma_f32 v90, v104, v90, 0
	;; [unrolled: 1-line block ×3, first 2 shown]
	v_add_nc_u32_e32 v87, 64, v87
	v_dual_fmac_f32 v94, v105, v95 :: v_dual_add_nc_u32 v85, 64, v85
	s_delay_alu instid0(VALU_DEP_3)
	v_dual_fmac_f32 v92, v105, v93 :: v_dual_add_nc_u32 v83, 4, v83
	v_fmac_f32_e32 v88, v105, v89
	v_dual_fmac_f32 v90, v105, v91 :: v_dual_add_nc_u32 v81, 4, v81
	v_add_nc_u32_e32 v84, 4, v84
	v_add_nc_u32_e32 v82, 4, v82
	v_fmac_f32_e32 v7, v3, v94
	s_delay_alu instid0(VALU_DEP_4) | instskip(SKIP_2) | instid1(SALU_CYCLE_1)
	v_dual_fmac_f32 v53, v4, v88 :: v_dual_fmac_f32 v36, v79, v90
	v_fmac_f32_e32 v2, v80, v92
	s_add_i32 s14, s14, 8
	s_cmp_lt_u32 s14, 24
	s_cbranch_scc1 .LBB235_20
; %bb.21:                               ;   in Loop: Header=BB235_5 Depth=1
	s_barrier
	buffer_gl0_inv
	s_branch .LBB235_4
.LBB235_22:
	s_mul_i32 s0, s7, s4
	s_waitcnt vmcnt(0)
	v_cmp_gt_i32_e32 vcc_lo, s0, v5
	s_and_saveexec_b32 s0, vcc_lo
	s_cbranch_execz .LBB235_31
; %bb.23:
	v_mul_lo_u32 v0, v5, s6
	v_add_nc_u32_e32 v1, s16, v6
	s_mov_b32 s0, exec_lo
	s_delay_alu instid0(VALU_DEP_1)
	v_cmpx_gt_u32_e64 s6, v1
	s_cbranch_execz .LBB235_25
; %bb.24:
	v_bfe_u32 v4, v7, 16, 1
	s_delay_alu instid0(VALU_DEP_4) | instskip(SKIP_1) | instid1(VALU_DEP_3)
	v_add_nc_u32_e32 v3, v0, v1
	v_cmp_o_f32_e32 vcc_lo, v7, v7
	v_add3_u32 v5, v7, v4, 0x7fff
	v_mov_b32_e32 v4, 0
	s_delay_alu instid0(VALU_DEP_2) | instskip(NEXT) | instid1(VALU_DEP_2)
	v_lshrrev_b32_e32 v5, 16, v5
	v_lshlrev_b64 v[3:4], 1, v[3:4]
	s_delay_alu instid0(VALU_DEP_2) | instskip(NEXT) | instid1(VALU_DEP_2)
	v_cndmask_b32_e32 v5, 0x7fc0, v5, vcc_lo
	v_add_co_u32 v3, vcc_lo, s8, v3
	s_delay_alu instid0(VALU_DEP_3)
	v_add_co_ci_u32_e32 v4, vcc_lo, s9, v4, vcc_lo
	global_store_b16 v[3:4], v5, off
.LBB235_25:
	s_or_b32 exec_lo, exec_lo, s0
	v_add_nc_u32_e32 v3, 32, v1
	s_mov_b32 s0, exec_lo
	s_delay_alu instid0(VALU_DEP_1)
	v_cmpx_gt_u32_e64 s6, v3
	s_cbranch_execz .LBB235_27
; %bb.26:
	v_bfe_u32 v4, v53, 16, 1
	v_add_nc_u32_e32 v3, v0, v3
	v_cmp_o_f32_e32 vcc_lo, v53, v53
	s_delay_alu instid0(VALU_DEP_3) | instskip(SKIP_1) | instid1(VALU_DEP_2)
	v_add3_u32 v5, v53, v4, 0x7fff
	v_mov_b32_e32 v4, 0
	v_lshrrev_b32_e32 v5, 16, v5
	s_delay_alu instid0(VALU_DEP_2) | instskip(NEXT) | instid1(VALU_DEP_2)
	v_lshlrev_b64 v[3:4], 1, v[3:4]
	v_cndmask_b32_e32 v5, 0x7fc0, v5, vcc_lo
	s_delay_alu instid0(VALU_DEP_2) | instskip(NEXT) | instid1(VALU_DEP_3)
	v_add_co_u32 v3, vcc_lo, s8, v3
	v_add_co_ci_u32_e32 v4, vcc_lo, s9, v4, vcc_lo
	global_store_b16 v[3:4], v5, off
.LBB235_27:
	s_or_b32 exec_lo, exec_lo, s0
	v_add_nc_u32_e32 v3, 64, v1
	s_mov_b32 s0, exec_lo
	s_delay_alu instid0(VALU_DEP_1)
	v_cmpx_gt_u32_e64 s6, v3
	s_cbranch_execz .LBB235_29
; %bb.28:
	v_bfe_u32 v4, v36, 16, 1
	v_add_nc_u32_e32 v3, v0, v3
	v_cmp_o_f32_e32 vcc_lo, v36, v36
	s_delay_alu instid0(VALU_DEP_3) | instskip(SKIP_1) | instid1(VALU_DEP_2)
	v_add3_u32 v5, v36, v4, 0x7fff
	v_mov_b32_e32 v4, 0
	v_lshrrev_b32_e32 v5, 16, v5
	s_delay_alu instid0(VALU_DEP_2) | instskip(NEXT) | instid1(VALU_DEP_2)
	v_lshlrev_b64 v[3:4], 1, v[3:4]
	v_cndmask_b32_e32 v5, 0x7fc0, v5, vcc_lo
	s_delay_alu instid0(VALU_DEP_2) | instskip(NEXT) | instid1(VALU_DEP_3)
	v_add_co_u32 v3, vcc_lo, s8, v3
	v_add_co_ci_u32_e32 v4, vcc_lo, s9, v4, vcc_lo
	global_store_b16 v[3:4], v5, off
.LBB235_29:
	s_or_b32 exec_lo, exec_lo, s0
	v_add_nc_u32_e32 v1, 0x60, v1
	s_delay_alu instid0(VALU_DEP_1)
	v_cmp_gt_u32_e32 vcc_lo, s6, v1
	s_and_b32 exec_lo, exec_lo, vcc_lo
	s_cbranch_execz .LBB235_31
; %bb.30:
	v_bfe_u32 v3, v2, 16, 1
	v_dual_mov_b32 v1, 0 :: v_dual_add_nc_u32 v0, v0, v1
	v_cmp_o_f32_e32 vcc_lo, v2, v2
	s_delay_alu instid0(VALU_DEP_3) | instskip(NEXT) | instid1(VALU_DEP_3)
	v_add3_u32 v3, v2, v3, 0x7fff
	v_lshlrev_b64 v[0:1], 1, v[0:1]
	s_delay_alu instid0(VALU_DEP_2) | instskip(NEXT) | instid1(VALU_DEP_1)
	v_lshrrev_b32_e32 v3, 16, v3
	v_cndmask_b32_e32 v2, 0x7fc0, v3, vcc_lo
	s_delay_alu instid0(VALU_DEP_3) | instskip(NEXT) | instid1(VALU_DEP_4)
	v_add_co_u32 v0, vcc_lo, s8, v0
	v_add_co_ci_u32_e32 v1, vcc_lo, s9, v1, vcc_lo
	global_store_b16 v[0:1], v2, off
.LBB235_31:
	s_nop 0
	s_sendmsg sendmsg(MSG_DEALLOC_VGPRS)
	s_endpgm
	.section	.rodata,"a",@progbits
	.p2align	6, 0x0
	.amdhsa_kernel _ZL8moe_q6_KIN3c108BFloat16ELb0EEvPKvS3_PT_PKiS7_S7_iiiiiii
		.amdhsa_group_segment_fixed_size 37072
		.amdhsa_private_segment_fixed_size 0
		.amdhsa_kernarg_size 76
		.amdhsa_user_sgpr_count 14
		.amdhsa_user_sgpr_dispatch_ptr 0
		.amdhsa_user_sgpr_queue_ptr 0
		.amdhsa_user_sgpr_kernarg_segment_ptr 1
		.amdhsa_user_sgpr_dispatch_id 0
		.amdhsa_user_sgpr_private_segment_size 0
		.amdhsa_wavefront_size32 1
		.amdhsa_uses_dynamic_stack 0
		.amdhsa_enable_private_segment 0
		.amdhsa_system_sgpr_workgroup_id_x 1
		.amdhsa_system_sgpr_workgroup_id_y 1
		.amdhsa_system_sgpr_workgroup_id_z 0
		.amdhsa_system_sgpr_workgroup_info 0
		.amdhsa_system_vgpr_workitem_id 1
		.amdhsa_next_free_vgpr 186
		.amdhsa_next_free_sgpr 23
		.amdhsa_reserve_vcc 1
		.amdhsa_float_round_mode_32 0
		.amdhsa_float_round_mode_16_64 0
		.amdhsa_float_denorm_mode_32 3
		.amdhsa_float_denorm_mode_16_64 3
		.amdhsa_dx10_clamp 1
		.amdhsa_ieee_mode 1
		.amdhsa_fp16_overflow 0
		.amdhsa_workgroup_processor_mode 1
		.amdhsa_memory_ordered 1
		.amdhsa_forward_progress 0
		.amdhsa_shared_vgpr_count 0
		.amdhsa_exception_fp_ieee_invalid_op 0
		.amdhsa_exception_fp_denorm_src 0
		.amdhsa_exception_fp_ieee_div_zero 0
		.amdhsa_exception_fp_ieee_overflow 0
		.amdhsa_exception_fp_ieee_underflow 0
		.amdhsa_exception_fp_ieee_inexact 0
		.amdhsa_exception_int_div_zero 0
	.end_amdhsa_kernel
	.section	.text._ZL8moe_q6_KIN3c108BFloat16ELb0EEvPKvS3_PT_PKiS7_S7_iiiiiii,"axG",@progbits,_ZL8moe_q6_KIN3c108BFloat16ELb0EEvPKvS3_PT_PKiS7_S7_iiiiiii,comdat
.Lfunc_end235:
	.size	_ZL8moe_q6_KIN3c108BFloat16ELb0EEvPKvS3_PT_PKiS7_S7_iiiiiii, .Lfunc_end235-_ZL8moe_q6_KIN3c108BFloat16ELb0EEvPKvS3_PT_PKiS7_S7_iiiiiii
                                        ; -- End function
	.section	.AMDGPU.csdata,"",@progbits
; Kernel info:
; codeLenInByte = 11132
; NumSgprs: 25
; NumVgprs: 186
; ScratchSize: 0
; MemoryBound: 0
; FloatMode: 240
; IeeeMode: 1
; LDSByteSize: 37072 bytes/workgroup (compile time only)
; SGPRBlocks: 3
; VGPRBlocks: 23
; NumSGPRsForWavesPerEU: 25
; NumVGPRsForWavesPerEU: 186
; Occupancy: 6
; WaveLimiterHint : 1
; COMPUTE_PGM_RSRC2:SCRATCH_EN: 0
; COMPUTE_PGM_RSRC2:USER_SGPR: 14
; COMPUTE_PGM_RSRC2:TRAP_HANDLER: 0
; COMPUTE_PGM_RSRC2:TGID_X_EN: 1
; COMPUTE_PGM_RSRC2:TGID_Y_EN: 1
; COMPUTE_PGM_RSRC2:TGID_Z_EN: 0
; COMPUTE_PGM_RSRC2:TIDIG_COMP_CNT: 1
	.section	.text._ZL8moe_q6_KIN3c108BFloat16ELb1EEvPKvS3_PT_PKiS7_S7_iiiiiii,"axG",@progbits,_ZL8moe_q6_KIN3c108BFloat16ELb1EEvPKvS3_PT_PKiS7_S7_iiiiiii,comdat
	.globl	_ZL8moe_q6_KIN3c108BFloat16ELb1EEvPKvS3_PT_PKiS7_S7_iiiiiii ; -- Begin function _ZL8moe_q6_KIN3c108BFloat16ELb1EEvPKvS3_PT_PKiS7_S7_iiiiiii
	.p2align	8
	.type	_ZL8moe_q6_KIN3c108BFloat16ELb1EEvPKvS3_PT_PKiS7_S7_iiiiiii,@function
_ZL8moe_q6_KIN3c108BFloat16ELb1EEvPKvS3_PT_PKiS7_S7_iiiiiii: ; @_ZL8moe_q6_KIN3c108BFloat16ELb1EEvPKvS3_PT_PKiS7_S7_iiiiiii
; %bb.0:
	s_load_b128 s[4:7], s[0:1], 0x18
	s_mov_b32 s2, s15
	s_mov_b32 s3, 0
	s_delay_alu instid0(SALU_CYCLE_1)
	s_lshl_b64 s[8:9], s[2:3], 2
	s_waitcnt lgkmcnt(0)
	s_add_u32 s6, s6, s8
	s_addc_u32 s7, s7, s9
	s_load_b32 s15, s[6:7], 0x0
	s_waitcnt lgkmcnt(0)
	s_cmpk_gt_u32 s15, 0xff
	s_cbranch_scc1 .LBB236_31
; %bb.1:
	s_load_b64 s[6:7], s[0:1], 0x28
	s_lshl_b32 s2, s2, 3
	s_waitcnt lgkmcnt(0)
	s_load_b32 s3, s[6:7], 0x0
	s_waitcnt lgkmcnt(0)
	s_cmp_gt_u32 s2, s3
	s_cbranch_scc1 .LBB236_31
; %bb.2:
	v_bfe_u32 v19, v0, 10, 10
	v_mov_b32_e32 v15, 0
	s_mov_b32 s18, 0
	s_delay_alu instid0(VALU_DEP_2) | instskip(NEXT) | instid1(VALU_DEP_2)
	v_add_nc_u32_e32 v14, s2, v19
	v_dual_mov_b32 v51, v15 :: v_dual_and_b32 v22, 0x3ff, v0
	v_mov_b32_e32 v46, v15
	v_mov_b32_e32 v23, v15
	s_delay_alu instid0(VALU_DEP_4) | instskip(NEXT) | instid1(VALU_DEP_1)
	v_lshlrev_b64 v[1:2], 2, v[14:15]
	v_add_co_u32 v1, vcc_lo, s4, v1
	s_delay_alu instid0(VALU_DEP_2)
	v_add_co_ci_u32_e32 v2, vcc_lo, s5, v2, vcc_lo
	global_load_b32 v21, v[1:2], off
	s_clause 0x1
	s_load_b256 s[4:11], s[0:1], 0x30
	s_load_b64 s[12:13], s[0:1], 0x10
	s_waitcnt lgkmcnt(0)
	s_lshl_b32 s11, s14, 7
	s_cmpk_lt_i32 s5, 0x100
	s_cbranch_scc1 .LBB236_22
; %bb.3:
	s_load_b128 s[0:3], s[0:1], 0x0
	v_dual_mov_b32 v23, 0 :: v_dual_and_b32 v20, 31, v22
	s_ashr_i32 s14, s5, 31
	s_mul_i32 s15, s15, s4
	s_lshr_b32 s4, s14, 24
	s_delay_alu instid0(VALU_DEP_1)
	v_add_nc_u16 v1, v20, -16
	v_cmp_gt_u32_e32 vcc_lo, 16, v20
	s_ashr_i32 s16, s8, 31
	s_add_i32 s4, s5, s4
	s_lshr_b32 s14, s16, 27
	s_ashr_i32 s4, s4, 8
	v_dual_cndmask_b32 v1, v1, v20 :: v_dual_and_b32 v0, 7, v22
	s_add_i32 s8, s8, s14
	v_and_b32_e32 v2, 15, v22
	v_cmp_lt_u32_e32 vcc_lo, 15, v20
	s_mul_i32 s14, s4, s11
	s_ashr_i32 s16, s15, 31
	s_ashr_i32 s8, s8, 5
	s_mul_hi_i32 s17, s14, 0xd2
	s_mulk_i32 s14, 0xd2
	s_waitcnt lgkmcnt(0)
	s_add_u32 s0, s0, s15
	s_addc_u32 s1, s1, s16
	s_add_u32 s19, s0, s14
	v_cndmask_b32_e64 v3, 0, 1, vcc_lo
	v_cmp_lt_u16_e32 vcc_lo, 7, v1
	v_lshlrev_b32_e32 v2, 2, v2
	s_addc_u32 s20, s1, s17
	s_not_b32 s0, s11
	v_lshlrev_b32_e32 v0, 2, v0
	s_add_i32 s0, s0, s6
	v_cndmask_b32_e64 v1, 0, 1, vcc_lo
	v_min_i32_e32 v5, s0, v19
	v_lshl_or_b32 v18, v3, 7, v2
	v_lshlrev_b32_e32 v39, 5, v19
	v_add_nc_u32_e32 v4, 8, v19
	v_add_nc_u32_e32 v2, 16, v19
	v_lshl_or_b32 v26, v3, 5, v0
	v_lshlrev_b32_e32 v27, 1, v1
	v_mul_lo_u32 v28, v5, s4
	v_mad_u64_u32 v[0:1], null, 0x104, v5, v[18:19]
	v_add_nc_u32_e32 v5, 24, v19
	v_add_nc_u32_e32 v6, 32, v19
	;; [unrolled: 1-line block ×4, first 2 shown]
	v_min_i32_e32 v3, s0, v4
	v_add_nc_u32_e32 v8, 48, v19
	v_min_i32_e32 v4, s0, v2
	v_add_nc_u32_e32 v9, 56, v19
	;; [unrolled: 2-line block ×4, first 2 shown]
	v_and_b32_e32 v17, 0x7f, v46
	v_lshrrev_b32_e32 v43, 2, v22
	v_min_i32_e32 v7, s0, v7
	v_add_nc_u32_e32 v12, 0x50, v19
	v_mad_u64_u32 v[1:2], null, 0x104, v3, v[18:19]
	v_min_i32_e32 v8, s0, v8
	v_add_nc_u32_e32 v13, 0x58, v19
	v_mul_lo_u32 v29, v3, s4
	v_mad_u64_u32 v[2:3], null, 0x104, v4, v[18:19]
	v_min_i32_e32 v9, s0, v9
	v_add_nc_u32_e32 v14, 0x60, v19
	v_mul_lo_u32 v30, v4, s4
	v_mad_u64_u32 v[3:4], null, 0x104, v5, v[18:19]
	v_min_i32_e32 v10, s0, v10
	v_add_nc_u32_e32 v15, 0x68, v19
	v_mul_lo_u32 v31, v5, s4
	v_mad_u64_u32 v[4:5], null, 0x104, v6, v[18:19]
	v_min_i32_e32 v11, s0, v11
	v_add_nc_u32_e32 v16, 0x70, v19
	v_min_i32_e32 v47, s0, v17
	v_lshl_add_u32 v17, v19, 3, v43
	v_mul_lo_u32 v32, v6, s4
	v_mad_u64_u32 v[5:6], null, 0x104, v7, v[18:19]
	v_min_i32_e32 v12, s0, v12
	v_mul_lo_u32 v33, v7, s4
	v_mad_u64_u32 v[6:7], null, 0x104, v8, v[18:19]
	v_min_i32_e32 v13, s0, v13
	;; [unrolled: 3-line block ×5, first 2 shown]
	v_and_b32_e32 v17, 0x7f, v17
	v_mul_lo_u32 v37, v11, s4
	v_mad_u64_u32 v[10:11], null, 0x104, v12, v[18:19]
	v_mul_lo_u32 v38, v12, s4
	v_mad_u64_u32 v[11:12], null, 0x104, v13, v[18:19]
	;; [unrolled: 2-line block ×3, first 2 shown]
	s_abs_i32 s1, s10
	v_mul_lo_u32 v41, v14, s4
	v_mad_u64_u32 v[13:14], null, 0x104, v15, v[18:19]
	v_mul_lo_u32 v42, v15, s4
	v_mul_lo_u32 v43, v16, s4
	v_mad_u64_u32 v[14:15], null, 0x104, v16, v[18:19]
	v_min_i32_e32 v50, s0, v17
	v_cvt_f32_u32_e32 v16, s1
	v_add_nc_u32_e32 v45, 0x78, v19
	v_ashrrev_i32_e32 v44, 31, v47
	v_xor_b32_e32 v17, 64, v17
	v_ashrrev_i32_e32 v48, 31, v50
	v_rcp_iflag_f32_e32 v49, v16
	v_min_i32_e32 v45, s0, v45
	v_lshrrev_b32_e32 v15, 27, v44
	v_lshlrev_b32_e32 v25, 2, v20
	v_lshrrev_b32_e32 v48, 29, v48
	v_min_i32_e32 v51, s0, v17
	v_mad_u64_u32 v[16:17], null, 0x104, v45, v[18:19]
	v_add_nc_u32_e32 v15, v47, v15
	s_delay_alu instid0(VALU_DEP_4) | instskip(NEXT) | instid1(TRANS32_DEP_1)
	v_add_nc_u32_e32 v18, v50, v48
	v_dual_mul_f32 v48, 0x4f7ffffe, v49 :: v_dual_and_b32 v49, 3, v22
	s_sub_i32 s0, 0, s1
	s_delay_alu instid0(VALU_DEP_3) | instskip(NEXT) | instid1(VALU_DEP_3)
	v_ashrrev_i32_e32 v15, 5, v15
	v_ashrrev_i32_e32 v18, 3, v18
	s_delay_alu instid0(VALU_DEP_3)
	v_cvt_u32_f32_e32 v53, v48
	v_mul_lo_u32 v44, v45, s4
	v_mul_lo_u32 v45, v47, s4
	v_lshlrev_b32_e32 v15, 2, v15
	v_lshlrev_b32_e32 v52, 2, v47
	v_mul_lo_u32 v54, s0, v53
	v_lshlrev_b32_e32 v47, 2, v49
	v_lshlrev_b32_e32 v18, 2, v18
	v_or_b32_e32 v20, v39, v20
	v_add3_u32 v48, v15, v52, 0x8e40
	s_waitcnt vmcnt(0)
	v_sub_nc_u32_e32 v52, 0, v21
	v_ashrrev_i32_e32 v17, 31, v51
	v_add3_u32 v15, v18, v47, 0x8200
	v_mul_hi_u32 v18, v53, v54
	v_lshrrev_b32_e32 v24, 5, v22
	v_max_i32_e32 v58, v21, v52
	v_lshrrev_b32_e32 v17, 29, v17
	v_mad_i32_i24 v46, 0xffffffe4, v19, v46
	v_lshlrev_b32_e32 v59, 2, v22
	v_add_nc_u32_e32 v61, 32, v22
	v_add_nc_u32_e32 v64, 0x60, v22
	;; [unrolled: 1-line block ×4, first 2 shown]
	v_lshl_add_u32 v54, v46, 2, 0x9050
	v_lshlrev_b32_e32 v46, 2, v24
	v_lshrrev_b32_e32 v53, 3, v61
	v_mul_hi_u32 v60, v58, v52
	v_lshl_add_u32 v52, v20, 2, 0x8a40
	v_add_nc_u32_e32 v20, 64, v22
	v_ashrrev_i32_e32 v17, 3, v17
	v_and_b32_e32 v57, 60, v53
	v_lshrrev_b32_e32 v67, 1, v64
	v_lshrrev_b32_e32 v55, 3, v22
	;; [unrolled: 1-line block ×3, first 2 shown]
	v_mul_lo_u32 v62, v60, s1
	v_lshlrev_b32_e32 v17, 2, v17
	v_add3_u32 v57, v59, v57, 0x8e40
	v_lshlrev_b32_e32 v75, 4, v22
	v_and_b32_e32 v63, 60, v56
	v_add3_u32 v56, v46, v59, 0x8e40
	v_lshrrev_b32_e32 v46, 3, v64
	v_add3_u32 v78, v17, v47, 0x8200
	v_sub_nc_u32_e32 v62, v58, v62
	v_add3_u32 v58, v59, v63, 0x8e40
	v_add_nc_u32_e32 v63, 1, v60
	v_and_b32_e32 v46, 60, v46
	v_and_b32_e32 v17, 28, v59
	v_subrev_nc_u32_e32 v65, s1, v62
	v_cmp_le_u32_e32 vcc_lo, s1, v62
	v_lshlrev_b32_e32 v79, 2, v53
	v_add3_u32 v59, v59, v46, 0x8e40
	v_xor_b32_e32 v46, s10, v21
	v_and_b32_e32 v73, 0xfc, v67
	v_dual_cndmask_b32 v63, v60, v63 :: v_dual_cndmask_b32 v62, v62, v65
	v_lshlrev_b32_e32 v67, 4, v64
	s_delay_alu instid0(VALU_DEP_4) | instskip(SKIP_1) | instid1(VALU_DEP_4)
	v_ashrrev_i32_e32 v46, 31, v46
	v_mul_lo_u32 v49, v50, s4
	v_add_nc_u32_e32 v65, 1, v63
	v_cmp_le_u32_e32 vcc_lo, s1, v62
	s_movk_i32 s1, 0x2080
	v_lshlrev_b32_e32 v77, 4, v50
	v_mul_lo_u32 v50, v51, s4
	v_dual_cndmask_b32 v62, v63, v65 :: v_dual_lshlrev_b32 v51, 4, v51
	v_lshrrev_b32_e32 v65, 1, v20
	v_lshlrev_b32_e32 v63, 4, v61
	v_lshl_add_u32 v76, v55, 2, v75
	v_lshlrev_b32_e32 v20, 4, v20
	v_xor_b32_e32 v66, v62, v46
	v_and_b32_e32 v74, 0xfc, v65
	v_add3_u32 v62, v79, v63, 0x8200
	v_mad_u32_u24 v63, 0x104, v22, s1
	s_movk_i32 s1, 0x4100
	v_sub_nc_u32_e32 v46, v66, v46
	v_add_co_u32 v17, s0, s2, v17
	v_mad_u32_u24 v66, 0x104, v22, s1
	s_movk_i32 s1, 0x6180
	s_delay_alu instid0(VALU_DEP_3)
	v_mul_lo_u32 v64, v46, s8
	s_movk_i32 s6, 0x80
	v_add_co_ci_u32_e64 v18, null, s3, 0, s0
	v_cmp_gt_u32_e64 s0, 4, v22
	v_add_nc_u32_e32 v60, 0x8200, v76
	v_mul_u32_u24_e32 v61, 0x104, v22
	v_add3_u32 v65, v20, v74, 0x8200
	v_add3_u32 v67, v67, v73, 0x8200
	v_mad_u32_u24 v68, 0x104, v22, s1
	v_cmp_gt_i32_e64 s1, s7, v46
	v_ashrrev_i32_e32 v69, 31, v64
	v_mad_u32_u24 v70, 0x104, v22, s6
	v_lshl_add_u32 v71, v19, 4, 0x9050
	v_lshl_add_u32 v72, v19, 7, 0x8a40
	v_add3_u32 v73, v75, v73, 0x8808
	v_add3_u32 v74, v75, v74, 0x8608
	v_add3_u32 v75, v75, v79, 0x8408
	v_add_nc_u32_e32 v76, 0x8208, v76
	v_add_nc_u32_e32 v77, v15, v77
	v_dual_mov_b32 v51, 0 :: v_dual_add_nc_u32 v78, v78, v51
	v_dual_mov_b32 v46, 0 :: v_dual_mov_b32 v15, 0
	s_add_u32 s14, s2, 0x90
	s_addc_u32 s15, s3, 0
	s_branch .LBB236_5
.LBB236_4:                              ;   in Loop: Header=BB236_5 Depth=1
	s_add_i32 s18, s18, 1
	s_delay_alu instid0(SALU_CYCLE_1)
	s_cmp_eq_u32 s18, s4
	s_cbranch_scc1 .LBB236_22
.LBB236_5:                              ; =>This Loop Header: Depth=1
                                        ;     Child Loop BB236_12 Depth 2
                                        ;     Child Loop BB236_20 Depth 2
	s_mul_i32 s6, s18, 0xd2
	s_mul_hi_u32 s17, s18, 0xd2
	s_add_u32 s16, s19, s6
	s_addc_u32 s17, s20, s17
	s_delay_alu instid0(SALU_CYCLE_1) | instskip(NEXT) | instid1(VALU_DEP_1)
	v_mad_u64_u32 v[19:20], null, 0xd2, v24, s[16:17]
	v_mad_i64_i32 v[79:80], null, 0xd2, v28, v[19:20]
	v_mad_i64_i32 v[81:82], null, 0xd2, v29, v[19:20]
	v_mad_i64_i32 v[85:86], null, 0xd2, v30, v[19:20]
	v_mad_i64_i32 v[92:93], null, 0xd2, v31, v[19:20]
	s_delay_alu instid0(VALU_DEP_4)
	v_add_co_u32 v83, vcc_lo, v79, v25
	v_add_co_ci_u32_e32 v84, vcc_lo, 0, v80, vcc_lo
	v_add_co_u32 v79, vcc_lo, v79, v26
	v_add_co_ci_u32_e32 v80, vcc_lo, 0, v80, vcc_lo
	;; [unrolled: 2-line block ×3, first 2 shown]
	global_load_b32 v83, v[83:84], off
	global_load_b32 v84, v[79:80], off offset:128
	v_add_co_u32 v79, vcc_lo, v81, v26
	v_add_co_ci_u32_e32 v80, vcc_lo, 0, v82, vcc_lo
	v_add_co_u32 v81, vcc_lo, v85, v25
	v_add_co_ci_u32_e32 v82, vcc_lo, 0, v86, vcc_lo
	;; [unrolled: 2-line block ×3, first 2 shown]
	global_load_b32 v90, v[87:88], off
	global_load_b32 v91, v[79:80], off offset:128
	global_load_b32 v88, v[81:82], off
	global_load_b32 v89, v[85:86], off offset:128
	v_mad_i64_i32 v[79:80], null, 0xd2, v32, v[19:20]
	v_add_co_u32 v81, vcc_lo, v92, v25
	v_add_co_ci_u32_e32 v82, vcc_lo, 0, v93, vcc_lo
	v_add_co_u32 v85, vcc_lo, v92, v26
	v_add_co_ci_u32_e32 v86, vcc_lo, 0, v93, vcc_lo
	v_add_co_u32 v92, vcc_lo, v79, v25
	v_mad_i64_i32 v[94:95], null, 0xd2, v33, v[19:20]
	v_add_co_ci_u32_e32 v93, vcc_lo, 0, v80, vcc_lo
	v_add_co_u32 v79, vcc_lo, v79, v26
	v_add_co_ci_u32_e32 v80, vcc_lo, 0, v80, vcc_lo
	global_load_b32 v114, v[81:82], off
	global_load_b32 v115, v[85:86], off offset:128
	global_load_b32 v116, v[92:93], off
	global_load_b32 v117, v[79:80], off offset:128
	v_mad_i64_i32 v[79:80], null, 0xd2, v34, v[19:20]
	v_add_co_u32 v81, vcc_lo, v94, v25
	v_add_co_ci_u32_e32 v82, vcc_lo, 0, v95, vcc_lo
	v_add_co_u32 v85, vcc_lo, v94, v26
	v_add_co_ci_u32_e32 v86, vcc_lo, 0, v95, vcc_lo
	;; [unrolled: 2-line block ×4, first 2 shown]
	global_load_b32 v118, v[81:82], off
	global_load_b32 v119, v[85:86], off offset:128
	global_load_b32 v82, v[92:93], off
	global_load_b32 v120, v[79:80], off offset:128
	v_mad_i64_i32 v[79:80], null, 0xd2, v35, v[19:20]
	v_mad_i64_i32 v[85:86], null, 0xd2, v36, v[19:20]
	;; [unrolled: 1-line block ×4, first 2 shown]
	s_delay_alu instid0(VALU_DEP_4)
	v_add_co_u32 v102, vcc_lo, v79, v25
	v_add_co_ci_u32_e32 v103, vcc_lo, 0, v80, vcc_lo
	v_add_co_u32 v79, vcc_lo, v79, v26
	v_add_co_ci_u32_e32 v80, vcc_lo, 0, v80, vcc_lo
	global_load_b32 v121, v[102:103], off
	global_load_b32 v122, v[79:80], off offset:128
	v_add_co_u32 v104, vcc_lo, v85, v25
	v_add_co_ci_u32_e32 v105, vcc_lo, 0, v86, vcc_lo
	v_add_co_u32 v85, vcc_lo, v85, v26
	v_add_co_ci_u32_e32 v86, vcc_lo, 0, v86, vcc_lo
	;; [unrolled: 2-line block ×3, first 2 shown]
	v_add_co_u32 v92, vcc_lo, v92, v26
	v_mad_i64_i32 v[96:97], null, 0xd2, v40, v[19:20]
	v_add_co_ci_u32_e32 v93, vcc_lo, 0, v93, vcc_lo
	v_add_co_u32 v108, vcc_lo, v94, v25
	v_add_co_ci_u32_e32 v109, vcc_lo, 0, v95, vcc_lo
	v_add_co_u32 v79, vcc_lo, v94, v26
	v_mad_i64_i32 v[98:99], null, 0xd2, v41, v[19:20]
	v_add_co_ci_u32_e32 v80, vcc_lo, 0, v95, vcc_lo
	v_add_co_u32 v102, vcc_lo, v96, v25
	v_add_co_ci_u32_e32 v103, vcc_lo, 0, v97, vcc_lo
	;; [unrolled: 5-line block ×3, first 2 shown]
	v_add_co_u32 v98, vcc_lo, v98, v26
	v_add_co_ci_u32_e32 v99, vcc_lo, 0, v99, vcc_lo
	v_add_co_u32 v112, vcc_lo, v100, v25
	v_add_co_ci_u32_e32 v113, vcc_lo, 0, v101, vcc_lo
	;; [unrolled: 2-line block ×3, first 2 shown]
	global_load_b32 v104, v[104:105], off
	global_load_b32 v105, v[85:86], off offset:128
	global_load_b32 v94, v[106:107], off
	global_load_b32 v95, v[92:93], off offset:128
	global_load_b32 v92, v[108:109], off
	global_load_b32 v93, v[79:80], off offset:128
	global_load_b32 v86, v[102:103], off
	global_load_b32 v87, v[96:97], off offset:128
	global_load_b32 v81, v[110:111], off
	global_load_b32 v85, v[98:99], off offset:128
	global_load_b32 v79, v[112:113], off
	global_load_b32 v80, v[100:101], off offset:128
	s_waitcnt vmcnt(27)
	v_and_b32_e32 v96, 0xf0f0f0f, v83
	s_waitcnt vmcnt(26)
	v_ashrrev_i32_e32 v84, v27, v84
	v_lshrrev_b32_e32 v83, 4, v83
	s_delay_alu instid0(VALU_DEP_2)
	v_lshlrev_b32_e32 v112, 4, v84
	v_and_b32_e32 v84, 0x30303030, v84
	s_waitcnt vmcnt(25)
	v_and_b32_e32 v97, 0xf0f0f0f, v90
	s_waitcnt vmcnt(24)
	v_ashrrev_i32_e32 v91, v27, v91
	v_lshrrev_b32_e32 v90, 4, v90
	s_waitcnt vmcnt(22)
	v_ashrrev_i32_e32 v89, v27, v89
	v_and_b32_e32 v98, 0xf0f0f0f, v88
	v_lshrrev_b32_e32 v88, 4, v88
	v_lshlrev_b32_e32 v113, 4, v91
	v_and_b32_e32 v91, 0x30303030, v91
	v_and_or_b32 v96, 0x30303030, v112, v96
	v_and_or_b32 v83, 0xf0f0f0f, v83, v84
	s_delay_alu instid0(VALU_DEP_4) | instskip(NEXT) | instid1(VALU_DEP_4)
	v_and_or_b32 v84, 0x30303030, v113, v97
	v_and_or_b32 v90, 0xf0f0f0f, v90, v91
	s_delay_alu instid0(VALU_DEP_1)
	v_lshrrev_b32_e32 v112, 16, v90
	v_and_b32_e32 v113, 0x3f00, v90
	v_lshlrev_b16 v90, 8, v90
	s_waitcnt vmcnt(21)
	v_and_b32_e32 v99, 0xf0f0f0f, v114
	s_waitcnt vmcnt(20)
	v_ashrrev_i32_e32 v101, v27, v115
	v_lshrrev_b32_e32 v100, 4, v114
	s_waitcnt vmcnt(18)
	v_ashrrev_i32_e32 v106, v27, v117
	v_lshlrev_b32_e32 v114, 4, v89
	v_and_b32_e32 v89, 0x30303030, v89
	v_lshlrev_b32_e32 v115, 4, v101
	v_and_b32_e32 v101, 0x30303030, v101
	v_and_b32_e32 v102, 0xf0f0f0f, v116
	v_lshrrev_b32_e32 v103, 4, v116
	v_lshlrev_b32_e32 v116, 4, v106
	v_and_b32_e32 v106, 0x30303030, v106
	v_and_or_b32 v91, 0x30303030, v114, v98
	v_and_or_b32 v88, 0xf0f0f0f, v88, v89
	;; [unrolled: 1-line block ×6, first 2 shown]
	v_lshrrev_b32_e32 v102, 16, v96
	s_waitcnt vmcnt(17)
	v_and_b32_e32 v107, 0xf0f0f0f, v118
	s_waitcnt vmcnt(16)
	v_ashrrev_i32_e32 v109, v27, v119
	v_lshrrev_b32_e32 v108, 4, v118
	v_and_b32_e32 v103, 0x3f00, v96
	v_lshlrev_b16 v96, 8, v96
	v_lshrrev_b32_e32 v106, 16, v83
	v_lshlrev_b32_e32 v117, 4, v109
	v_and_b32_e32 v109, 0x30303030, v109
	v_lshrrev_b32_e32 v114, 16, v91
	v_lshrrev_b32_e32 v116, 16, v88
	;; [unrolled: 1-line block ×3, first 2 shown]
	v_and_or_b32 v100, 0x30303030, v117, v107
	v_and_or_b32 v101, 0xf0f0f0f, v108, v109
	v_and_b32_e32 v107, 0x3f00, v83
	v_lshlrev_b16 v83, 8, v83
	v_lshrrev_b32_e32 v108, 16, v84
	v_and_b32_e32 v109, 0x3f00, v84
	v_lshlrev_b16 v84, 8, v84
	v_lshrrev_b32_e32 v123, 16, v97
	;; [unrolled: 3-line block ×3, first 2 shown]
	v_lshrrev_b32_e32 v127, 16, v99
	v_add_nc_u16 v96, v96, 0xe000
	v_and_b32_e32 v133, 0x3f00, v102
	v_lshlrev_b16 v102, 8, v102
	v_and_b32_e32 v134, 0x3f00, v106
	v_lshlrev_b16 v106, 8, v106
	v_add_nc_u16 v83, v83, 0xe000
	v_and_b32_e32 v135, 0x3f00, v108
	v_lshlrev_b16 v108, 8, v108
	v_and_b32_e32 v136, 0x3f00, v112
	v_lshlrev_b16 v112, 8, v112
	;; [unrolled: 2-line block ×3, first 2 shown]
	v_add_nc_u16 v84, v84, 0xe000
	v_and_b32_e32 v137, 0x3f00, v114
	v_lshlrev_b16 v114, 8, v114
	v_and_b32_e32 v138, 0x3f00, v116
	v_lshlrev_b16 v116, 8, v116
	s_waitcnt vmcnt(14)
	v_ashrrev_i32_e32 v111, v27, v120
	v_and_b32_e32 v120, 0x3f00, v89
	v_lshlrev_b16 v89, 8, v89
	v_and_b32_e32 v124, 0x3f00, v97
	v_lshlrev_b16 v97, 8, v97
	v_add_nc_u16 v90, v90, 0xe000
	v_and_b32_e32 v139, 0x3f00, v119
	v_lshlrev_b16 v119, 8, v119
	v_and_b32_e32 v140, 0x3f00, v123
	v_lshlrev_b16 v123, 8, v123
	;; [unrolled: 2-line block ×4, first 2 shown]
	v_add_nc_u16 v91, v91, 0xe000
	v_and_b32_e32 v141, 0x3f00, v125
	v_lshlrev_b16 v125, 8, v125
	v_and_b32_e32 v142, 0x3f00, v127
	v_lshlrev_b16 v127, 8, v127
	v_lshrrev_b16 v96, 8, v96
	v_add_nc_u16 v102, v102, 0xe000
	v_add_nc_u16 v106, v106, 0xe000
	v_lshrrev_b16 v83, 8, v83
	v_add_nc_u16 v108, v108, 0xe000
	v_add_nc_u16 v112, v112, 0xe000
	v_add_nc_u16 v88, v88, 0xe000
	v_lshrrev_b16 v84, 8, v84
	v_add_nc_u16 v114, v114, 0xe000
	v_add_nc_u16 v116, v116, 0xe000
	v_add_nc_u16 v89, v89, 0xe000
	v_add_nc_u16 v97, v97, 0xe000
	v_lshrrev_b16 v90, 8, v90
	v_add_nc_u16 v119, v119, 0xe000
	;; [unrolled: 5-line block ×3, first 2 shown]
	v_add_nc_u16 v127, v127, 0xe000
	v_or_b32_e32 v96, v103, v96
	v_lshrrev_b16 v102, 8, v102
	v_lshrrev_b16 v103, 8, v106
	v_or_b32_e32 v83, v107, v83
	v_lshrrev_b16 v106, 8, v108
	v_lshrrev_b16 v107, 8, v112
	v_lshrrev_b16 v88, 8, v88
	v_or_b32_e32 v84, v109, v84
	v_lshrrev_b16 v108, 8, v114
	v_lshrrev_b16 v109, 8, v116
	v_lshrrev_b16 v89, 8, v89
	v_lshrrev_b16 v97, 8, v97
	v_or_b32_e32 v90, v113, v90
	v_lshrrev_b16 v112, 8, v119
	;; [unrolled: 5-line block ×3, first 2 shown]
	v_lshrrev_b16 v115, 8, v127
	v_or_b32_e32 v102, v133, v102
	v_or_b32_e32 v103, v134, v103
	;; [unrolled: 1-line block ×15, first 2 shown]
	v_add_nc_u16 v96, v96, 0xe000
	v_add_nc_u16 v83, v83, 0xe000
	;; [unrolled: 1-line block ×20, first 2 shown]
	v_and_b32_e32 v96, 0xffff, v96
	v_and_b32_e32 v83, 0xffff, v83
	v_lshlrev_b32_e32 v102, 16, v102
	v_lshlrev_b32_e32 v103, 16, v103
	v_and_b32_e32 v84, 0xffff, v84
	v_and_b32_e32 v90, 0xffff, v90
	v_lshlrev_b32_e32 v106, 16, v106
	v_lshlrev_b32_e32 v107, 16, v107
	;; [unrolled: 4-line block ×5, first 2 shown]
	v_lshrrev_b32_e32 v129, 16, v100
	v_and_b32_e32 v130, 0x3f00, v100
	v_lshlrev_b16 v100, 8, v100
	v_lshrrev_b32_e32 v131, 16, v101
	v_or_b32_e32 v96, v96, v102
	v_or_b32_e32 v83, v83, v103
	;; [unrolled: 1-line block ×10, first 2 shown]
	v_and_b32_e32 v110, 0xf0f0f0f, v82
	v_lshlrev_b32_e32 v118, 4, v111
	v_and_b32_e32 v132, 0x3f00, v101
	v_lshlrev_b16 v101, 8, v101
	v_add_nc_u16 v100, v100, 0xe000
	ds_store_2addr_b32 v0, v96, v83 offset1:16
	ds_store_2addr_b32 v1, v84, v90 offset1:16
	;; [unrolled: 1-line block ×5, first 2 shown]
	v_lshlrev_b16 v83, 8, v131
	v_and_or_b32 v88, 0x30303030, v118, v110
	v_add_nc_u16 v101, v101, 0xe000
	v_lshrrev_b16 v100, 8, v100
	v_lshrrev_b32_e32 v99, 4, v82
	v_add_nc_u16 v83, v83, 0xe000
	v_lshlrev_b16 v89, 8, v88
	v_lshrrev_b16 v101, 8, v101
	v_or_b32_e32 v100, v130, v100
	v_and_b32_e32 v97, 0x3f00, v131
	v_lshrrev_b16 v98, 8, v83
	v_mad_i64_i32 v[82:83], null, 0xd2, v43, v[19:20]
	s_delay_alu instid0(VALU_DEP_4)
	v_add_nc_u16 v100, v100, 0xe000
	v_or_b32_e32 v84, v132, v101
	v_lshrrev_b32_e32 v96, 16, v88
	v_add_nc_u16 v89, v89, 0xe000
	v_and_b32_e32 v101, 0x30303030, v111
	v_and_b32_e32 v143, 0x3f00, v129
	v_lshlrev_b16 v129, 8, v129
	v_or_b32_e32 v97, v97, v98
	v_and_b32_e32 v98, 0x3f00, v88
	v_add_co_u32 v88, vcc_lo, v82, v26
	v_and_b32_e32 v90, 0xffff, v100
	v_lshlrev_b16 v100, 8, v96
	v_lshrrev_b16 v102, 8, v89
	v_and_or_b32 v99, 0xf0f0f0f, v99, v101
	v_add_co_ci_u32_e32 v89, vcc_lo, 0, v83, vcc_lo
	v_add_nc_u16 v129, v129, 0xe000
	v_add_co_u32 v82, vcc_lo, v82, v25
	v_add_nc_u16 v100, v100, 0xe000
	v_add_co_ci_u32_e32 v83, vcc_lo, 0, v83, vcc_lo
	global_load_b32 v101, v[88:89], off offset:128
	v_lshlrev_b16 v88, 8, v99
	v_lshrrev_b16 v116, 8, v129
	v_add_nc_u16 v84, v84, 0xe000
	v_and_b32_e32 v89, 0x3f00, v96
	v_lshrrev_b16 v96, 8, v100
	global_load_b32 v100, v[82:83], off
	v_add_nc_u16 v83, v88, 0xe000
	v_or_b32_e32 v116, v143, v116
	v_and_b32_e32 v82, 0xffff, v84
	v_add_nc_u16 v84, v97, 0xe000
	v_or_b32_e32 v89, v89, v96
	v_and_b32_e32 v96, 0x3f00, v99
	v_lshrrev_b16 v83, 8, v83
	v_add_nc_u16 v116, v116, 0xe000
	v_lshlrev_b32_e32 v84, 16, v84
	s_waitcnt vmcnt(14)
	v_ashrrev_i32_e32 v97, v27, v122
	v_or_b32_e32 v88, v98, v102
	v_or_b32_e32 v83, v96, v83
	v_lshlrev_b32_e32 v91, 16, v116
	v_or_b32_e32 v84, v82, v84
	v_add_nc_u16 v89, v89, 0xe000
	v_add_nc_u16 v88, v88, 0xe000
	;; [unrolled: 1-line block ×3, first 2 shown]
	v_mad_i64_i32 v[82:83], null, 0xd2, v44, v[19:20]
	v_or_b32_e32 v90, v90, v91
	v_lshrrev_b32_e32 v91, 16, v99
	v_and_b32_e32 v99, 0xf0f0f0f, v121
	v_lshlrev_b32_e32 v19, 4, v97
	v_and_b32_e32 v88, 0xffff, v88
	ds_store_2addr_b32 v5, v90, v84 offset1:16
	v_lshlrev_b32_e32 v89, 16, v89
	v_lshlrev_b16 v98, 8, v91
	v_and_or_b32 v90, 0x30303030, v19, v99
	v_add_co_u32 v19, vcc_lo, v82, v26
	v_add_co_ci_u32_e32 v20, vcc_lo, 0, v83, vcc_lo
	v_add_co_u32 v82, vcc_lo, v82, v25
	v_or_b32_e32 v84, v88, v89
	v_and_b32_e32 v88, 0xffff, v96
	v_add_co_ci_u32_e32 v83, vcc_lo, 0, v83, vcc_lo
	global_load_b32 v96, v[19:20], off offset:128
	v_add_nc_u16 v89, v98, 0xe000
	v_lshrrev_b32_e32 v19, 16, v90
	global_load_b32 v98, v[82:83], off
	v_and_b32_e32 v20, 0x3f00, v91
	v_lshlrev_b16 v91, 8, v90
	v_lshrrev_b16 v82, 8, v89
	v_lshlrev_b16 v83, 8, v19
	v_lshrrev_b32_e32 v89, 4, v121
	v_and_b32_e32 v97, 0x30303030, v97
	v_add_nc_u16 v91, v91, 0xe000
	v_or_b32_e32 v20, v20, v82
	v_add_nc_u16 v82, v83, 0xe000
	v_and_b32_e32 v83, 0x3f00, v90
	v_and_or_b32 v89, 0xf0f0f0f, v89, v97
	v_lshrrev_b16 v90, 8, v91
	v_and_b32_e32 v19, 0x3f00, v19
	v_lshrrev_b16 v82, 8, v82
	v_add_nc_u16 v20, v20, 0xe000
	v_lshlrev_b16 v91, 8, v89
	v_or_b32_e32 v83, v83, v90
	v_lshrrev_b32_e32 v90, 16, v89
	v_or_b32_e32 v19, v19, v82
	v_and_b32_e32 v89, 0x3f00, v89
	v_add_nc_u16 v82, v91, 0xe000
	v_add_nc_u16 v83, v83, 0xe000
	v_lshlrev_b16 v91, 8, v90
	v_add_nc_u16 v19, v19, 0xe000
	v_lshlrev_b32_e32 v20, 16, v20
	v_lshrrev_b16 v82, 8, v82
	v_and_b32_e32 v83, 0xffff, v83
	v_add_nc_u16 v91, v91, 0xe000
	v_lshlrev_b32_e32 v19, 16, v19
	s_waitcnt vmcnt(14)
	v_ashrrev_i32_e32 v97, v27, v105
	v_or_b32_e32 v82, v89, v82
	v_and_b32_e32 v89, 0x3f00, v90
	v_lshrrev_b16 v90, 8, v91
	v_or_b32_e32 v102, v88, v20
	v_or_b32_e32 v103, v83, v19
	v_add_nc_u16 v88, v82, 0xe000
	v_add_co_u32 v82, s6, s16, v47
	v_or_b32_e32 v89, v89, v90
	v_mad_i64_i32 v[19:20], null, 0xd2, v45, s[16:17]
	v_add_co_ci_u32_e64 v83, null, s17, 0, s6
	v_and_b32_e32 v91, 0xf0f0f0f, v104
	v_lshlrev_b32_e32 v99, 4, v97
	v_and_b32_e32 v105, 0xffff, v88
	v_add_nc_u16 v106, v89, 0xe000
	v_mad_i64_i32 v[88:89], null, 0xd2, v49, v[82:83]
	s_delay_alu instid0(VALU_DEP_4)
	v_and_or_b32 v99, 0x30303030, v99, v91
	v_mad_i64_i32 v[90:91], null, 0xd2, v50, v[82:83]
	s_clause 0x2
	global_load_u16 v19, v[19:20], off offset:208
	global_load_b32 v88, v[88:89], off offset:192
	global_load_b32 v89, v[90:91], off offset:192
	v_lshlrev_b16 v107, 8, v99
	v_lshlrev_b32_e32 v20, 16, v106
	v_lshrrev_b32_e32 v82, 4, v104
	v_and_b32_e32 v83, 0x30303030, v97
	v_lshrrev_b32_e32 v97, 16, v99
	v_add_nc_u16 v104, v107, 0xe000
	v_or_b32_e32 v20, v105, v20
	v_and_b32_e32 v91, 0x3f00, v99
	v_and_or_b32 v82, 0xf0f0f0f, v82, v83
	v_lshlrev_b16 v90, 8, v97
	v_lshrrev_b16 v83, 8, v104
	ds_store_2addr_b32 v6, v84, v102 offset1:16
	ds_store_2addr_b32 v7, v103, v20 offset1:16
	v_lshrrev_b32_e32 v20, 16, v82
	v_add_nc_u16 v84, v90, 0xe000
	v_or_b32_e32 v83, v91, v83
	v_and_b32_e32 v90, 0x3f00, v97
	v_lshlrev_b16 v91, 8, v82
	v_lshlrev_b16 v97, 8, v20
	v_lshrrev_b16 v84, 8, v84
	s_waitcnt vmcnt(15)
	v_ashrrev_i32_e32 v95, v27, v95
	v_and_b32_e32 v20, 0x3f00, v20
	v_and_b32_e32 v82, 0x3f00, v82
	v_add_nc_u16 v83, v83, 0xe000
	v_or_b32_e32 v84, v90, v84
	v_add_nc_u16 v90, v91, 0xe000
	v_add_nc_u16 v91, v97, 0xe000
	v_and_b32_e32 v97, 0xf0f0f0f, v94
	v_lshlrev_b32_e32 v99, 4, v95
	v_add_nc_u16 v84, v84, 0xe000
	v_lshrrev_b16 v90, 8, v90
	v_lshrrev_b16 v91, 8, v91
	v_lshrrev_b32_e32 v94, 4, v94
	v_and_or_b32 v97, 0x30303030, v99, v97
	v_and_b32_e32 v95, 0x30303030, v95
	v_or_b32_e32 v82, v82, v90
	v_or_b32_e32 v20, v20, v91
	v_and_b32_e32 v83, 0xffff, v83
	v_lshrrev_b32_e32 v91, 16, v97
	v_lshlrev_b16 v90, 8, v97
	v_lshlrev_b32_e32 v84, 16, v84
	v_add_nc_u16 v82, v82, 0xe000
	v_add_nc_u16 v20, v20, 0xe000
	v_lshlrev_b16 v99, 8, v91
	v_add_nc_u16 v90, v90, 0xe000
	v_and_or_b32 v94, 0xf0f0f0f, v94, v95
	v_and_b32_e32 v97, 0x3f00, v97
	v_and_b32_e32 v82, 0xffff, v82
	v_add_nc_u16 v99, v99, 0xe000
	v_lshrrev_b16 v90, 8, v90
	v_lshlrev_b32_e32 v20, 16, v20
	v_and_b32_e32 v91, 0x3f00, v91
	v_or_b32_e32 v83, v83, v84
	v_lshrrev_b16 v95, 8, v99
	v_lshrrev_b32_e32 v84, 16, v94
	v_or_b32_e32 v90, v97, v90
	v_or_b32_e32 v20, v82, v20
	s_waitcnt vmcnt(13)
	v_ashrrev_i32_e32 v93, v27, v93
	v_or_b32_e32 v82, v91, v95
	v_lshlrev_b16 v95, 8, v84
	v_add_nc_u16 v90, v90, 0xe000
	v_lshlrev_b16 v91, 8, v94
	v_and_b32_e32 v97, 0xf0f0f0f, v92
	v_add_nc_u16 v82, v82, 0xe000
	v_add_nc_u16 v95, v95, 0xe000
	v_lshlrev_b32_e32 v99, 4, v93
	v_and_b32_e32 v90, 0xffff, v90
	v_add_nc_u16 v91, v91, 0xe000
	v_and_b32_e32 v84, 0x3f00, v84
	v_lshrrev_b16 v95, 8, v95
	v_and_or_b32 v97, 0x30303030, v99, v97
	v_lshlrev_b32_e32 v82, 16, v82
	v_and_b32_e32 v94, 0x3f00, v94
	v_lshrrev_b16 v91, 8, v91
	ds_store_2addr_b32 v8, v83, v20 offset1:16
	v_or_b32_e32 v83, v84, v95
	v_lshlrev_b16 v84, 8, v97
	v_or_b32_e32 v82, v90, v82
	v_lshrrev_b32_e32 v90, 16, v97
	v_or_b32_e32 v20, v94, v91
	v_lshrrev_b32_e32 v91, 4, v92
	v_add_nc_u16 v84, v84, 0xe000
	v_and_b32_e32 v93, 0x30303030, v93
	v_lshlrev_b16 v92, 8, v90
	v_add_nc_u16 v20, v20, 0xe000
	v_add_nc_u16 v83, v83, 0xe000
	v_and_b32_e32 v94, 0x3f00, v97
	v_lshrrev_b16 v84, 8, v84
	v_add_nc_u16 v92, v92, 0xe000
	v_and_or_b32 v91, 0xf0f0f0f, v91, v93
	v_and_b32_e32 v20, 0xffff, v20
	v_lshlrev_b32_e32 v83, 16, v83
	v_or_b32_e32 v84, v94, v84
	v_and_b32_e32 v90, 0x3f00, v90
	v_lshrrev_b16 v92, 8, v92
	v_lshrrev_b32_e32 v93, 16, v91
	v_or_b32_e32 v20, v20, v83
	v_lshlrev_b16 v83, 8, v91
	v_add_nc_u16 v84, v84, 0xe000
	v_or_b32_e32 v90, v90, v92
	v_lshlrev_b16 v92, 8, v93
	ds_store_2addr_b32 v9, v82, v20 offset1:16
	v_add_nc_u16 v20, v83, 0xe000
	v_and_b32_e32 v82, 0xffff, v84
	s_waitcnt vmcnt(11)
	v_ashrrev_i32_e32 v87, v27, v87
	v_add_nc_u16 v84, v92, 0xe000
	v_add_nc_u16 v83, v90, 0xe000
	v_and_b32_e32 v90, 0x3f00, v91
	v_lshrrev_b16 v20, 8, v20
	v_and_b32_e32 v91, 0x3f00, v93
	v_lshrrev_b16 v84, 8, v84
	v_and_b32_e32 v92, 0xf0f0f0f, v86
	v_lshlrev_b32_e32 v93, 4, v87
	v_lshlrev_b32_e32 v83, 16, v83
	v_or_b32_e32 v20, v90, v20
	v_or_b32_e32 v84, v91, v84
	v_lshrrev_b32_e32 v86, 4, v86
	v_and_b32_e32 v87, 0x30303030, v87
	v_and_or_b32 v90, 0x30303030, v93, v92
	v_or_b32_e32 v82, v82, v83
	v_add_nc_u16 v83, v84, 0xe000
	s_waitcnt vmcnt(9)
	v_ashrrev_i32_e32 v85, v27, v85
	v_and_or_b32 v84, 0xf0f0f0f, v86, v87
	v_lshrrev_b32_e32 v86, 16, v90
	v_lshlrev_b16 v87, 8, v90
	v_and_b32_e32 v90, 0x3f00, v90
	v_add_nc_u16 v20, v20, 0xe000
	v_lshrrev_b32_e32 v91, 16, v84
	v_lshlrev_b16 v92, 8, v86
	v_add_nc_u16 v87, v87, 0xe000
	v_lshlrev_b16 v93, 8, v84
	v_and_b32_e32 v86, 0x3f00, v86
	v_lshlrev_b16 v94, 8, v91
	v_add_nc_u16 v92, v92, 0xe000
	v_lshrrev_b16 v87, 8, v87
	v_add_nc_u16 v93, v93, 0xe000
	v_and_b32_e32 v84, 0x3f00, v84
	v_add_nc_u16 v94, v94, 0xe000
	v_lshrrev_b16 v92, 8, v92
	v_and_b32_e32 v91, 0x3f00, v91
	v_lshrrev_b16 v93, 8, v93
	v_or_b32_e32 v87, v90, v87
	v_lshrrev_b16 v94, 8, v94
	v_or_b32_e32 v86, v86, v92
	v_lshlrev_b32_e32 v92, 4, v85
	v_or_b32_e32 v84, v84, v93
	v_add_nc_u16 v87, v87, 0xe000
	v_or_b32_e32 v90, v91, v94
	v_and_b32_e32 v91, 0xf0f0f0f, v81
	v_add_nc_u16 v86, v86, 0xe000
	v_and_b32_e32 v20, 0xffff, v20
	v_lshlrev_b32_e32 v83, 16, v83
	v_add_nc_u16 v84, v84, 0xe000
	v_add_nc_u16 v90, v90, 0xe000
	v_and_or_b32 v91, 0x30303030, v92, v91
	v_and_b32_e32 v87, 0xffff, v87
	v_lshlrev_b32_e32 v86, 16, v86
	v_and_b32_e32 v84, 0xffff, v84
	v_lshlrev_b32_e32 v90, 16, v90
	v_or_b32_e32 v20, v20, v83
	v_lshrrev_b32_e32 v81, 4, v81
	v_or_b32_e32 v83, v87, v86
	v_lshrrev_b32_e32 v86, 16, v91
	v_and_b32_e32 v85, 0x30303030, v85
	v_lshlrev_b16 v92, 8, v91
	v_or_b32_e32 v84, v84, v90
	ds_store_2addr_b32 v10, v82, v20 offset1:16
	v_lshlrev_b16 v90, 8, v86
	v_and_or_b32 v20, 0xf0f0f0f, v81, v85
	v_add_nc_u16 v87, v92, 0xe000
	ds_store_2addr_b32 v11, v83, v84 offset1:16
	v_and_b32_e32 v91, 0x3f00, v91
	v_add_nc_u16 v81, v90, 0xe000
	v_lshrrev_b32_e32 v84, 16, v20
	v_lshrrev_b16 v87, 8, v87
	v_and_b32_e32 v83, 0x3f00, v86
	v_lshlrev_b16 v85, 8, v20
	v_lshrrev_b16 v81, 8, v81
	s_waitcnt vmcnt(7)
	v_ashrrev_i32_e32 v80, v27, v80
	v_lshlrev_b16 v86, 8, v84
	v_or_b32_e32 v82, v91, v87
	v_and_b32_e32 v20, 0x3f00, v20
	v_or_b32_e32 v81, v83, v81
	v_add_nc_u16 v83, v85, 0xe000
	v_and_b32_e32 v85, 0xf0f0f0f, v79
	v_lshlrev_b32_e32 v87, 4, v80
	v_add_nc_u16 v86, v86, 0xe000
	v_and_b32_e32 v84, 0x3f00, v84
	v_lshrrev_b16 v83, 8, v83
	v_lshrrev_b32_e32 v79, 4, v79
	v_and_or_b32 v85, 0x30303030, v87, v85
	v_lshrrev_b16 v86, 8, v86
	v_and_b32_e32 v80, 0x30303030, v80
	v_or_b32_e32 v20, v20, v83
	v_add_nc_u16 v82, v82, 0xe000
	v_lshrrev_b32_e32 v83, 16, v85
	v_or_b32_e32 v84, v84, v86
	v_lshlrev_b16 v86, 8, v85
	v_add_nc_u16 v20, v20, 0xe000
	v_and_b32_e32 v85, 0x3f00, v85
	v_lshlrev_b16 v87, 8, v83
	v_add_nc_u16 v84, v84, 0xe000
	v_add_nc_u16 v86, v86, 0xe000
	v_and_or_b32 v79, 0xf0f0f0f, v79, v80
	v_add_nc_u16 v81, v81, 0xe000
	v_add_nc_u16 v87, v87, 0xe000
	v_and_b32_e32 v83, 0x3f00, v83
	v_lshrrev_b16 v86, 8, v86
	v_and_b32_e32 v20, 0xffff, v20
	v_lshlrev_b32_e32 v84, 16, v84
	v_lshrrev_b16 v80, 8, v87
	v_and_b32_e32 v82, 0xffff, v82
	v_or_b32_e32 v85, v85, v86
	v_lshlrev_b16 v86, 8, v79
	v_lshlrev_b32_e32 v81, 16, v81
	v_or_b32_e32 v80, v83, v80
	v_or_b32_e32 v20, v20, v84
	s_waitcnt vmcnt(6)
	v_ashrrev_i32_e32 v84, v27, v101
	v_add_nc_u16 v83, v86, 0xe000
	v_or_b32_e32 v81, v82, v81
	v_add_nc_u16 v82, v85, 0xe000
	v_add_nc_u16 v80, v80, 0xe000
	v_lshrrev_b32_e32 v85, 16, v79
	v_and_b32_e32 v79, 0x3f00, v79
	v_lshrrev_b16 v83, 8, v83
	s_waitcnt vmcnt(5)
	v_and_b32_e32 v86, 0xf0f0f0f, v100
	v_lshlrev_b32_e32 v87, 4, v84
	v_and_b32_e32 v82, 0xffff, v82
	v_lshlrev_b32_e32 v80, 16, v80
	v_or_b32_e32 v79, v79, v83
	v_lshlrev_b16 v83, 8, v85
	v_and_or_b32 v86, 0x30303030, v87, v86
	ds_store_2addr_b32 v12, v81, v20 offset1:16
	v_or_b32_e32 v20, v82, v80
	v_lshrrev_b32_e32 v82, 4, v100
	v_add_nc_u16 v80, v83, 0xe000
	v_lshlrev_b16 v81, 8, v86
	v_and_b32_e32 v83, 0x30303030, v84
	v_and_b32_e32 v84, 0x3f00, v85
	v_lshrrev_b32_e32 v85, 16, v86
	v_lshrrev_b16 v80, 8, v80
	v_add_nc_u16 v81, v81, 0xe000
	v_and_or_b32 v82, 0xf0f0f0f, v82, v83
	v_and_b32_e32 v83, 0x3f00, v86
	v_lshlrev_b16 v86, 8, v85
	v_or_b32_e32 v80, v84, v80
	v_lshrrev_b16 v81, 8, v81
	v_lshlrev_b16 v84, 8, v82
	v_add_nc_u16 v79, v79, 0xe000
	v_add_nc_u16 v86, v86, 0xe000
	;; [unrolled: 1-line block ×3, first 2 shown]
	v_or_b32_e32 v81, v83, v81
	v_add_nc_u16 v83, v84, 0xe000
	v_and_b32_e32 v84, 0x3f00, v85
	v_lshrrev_b16 v85, 8, v86
	v_and_b32_e32 v86, 0x3f00, v82
	v_lshrrev_b32_e32 v82, 16, v82
	v_lshrrev_b16 v83, 8, v83
	v_add_nc_u16 v81, v81, 0xe000
	v_or_b32_e32 v84, v84, v85
	s_waitcnt vmcnt(4)
	v_ashrrev_i32_e32 v85, v27, v96
	s_waitcnt vmcnt(3)
	v_lshrrev_b32_e32 v91, 4, v98
	v_or_b32_e32 v83, v86, v83
	v_and_b32_e32 v86, 0xf0f0f0f, v98
	v_lshlrev_b16 v90, 8, v82
	v_lshlrev_b32_e32 v87, 4, v85
	v_and_b32_e32 v85, 0x30303030, v85
	v_and_b32_e32 v82, 0x3f00, v82
	v_add_nc_u16 v84, v84, 0xe000
	v_add_nc_u16 v83, v83, 0xe000
	v_and_or_b32 v86, 0x30303030, v87, v86
	v_and_or_b32 v85, 0xf0f0f0f, v91, v85
	v_add_nc_u16 v87, v90, 0xe000
	v_and_b32_e32 v79, 0xffff, v79
	v_lshlrev_b32_e32 v80, 16, v80
	v_lshrrev_b32_e32 v90, 16, v86
	v_lshrrev_b32_e32 v92, 16, v85
	v_lshlrev_b16 v91, 8, v86
	v_lshlrev_b16 v94, 8, v85
	v_lshrrev_b16 v87, 8, v87
	v_lshlrev_b16 v93, 8, v90
	v_lshlrev_b16 v95, 8, v92
	v_add_nc_u16 v91, v91, 0xe000
	v_add_nc_u16 v94, v94, 0xe000
	v_and_b32_e32 v86, 0x3f00, v86
	v_add_nc_u16 v93, v93, 0xe000
	v_add_nc_u16 v95, v95, 0xe000
	v_lshrrev_b16 v91, 8, v91
	v_and_b32_e32 v90, 0x3f00, v90
	v_and_b32_e32 v85, 0x3f00, v85
	v_lshrrev_b16 v93, 8, v93
	v_lshrrev_b16 v94, 8, v94
	v_and_b32_e32 v92, 0x3f00, v92
	v_lshrrev_b16 v95, 8, v95
	v_or_b32_e32 v82, v82, v87
	v_or_b32_e32 v86, v86, v91
	v_or_b32_e32 v87, v90, v93
	v_or_b32_e32 v85, v85, v94
	v_or_b32_e32 v90, v92, v95
	v_add_nc_u16 v82, v82, 0xe000
	v_add_nc_u16 v86, v86, 0xe000
	;; [unrolled: 1-line block ×5, first 2 shown]
	v_and_b32_e32 v81, 0xffff, v81
	v_lshlrev_b32_e32 v84, 16, v84
	v_and_b32_e32 v83, 0xffff, v83
	v_lshlrev_b32_e32 v82, 16, v82
	;; [unrolled: 2-line block ×4, first 2 shown]
	v_or_b32_e32 v79, v79, v80
	v_or_b32_e32 v80, v81, v84
	;; [unrolled: 1-line block ×5, first 2 shown]
	s_waitcnt vmcnt(2)
	v_cvt_f32_f16_e32 v19, v19
	s_lshl_b32 s16, s18, 8
	ds_store_2addr_b32 v13, v20, v79 offset1:16
	s_cmp_lt_i32 s16, s5
	ds_store_2addr_b32 v14, v80, v81 offset1:16
	ds_store_2addr_b32 v16, v82, v83 offset1:16
	ds_store_b32 v48, v19
	s_waitcnt vmcnt(1)
	ds_store_b32 v77, v88
	s_waitcnt vmcnt(0)
	ds_store_b32 v78, v89
	s_cbranch_scc0 .LBB236_4
; %bb.6:                                ;   in Loop: Header=BB236_5 Depth=1
	s_lshl_b32 s6, s18, 3
	s_delay_alu instid0(SALU_CYCLE_1) | instskip(NEXT) | instid1(VALU_DEP_1)
	v_add_nc_u32_e32 v19, s6, v55
	v_cmp_gt_i32_e32 vcc_lo, s8, v19
	s_and_b32 s21, s1, vcc_lo
	s_delay_alu instid0(SALU_CYCLE_1)
	s_and_saveexec_b32 s17, s21
	s_cbranch_execz .LBB236_8
; %bb.7:                                ;   in Loop: Header=BB236_5 Depth=1
	v_add_nc_u32_e32 v79, v64, v19
	s_delay_alu instid0(VALU_DEP_1)
	v_mad_i64_i32 v[19:20], null, v79, 36, v[17:18]
	global_load_b32 v19, v[19:20], off offset:4
	s_waitcnt vmcnt(0)
	ds_store_b32 v52, v19
.LBB236_8:                              ;   in Loop: Header=BB236_5 Depth=1
	s_or_b32 exec_lo, exec_lo, s17
	s_and_saveexec_b32 s17, s0
	s_cbranch_execz .LBB236_11
; %bb.9:                                ;   in Loop: Header=BB236_5 Depth=1
	v_or_b32_e32 v19, s6, v22
	s_delay_alu instid0(VALU_DEP_1) | instskip(SKIP_1) | instid1(SALU_CYCLE_1)
	v_cmp_gt_i32_e32 vcc_lo, s8, v19
	s_and_b32 s21, s1, vcc_lo
	s_and_b32 exec_lo, exec_lo, s21
	s_cbranch_execz .LBB236_11
; %bb.10:                               ;   in Loop: Header=BB236_5 Depth=1
	v_add_nc_u32_e32 v79, v64, v19
	s_delay_alu instid0(VALU_DEP_1)
	v_mad_i64_i32 v[19:20], null, v79, 36, s[2:3]
	global_load_b32 v19, v[19:20], off
	s_waitcnt vmcnt(0)
	v_cvt_f32_f16_e32 v19, v19
	ds_store_b32 v54, v19
.LBB236_11:                             ;   in Loop: Header=BB236_5 Depth=1
	s_or_b32 exec_lo, exec_lo, s17
	s_waitcnt lgkmcnt(0)
	s_barrier
	buffer_gl0_inv
	ds_load_b32 v19, v56
	ds_load_b32 v20, v57 offset:128
	ds_load_b32 v79, v58 offset:256
	;; [unrolled: 1-line block ×3, first 2 shown]
	s_mov_b32 s21, 0
	s_mov_b32 s17, -1
.LBB236_12:                             ;   Parent Loop BB236_5 Depth=1
                                        ; =>  This Inner Loop Header: Depth=2
	v_lshl_or_b32 v81, s21, 1, v39
	s_lshr_b32 s22, s21, 1
	s_lshl_b32 s21, s21, 3
	v_add_nc_u32_e32 v93, s22, v60
	v_add_nc_u32_e32 v82, s21, v61
	;; [unrolled: 1-line block ×8, first 2 shown]
	v_lshlrev_b32_e32 v94, 2, v81
	v_lshrrev_b32_e32 v161, 1, v81
	ds_load_2addr_b32 v[97:98], v82 offset0:10 offset1:11
	ds_load_2addr_b32 v[99:100], v82 offset0:8 offset1:9
	;; [unrolled: 1-line block ×5, first 2 shown]
	ds_load_2addr_b32 v[107:108], v82 offset1:1
	ds_load_2addr_b32 v[109:110], v84 offset1:1
	ds_load_b32 v163, v83
	ds_load_2addr_b32 v[111:112], v82 offset0:14 offset1:15
	ds_load_2addr_b32 v[113:114], v82 offset0:12 offset1:13
	;; [unrolled: 1-line block ×6, first 2 shown]
	ds_load_b32 v164, v85
	ds_load_2addr_b32 v[123:124], v84 offset0:14 offset1:15
	ds_load_2addr_b32 v[125:126], v84 offset0:12 offset1:13
	;; [unrolled: 1-line block ×6, first 2 shown]
	ds_load_2addr_b32 v[135:136], v86 offset1:1
	ds_load_2addr_b32 v[137:138], v86 offset0:14 offset1:15
	ds_load_2addr_b32 v[139:140], v86 offset0:12 offset1:13
	ds_load_2addr_b32 v[141:142], v86 offset0:10 offset1:11
	ds_load_2addr_b32 v[143:144], v86 offset0:8 offset1:9
	ds_load_2addr_b32 v[145:146], v88 offset0:6 offset1:7
	ds_load_2addr_b32 v[147:148], v88 offset0:4 offset1:5
	ds_load_2addr_b32 v[149:150], v88 offset0:2 offset1:3
	ds_load_2addr_b32 v[151:152], v88 offset1:1
	ds_load_b32 v165, v87
	ds_load_2addr_b32 v[153:154], v88 offset0:14 offset1:15
	ds_load_2addr_b32 v[155:156], v88 offset0:12 offset1:13
	;; [unrolled: 1-line block ×4, first 2 shown]
	ds_load_b128 v[81:84], v94 offset:35440
	ds_load_b128 v[85:88], v94 offset:35424
	ds_load_b128 v[89:92], v94 offset:35408
	ds_load_b32 v166, v93
	ds_load_b128 v[93:96], v94 offset:35392
	ds_load_b64 v[161:162], v161 offset:36944
	s_waitcnt lgkmcnt(33)
	v_bfe_i32 v167, v163, 8, 8
	v_bfe_i32 v168, v163, 0, 8
	v_bfe_i32 v169, v163, 16, 8
	v_ashrrev_i32_e32 v163, 24, v163
	s_waitcnt lgkmcnt(26)
	v_bfe_i32 v170, v164, 8, 8
	v_bfe_i32 v171, v164, 0, 8
	;; [unrolled: 1-line block ×3, first 2 shown]
	v_ashrrev_i32_e32 v164, 24, v164
	s_mov_b32 s21, 8
	s_waitcnt lgkmcnt(10)
	v_bfe_i32 v173, v165, 8, 8
	v_bfe_i32 v174, v165, 0, 8
	;; [unrolled: 1-line block ×3, first 2 shown]
	v_ashrrev_i32_e32 v165, 24, v165
	s_and_b32 vcc_lo, exec_lo, s17
	s_waitcnt lgkmcnt(5)
	v_dot4_i32_iu8 v111, v111, v83, 0 neg_lo:[1,1,0]
	s_waitcnt lgkmcnt(4)
	v_dot4_i32_iu8 v97, v97, v87, 0 neg_lo:[1,1,0]
	;; [unrolled: 2-line block ×3, first 2 shown]
	v_dot4_i32_iu8 v123, v123, v83, 0 neg_lo:[1,1,0]
	s_waitcnt lgkmcnt(1)
	v_dot4_i32_iu8 v105, v105, v95, 0 neg_lo:[1,1,0]
	v_dot4_i32_iu8 v117, v117, v91, 0 neg_lo:[1,1,0]
	;; [unrolled: 1-line block ×40, first 2 shown]
	v_bfe_i32 v176, v166, 8, 8
	v_bfe_i32 v177, v166, 0, 8
	;; [unrolled: 1-line block ×3, first 2 shown]
	v_ashrrev_i32_e32 v166, 24, v166
	v_dot4_i32_iu8 v95, v108, v94, v101 neg_lo:[1,1,0]
	v_dot4_i32_iu8 v101, v110, v94, v109 neg_lo:[1,1,0]
	;; [unrolled: 1-line block ×18, first 2 shown]
	v_mul_lo_u32 v81, v87, v176
	v_mul_lo_u32 v82, v86, v166
	v_mul_lo_u32 v83, v90, v167
	v_mul_lo_u32 v84, v89, v163
	v_dot4_i32_iu8 v92, v150, v96, v85 neg_lo:[1,1,0]
	v_mul_lo_u32 v85, v99, v170
	v_mul_lo_u32 v86, v97, v164
	;; [unrolled: 1-line block ×4, first 2 shown]
	v_dot4_i32_iu8 v100, v134, v96, v107 neg_lo:[1,1,0]
	v_mad_u64_u32 v[89:90], null, v91, v177, v[81:82]
	v_mad_u64_u32 v[90:91], null, v94, v178, v[82:83]
	v_mad_u64_u32 v[81:82], null, v95, v168, v[83:84]
	v_mad_u64_u32 v[82:83], null, v93, v169, v[84:85]
	v_mad_u64_u32 v[83:84], null, v100, v171, v[85:86]
	v_mad_u64_u32 v[84:85], null, v98, v172, v[86:87]
	v_mad_u64_u32 v[85:86], null, v92, v174, v[87:88]
	v_mad_u64_u32 v[86:87], null, v102, v175, v[88:89]
	v_cvt_f32_i32_e32 v87, v89
	v_cvt_f32_i32_e32 v81, v81
	;; [unrolled: 1-line block ×8, first 2 shown]
	s_waitcnt lgkmcnt(0)
	v_fma_f32 v87, v161, v87, 0
	v_fma_f32 v81, v161, v81, 0
	v_fma_f32 v83, v161, v83, 0
	v_fma_f32 v85, v161, v85, 0
	s_mov_b32 s17, 0
	v_fmac_f32_e32 v87, v162, v88
	v_fmac_f32_e32 v81, v162, v82
	;; [unrolled: 1-line block ×4, first 2 shown]
	s_delay_alu instid0(VALU_DEP_4) | instskip(NEXT) | instid1(VALU_DEP_3)
	v_fmac_f32_e32 v23, v19, v87
	v_dual_fmac_f32 v51, v20, v81 :: v_dual_fmac_f32 v46, v79, v83
	s_delay_alu instid0(VALU_DEP_3)
	v_fmac_f32_e32 v15, v80, v85
	s_cbranch_vccnz .LBB236_12
; %bb.13:                               ;   in Loop: Header=BB236_5 Depth=1
	s_bitset1_b32 s16, 7
	s_delay_alu instid0(SALU_CYCLE_1)
	s_cmp_ge_i32 s16, s5
	s_barrier
	buffer_gl0_inv
	s_cbranch_scc1 .LBB236_4
; %bb.14:                               ;   in Loop: Header=BB236_5 Depth=1
	v_add_nc_u32_e32 v19, s6, v53
	s_delay_alu instid0(VALU_DEP_1) | instskip(SKIP_1) | instid1(SALU_CYCLE_1)
	v_cmp_gt_i32_e32 vcc_lo, s8, v19
	s_and_b32 s17, s1, vcc_lo
	s_and_saveexec_b32 s16, s17
	s_cbranch_execz .LBB236_16
; %bb.15:                               ;   in Loop: Header=BB236_5 Depth=1
	v_add_nc_u32_e32 v79, v64, v19
	s_delay_alu instid0(VALU_DEP_1)
	v_mad_i64_i32 v[19:20], null, v79, 36, v[17:18]
	global_load_b32 v19, v[19:20], off offset:4
	s_waitcnt vmcnt(0)
	ds_store_b32 v52, v19
.LBB236_16:                             ;   in Loop: Header=BB236_5 Depth=1
	s_or_b32 exec_lo, exec_lo, s16
	s_and_saveexec_b32 s16, s0
	s_cbranch_execz .LBB236_19
; %bb.17:                               ;   in Loop: Header=BB236_5 Depth=1
	v_or_b32_e32 v19, s6, v22
	s_delay_alu instid0(VALU_DEP_1) | instskip(NEXT) | instid1(VALU_DEP_1)
	v_or_b32_e32 v20, 4, v19
	v_cmp_gt_i32_e32 vcc_lo, s8, v20
	s_and_b32 s6, s1, vcc_lo
	s_delay_alu instid0(SALU_CYCLE_1)
	s_and_b32 exec_lo, exec_lo, s6
	s_cbranch_execz .LBB236_19
; %bb.18:                               ;   in Loop: Header=BB236_5 Depth=1
	v_ashrrev_i32_e32 v20, 31, v19
	v_add_co_u32 v79, vcc_lo, v64, v19
	s_delay_alu instid0(VALU_DEP_2) | instskip(NEXT) | instid1(VALU_DEP_2)
	v_add_co_ci_u32_e32 v80, vcc_lo, v69, v20, vcc_lo
	v_mad_u64_u32 v[19:20], null, v79, 36, s[14:15]
	s_delay_alu instid0(VALU_DEP_1)
	v_mad_i32_i24 v20, v80, 36, v20
	global_load_b32 v19, v[19:20], off
	s_waitcnt vmcnt(0)
	v_cvt_f32_f16_e32 v19, v19
	ds_store_b32 v54, v19
.LBB236_19:                             ;   in Loop: Header=BB236_5 Depth=1
	s_or_b32 exec_lo, exec_lo, s16
	s_waitcnt lgkmcnt(0)
	s_barrier
	buffer_gl0_inv
	ds_load_b32 v19, v56
	ds_load_b32 v20, v57 offset:128
	ds_load_b32 v79, v58 offset:256
	;; [unrolled: 1-line block ×3, first 2 shown]
	v_dual_mov_b32 v81, v76 :: v_dual_mov_b32 v82, v75
	v_dual_mov_b32 v83, v74 :: v_dual_mov_b32 v84, v73
	;; [unrolled: 1-line block ×3, first 2 shown]
	v_mov_b32_e32 v87, v70
	s_mov_b32 s6, 8
.LBB236_20:                             ;   Parent Loop BB236_5 Depth=1
                                        ; =>  This Inner Loop Header: Depth=2
	ds_load_b128 v[88:91], v85
	ds_load_b128 v[92:95], v85 offset:16
	ds_load_b128 v[96:99], v85 offset:32
	;; [unrolled: 1-line block ×3, first 2 shown]
	ds_load_b64 v[104:105], v86
	ds_load_2addr_b32 v[106:107], v87 offset0:6 offset1:7
	ds_load_2addr_b32 v[108:109], v87 offset0:4 offset1:5
	;; [unrolled: 1-line block ×3, first 2 shown]
	ds_load_2addr_b32 v[112:113], v87 offset1:1
	ds_load_2addr_b32 v[114:115], v87 offset0:14 offset1:15
	ds_load_2addr_b32 v[116:117], v87 offset0:12 offset1:13
	ds_load_2addr_b32 v[118:119], v87 offset0:10 offset1:11
	ds_load_2addr_b32 v[120:121], v87 offset0:8 offset1:9
	v_add_nc_u32_e32 v122, 0x2090, v87
	v_add_nc_u32_e32 v124, 0x2088, v87
	;; [unrolled: 1-line block ×24, first 2 shown]
	ds_load_b32 v170, v81
	ds_load_b32 v171, v82
	;; [unrolled: 1-line block ×4, first 2 shown]
	ds_load_2addr_b32 v[122:123], v122 offset1:1
	ds_load_2addr_b32 v[124:125], v124 offset1:1
	;; [unrolled: 1-line block ×24, first 2 shown]
	s_waitcnt lgkmcnt(31)
	v_dot4_i32_iu8 v114, v114, v102, 0 neg_lo:[1,1,0]
	s_waitcnt lgkmcnt(29)
	v_dot4_i32_iu8 v118, v118, v98, 0 neg_lo:[1,1,0]
	v_dot4_i32_iu8 v106, v106, v94, 0 neg_lo:[1,1,0]
	;; [unrolled: 1-line block ×3, first 2 shown]
	v_add_nc_u32_e32 v86, 8, v86
	v_dot4_i32_iu8 v114, v116, v100, v114 neg_lo:[1,1,0]
	s_waitcnt lgkmcnt(28)
	v_dot4_i32_iu8 v116, v120, v96, v118 neg_lo:[1,1,0]
	v_dot4_i32_iu8 v106, v108, v92, v106 neg_lo:[1,1,0]
	;; [unrolled: 1-line block ×3, first 2 shown]
	s_waitcnt lgkmcnt(19)
	v_dot4_i32_iu8 v110, v130, v102, 0 neg_lo:[1,1,0]
	s_waitcnt lgkmcnt(17)
	v_dot4_i32_iu8 v112, v134, v98, 0 neg_lo:[1,1,0]
	v_dot4_i32_iu8 v118, v126, v94, 0 neg_lo:[1,1,0]
	;; [unrolled: 1-line block ×3, first 2 shown]
	s_waitcnt lgkmcnt(13)
	v_dot4_i32_iu8 v130, v142, v94, 0 neg_lo:[1,1,0]
	s_waitcnt lgkmcnt(11)
	v_dot4_i32_iu8 v124, v146, v102, 0 neg_lo:[1,1,0]
	;; [unrolled: 2-line block ×4, first 2 shown]
	v_dot4_i32_iu8 v126, v150, v98, 0 neg_lo:[1,1,0]
	v_dot4_i32_iu8 v134, v140, v90, 0 neg_lo:[1,1,0]
	s_waitcnt lgkmcnt(1)
	v_dot4_i32_iu8 v98, v166, v98, 0 neg_lo:[1,1,0]
	v_dot4_i32_iu8 v90, v156, v90, 0 neg_lo:[1,1,0]
	;; [unrolled: 1-line block ×13, first 2 shown]
	v_bfe_i32 v174, v170, 8, 8
	v_bfe_i32 v175, v170, 0, 8
	;; [unrolled: 1-line block ×3, first 2 shown]
	v_ashrrev_i32_e32 v170, 24, v170
	v_dot4_i32_iu8 v116, v121, v97, v116 neg_lo:[1,1,0]
	v_dot4_i32_iu8 v118, v152, v96, v126 neg_lo:[1,1,0]
	v_dot4_i32_iu8 v121, v144, v88, v134 neg_lo:[1,1,0]
	s_waitcnt lgkmcnt(0)
	v_dot4_i32_iu8 v96, v168, v96, v98 neg_lo:[1,1,0]
	v_dot4_i32_iu8 v88, v160, v88, v90 neg_lo:[1,1,0]
	;; [unrolled: 1-line block ×12, first 2 shown]
	v_bfe_i32 v177, v171, 8, 8
	v_bfe_i32 v178, v171, 0, 8
	;; [unrolled: 1-line block ×3, first 2 shown]
	v_ashrrev_i32_e32 v171, 24, v171
	v_dot4_i32_iu8 v109, v129, v89, v113 neg_lo:[1,1,0]
	v_dot4_i32_iu8 v113, v145, v89, v121 neg_lo:[1,1,0]
	;; [unrolled: 1-line block ×3, first 2 shown]
	v_mul_lo_u32 v88, v94, v174
	v_mul_lo_u32 v89, v90, v170
	v_dot4_i32_iu8 v94, v131, v103, v106 neg_lo:[1,1,0]
	v_dot4_i32_iu8 v90, v127, v95, v108 neg_lo:[1,1,0]
	v_bfe_i32 v180, v172, 8, 8
	v_dot4_i32_iu8 v108, v143, v95, v112 neg_lo:[1,1,0]
	v_bfe_i32 v181, v172, 0, 8
	v_bfe_i32 v182, v172, 16, 8
	v_ashrrev_i32_e32 v172, 24, v172
	v_dot4_i32_iu8 v111, v153, v97, v118 neg_lo:[1,1,0]
	v_dot4_i32_iu8 v96, v169, v97, v96 neg_lo:[1,1,0]
	;; [unrolled: 1-line block ×3, first 2 shown]
	v_bfe_i32 v183, v173, 8, 8
	v_dot4_i32_iu8 v95, v159, v95, v92 neg_lo:[1,1,0]
	v_bfe_i32 v184, v173, 0, 8
	v_bfe_i32 v185, v173, 16, 8
	v_ashrrev_i32_e32 v173, 24, v173
	v_dot4_i32_iu8 v100, v163, v103, v100 neg_lo:[1,1,0]
	v_dot4_i32_iu8 v106, v125, v91, v109 neg_lo:[1,1,0]
	;; [unrolled: 1-line block ×4, first 2 shown]
	v_mul_lo_u32 v90, v90, v177
	v_mul_lo_u32 v91, v94, v171
	;; [unrolled: 1-line block ×4, first 2 shown]
	v_dot4_i32_iu8 v102, v119, v99, v116 neg_lo:[1,1,0]
	v_mul_lo_u32 v94, v95, v183
	v_dot4_i32_iu8 v101, v135, v99, v107 neg_lo:[1,1,0]
	v_mul_lo_u32 v95, v100, v173
	v_dot4_i32_iu8 v107, v151, v99, v111 neg_lo:[1,1,0]
	v_dot4_i32_iu8 v99, v167, v99, v96 neg_lo:[1,1,0]
	v_mad_u64_u32 v[96:97], null, v98, v175, v[88:89]
	v_mad_u64_u32 v[97:98], null, v102, v176, v[89:90]
	;; [unrolled: 1-line block ×8, first 2 shown]
	v_cvt_f32_i32_e32 v94, v96
	v_cvt_f32_i32_e32 v88, v88
	;; [unrolled: 1-line block ×5, first 2 shown]
	v_fma_f32 v94, v104, v94, 0
	v_cvt_f32_i32_e32 v89, v89
	v_cvt_f32_i32_e32 v91, v91
	v_cvt_f32_i32_e32 v93, v93
	v_fma_f32 v88, v104, v88, 0
	v_fma_f32 v90, v104, v90, 0
	;; [unrolled: 1-line block ×3, first 2 shown]
	v_add_nc_u32_e32 v87, 64, v87
	v_dual_fmac_f32 v94, v105, v95 :: v_dual_add_nc_u32 v85, 64, v85
	s_delay_alu instid0(VALU_DEP_3)
	v_dual_fmac_f32 v92, v105, v93 :: v_dual_add_nc_u32 v83, 4, v83
	v_fmac_f32_e32 v88, v105, v89
	v_dual_fmac_f32 v90, v105, v91 :: v_dual_add_nc_u32 v81, 4, v81
	v_add_nc_u32_e32 v84, 4, v84
	v_add_nc_u32_e32 v82, 4, v82
	v_fmac_f32_e32 v23, v19, v94
	s_delay_alu instid0(VALU_DEP_4) | instskip(SKIP_2) | instid1(SALU_CYCLE_1)
	v_dual_fmac_f32 v51, v20, v88 :: v_dual_fmac_f32 v46, v79, v90
	v_fmac_f32_e32 v15, v80, v92
	s_add_i32 s6, s6, 8
	s_cmp_lt_u32 s6, 24
	s_cbranch_scc1 .LBB236_20
; %bb.21:                               ;   in Loop: Header=BB236_5 Depth=1
	s_barrier
	buffer_gl0_inv
	s_branch .LBB236_4
.LBB236_22:
	s_mul_i32 s0, s10, s7
	s_waitcnt vmcnt(0)
	v_cmp_gt_i32_e32 vcc_lo, s0, v21
	s_and_saveexec_b32 s0, vcc_lo
	s_cbranch_execz .LBB236_31
; %bb.23:
	v_mul_lo_u32 v0, v21, s9
	v_add_nc_u32_e32 v1, s11, v22
	s_mov_b32 s0, exec_lo
	s_delay_alu instid0(VALU_DEP_1)
	v_cmpx_gt_u32_e64 s9, v1
	s_cbranch_execz .LBB236_25
; %bb.24:
	v_bfe_u32 v3, v23, 16, 1
	s_delay_alu instid0(VALU_DEP_4) | instskip(SKIP_1) | instid1(VALU_DEP_3)
	v_add_nc_u32_e32 v2, v0, v1
	v_cmp_o_f32_e32 vcc_lo, v23, v23
	v_add3_u32 v4, v23, v3, 0x7fff
	v_mov_b32_e32 v3, 0
	s_delay_alu instid0(VALU_DEP_2) | instskip(NEXT) | instid1(VALU_DEP_2)
	v_lshrrev_b32_e32 v4, 16, v4
	v_lshlrev_b64 v[2:3], 1, v[2:3]
	s_delay_alu instid0(VALU_DEP_2) | instskip(NEXT) | instid1(VALU_DEP_2)
	v_cndmask_b32_e32 v4, 0x7fc0, v4, vcc_lo
	v_add_co_u32 v2, vcc_lo, s12, v2
	s_delay_alu instid0(VALU_DEP_3)
	v_add_co_ci_u32_e32 v3, vcc_lo, s13, v3, vcc_lo
	global_store_b16 v[2:3], v4, off
.LBB236_25:
	s_or_b32 exec_lo, exec_lo, s0
	v_add_nc_u32_e32 v2, 32, v1
	s_mov_b32 s0, exec_lo
	s_delay_alu instid0(VALU_DEP_1)
	v_cmpx_gt_u32_e64 s9, v2
	s_cbranch_execz .LBB236_27
; %bb.26:
	v_bfe_u32 v3, v51, 16, 1
	v_add_nc_u32_e32 v2, v0, v2
	v_cmp_o_f32_e32 vcc_lo, v51, v51
	s_delay_alu instid0(VALU_DEP_3) | instskip(SKIP_1) | instid1(VALU_DEP_2)
	v_add3_u32 v4, v51, v3, 0x7fff
	v_mov_b32_e32 v3, 0
	v_lshrrev_b32_e32 v4, 16, v4
	s_delay_alu instid0(VALU_DEP_2) | instskip(NEXT) | instid1(VALU_DEP_2)
	v_lshlrev_b64 v[2:3], 1, v[2:3]
	v_cndmask_b32_e32 v4, 0x7fc0, v4, vcc_lo
	s_delay_alu instid0(VALU_DEP_2) | instskip(NEXT) | instid1(VALU_DEP_3)
	v_add_co_u32 v2, vcc_lo, s12, v2
	v_add_co_ci_u32_e32 v3, vcc_lo, s13, v3, vcc_lo
	global_store_b16 v[2:3], v4, off
.LBB236_27:
	s_or_b32 exec_lo, exec_lo, s0
	v_add_nc_u32_e32 v2, 64, v1
	s_mov_b32 s0, exec_lo
	s_delay_alu instid0(VALU_DEP_1)
	v_cmpx_gt_u32_e64 s9, v2
	s_cbranch_execz .LBB236_29
; %bb.28:
	v_bfe_u32 v3, v46, 16, 1
	v_add_nc_u32_e32 v2, v0, v2
	v_cmp_o_f32_e32 vcc_lo, v46, v46
	s_delay_alu instid0(VALU_DEP_3) | instskip(SKIP_1) | instid1(VALU_DEP_2)
	v_add3_u32 v4, v46, v3, 0x7fff
	v_mov_b32_e32 v3, 0
	v_lshrrev_b32_e32 v4, 16, v4
	s_delay_alu instid0(VALU_DEP_2) | instskip(NEXT) | instid1(VALU_DEP_2)
	v_lshlrev_b64 v[2:3], 1, v[2:3]
	v_cndmask_b32_e32 v4, 0x7fc0, v4, vcc_lo
	s_delay_alu instid0(VALU_DEP_2) | instskip(NEXT) | instid1(VALU_DEP_3)
	v_add_co_u32 v2, vcc_lo, s12, v2
	v_add_co_ci_u32_e32 v3, vcc_lo, s13, v3, vcc_lo
	global_store_b16 v[2:3], v4, off
.LBB236_29:
	s_or_b32 exec_lo, exec_lo, s0
	v_add_nc_u32_e32 v1, 0x60, v1
	s_delay_alu instid0(VALU_DEP_1)
	v_cmp_gt_u32_e32 vcc_lo, s9, v1
	s_and_b32 exec_lo, exec_lo, vcc_lo
	s_cbranch_execz .LBB236_31
; %bb.30:
	v_bfe_u32 v2, v15, 16, 1
	v_dual_mov_b32 v1, 0 :: v_dual_add_nc_u32 v0, v0, v1
	v_cmp_o_f32_e32 vcc_lo, v15, v15
	s_delay_alu instid0(VALU_DEP_3) | instskip(NEXT) | instid1(VALU_DEP_3)
	v_add3_u32 v2, v15, v2, 0x7fff
	v_lshlrev_b64 v[0:1], 1, v[0:1]
	s_delay_alu instid0(VALU_DEP_2) | instskip(NEXT) | instid1(VALU_DEP_1)
	v_lshrrev_b32_e32 v2, 16, v2
	v_cndmask_b32_e32 v2, 0x7fc0, v2, vcc_lo
	s_delay_alu instid0(VALU_DEP_3) | instskip(NEXT) | instid1(VALU_DEP_4)
	v_add_co_u32 v0, vcc_lo, s12, v0
	v_add_co_ci_u32_e32 v1, vcc_lo, s13, v1, vcc_lo
	global_store_b16 v[0:1], v2, off
.LBB236_31:
	s_nop 0
	s_sendmsg sendmsg(MSG_DEALLOC_VGPRS)
	s_endpgm
	.section	.rodata,"a",@progbits
	.p2align	6, 0x0
	.amdhsa_kernel _ZL8moe_q6_KIN3c108BFloat16ELb1EEvPKvS3_PT_PKiS7_S7_iiiiiii
		.amdhsa_group_segment_fixed_size 37072
		.amdhsa_private_segment_fixed_size 0
		.amdhsa_kernarg_size 76
		.amdhsa_user_sgpr_count 14
		.amdhsa_user_sgpr_dispatch_ptr 0
		.amdhsa_user_sgpr_queue_ptr 0
		.amdhsa_user_sgpr_kernarg_segment_ptr 1
		.amdhsa_user_sgpr_dispatch_id 0
		.amdhsa_user_sgpr_private_segment_size 0
		.amdhsa_wavefront_size32 1
		.amdhsa_uses_dynamic_stack 0
		.amdhsa_enable_private_segment 0
		.amdhsa_system_sgpr_workgroup_id_x 1
		.amdhsa_system_sgpr_workgroup_id_y 1
		.amdhsa_system_sgpr_workgroup_id_z 0
		.amdhsa_system_sgpr_workgroup_info 0
		.amdhsa_system_vgpr_workitem_id 1
		.amdhsa_next_free_vgpr 186
		.amdhsa_next_free_sgpr 23
		.amdhsa_reserve_vcc 1
		.amdhsa_float_round_mode_32 0
		.amdhsa_float_round_mode_16_64 0
		.amdhsa_float_denorm_mode_32 3
		.amdhsa_float_denorm_mode_16_64 3
		.amdhsa_dx10_clamp 1
		.amdhsa_ieee_mode 1
		.amdhsa_fp16_overflow 0
		.amdhsa_workgroup_processor_mode 1
		.amdhsa_memory_ordered 1
		.amdhsa_forward_progress 0
		.amdhsa_shared_vgpr_count 0
		.amdhsa_exception_fp_ieee_invalid_op 0
		.amdhsa_exception_fp_denorm_src 0
		.amdhsa_exception_fp_ieee_div_zero 0
		.amdhsa_exception_fp_ieee_overflow 0
		.amdhsa_exception_fp_ieee_underflow 0
		.amdhsa_exception_fp_ieee_inexact 0
		.amdhsa_exception_int_div_zero 0
	.end_amdhsa_kernel
	.section	.text._ZL8moe_q6_KIN3c108BFloat16ELb1EEvPKvS3_PT_PKiS7_S7_iiiiiii,"axG",@progbits,_ZL8moe_q6_KIN3c108BFloat16ELb1EEvPKvS3_PT_PKiS7_S7_iiiiiii,comdat
.Lfunc_end236:
	.size	_ZL8moe_q6_KIN3c108BFloat16ELb1EEvPKvS3_PT_PKiS7_S7_iiiiiii, .Lfunc_end236-_ZL8moe_q6_KIN3c108BFloat16ELb1EEvPKvS3_PT_PKiS7_S7_iiiiiii
                                        ; -- End function
	.section	.AMDGPU.csdata,"",@progbits
; Kernel info:
; codeLenInByte = 11468
; NumSgprs: 25
; NumVgprs: 186
; ScratchSize: 0
; MemoryBound: 0
; FloatMode: 240
; IeeeMode: 1
; LDSByteSize: 37072 bytes/workgroup (compile time only)
; SGPRBlocks: 3
; VGPRBlocks: 23
; NumSGPRsForWavesPerEU: 25
; NumVGPRsForWavesPerEU: 186
; Occupancy: 6
; WaveLimiterHint : 1
; COMPUTE_PGM_RSRC2:SCRATCH_EN: 0
; COMPUTE_PGM_RSRC2:USER_SGPR: 14
; COMPUTE_PGM_RSRC2:TRAP_HANDLER: 0
; COMPUTE_PGM_RSRC2:TGID_X_EN: 1
; COMPUTE_PGM_RSRC2:TGID_Y_EN: 1
; COMPUTE_PGM_RSRC2:TGID_Z_EN: 0
; COMPUTE_PGM_RSRC2:TIDIG_COMP_CNT: 1
	.section	.text._ZL9moe_vec_qIfLi32ELi4E10block_q4_0Li2EXadL_ZL17vec_dot_q4_0_q8_1PKvPK10block_q8_1RKiEEEvS2_S2_PT_PS6_iiii,"axG",@progbits,_ZL9moe_vec_qIfLi32ELi4E10block_q4_0Li2EXadL_ZL17vec_dot_q4_0_q8_1PKvPK10block_q8_1RKiEEEvS2_S2_PT_PS6_iiii,comdat
	.globl	_ZL9moe_vec_qIfLi32ELi4E10block_q4_0Li2EXadL_ZL17vec_dot_q4_0_q8_1PKvPK10block_q8_1RKiEEEvS2_S2_PT_PS6_iiii ; -- Begin function _ZL9moe_vec_qIfLi32ELi4E10block_q4_0Li2EXadL_ZL17vec_dot_q4_0_q8_1PKvPK10block_q8_1RKiEEEvS2_S2_PT_PS6_iiii
	.p2align	8
	.type	_ZL9moe_vec_qIfLi32ELi4E10block_q4_0Li2EXadL_ZL17vec_dot_q4_0_q8_1PKvPK10block_q8_1RKiEEEvS2_S2_PT_PS6_iiii,@function
_ZL9moe_vec_qIfLi32ELi4E10block_q4_0Li2EXadL_ZL17vec_dot_q4_0_q8_1PKvPK10block_q8_1RKiEEEvS2_S2_PT_PS6_iiii: ; @_ZL9moe_vec_qIfLi32ELi4E10block_q4_0Li2EXadL_ZL17vec_dot_q4_0_q8_1PKvPK10block_q8_1RKiEEEvS2_S2_PT_PS6_iiii
; %bb.0:
	s_clause 0x1
	s_load_b32 s2, s[0:1], 0x3c
	s_load_b128 s[4:7], s[0:1], 0x20
	v_bfe_u32 v3, v0, 10, 10
	s_waitcnt lgkmcnt(0)
	s_lshr_b32 s2, s2, 16
	s_delay_alu instid0(VALU_DEP_1) | instid1(SALU_CYCLE_1)
	v_mad_u64_u32 v[1:2], null, s14, s2, v[3:4]
	s_mov_b32 s2, exec_lo
	s_delay_alu instid0(VALU_DEP_1)
	v_cmpx_gt_u32_e64 s6, v1
	s_cbranch_execz .LBB237_7
; %bb.1:
	v_cvt_f32_u32_e32 v2, s4
	s_load_b64 s[10:11], s[0:1], 0x10
	s_ashr_i32 s2, s5, 31
	v_and_b32_e32 v0, 0x3ff, v0
	s_lshr_b32 s2, s2, 27
	v_rcp_iflag_f32_e32 v2, v2
	s_add_i32 s2, s5, s2
	s_mov_b32 s8, s15
	s_ashr_i32 s12, s2, 5
	s_mov_b32 s5, exec_lo
	s_waitcnt_depctr 0xfff
	v_mul_f32_e32 v3, 0x4f7ffffe, v2
	s_delay_alu instid0(VALU_DEP_1) | instskip(NEXT) | instid1(VALU_DEP_1)
	v_cvt_u32_f32_e32 v3, v3
	v_readfirstlane_b32 s2, v3
	v_mov_b32_e32 v3, 0
	v_lshrrev_b32_e32 v2, 1, v0
	s_delay_alu instid0(VALU_DEP_1)
	v_cmpx_gt_u32_e64 s12, v2
	s_cbranch_execz .LBB237_5
; %bb.2:
	s_load_b64 s[14:15], s[0:1], 0x18
	s_sub_i32 s3, 0, s4
	s_mov_b32 s9, 0
	s_mul_i32 s3, s3, s2
	s_lshl_b64 s[16:17], s[8:9], 2
	s_mul_hi_u32 s3, s2, s3
	v_lshlrev_b32_e32 v3, 3, v0
	s_add_i32 s13, s2, s3
	v_mul_lo_u32 v4, v1, s12
	s_mul_hi_u32 s13, s8, s13
	s_delay_alu instid0(VALU_DEP_2)
	v_and_b32_e32 v5, 8, v3
	v_mov_b32_e32 v3, 0
	s_waitcnt lgkmcnt(0)
	s_add_u32 s2, s14, s16
	s_addc_u32 s3, s15, s17
	s_mul_i32 s15, s13, s4
	s_load_b32 s14, s[2:3], 0x0
	s_load_b128 s[0:3], s[0:1], 0x0
	s_sub_i32 s17, s8, s15
	s_add_i32 s18, s13, 1
	s_sub_i32 s19, s17, s4
	s_cmp_ge_u32 s17, s4
	s_mul_i32 s16, s12, s6
	s_cselect_b32 s13, s18, s13
	s_cselect_b32 s17, s19, s17
	s_add_i32 s18, s13, 1
	s_cmp_ge_u32 s17, s4
	s_mov_b32 s15, s9
	s_cselect_b32 s4, s18, s13
	s_waitcnt lgkmcnt(0)
	s_mul_i32 s13, s16, s14
	s_mul_i32 s14, s4, s7
	;; [unrolled: 1-line block ×3, first 2 shown]
	s_mul_hi_i32 s7, s13, 18
	s_add_u32 s0, s0, s4
	s_addc_u32 s1, s1, s7
	s_lshl_b64 s[14:15], s[14:15], 2
	s_delay_alu instid0(SALU_CYCLE_1)
	s_add_u32 s2, s2, s14
	s_addc_u32 s3, s3, s15
.LBB237_3:                              ; =>This Inner Loop Header: Depth=1
	v_add_nc_u32_e32 v10, v4, v2
	v_mad_i64_i32 v[6:7], null, v2, 36, s[2:3]
	v_add_nc_u32_e32 v2, 16, v2
	s_delay_alu instid0(VALU_DEP_3) | instskip(NEXT) | instid1(VALU_DEP_3)
	v_mad_i64_i32 v[8:9], null, v10, 18, s[0:1]
	v_add_co_u32 v10, vcc_lo, v6, v5
	s_delay_alu instid0(VALU_DEP_4) | instskip(NEXT) | instid1(VALU_DEP_3)
	v_add_co_ci_u32_e32 v11, vcc_lo, 0, v7, vcc_lo
	v_add_co_u32 v12, vcc_lo, v8, v5
	s_delay_alu instid0(VALU_DEP_4)
	v_add_co_ci_u32_e32 v13, vcc_lo, 0, v9, vcc_lo
	v_cmp_le_u32_e32 vcc_lo, s12, v2
	global_load_b64 v[14:15], v[10:11], off offset:4
	global_load_b64 v[12:13], v[12:13], off offset:2
	s_clause 0x1
	global_load_b64 v[10:11], v[10:11], off offset:20
	global_load_b32 v6, v[6:7], off
	global_load_u16 v7, v[8:9], off
	s_or_b32 s9, vcc_lo, s9
	s_waitcnt vmcnt(4)
	v_bfe_i32 v8, v14, 0, 8
	s_waitcnt vmcnt(3)
	v_and_b32_e32 v26, 15, v12
	v_bfe_i32 v9, v14, 8, 8
	s_waitcnt vmcnt(2)
	v_bfe_i32 v17, v10, 0, 8
	v_bfe_i32 v20, v15, 0, 8
	v_bfe_u32 v27, v12, 8, 4
	v_bfe_u32 v28, v12, 4, 4
	v_and_b32_e32 v29, 15, v13
	v_mul_i32_i24_e32 v8, v8, v26
	v_bfe_i32 v16, v14, 16, 8
	v_ashrrev_i32_e32 v14, 24, v14
	v_bfe_u32 v26, v12, 16, 4
	v_bfe_u32 v30, v12, 24, 4
	v_mul_i32_i24_e32 v9, v27, v9
	v_mul_i32_i24_e32 v20, v20, v29
	v_mad_i32_i24 v8, v28, v17, v8
	v_bfe_i32 v18, v10, 8, 8
	v_bfe_i32 v19, v10, 16, 8
	v_bfe_u32 v17, v12, 20, 4
	v_bfe_u32 v27, v12, 12, 4
	v_mul_i32_i24_e32 v16, v26, v16
	v_mul_i32_i24_e32 v14, v30, v14
	v_add3_u32 v8, v8, v20, v9
	v_ashrrev_i32_e32 v10, 24, v10
	v_bfe_i32 v23, v11, 0, 8
	v_lshrrev_b32_e32 v9, 28, v12
	v_bfe_u32 v12, v13, 4, 4
	v_mul_i32_i24_e32 v18, v27, v18
	v_mul_i32_i24_e32 v17, v17, v19
	v_add3_u32 v8, v8, v16, v14
	v_bfe_i32 v21, v15, 8, 8
	v_bfe_i32 v22, v15, 16, 8
	v_bfe_u32 v14, v13, 8, 4
	v_bfe_u32 v16, v13, 16, 4
	v_mul_i32_i24_e32 v9, v9, v10
	v_mul_i32_i24_e32 v10, v12, v23
	v_add3_u32 v8, v8, v18, v17
	v_ashrrev_i32_e32 v15, 24, v15
	v_bfe_i32 v24, v11, 8, 8
	v_bfe_u32 v12, v13, 24, 4
	v_bfe_u32 v17, v13, 12, 4
	v_mul_i32_i24_e32 v14, v14, v21
	v_mul_i32_i24_e32 v16, v16, v22
	v_add3_u32 v8, v8, v9, v10
	v_bfe_i32 v25, v11, 16, 8
	v_ashrrev_i32_e32 v11, 24, v11
	v_bfe_u32 v9, v13, 20, 4
	v_lshrrev_b32_e32 v10, 28, v13
	v_mul_i32_i24_e32 v12, v12, v15
	v_mul_i32_i24_e32 v13, v17, v24
	v_add3_u32 v8, v8, v14, v16
	s_waitcnt vmcnt(1)
	v_lshrrev_b32_e32 v14, 16, v6
	v_mul_i32_i24_e32 v9, v9, v25
	v_mul_i32_i24_e32 v10, v10, v11
	v_add3_u32 v8, v8, v12, v13
	s_delay_alu instid0(VALU_DEP_4) | instskip(NEXT) | instid1(VALU_DEP_2)
	v_cvt_f32_f16_e32 v11, v14
	v_add3_u32 v8, v8, v9, v10
	s_delay_alu instid0(VALU_DEP_2) | instskip(NEXT) | instid1(VALU_DEP_2)
	v_mul_f32_e32 v9, -4.0, v11
	v_cvt_f32_i32_e32 v8, v8
	s_delay_alu instid0(VALU_DEP_1) | instskip(SKIP_1) | instid1(VALU_DEP_1)
	v_fma_mix_f32 v6, v6, v8, v9 op_sel_hi:[1,0,0]
	s_waitcnt vmcnt(0)
	v_fma_mix_f32 v3, v6, v7, v3 op_sel_hi:[0,1,0]
	s_and_not1_b32 exec_lo, exec_lo, s9
	s_cbranch_execnz .LBB237_3
; %bb.4:
	s_or_b32 exec_lo, exec_lo, s9
.LBB237_5:
	s_delay_alu instid0(SALU_CYCLE_1) | instskip(SKIP_1) | instid1(VALU_DEP_1)
	s_or_b32 exec_lo, exec_lo, s5
	v_mbcnt_lo_u32_b32 v2, -1, 0
	v_xor_b32_e32 v4, 16, v2
	v_xor_b32_e32 v5, 8, v2
	s_delay_alu instid0(VALU_DEP_2) | instskip(SKIP_1) | instid1(VALU_DEP_3)
	v_cmp_gt_i32_e32 vcc_lo, 32, v4
	v_cndmask_b32_e32 v4, v2, v4, vcc_lo
	v_cmp_gt_i32_e32 vcc_lo, 32, v5
	v_cndmask_b32_e32 v5, v2, v5, vcc_lo
	s_delay_alu instid0(VALU_DEP_1) | instskip(NEXT) | instid1(VALU_DEP_4)
	v_lshlrev_b32_e32 v5, 2, v5
	v_lshlrev_b32_e32 v4, 2, v4
	ds_bpermute_b32 v4, v4, v3
	s_waitcnt lgkmcnt(0)
	v_add_f32_e32 v3, v3, v4
	ds_bpermute_b32 v4, v5, v3
	v_xor_b32_e32 v5, 4, v2
	s_delay_alu instid0(VALU_DEP_1) | instskip(SKIP_1) | instid1(VALU_DEP_1)
	v_cmp_gt_i32_e32 vcc_lo, 32, v5
	v_cndmask_b32_e32 v5, v2, v5, vcc_lo
	v_lshlrev_b32_e32 v5, 2, v5
	s_waitcnt lgkmcnt(0)
	v_add_f32_e32 v3, v3, v4
	ds_bpermute_b32 v4, v5, v3
	v_xor_b32_e32 v5, 2, v2
	s_delay_alu instid0(VALU_DEP_1) | instskip(SKIP_1) | instid1(VALU_DEP_1)
	v_cmp_gt_i32_e32 vcc_lo, 32, v5
	v_cndmask_b32_e32 v5, v2, v5, vcc_lo
	v_lshlrev_b32_e32 v5, 2, v5
	s_waitcnt lgkmcnt(0)
	v_add_f32_e32 v3, v3, v4
	ds_bpermute_b32 v4, v5, v3
	v_xor_b32_e32 v5, 1, v2
	s_delay_alu instid0(VALU_DEP_1) | instskip(SKIP_3) | instid1(VALU_DEP_2)
	v_cmp_gt_i32_e32 vcc_lo, 32, v5
	v_cndmask_b32_e32 v5, v2, v5, vcc_lo
	v_cmp_eq_u32_e32 vcc_lo, 0, v0
	s_waitcnt lgkmcnt(0)
	v_dual_add_f32 v2, v3, v4 :: v_dual_lshlrev_b32 v3, 2, v5
	ds_bpermute_b32 v3, v3, v2
	s_and_b32 exec_lo, exec_lo, vcc_lo
	s_cbranch_execz .LBB237_7
; %bb.6:
	v_mad_u64_u32 v[4:5], null, s8, s6, v[1:2]
	s_waitcnt lgkmcnt(0)
	v_dual_mov_b32 v5, 0 :: v_dual_add_f32 v2, v2, v3
	s_delay_alu instid0(VALU_DEP_1) | instskip(NEXT) | instid1(VALU_DEP_1)
	v_lshlrev_b64 v[0:1], 2, v[4:5]
	v_add_co_u32 v0, vcc_lo, s10, v0
	s_delay_alu instid0(VALU_DEP_2)
	v_add_co_ci_u32_e32 v1, vcc_lo, s11, v1, vcc_lo
	global_store_b32 v[0:1], v2, off
.LBB237_7:
	s_nop 0
	s_sendmsg sendmsg(MSG_DEALLOC_VGPRS)
	s_endpgm
	.section	.rodata,"a",@progbits
	.p2align	6, 0x0
	.amdhsa_kernel _ZL9moe_vec_qIfLi32ELi4E10block_q4_0Li2EXadL_ZL17vec_dot_q4_0_q8_1PKvPK10block_q8_1RKiEEEvS2_S2_PT_PS6_iiii
		.amdhsa_group_segment_fixed_size 0
		.amdhsa_private_segment_fixed_size 0
		.amdhsa_kernarg_size 304
		.amdhsa_user_sgpr_count 14
		.amdhsa_user_sgpr_dispatch_ptr 0
		.amdhsa_user_sgpr_queue_ptr 0
		.amdhsa_user_sgpr_kernarg_segment_ptr 1
		.amdhsa_user_sgpr_dispatch_id 0
		.amdhsa_user_sgpr_private_segment_size 0
		.amdhsa_wavefront_size32 1
		.amdhsa_uses_dynamic_stack 0
		.amdhsa_enable_private_segment 0
		.amdhsa_system_sgpr_workgroup_id_x 1
		.amdhsa_system_sgpr_workgroup_id_y 0
		.amdhsa_system_sgpr_workgroup_id_z 1
		.amdhsa_system_sgpr_workgroup_info 0
		.amdhsa_system_vgpr_workitem_id 1
		.amdhsa_next_free_vgpr 31
		.amdhsa_next_free_sgpr 20
		.amdhsa_reserve_vcc 1
		.amdhsa_float_round_mode_32 0
		.amdhsa_float_round_mode_16_64 0
		.amdhsa_float_denorm_mode_32 3
		.amdhsa_float_denorm_mode_16_64 3
		.amdhsa_dx10_clamp 1
		.amdhsa_ieee_mode 1
		.amdhsa_fp16_overflow 0
		.amdhsa_workgroup_processor_mode 1
		.amdhsa_memory_ordered 1
		.amdhsa_forward_progress 0
		.amdhsa_shared_vgpr_count 0
		.amdhsa_exception_fp_ieee_invalid_op 0
		.amdhsa_exception_fp_denorm_src 0
		.amdhsa_exception_fp_ieee_div_zero 0
		.amdhsa_exception_fp_ieee_overflow 0
		.amdhsa_exception_fp_ieee_underflow 0
		.amdhsa_exception_fp_ieee_inexact 0
		.amdhsa_exception_int_div_zero 0
	.end_amdhsa_kernel
	.section	.text._ZL9moe_vec_qIfLi32ELi4E10block_q4_0Li2EXadL_ZL17vec_dot_q4_0_q8_1PKvPK10block_q8_1RKiEEEvS2_S2_PT_PS6_iiii,"axG",@progbits,_ZL9moe_vec_qIfLi32ELi4E10block_q4_0Li2EXadL_ZL17vec_dot_q4_0_q8_1PKvPK10block_q8_1RKiEEEvS2_S2_PT_PS6_iiii,comdat
.Lfunc_end237:
	.size	_ZL9moe_vec_qIfLi32ELi4E10block_q4_0Li2EXadL_ZL17vec_dot_q4_0_q8_1PKvPK10block_q8_1RKiEEEvS2_S2_PT_PS6_iiii, .Lfunc_end237-_ZL9moe_vec_qIfLi32ELi4E10block_q4_0Li2EXadL_ZL17vec_dot_q4_0_q8_1PKvPK10block_q8_1RKiEEEvS2_S2_PT_PS6_iiii
                                        ; -- End function
	.section	.AMDGPU.csdata,"",@progbits
; Kernel info:
; codeLenInByte = 1148
; NumSgprs: 22
; NumVgprs: 31
; ScratchSize: 0
; MemoryBound: 0
; FloatMode: 240
; IeeeMode: 1
; LDSByteSize: 0 bytes/workgroup (compile time only)
; SGPRBlocks: 2
; VGPRBlocks: 3
; NumSGPRsForWavesPerEU: 22
; NumVGPRsForWavesPerEU: 31
; Occupancy: 16
; WaveLimiterHint : 1
; COMPUTE_PGM_RSRC2:SCRATCH_EN: 0
; COMPUTE_PGM_RSRC2:USER_SGPR: 14
; COMPUTE_PGM_RSRC2:TRAP_HANDLER: 0
; COMPUTE_PGM_RSRC2:TGID_X_EN: 1
; COMPUTE_PGM_RSRC2:TGID_Y_EN: 0
; COMPUTE_PGM_RSRC2:TGID_Z_EN: 1
; COMPUTE_PGM_RSRC2:TIDIG_COMP_CNT: 1
	.section	.text._ZL9moe_vec_qIfLi32ELi4E10block_q4_1Li2EXadL_ZL17vec_dot_q4_1_q8_1PKvPK10block_q8_1RKiEEEvS2_S2_PT_PS6_iiii,"axG",@progbits,_ZL9moe_vec_qIfLi32ELi4E10block_q4_1Li2EXadL_ZL17vec_dot_q4_1_q8_1PKvPK10block_q8_1RKiEEEvS2_S2_PT_PS6_iiii,comdat
	.globl	_ZL9moe_vec_qIfLi32ELi4E10block_q4_1Li2EXadL_ZL17vec_dot_q4_1_q8_1PKvPK10block_q8_1RKiEEEvS2_S2_PT_PS6_iiii ; -- Begin function _ZL9moe_vec_qIfLi32ELi4E10block_q4_1Li2EXadL_ZL17vec_dot_q4_1_q8_1PKvPK10block_q8_1RKiEEEvS2_S2_PT_PS6_iiii
	.p2align	8
	.type	_ZL9moe_vec_qIfLi32ELi4E10block_q4_1Li2EXadL_ZL17vec_dot_q4_1_q8_1PKvPK10block_q8_1RKiEEEvS2_S2_PT_PS6_iiii,@function
_ZL9moe_vec_qIfLi32ELi4E10block_q4_1Li2EXadL_ZL17vec_dot_q4_1_q8_1PKvPK10block_q8_1RKiEEEvS2_S2_PT_PS6_iiii: ; @_ZL9moe_vec_qIfLi32ELi4E10block_q4_1Li2EXadL_ZL17vec_dot_q4_1_q8_1PKvPK10block_q8_1RKiEEEvS2_S2_PT_PS6_iiii
; %bb.0:
	s_clause 0x1
	s_load_b32 s2, s[0:1], 0x3c
	s_load_b128 s[4:7], s[0:1], 0x20
	v_bfe_u32 v3, v0, 10, 10
	s_waitcnt lgkmcnt(0)
	s_lshr_b32 s2, s2, 16
	s_delay_alu instid0(VALU_DEP_1) | instid1(SALU_CYCLE_1)
	v_mad_u64_u32 v[1:2], null, s14, s2, v[3:4]
	s_mov_b32 s2, exec_lo
	s_delay_alu instid0(VALU_DEP_1)
	v_cmpx_gt_u32_e64 s6, v1
	s_cbranch_execz .LBB238_7
; %bb.1:
	v_cvt_f32_u32_e32 v2, s4
	s_load_b64 s[10:11], s[0:1], 0x10
	s_ashr_i32 s2, s5, 31
	v_and_b32_e32 v0, 0x3ff, v0
	s_lshr_b32 s2, s2, 27
	v_rcp_iflag_f32_e32 v2, v2
	s_add_i32 s2, s5, s2
	s_mov_b32 s8, s15
	s_ashr_i32 s12, s2, 5
	s_mov_b32 s5, exec_lo
	s_waitcnt_depctr 0xfff
	v_mul_f32_e32 v3, 0x4f7ffffe, v2
	s_delay_alu instid0(VALU_DEP_1) | instskip(NEXT) | instid1(VALU_DEP_1)
	v_cvt_u32_f32_e32 v3, v3
	v_readfirstlane_b32 s2, v3
	v_mov_b32_e32 v3, 0
	v_lshrrev_b32_e32 v2, 1, v0
	s_delay_alu instid0(VALU_DEP_1)
	v_cmpx_gt_u32_e64 s12, v2
	s_cbranch_execz .LBB238_5
; %bb.2:
	s_load_b64 s[14:15], s[0:1], 0x18
	s_sub_i32 s3, 0, s4
	s_mov_b32 s9, 0
	s_mul_i32 s3, s3, s2
	s_lshl_b64 s[16:17], s[8:9], 2
	s_mul_hi_u32 s3, s2, s3
	v_lshlrev_b32_e32 v5, 3, v0
	s_add_i32 s13, s2, s3
	v_mul_lo_u32 v4, v1, s12
	s_mul_hi_u32 s13, s8, s13
	v_mov_b32_e32 v3, 0
	v_and_b32_e32 v5, 8, v5
	s_waitcnt lgkmcnt(0)
	s_add_u32 s2, s14, s16
	s_addc_u32 s3, s15, s17
	s_mul_i32 s15, s13, s4
	s_load_b32 s14, s[2:3], 0x0
	s_load_b128 s[0:3], s[0:1], 0x0
	s_sub_i32 s15, s8, s15
	s_add_i32 s17, s13, 1
	s_sub_i32 s18, s15, s4
	s_cmp_ge_u32 s15, s4
	s_mul_i32 s16, s12, s6
	s_cselect_b32 s13, s17, s13
	s_cselect_b32 s15, s18, s15
	s_add_i32 s17, s13, 1
	s_cmp_ge_u32 s15, s4
	s_mov_b32 s15, s9
	s_cselect_b32 s4, s17, s13
	s_waitcnt lgkmcnt(0)
	s_mul_i32 s13, s16, s14
	s_mul_i32 s14, s4, s7
	;; [unrolled: 1-line block ×3, first 2 shown]
	s_mul_hi_i32 s7, s13, 20
	s_add_u32 s0, s0, s4
	s_addc_u32 s1, s1, s7
	s_lshl_b64 s[14:15], s[14:15], 2
	s_mov_b32 s4, 0.5
	s_add_u32 s2, s2, s14
	s_addc_u32 s3, s3, s15
.LBB238_3:                              ; =>This Inner Loop Header: Depth=1
	v_add_nc_u32_e32 v10, v4, v2
	v_mad_i64_i32 v[6:7], null, v2, 36, s[2:3]
	v_add_nc_u32_e32 v2, 16, v2
	s_delay_alu instid0(VALU_DEP_3) | instskip(NEXT) | instid1(VALU_DEP_3)
	v_mad_i64_i32 v[8:9], null, v10, 20, s[0:1]
	v_add_co_u32 v10, vcc_lo, v6, v5
	s_delay_alu instid0(VALU_DEP_4) | instskip(NEXT) | instid1(VALU_DEP_3)
	v_add_co_ci_u32_e32 v11, vcc_lo, 0, v7, vcc_lo
	v_add_co_u32 v12, vcc_lo, v8, v5
	s_delay_alu instid0(VALU_DEP_4)
	v_add_co_ci_u32_e32 v13, vcc_lo, 0, v9, vcc_lo
	v_cmp_le_u32_e32 vcc_lo, s12, v2
	global_load_b64 v[14:15], v[10:11], off offset:4
	global_load_b64 v[12:13], v[12:13], off offset:4
	s_clause 0x1
	global_load_b64 v[10:11], v[10:11], off offset:20
	global_load_b32 v6, v[6:7], off
	global_load_b32 v7, v[8:9], off
	s_or_b32 s9, vcc_lo, s9
	s_waitcnt vmcnt(4)
	v_bfe_i32 v8, v14, 0, 8
	s_waitcnt vmcnt(3)
	v_and_b32_e32 v26, 15, v12
	v_bfe_i32 v9, v14, 8, 8
	v_bfe_i32 v16, v14, 16, 8
	s_waitcnt vmcnt(2)
	v_bfe_i32 v17, v10, 0, 8
	v_bfe_u32 v27, v12, 8, 4
	v_bfe_u32 v28, v12, 16, 4
	;; [unrolled: 1-line block ×3, first 2 shown]
	v_mul_i32_i24_e32 v8, v8, v26
	v_ashrrev_i32_e32 v14, 24, v14
	v_bfe_i32 v18, v10, 8, 8
	v_bfe_u32 v26, v12, 24, 4
	v_bfe_u32 v30, v12, 12, 4
	v_mul_i32_i24_e32 v9, v9, v27
	v_mul_i32_i24_e32 v16, v16, v28
	v_mad_i32_i24 v8, v17, v29, v8
	v_bfe_i32 v19, v10, 16, 8
	v_ashrrev_i32_e32 v10, 24, v10
	v_bfe_u32 v17, v12, 20, 4
	v_lshrrev_b32_e32 v12, 28, v12
	v_mul_i32_i24_e32 v14, v14, v26
	v_mul_i32_i24_e32 v18, v30, v18
	v_add3_u32 v8, v8, v9, v16
	v_bfe_i32 v20, v15, 0, 8
	v_bfe_i32 v23, v11, 0, 8
	v_and_b32_e32 v9, 15, v13
	v_bfe_u32 v16, v13, 4, 4
	v_mul_i32_i24_e32 v17, v17, v19
	v_mul_i32_i24_e32 v10, v12, v10
	v_add3_u32 v8, v8, v14, v18
	v_bfe_i32 v21, v15, 8, 8
	v_bfe_i32 v22, v15, 16, 8
	v_bfe_u32 v12, v13, 8, 4
	v_bfe_u32 v14, v13, 16, 4
	v_mul_i32_i24_e32 v9, v20, v9
	v_mul_i32_i24_e32 v16, v23, v16
	v_add3_u32 v8, v8, v17, v10
	v_ashrrev_i32_e32 v15, 24, v15
	v_bfe_i32 v24, v11, 8, 8
	v_bfe_u32 v10, v13, 24, 4
	v_bfe_u32 v17, v13, 12, 4
	v_mul_i32_i24_e32 v12, v21, v12
	v_mul_i32_i24_e32 v14, v22, v14
	v_add3_u32 v8, v8, v9, v16
	v_bfe_i32 v25, v11, 16, 8
	v_ashrrev_i32_e32 v11, 24, v11
	v_bfe_u32 v9, v13, 20, 4
	v_lshrrev_b32_e32 v13, 28, v13
	v_mul_i32_i24_e32 v10, v15, v10
	v_mul_i32_i24_e32 v15, v17, v24
	v_add3_u32 v8, v8, v12, v14
	v_mul_i32_i24_e32 v9, v9, v25
	v_mul_i32_i24_e32 v11, v13, v11
	s_waitcnt vmcnt(0)
	v_pk_mul_f16 v6, v7, v6
	v_add3_u32 v8, v8, v10, v15
	s_delay_alu instid0(VALU_DEP_1) | instskip(NEXT) | instid1(VALU_DEP_3)
	v_add3_u32 v7, v8, v9, v11
	v_cvt_f32_f16_e32 v8, v6
	s_delay_alu instid0(VALU_DEP_2) | instskip(NEXT) | instid1(VALU_DEP_1)
	v_cvt_f32_i32_e32 v7, v7
	v_mul_f32_e32 v7, v8, v7
	s_delay_alu instid0(VALU_DEP_1) | instskip(NEXT) | instid1(VALU_DEP_1)
	v_fma_mix_f32 v6, v6, s4, v7 op_sel:[1,0,0] op_sel_hi:[1,0,0]
	v_add_f32_e32 v3, v3, v6
	s_and_not1_b32 exec_lo, exec_lo, s9
	s_cbranch_execnz .LBB238_3
; %bb.4:
	s_or_b32 exec_lo, exec_lo, s9
.LBB238_5:
	s_delay_alu instid0(SALU_CYCLE_1) | instskip(SKIP_1) | instid1(VALU_DEP_1)
	s_or_b32 exec_lo, exec_lo, s5
	v_mbcnt_lo_u32_b32 v2, -1, 0
	v_xor_b32_e32 v4, 16, v2
	v_xor_b32_e32 v5, 8, v2
	s_delay_alu instid0(VALU_DEP_2) | instskip(SKIP_1) | instid1(VALU_DEP_3)
	v_cmp_gt_i32_e32 vcc_lo, 32, v4
	v_cndmask_b32_e32 v4, v2, v4, vcc_lo
	v_cmp_gt_i32_e32 vcc_lo, 32, v5
	v_cndmask_b32_e32 v5, v2, v5, vcc_lo
	s_delay_alu instid0(VALU_DEP_1) | instskip(NEXT) | instid1(VALU_DEP_4)
	v_lshlrev_b32_e32 v5, 2, v5
	v_lshlrev_b32_e32 v4, 2, v4
	ds_bpermute_b32 v4, v4, v3
	s_waitcnt lgkmcnt(0)
	v_add_f32_e32 v3, v3, v4
	ds_bpermute_b32 v4, v5, v3
	v_xor_b32_e32 v5, 4, v2
	s_delay_alu instid0(VALU_DEP_1) | instskip(SKIP_1) | instid1(VALU_DEP_1)
	v_cmp_gt_i32_e32 vcc_lo, 32, v5
	v_cndmask_b32_e32 v5, v2, v5, vcc_lo
	v_lshlrev_b32_e32 v5, 2, v5
	s_waitcnt lgkmcnt(0)
	v_add_f32_e32 v3, v3, v4
	ds_bpermute_b32 v4, v5, v3
	v_xor_b32_e32 v5, 2, v2
	s_delay_alu instid0(VALU_DEP_1) | instskip(SKIP_1) | instid1(VALU_DEP_1)
	v_cmp_gt_i32_e32 vcc_lo, 32, v5
	v_cndmask_b32_e32 v5, v2, v5, vcc_lo
	v_lshlrev_b32_e32 v5, 2, v5
	s_waitcnt lgkmcnt(0)
	v_add_f32_e32 v3, v3, v4
	ds_bpermute_b32 v4, v5, v3
	v_xor_b32_e32 v5, 1, v2
	s_delay_alu instid0(VALU_DEP_1) | instskip(SKIP_3) | instid1(VALU_DEP_2)
	v_cmp_gt_i32_e32 vcc_lo, 32, v5
	v_cndmask_b32_e32 v5, v2, v5, vcc_lo
	v_cmp_eq_u32_e32 vcc_lo, 0, v0
	s_waitcnt lgkmcnt(0)
	v_dual_add_f32 v2, v3, v4 :: v_dual_lshlrev_b32 v3, 2, v5
	ds_bpermute_b32 v3, v3, v2
	s_and_b32 exec_lo, exec_lo, vcc_lo
	s_cbranch_execz .LBB238_7
; %bb.6:
	v_mad_u64_u32 v[4:5], null, s8, s6, v[1:2]
	s_waitcnt lgkmcnt(0)
	v_dual_mov_b32 v5, 0 :: v_dual_add_f32 v2, v2, v3
	s_delay_alu instid0(VALU_DEP_1) | instskip(NEXT) | instid1(VALU_DEP_1)
	v_lshlrev_b64 v[0:1], 2, v[4:5]
	v_add_co_u32 v0, vcc_lo, s10, v0
	s_delay_alu instid0(VALU_DEP_2)
	v_add_co_ci_u32_e32 v1, vcc_lo, s11, v1, vcc_lo
	global_store_b32 v[0:1], v2, off
.LBB238_7:
	s_nop 0
	s_sendmsg sendmsg(MSG_DEALLOC_VGPRS)
	s_endpgm
	.section	.rodata,"a",@progbits
	.p2align	6, 0x0
	.amdhsa_kernel _ZL9moe_vec_qIfLi32ELi4E10block_q4_1Li2EXadL_ZL17vec_dot_q4_1_q8_1PKvPK10block_q8_1RKiEEEvS2_S2_PT_PS6_iiii
		.amdhsa_group_segment_fixed_size 0
		.amdhsa_private_segment_fixed_size 0
		.amdhsa_kernarg_size 304
		.amdhsa_user_sgpr_count 14
		.amdhsa_user_sgpr_dispatch_ptr 0
		.amdhsa_user_sgpr_queue_ptr 0
		.amdhsa_user_sgpr_kernarg_segment_ptr 1
		.amdhsa_user_sgpr_dispatch_id 0
		.amdhsa_user_sgpr_private_segment_size 0
		.amdhsa_wavefront_size32 1
		.amdhsa_uses_dynamic_stack 0
		.amdhsa_enable_private_segment 0
		.amdhsa_system_sgpr_workgroup_id_x 1
		.amdhsa_system_sgpr_workgroup_id_y 0
		.amdhsa_system_sgpr_workgroup_id_z 1
		.amdhsa_system_sgpr_workgroup_info 0
		.amdhsa_system_vgpr_workitem_id 1
		.amdhsa_next_free_vgpr 31
		.amdhsa_next_free_sgpr 19
		.amdhsa_reserve_vcc 1
		.amdhsa_float_round_mode_32 0
		.amdhsa_float_round_mode_16_64 0
		.amdhsa_float_denorm_mode_32 3
		.amdhsa_float_denorm_mode_16_64 3
		.amdhsa_dx10_clamp 1
		.amdhsa_ieee_mode 1
		.amdhsa_fp16_overflow 0
		.amdhsa_workgroup_processor_mode 1
		.amdhsa_memory_ordered 1
		.amdhsa_forward_progress 0
		.amdhsa_shared_vgpr_count 0
		.amdhsa_exception_fp_ieee_invalid_op 0
		.amdhsa_exception_fp_denorm_src 0
		.amdhsa_exception_fp_ieee_div_zero 0
		.amdhsa_exception_fp_ieee_overflow 0
		.amdhsa_exception_fp_ieee_underflow 0
		.amdhsa_exception_fp_ieee_inexact 0
		.amdhsa_exception_int_div_zero 0
	.end_amdhsa_kernel
	.section	.text._ZL9moe_vec_qIfLi32ELi4E10block_q4_1Li2EXadL_ZL17vec_dot_q4_1_q8_1PKvPK10block_q8_1RKiEEEvS2_S2_PT_PS6_iiii,"axG",@progbits,_ZL9moe_vec_qIfLi32ELi4E10block_q4_1Li2EXadL_ZL17vec_dot_q4_1_q8_1PKvPK10block_q8_1RKiEEEvS2_S2_PT_PS6_iiii,comdat
.Lfunc_end238:
	.size	_ZL9moe_vec_qIfLi32ELi4E10block_q4_1Li2EXadL_ZL17vec_dot_q4_1_q8_1PKvPK10block_q8_1RKiEEEvS2_S2_PT_PS6_iiii, .Lfunc_end238-_ZL9moe_vec_qIfLi32ELi4E10block_q4_1Li2EXadL_ZL17vec_dot_q4_1_q8_1PKvPK10block_q8_1RKiEEEvS2_S2_PT_PS6_iiii
                                        ; -- End function
	.section	.AMDGPU.csdata,"",@progbits
; Kernel info:
; codeLenInByte = 1140
; NumSgprs: 21
; NumVgprs: 31
; ScratchSize: 0
; MemoryBound: 0
; FloatMode: 240
; IeeeMode: 1
; LDSByteSize: 0 bytes/workgroup (compile time only)
; SGPRBlocks: 2
; VGPRBlocks: 3
; NumSGPRsForWavesPerEU: 21
; NumVGPRsForWavesPerEU: 31
; Occupancy: 16
; WaveLimiterHint : 1
; COMPUTE_PGM_RSRC2:SCRATCH_EN: 0
; COMPUTE_PGM_RSRC2:USER_SGPR: 14
; COMPUTE_PGM_RSRC2:TRAP_HANDLER: 0
; COMPUTE_PGM_RSRC2:TGID_X_EN: 1
; COMPUTE_PGM_RSRC2:TGID_Y_EN: 0
; COMPUTE_PGM_RSRC2:TGID_Z_EN: 1
; COMPUTE_PGM_RSRC2:TIDIG_COMP_CNT: 1
	.section	.text._ZL9moe_vec_qIfLi32ELi4E10block_q5_0Li2EXadL_ZL17vec_dot_q5_0_q8_1PKvPK10block_q8_1RKiEEEvS2_S2_PT_PS6_iiii,"axG",@progbits,_ZL9moe_vec_qIfLi32ELi4E10block_q5_0Li2EXadL_ZL17vec_dot_q5_0_q8_1PKvPK10block_q8_1RKiEEEvS2_S2_PT_PS6_iiii,comdat
	.globl	_ZL9moe_vec_qIfLi32ELi4E10block_q5_0Li2EXadL_ZL17vec_dot_q5_0_q8_1PKvPK10block_q8_1RKiEEEvS2_S2_PT_PS6_iiii ; -- Begin function _ZL9moe_vec_qIfLi32ELi4E10block_q5_0Li2EXadL_ZL17vec_dot_q5_0_q8_1PKvPK10block_q8_1RKiEEEvS2_S2_PT_PS6_iiii
	.p2align	8
	.type	_ZL9moe_vec_qIfLi32ELi4E10block_q5_0Li2EXadL_ZL17vec_dot_q5_0_q8_1PKvPK10block_q8_1RKiEEEvS2_S2_PT_PS6_iiii,@function
_ZL9moe_vec_qIfLi32ELi4E10block_q5_0Li2EXadL_ZL17vec_dot_q5_0_q8_1PKvPK10block_q8_1RKiEEEvS2_S2_PT_PS6_iiii: ; @_ZL9moe_vec_qIfLi32ELi4E10block_q5_0Li2EXadL_ZL17vec_dot_q5_0_q8_1PKvPK10block_q8_1RKiEEEvS2_S2_PT_PS6_iiii
; %bb.0:
	s_clause 0x1
	s_load_b32 s2, s[0:1], 0x3c
	s_load_b128 s[4:7], s[0:1], 0x20
	v_bfe_u32 v3, v0, 10, 10
	s_waitcnt lgkmcnt(0)
	s_lshr_b32 s2, s2, 16
	s_delay_alu instid0(VALU_DEP_1) | instid1(SALU_CYCLE_1)
	v_mad_u64_u32 v[1:2], null, s14, s2, v[3:4]
	s_mov_b32 s2, exec_lo
	s_delay_alu instid0(VALU_DEP_1)
	v_cmpx_gt_u32_e64 s6, v1
	s_cbranch_execz .LBB239_7
; %bb.1:
	v_cvt_f32_u32_e32 v2, s4
	s_load_b64 s[10:11], s[0:1], 0x10
	s_ashr_i32 s2, s5, 31
	v_and_b32_e32 v0, 0x3ff, v0
	s_lshr_b32 s2, s2, 27
	v_rcp_iflag_f32_e32 v2, v2
	s_add_i32 s2, s5, s2
	s_mov_b32 s8, s15
	s_ashr_i32 s12, s2, 5
	s_mov_b32 s5, exec_lo
	s_waitcnt_depctr 0xfff
	v_mul_f32_e32 v3, 0x4f7ffffe, v2
	s_delay_alu instid0(VALU_DEP_1) | instskip(NEXT) | instid1(VALU_DEP_1)
	v_cvt_u32_f32_e32 v3, v3
	v_readfirstlane_b32 s2, v3
	v_mov_b32_e32 v3, 0
	v_lshrrev_b32_e32 v2, 1, v0
	s_delay_alu instid0(VALU_DEP_1)
	v_cmpx_gt_u32_e64 s12, v2
	s_cbranch_execz .LBB239_5
; %bb.2:
	s_load_b64 s[14:15], s[0:1], 0x18
	s_sub_i32 s3, 0, s4
	s_mov_b32 s9, 0
	s_mul_i32 s3, s3, s2
	s_lshl_b64 s[16:17], s[8:9], 2
	s_mul_hi_u32 s3, s2, s3
	v_lshlrev_b32_e32 v5, 3, v0
	s_add_i32 s13, s2, s3
	v_mul_lo_u32 v4, v1, s12
	s_mul_hi_u32 s13, s8, s13
	v_mov_b32_e32 v3, 0
	v_and_b32_e32 v5, 8, v5
	s_delay_alu instid0(VALU_DEP_1)
	v_or_b32_e32 v6, 4, v5
	s_waitcnt lgkmcnt(0)
	s_add_u32 s2, s14, s16
	s_addc_u32 s3, s15, s17
	s_mul_i32 s15, s13, s4
	s_load_b32 s14, s[2:3], 0x0
	s_load_b128 s[0:3], s[0:1], 0x0
	s_sub_i32 s17, s8, s15
	s_add_i32 s18, s13, 1
	s_sub_i32 s19, s17, s4
	s_cmp_ge_u32 s17, s4
	s_mul_i32 s16, s12, s6
	s_cselect_b32 s13, s18, s13
	s_cselect_b32 s17, s19, s17
	s_add_i32 s18, s13, 1
	s_cmp_ge_u32 s17, s4
	s_mov_b32 s15, s9
	s_cselect_b32 s4, s18, s13
	s_waitcnt lgkmcnt(0)
	s_mul_i32 s13, s16, s14
	s_mul_i32 s14, s4, s7
	;; [unrolled: 1-line block ×3, first 2 shown]
	s_mul_hi_i32 s7, s13, 22
	s_add_u32 s0, s0, s4
	s_addc_u32 s1, s1, s7
	s_lshl_b64 s[14:15], s[14:15], 2
	s_delay_alu instid0(SALU_CYCLE_1)
	s_add_u32 s2, s2, s14
	s_addc_u32 s3, s3, s15
.LBB239_3:                              ; =>This Inner Loop Header: Depth=1
	v_add_nc_u32_e32 v11, v4, v2
	v_mad_i64_i32 v[7:8], null, v2, 36, s[2:3]
	v_add_nc_u32_e32 v2, 16, v2
	s_delay_alu instid0(VALU_DEP_3) | instskip(NEXT) | instid1(VALU_DEP_3)
	v_mad_i64_i32 v[9:10], null, v11, 22, s[0:1]
	v_add_co_u32 v11, vcc_lo, v7, v5
	s_delay_alu instid0(VALU_DEP_4) | instskip(NEXT) | instid1(VALU_DEP_3)
	v_add_co_ci_u32_e32 v12, vcc_lo, 0, v8, vcc_lo
	v_add_co_u32 v13, vcc_lo, v9, v5
	s_delay_alu instid0(VALU_DEP_4)
	v_add_co_ci_u32_e32 v14, vcc_lo, 0, v10, vcc_lo
	s_clause 0x1
	global_load_b32 v15, v[9:10], off
	global_load_u16 v16, v[9:10], off offset:4
	global_load_b64 v[9:10], v[11:12], off offset:4
	s_clause 0x1
	global_load_b32 v17, v[13:14], off offset:6
	global_load_b32 v13, v[13:14], off offset:10
	s_clause 0x1
	global_load_b64 v[11:12], v[11:12], off offset:20
	global_load_b32 v7, v[7:8], off
	v_cmp_le_u32_e32 vcc_lo, s12, v2
	s_or_b32 s9, vcc_lo, s9
	s_waitcnt vmcnt(5)
	v_perm_b32 v8, v15, v16, 0x1000706
	s_waitcnt vmcnt(4)
	v_bfe_i32 v14, v9, 0, 8
	s_waitcnt vmcnt(3)
	v_and_b32_e32 v29, 0xf0f0f0f, v17
	v_lshrrev_b32_e32 v17, 4, v17
	s_waitcnt vmcnt(2)
	v_and_b32_e32 v30, 0xf0f0f0f, v13
	v_ashrrev_i32_e32 v28, v5, v8
	v_ashrrev_i32_e32 v8, v6, v8
	v_bfe_i32 v16, v9, 8, 8
	v_and_b32_e32 v17, 0xf0f0f0f, v17
	s_waitcnt vmcnt(1)
	v_bfe_i32 v19, v11, 0, 8
	v_lshlrev_b32_e32 v34, 25, v28
	v_lshl_or_b32 v31, v28, 4, v29
	v_lshlrev_b32_e32 v32, 11, v28
	v_lshlrev_b32_e32 v33, 18, v28
	v_lshrrev_b32_e32 v35, 12, v28
	v_lshrrev_b32_e32 v36, 5, v28
	v_lshlrev_b32_e32 v37, 2, v28
	v_lshlrev_b32_e32 v28, 9, v28
	v_and_b32_e32 v34, 0x10000000, v34
	v_and_b32_e32 v32, 0x1000, v32
	v_lshl_or_b32 v38, v8, 4, v30
	v_and_b32_e32 v31, 31, v31
	v_and_b32_e32 v28, 0x10000000, v28
	v_and_or_b32 v33, 0x100000, v33, v34
	v_and_or_b32 v35, v35, 16, v17
	v_and_b32_e32 v36, 0x1000, v36
	v_bfe_i32 v22, v10, 0, 8
	v_and_or_b32 v28, 0x100000, v37, v28
	v_or3_b32 v29, v33, v32, v29
	v_lshrrev_b32_e32 v13, 4, v13
	v_lshlrev_b32_e32 v39, 11, v8
	v_lshlrev_b32_e32 v40, 18, v8
	;; [unrolled: 1-line block ×3, first 2 shown]
	v_lshrrev_b32_e32 v42, 12, v8
	v_lshrrev_b32_e32 v43, 5, v8
	v_lshlrev_b32_e32 v44, 2, v8
	v_lshlrev_b32_e32 v8, 9, v8
	v_and_b32_e32 v38, 31, v38
	v_mul_i32_i24_e32 v14, v31, v14
	v_and_b32_e32 v31, 31, v35
	v_or3_b32 v17, v28, v36, v17
	v_bfe_u32 v28, v29, 8, 5
	v_bfe_i32 v18, v9, 16, 8
	v_ashrrev_i32_e32 v9, 24, v9
	v_and_b32_e32 v13, 0xf0f0f0f, v13
	v_and_b32_e32 v41, 0x10000000, v41
	;; [unrolled: 1-line block ×3, first 2 shown]
	v_mul_i32_i24_e32 v22, v38, v22
	v_mad_i32_i24 v14, v31, v19, v14
	v_bfe_u32 v19, v29, 16, 5
	v_lshrrev_b32_e32 v29, 24, v29
	v_mul_i32_i24_e32 v16, v28, v16
	v_bfe_i32 v20, v11, 8, 8
	v_bfe_i32 v21, v11, 16, 8
	v_and_b32_e32 v39, 0x1000, v39
	v_and_or_b32 v42, v42, 16, v13
	v_and_b32_e32 v43, 0x1000, v43
	v_and_or_b32 v34, 0x100000, v40, v41
	v_and_or_b32 v8, 0x100000, v44, v8
	v_bfe_u32 v28, v17, 8, 5
	v_bfe_u32 v31, v17, 16, 5
	v_mul_i32_i24_e32 v18, v19, v18
	v_mul_i32_i24_e32 v9, v29, v9
	v_add3_u32 v14, v14, v22, v16
	v_ashrrev_i32_e32 v11, 24, v11
	v_bfe_i32 v25, v12, 0, 8
	v_and_b32_e32 v32, 31, v42
	v_or3_b32 v30, v34, v39, v30
	v_or3_b32 v8, v8, v43, v13
	v_lshrrev_b32_e32 v13, 24, v17
	v_mul_i32_i24_e32 v16, v28, v20
	v_mul_i32_i24_e32 v17, v31, v21
	v_add3_u32 v9, v14, v18, v9
	v_bfe_i32 v23, v10, 8, 8
	v_bfe_i32 v24, v10, 16, 8
	v_mul_i32_i24_e32 v14, v32, v25
	v_bfe_u32 v18, v30, 8, 5
	v_bfe_u32 v19, v30, 16, 5
	v_mul_i32_i24_e32 v11, v13, v11
	v_add3_u32 v9, v9, v16, v17
	v_ashrrev_i32_e32 v10, 24, v10
	v_bfe_i32 v26, v12, 8, 8
	v_lshrrev_b32_e32 v13, 24, v30
	v_bfe_u32 v16, v8, 8, 5
	v_mul_i32_i24_e32 v17, v18, v23
	v_mul_i32_i24_e32 v18, v19, v24
	v_add3_u32 v9, v9, v11, v14
	v_bfe_i32 v27, v12, 16, 8
	v_ashrrev_i32_e32 v12, 24, v12
	v_bfe_u32 v11, v8, 16, 5
	v_lshrrev_b32_e32 v8, 24, v8
	v_mul_i32_i24_e32 v10, v13, v10
	v_mul_i32_i24_e32 v13, v16, v26
	v_add3_u32 v9, v9, v17, v18
	s_waitcnt vmcnt(0)
	v_lshrrev_b32_e32 v14, 16, v7
	v_mul_i32_i24_e32 v11, v11, v27
	v_mul_i32_i24_e32 v8, v8, v12
	v_add3_u32 v9, v9, v10, v13
	s_delay_alu instid0(VALU_DEP_4) | instskip(NEXT) | instid1(VALU_DEP_2)
	v_cvt_f32_f16_e32 v10, v14
	v_add3_u32 v8, v9, v11, v8
	s_delay_alu instid0(VALU_DEP_2) | instskip(NEXT) | instid1(VALU_DEP_2)
	v_mul_f32_e32 v9, 0xc1000000, v10
	v_cvt_f32_i32_e32 v8, v8
	s_delay_alu instid0(VALU_DEP_1) | instskip(NEXT) | instid1(VALU_DEP_1)
	v_fma_mix_f32 v7, v7, v8, v9 op_sel_hi:[1,0,0]
	v_fma_mix_f32 v3, v7, v15, v3 op_sel_hi:[0,1,0]
	s_and_not1_b32 exec_lo, exec_lo, s9
	s_cbranch_execnz .LBB239_3
; %bb.4:
	s_or_b32 exec_lo, exec_lo, s9
.LBB239_5:
	s_delay_alu instid0(SALU_CYCLE_1) | instskip(SKIP_1) | instid1(VALU_DEP_1)
	s_or_b32 exec_lo, exec_lo, s5
	v_mbcnt_lo_u32_b32 v2, -1, 0
	v_xor_b32_e32 v4, 16, v2
	v_xor_b32_e32 v5, 8, v2
	s_delay_alu instid0(VALU_DEP_2) | instskip(SKIP_1) | instid1(VALU_DEP_3)
	v_cmp_gt_i32_e32 vcc_lo, 32, v4
	v_cndmask_b32_e32 v4, v2, v4, vcc_lo
	v_cmp_gt_i32_e32 vcc_lo, 32, v5
	v_cndmask_b32_e32 v5, v2, v5, vcc_lo
	s_delay_alu instid0(VALU_DEP_1) | instskip(NEXT) | instid1(VALU_DEP_4)
	v_lshlrev_b32_e32 v5, 2, v5
	v_lshlrev_b32_e32 v4, 2, v4
	ds_bpermute_b32 v4, v4, v3
	s_waitcnt lgkmcnt(0)
	v_add_f32_e32 v3, v3, v4
	ds_bpermute_b32 v4, v5, v3
	v_xor_b32_e32 v5, 4, v2
	s_delay_alu instid0(VALU_DEP_1) | instskip(SKIP_1) | instid1(VALU_DEP_1)
	v_cmp_gt_i32_e32 vcc_lo, 32, v5
	v_cndmask_b32_e32 v5, v2, v5, vcc_lo
	v_lshlrev_b32_e32 v5, 2, v5
	s_waitcnt lgkmcnt(0)
	v_add_f32_e32 v3, v3, v4
	ds_bpermute_b32 v4, v5, v3
	v_xor_b32_e32 v5, 2, v2
	s_delay_alu instid0(VALU_DEP_1) | instskip(SKIP_1) | instid1(VALU_DEP_1)
	v_cmp_gt_i32_e32 vcc_lo, 32, v5
	v_cndmask_b32_e32 v5, v2, v5, vcc_lo
	v_lshlrev_b32_e32 v5, 2, v5
	s_waitcnt lgkmcnt(0)
	v_add_f32_e32 v3, v3, v4
	ds_bpermute_b32 v4, v5, v3
	v_xor_b32_e32 v5, 1, v2
	s_delay_alu instid0(VALU_DEP_1) | instskip(SKIP_3) | instid1(VALU_DEP_2)
	v_cmp_gt_i32_e32 vcc_lo, 32, v5
	v_cndmask_b32_e32 v5, v2, v5, vcc_lo
	v_cmp_eq_u32_e32 vcc_lo, 0, v0
	s_waitcnt lgkmcnt(0)
	v_dual_add_f32 v2, v3, v4 :: v_dual_lshlrev_b32 v3, 2, v5
	ds_bpermute_b32 v3, v3, v2
	s_and_b32 exec_lo, exec_lo, vcc_lo
	s_cbranch_execz .LBB239_7
; %bb.6:
	v_mad_u64_u32 v[4:5], null, s8, s6, v[1:2]
	s_waitcnt lgkmcnt(0)
	v_dual_mov_b32 v5, 0 :: v_dual_add_f32 v2, v2, v3
	s_delay_alu instid0(VALU_DEP_1) | instskip(NEXT) | instid1(VALU_DEP_1)
	v_lshlrev_b64 v[0:1], 2, v[4:5]
	v_add_co_u32 v0, vcc_lo, s10, v0
	s_delay_alu instid0(VALU_DEP_2)
	v_add_co_ci_u32_e32 v1, vcc_lo, s11, v1, vcc_lo
	global_store_b32 v[0:1], v2, off
.LBB239_7:
	s_nop 0
	s_sendmsg sendmsg(MSG_DEALLOC_VGPRS)
	s_endpgm
	.section	.rodata,"a",@progbits
	.p2align	6, 0x0
	.amdhsa_kernel _ZL9moe_vec_qIfLi32ELi4E10block_q5_0Li2EXadL_ZL17vec_dot_q5_0_q8_1PKvPK10block_q8_1RKiEEEvS2_S2_PT_PS6_iiii
		.amdhsa_group_segment_fixed_size 0
		.amdhsa_private_segment_fixed_size 0
		.amdhsa_kernarg_size 304
		.amdhsa_user_sgpr_count 14
		.amdhsa_user_sgpr_dispatch_ptr 0
		.amdhsa_user_sgpr_queue_ptr 0
		.amdhsa_user_sgpr_kernarg_segment_ptr 1
		.amdhsa_user_sgpr_dispatch_id 0
		.amdhsa_user_sgpr_private_segment_size 0
		.amdhsa_wavefront_size32 1
		.amdhsa_uses_dynamic_stack 0
		.amdhsa_enable_private_segment 0
		.amdhsa_system_sgpr_workgroup_id_x 1
		.amdhsa_system_sgpr_workgroup_id_y 0
		.amdhsa_system_sgpr_workgroup_id_z 1
		.amdhsa_system_sgpr_workgroup_info 0
		.amdhsa_system_vgpr_workitem_id 1
		.amdhsa_next_free_vgpr 45
		.amdhsa_next_free_sgpr 20
		.amdhsa_reserve_vcc 1
		.amdhsa_float_round_mode_32 0
		.amdhsa_float_round_mode_16_64 0
		.amdhsa_float_denorm_mode_32 3
		.amdhsa_float_denorm_mode_16_64 3
		.amdhsa_dx10_clamp 1
		.amdhsa_ieee_mode 1
		.amdhsa_fp16_overflow 0
		.amdhsa_workgroup_processor_mode 1
		.amdhsa_memory_ordered 1
		.amdhsa_forward_progress 0
		.amdhsa_shared_vgpr_count 0
		.amdhsa_exception_fp_ieee_invalid_op 0
		.amdhsa_exception_fp_denorm_src 0
		.amdhsa_exception_fp_ieee_div_zero 0
		.amdhsa_exception_fp_ieee_overflow 0
		.amdhsa_exception_fp_ieee_underflow 0
		.amdhsa_exception_fp_ieee_inexact 0
		.amdhsa_exception_int_div_zero 0
	.end_amdhsa_kernel
	.section	.text._ZL9moe_vec_qIfLi32ELi4E10block_q5_0Li2EXadL_ZL17vec_dot_q5_0_q8_1PKvPK10block_q8_1RKiEEEvS2_S2_PT_PS6_iiii,"axG",@progbits,_ZL9moe_vec_qIfLi32ELi4E10block_q5_0Li2EXadL_ZL17vec_dot_q5_0_q8_1PKvPK10block_q8_1RKiEEEvS2_S2_PT_PS6_iiii,comdat
.Lfunc_end239:
	.size	_ZL9moe_vec_qIfLi32ELi4E10block_q5_0Li2EXadL_ZL17vec_dot_q5_0_q8_1PKvPK10block_q8_1RKiEEEvS2_S2_PT_PS6_iiii, .Lfunc_end239-_ZL9moe_vec_qIfLi32ELi4E10block_q5_0Li2EXadL_ZL17vec_dot_q5_0_q8_1PKvPK10block_q8_1RKiEEEvS2_S2_PT_PS6_iiii
                                        ; -- End function
	.section	.AMDGPU.csdata,"",@progbits
; Kernel info:
; codeLenInByte = 1460
; NumSgprs: 22
; NumVgprs: 45
; ScratchSize: 0
; MemoryBound: 0
; FloatMode: 240
; IeeeMode: 1
; LDSByteSize: 0 bytes/workgroup (compile time only)
; SGPRBlocks: 2
; VGPRBlocks: 5
; NumSGPRsForWavesPerEU: 22
; NumVGPRsForWavesPerEU: 45
; Occupancy: 16
; WaveLimiterHint : 1
; COMPUTE_PGM_RSRC2:SCRATCH_EN: 0
; COMPUTE_PGM_RSRC2:USER_SGPR: 14
; COMPUTE_PGM_RSRC2:TRAP_HANDLER: 0
; COMPUTE_PGM_RSRC2:TGID_X_EN: 1
; COMPUTE_PGM_RSRC2:TGID_Y_EN: 0
; COMPUTE_PGM_RSRC2:TGID_Z_EN: 1
; COMPUTE_PGM_RSRC2:TIDIG_COMP_CNT: 1
	.section	.text._ZL9moe_vec_qIfLi32ELi4E10block_q5_1Li2EXadL_ZL17vec_dot_q5_1_q8_1PKvPK10block_q8_1RKiEEEvS2_S2_PT_PS6_iiii,"axG",@progbits,_ZL9moe_vec_qIfLi32ELi4E10block_q5_1Li2EXadL_ZL17vec_dot_q5_1_q8_1PKvPK10block_q8_1RKiEEEvS2_S2_PT_PS6_iiii,comdat
	.globl	_ZL9moe_vec_qIfLi32ELi4E10block_q5_1Li2EXadL_ZL17vec_dot_q5_1_q8_1PKvPK10block_q8_1RKiEEEvS2_S2_PT_PS6_iiii ; -- Begin function _ZL9moe_vec_qIfLi32ELi4E10block_q5_1Li2EXadL_ZL17vec_dot_q5_1_q8_1PKvPK10block_q8_1RKiEEEvS2_S2_PT_PS6_iiii
	.p2align	8
	.type	_ZL9moe_vec_qIfLi32ELi4E10block_q5_1Li2EXadL_ZL17vec_dot_q5_1_q8_1PKvPK10block_q8_1RKiEEEvS2_S2_PT_PS6_iiii,@function
_ZL9moe_vec_qIfLi32ELi4E10block_q5_1Li2EXadL_ZL17vec_dot_q5_1_q8_1PKvPK10block_q8_1RKiEEEvS2_S2_PT_PS6_iiii: ; @_ZL9moe_vec_qIfLi32ELi4E10block_q5_1Li2EXadL_ZL17vec_dot_q5_1_q8_1PKvPK10block_q8_1RKiEEEvS2_S2_PT_PS6_iiii
; %bb.0:
	s_clause 0x1
	s_load_b32 s2, s[0:1], 0x3c
	s_load_b128 s[4:7], s[0:1], 0x20
	v_bfe_u32 v3, v0, 10, 10
	s_waitcnt lgkmcnt(0)
	s_lshr_b32 s2, s2, 16
	s_delay_alu instid0(VALU_DEP_1) | instid1(SALU_CYCLE_1)
	v_mad_u64_u32 v[1:2], null, s14, s2, v[3:4]
	s_mov_b32 s2, exec_lo
	s_delay_alu instid0(VALU_DEP_1)
	v_cmpx_gt_u32_e64 s6, v1
	s_cbranch_execz .LBB240_7
; %bb.1:
	v_cvt_f32_u32_e32 v2, s4
	s_load_b64 s[10:11], s[0:1], 0x10
	s_ashr_i32 s2, s5, 31
	v_and_b32_e32 v0, 0x3ff, v0
	s_lshr_b32 s2, s2, 27
	v_rcp_iflag_f32_e32 v2, v2
	s_add_i32 s2, s5, s2
	s_mov_b32 s8, s15
	s_ashr_i32 s12, s2, 5
	s_mov_b32 s5, exec_lo
	s_waitcnt_depctr 0xfff
	v_mul_f32_e32 v3, 0x4f7ffffe, v2
	s_delay_alu instid0(VALU_DEP_1) | instskip(NEXT) | instid1(VALU_DEP_1)
	v_cvt_u32_f32_e32 v3, v3
	v_readfirstlane_b32 s2, v3
	v_mov_b32_e32 v3, 0
	v_lshrrev_b32_e32 v2, 1, v0
	s_delay_alu instid0(VALU_DEP_1)
	v_cmpx_gt_u32_e64 s12, v2
	s_cbranch_execz .LBB240_5
; %bb.2:
	s_load_b64 s[14:15], s[0:1], 0x18
	s_sub_i32 s3, 0, s4
	s_mov_b32 s9, 0
	s_mul_i32 s3, s3, s2
	s_lshl_b64 s[16:17], s[8:9], 2
	s_mul_hi_u32 s3, s2, s3
	v_lshlrev_b32_e32 v5, 3, v0
	s_add_i32 s13, s2, s3
	v_mul_lo_u32 v4, v1, s12
	s_mul_hi_u32 s13, s8, s13
	v_mov_b32_e32 v3, 0
	v_and_b32_e32 v5, 8, v5
	s_delay_alu instid0(VALU_DEP_1)
	v_or_b32_e32 v6, 4, v5
	s_waitcnt lgkmcnt(0)
	s_add_u32 s2, s14, s16
	s_addc_u32 s3, s15, s17
	s_mul_i32 s15, s13, s4
	s_load_b32 s14, s[2:3], 0x0
	s_load_b128 s[0:3], s[0:1], 0x0
	s_sub_i32 s17, s8, s15
	s_add_i32 s18, s13, 1
	s_sub_i32 s19, s17, s4
	s_cmp_ge_u32 s17, s4
	s_mul_i32 s16, s12, s6
	s_cselect_b32 s13, s18, s13
	s_cselect_b32 s17, s19, s17
	s_add_i32 s18, s13, 1
	s_cmp_ge_u32 s17, s4
	s_mov_b32 s15, s9
	s_cselect_b32 s4, s18, s13
	s_waitcnt lgkmcnt(0)
	s_mul_i32 s13, s16, s14
	s_mul_i32 s14, s4, s7
	s_mul_i32 s4, s13, 24
	s_mul_hi_i32 s7, s13, 24
	s_add_u32 s0, s0, s4
	s_addc_u32 s1, s1, s7
	s_lshl_b64 s[14:15], s[14:15], 2
	s_mov_b32 s4, 0.5
	s_add_u32 s2, s2, s14
	s_addc_u32 s3, s3, s15
.LBB240_3:                              ; =>This Inner Loop Header: Depth=1
	v_add_nc_u32_e32 v11, v4, v2
	v_mad_i64_i32 v[7:8], null, v2, 36, s[2:3]
	v_add_nc_u32_e32 v2, 16, v2
	s_delay_alu instid0(VALU_DEP_3) | instskip(NEXT) | instid1(VALU_DEP_3)
	v_mad_i64_i32 v[9:10], null, v11, 24, s[0:1]
	v_add_co_u32 v11, vcc_lo, v7, v5
	s_delay_alu instid0(VALU_DEP_4)
	v_add_co_ci_u32_e32 v12, vcc_lo, 0, v8, vcc_lo
	global_load_b64 v[13:14], v[9:10], off
	v_add_co_u32 v9, vcc_lo, v9, v5
	v_add_co_ci_u32_e32 v10, vcc_lo, 0, v10, vcc_lo
	v_cmp_le_u32_e32 vcc_lo, s12, v2
	global_load_b64 v[15:16], v[11:12], off offset:4
	global_load_b64 v[9:10], v[9:10], off offset:8
	s_clause 0x1
	global_load_b64 v[11:12], v[11:12], off offset:20
	global_load_b32 v7, v[7:8], off
	s_or_b32 s9, vcc_lo, s9
	s_waitcnt vmcnt(4)
	v_ashrrev_i32_e32 v8, v5, v14
	v_ashrrev_i32_e32 v14, v6, v14
	s_waitcnt vmcnt(3)
	v_bfe_i32 v17, v15, 0, 8
	s_waitcnt vmcnt(2)
	v_and_b32_e32 v29, 0xf0f0f0f, v9
	v_lshlrev_b32_e32 v32, 25, v8
	v_lshrrev_b32_e32 v9, 4, v9
	v_lshlrev_b32_e32 v36, 9, v8
	v_and_b32_e32 v37, 0xf0f0f0f, v10
	v_lshrrev_b32_e32 v10, 4, v10
	v_lshlrev_b32_e32 v30, 11, v8
	v_lshlrev_b32_e32 v31, 18, v8
	v_lshrrev_b32_e32 v33, 12, v8
	v_lshrrev_b32_e32 v34, 5, v8
	v_lshlrev_b32_e32 v35, 2, v8
	v_lshrrev_b32_e32 v41, 12, v14
	v_lshl_or_b32 v8, v8, 4, v29
	v_and_b32_e32 v32, 0x10000000, v32
	v_and_b32_e32 v9, 0xf0f0f0f, v9
	;; [unrolled: 1-line block ×4, first 2 shown]
	v_lshlrev_b32_e32 v38, 11, v14
	v_lshlrev_b32_e32 v39, 18, v14
	;; [unrolled: 1-line block ×3, first 2 shown]
	v_lshrrev_b32_e32 v42, 5, v14
	v_lshlrev_b32_e32 v43, 2, v14
	v_lshlrev_b32_e32 v44, 9, v14
	v_and_b32_e32 v30, 0x1000, v30
	v_lshl_or_b32 v14, v14, 4, v37
	v_and_or_b32 v31, 0x100000, v31, v32
	v_and_b32_e32 v8, 31, v8
	v_and_or_b32 v32, v33, 16, v9
	v_and_or_b32 v33, 0x100000, v35, v36
	;; [unrolled: 1-line block ×3, first 2 shown]
	s_waitcnt vmcnt(1)
	v_bfe_i32 v20, v11, 0, 8
	v_bfe_i32 v23, v16, 0, 8
	v_bfe_i32 v26, v12, 0, 8
	v_and_b32_e32 v34, 0x1000, v34
	v_and_b32_e32 v14, 31, v14
	v_or3_b32 v29, v31, v30, v29
	v_mul_i32_i24_e32 v8, v8, v17
	v_and_b32_e32 v17, 31, v32
	v_and_b32_e32 v31, 31, v36
	v_bfe_i32 v18, v15, 8, 8
	v_bfe_i32 v19, v15, 16, 8
	v_and_b32_e32 v40, 0x10000000, v40
	v_or3_b32 v9, v33, v34, v9
	v_mul_i32_i24_e32 v14, v14, v23
	v_bfe_u32 v23, v29, 8, 5
	v_bfe_u32 v32, v29, 16, 5
	v_mul_i32_i24_e32 v26, v31, v26
	v_mad_i32_i24 v8, v17, v20, v8
	v_ashrrev_i32_e32 v15, 24, v15
	v_bfe_i32 v21, v11, 8, 8
	v_and_b32_e32 v38, 0x1000, v38
	v_and_b32_e32 v44, 0x10000000, v44
	v_and_or_b32 v35, 0x100000, v39, v40
	v_lshrrev_b32_e32 v17, 24, v29
	v_bfe_u32 v20, v9, 8, 5
	v_mul_i32_i24_e32 v18, v23, v18
	v_mul_i32_i24_e32 v19, v32, v19
	v_add3_u32 v8, v8, v14, v26
	v_bfe_i32 v22, v11, 16, 8
	v_ashrrev_i32_e32 v11, 24, v11
	v_and_b32_e32 v42, 0x1000, v42
	v_and_or_b32 v39, 0x100000, v43, v44
	v_or3_b32 v30, v35, v38, v37
	v_bfe_u32 v14, v9, 16, 5
	v_lshrrev_b32_e32 v9, 24, v9
	v_mul_i32_i24_e32 v15, v17, v15
	v_mul_i32_i24_e32 v17, v20, v21
	v_add3_u32 v8, v8, v18, v19
	v_bfe_i32 v24, v16, 8, 8
	v_bfe_i32 v25, v16, 16, 8
	v_or3_b32 v10, v39, v42, v10
	v_bfe_u32 v18, v30, 8, 5
	v_bfe_u32 v19, v30, 16, 5
	v_mul_i32_i24_e32 v14, v14, v22
	v_mul_i32_i24_e32 v9, v9, v11
	v_add3_u32 v8, v8, v15, v17
	v_ashrrev_i32_e32 v16, 24, v16
	v_bfe_i32 v27, v12, 8, 8
	v_lshrrev_b32_e32 v11, 24, v30
	v_bfe_u32 v15, v10, 8, 5
	v_mul_i32_i24_e32 v17, v18, v24
	v_mul_i32_i24_e32 v18, v19, v25
	v_add3_u32 v8, v8, v14, v9
	v_bfe_i32 v28, v12, 16, 8
	v_ashrrev_i32_e32 v12, 24, v12
	v_bfe_u32 v9, v10, 16, 5
	v_lshrrev_b32_e32 v10, 24, v10
	v_mul_i32_i24_e32 v11, v11, v16
	v_mul_i32_i24_e32 v14, v15, v27
	v_add3_u32 v8, v8, v17, v18
	v_mul_i32_i24_e32 v9, v9, v28
	v_mul_i32_i24_e32 v10, v10, v12
	s_waitcnt vmcnt(0)
	v_pk_mul_f16 v7, v13, v7
	v_add3_u32 v8, v8, v11, v14
	s_delay_alu instid0(VALU_DEP_1) | instskip(NEXT) | instid1(VALU_DEP_3)
	v_add3_u32 v8, v8, v9, v10
	v_cvt_f32_f16_e32 v9, v7
	s_delay_alu instid0(VALU_DEP_2) | instskip(NEXT) | instid1(VALU_DEP_1)
	v_cvt_f32_i32_e32 v8, v8
	v_mul_f32_e32 v8, v9, v8
	s_delay_alu instid0(VALU_DEP_1) | instskip(NEXT) | instid1(VALU_DEP_1)
	v_fma_mix_f32 v7, v7, s4, v8 op_sel:[1,0,0] op_sel_hi:[1,0,0]
	v_add_f32_e32 v3, v3, v7
	s_and_not1_b32 exec_lo, exec_lo, s9
	s_cbranch_execnz .LBB240_3
; %bb.4:
	s_or_b32 exec_lo, exec_lo, s9
.LBB240_5:
	s_delay_alu instid0(SALU_CYCLE_1) | instskip(SKIP_1) | instid1(VALU_DEP_1)
	s_or_b32 exec_lo, exec_lo, s5
	v_mbcnt_lo_u32_b32 v2, -1, 0
	v_xor_b32_e32 v4, 16, v2
	v_xor_b32_e32 v5, 8, v2
	s_delay_alu instid0(VALU_DEP_2) | instskip(SKIP_1) | instid1(VALU_DEP_3)
	v_cmp_gt_i32_e32 vcc_lo, 32, v4
	v_cndmask_b32_e32 v4, v2, v4, vcc_lo
	v_cmp_gt_i32_e32 vcc_lo, 32, v5
	v_cndmask_b32_e32 v5, v2, v5, vcc_lo
	s_delay_alu instid0(VALU_DEP_1) | instskip(NEXT) | instid1(VALU_DEP_4)
	v_lshlrev_b32_e32 v5, 2, v5
	v_lshlrev_b32_e32 v4, 2, v4
	ds_bpermute_b32 v4, v4, v3
	s_waitcnt lgkmcnt(0)
	v_add_f32_e32 v3, v3, v4
	ds_bpermute_b32 v4, v5, v3
	v_xor_b32_e32 v5, 4, v2
	s_delay_alu instid0(VALU_DEP_1) | instskip(SKIP_1) | instid1(VALU_DEP_1)
	v_cmp_gt_i32_e32 vcc_lo, 32, v5
	v_cndmask_b32_e32 v5, v2, v5, vcc_lo
	v_lshlrev_b32_e32 v5, 2, v5
	s_waitcnt lgkmcnt(0)
	v_add_f32_e32 v3, v3, v4
	ds_bpermute_b32 v4, v5, v3
	v_xor_b32_e32 v5, 2, v2
	s_delay_alu instid0(VALU_DEP_1) | instskip(SKIP_1) | instid1(VALU_DEP_1)
	v_cmp_gt_i32_e32 vcc_lo, 32, v5
	v_cndmask_b32_e32 v5, v2, v5, vcc_lo
	v_lshlrev_b32_e32 v5, 2, v5
	s_waitcnt lgkmcnt(0)
	v_add_f32_e32 v3, v3, v4
	ds_bpermute_b32 v4, v5, v3
	v_xor_b32_e32 v5, 1, v2
	s_delay_alu instid0(VALU_DEP_1) | instskip(SKIP_3) | instid1(VALU_DEP_2)
	v_cmp_gt_i32_e32 vcc_lo, 32, v5
	v_cndmask_b32_e32 v5, v2, v5, vcc_lo
	v_cmp_eq_u32_e32 vcc_lo, 0, v0
	s_waitcnt lgkmcnt(0)
	v_dual_add_f32 v2, v3, v4 :: v_dual_lshlrev_b32 v3, 2, v5
	ds_bpermute_b32 v3, v3, v2
	s_and_b32 exec_lo, exec_lo, vcc_lo
	s_cbranch_execz .LBB240_7
; %bb.6:
	v_mad_u64_u32 v[4:5], null, s8, s6, v[1:2]
	s_waitcnt lgkmcnt(0)
	v_dual_mov_b32 v5, 0 :: v_dual_add_f32 v2, v2, v3
	s_delay_alu instid0(VALU_DEP_1) | instskip(NEXT) | instid1(VALU_DEP_1)
	v_lshlrev_b64 v[0:1], 2, v[4:5]
	v_add_co_u32 v0, vcc_lo, s10, v0
	s_delay_alu instid0(VALU_DEP_2)
	v_add_co_ci_u32_e32 v1, vcc_lo, s11, v1, vcc_lo
	global_store_b32 v[0:1], v2, off
.LBB240_7:
	s_nop 0
	s_sendmsg sendmsg(MSG_DEALLOC_VGPRS)
	s_endpgm
	.section	.rodata,"a",@progbits
	.p2align	6, 0x0
	.amdhsa_kernel _ZL9moe_vec_qIfLi32ELi4E10block_q5_1Li2EXadL_ZL17vec_dot_q5_1_q8_1PKvPK10block_q8_1RKiEEEvS2_S2_PT_PS6_iiii
		.amdhsa_group_segment_fixed_size 0
		.amdhsa_private_segment_fixed_size 0
		.amdhsa_kernarg_size 304
		.amdhsa_user_sgpr_count 14
		.amdhsa_user_sgpr_dispatch_ptr 0
		.amdhsa_user_sgpr_queue_ptr 0
		.amdhsa_user_sgpr_kernarg_segment_ptr 1
		.amdhsa_user_sgpr_dispatch_id 0
		.amdhsa_user_sgpr_private_segment_size 0
		.amdhsa_wavefront_size32 1
		.amdhsa_uses_dynamic_stack 0
		.amdhsa_enable_private_segment 0
		.amdhsa_system_sgpr_workgroup_id_x 1
		.amdhsa_system_sgpr_workgroup_id_y 0
		.amdhsa_system_sgpr_workgroup_id_z 1
		.amdhsa_system_sgpr_workgroup_info 0
		.amdhsa_system_vgpr_workitem_id 1
		.amdhsa_next_free_vgpr 45
		.amdhsa_next_free_sgpr 20
		.amdhsa_reserve_vcc 1
		.amdhsa_float_round_mode_32 0
		.amdhsa_float_round_mode_16_64 0
		.amdhsa_float_denorm_mode_32 3
		.amdhsa_float_denorm_mode_16_64 3
		.amdhsa_dx10_clamp 1
		.amdhsa_ieee_mode 1
		.amdhsa_fp16_overflow 0
		.amdhsa_workgroup_processor_mode 1
		.amdhsa_memory_ordered 1
		.amdhsa_forward_progress 0
		.amdhsa_shared_vgpr_count 0
		.amdhsa_exception_fp_ieee_invalid_op 0
		.amdhsa_exception_fp_denorm_src 0
		.amdhsa_exception_fp_ieee_div_zero 0
		.amdhsa_exception_fp_ieee_overflow 0
		.amdhsa_exception_fp_ieee_underflow 0
		.amdhsa_exception_fp_ieee_inexact 0
		.amdhsa_exception_int_div_zero 0
	.end_amdhsa_kernel
	.section	.text._ZL9moe_vec_qIfLi32ELi4E10block_q5_1Li2EXadL_ZL17vec_dot_q5_1_q8_1PKvPK10block_q8_1RKiEEEvS2_S2_PT_PS6_iiii,"axG",@progbits,_ZL9moe_vec_qIfLi32ELi4E10block_q5_1Li2EXadL_ZL17vec_dot_q5_1_q8_1PKvPK10block_q8_1RKiEEEvS2_S2_PT_PS6_iiii,comdat
.Lfunc_end240:
	.size	_ZL9moe_vec_qIfLi32ELi4E10block_q5_1Li2EXadL_ZL17vec_dot_q5_1_q8_1PKvPK10block_q8_1RKiEEEvS2_S2_PT_PS6_iiii, .Lfunc_end240-_ZL9moe_vec_qIfLi32ELi4E10block_q5_1Li2EXadL_ZL17vec_dot_q5_1_q8_1PKvPK10block_q8_1RKiEEEvS2_S2_PT_PS6_iiii
                                        ; -- End function
	.section	.AMDGPU.csdata,"",@progbits
; Kernel info:
; codeLenInByte = 1412
; NumSgprs: 22
; NumVgprs: 45
; ScratchSize: 0
; MemoryBound: 0
; FloatMode: 240
; IeeeMode: 1
; LDSByteSize: 0 bytes/workgroup (compile time only)
; SGPRBlocks: 2
; VGPRBlocks: 5
; NumSGPRsForWavesPerEU: 22
; NumVGPRsForWavesPerEU: 45
; Occupancy: 16
; WaveLimiterHint : 1
; COMPUTE_PGM_RSRC2:SCRATCH_EN: 0
; COMPUTE_PGM_RSRC2:USER_SGPR: 14
; COMPUTE_PGM_RSRC2:TRAP_HANDLER: 0
; COMPUTE_PGM_RSRC2:TGID_X_EN: 1
; COMPUTE_PGM_RSRC2:TGID_Y_EN: 0
; COMPUTE_PGM_RSRC2:TGID_Z_EN: 1
; COMPUTE_PGM_RSRC2:TIDIG_COMP_CNT: 1
	.section	.text._ZL9moe_vec_qIfLi32ELi8E10block_q8_0Li2EXadL_ZL17vec_dot_q8_0_q8_1PKvPK10block_q8_1RKiEEEvS2_S2_PT_PS6_iiii,"axG",@progbits,_ZL9moe_vec_qIfLi32ELi8E10block_q8_0Li2EXadL_ZL17vec_dot_q8_0_q8_1PKvPK10block_q8_1RKiEEEvS2_S2_PT_PS6_iiii,comdat
	.globl	_ZL9moe_vec_qIfLi32ELi8E10block_q8_0Li2EXadL_ZL17vec_dot_q8_0_q8_1PKvPK10block_q8_1RKiEEEvS2_S2_PT_PS6_iiii ; -- Begin function _ZL9moe_vec_qIfLi32ELi8E10block_q8_0Li2EXadL_ZL17vec_dot_q8_0_q8_1PKvPK10block_q8_1RKiEEEvS2_S2_PT_PS6_iiii
	.p2align	8
	.type	_ZL9moe_vec_qIfLi32ELi8E10block_q8_0Li2EXadL_ZL17vec_dot_q8_0_q8_1PKvPK10block_q8_1RKiEEEvS2_S2_PT_PS6_iiii,@function
_ZL9moe_vec_qIfLi32ELi8E10block_q8_0Li2EXadL_ZL17vec_dot_q8_0_q8_1PKvPK10block_q8_1RKiEEEvS2_S2_PT_PS6_iiii: ; @_ZL9moe_vec_qIfLi32ELi8E10block_q8_0Li2EXadL_ZL17vec_dot_q8_0_q8_1PKvPK10block_q8_1RKiEEEvS2_S2_PT_PS6_iiii
; %bb.0:
	s_clause 0x1
	s_load_b32 s2, s[0:1], 0x3c
	s_load_b128 s[4:7], s[0:1], 0x20
	v_bfe_u32 v3, v0, 10, 10
	s_waitcnt lgkmcnt(0)
	s_lshr_b32 s2, s2, 16
	s_delay_alu instid0(VALU_DEP_1) | instid1(SALU_CYCLE_1)
	v_mad_u64_u32 v[1:2], null, s14, s2, v[3:4]
	s_mov_b32 s2, exec_lo
	s_delay_alu instid0(VALU_DEP_1)
	v_cmpx_gt_u32_e64 s6, v1
	s_cbranch_execz .LBB241_7
; %bb.1:
	v_cvt_f32_u32_e32 v2, s4
	s_load_b64 s[10:11], s[0:1], 0x10
	s_ashr_i32 s2, s5, 31
	v_and_b32_e32 v0, 0x3ff, v0
	s_lshr_b32 s2, s2, 27
	v_rcp_iflag_f32_e32 v2, v2
	s_add_i32 s2, s5, s2
	s_mov_b32 s8, s15
	s_ashr_i32 s12, s2, 5
	s_mov_b32 s5, exec_lo
	s_waitcnt_depctr 0xfff
	v_mul_f32_e32 v3, 0x4f7ffffe, v2
	s_delay_alu instid0(VALU_DEP_1) | instskip(NEXT) | instid1(VALU_DEP_1)
	v_cvt_u32_f32_e32 v3, v3
	v_readfirstlane_b32 s2, v3
	v_mov_b32_e32 v3, 0
	v_lshrrev_b32_e32 v2, 2, v0
	s_delay_alu instid0(VALU_DEP_1)
	v_cmpx_gt_u32_e64 s12, v2
	s_cbranch_execz .LBB241_5
; %bb.2:
	s_load_b64 s[14:15], s[0:1], 0x18
	s_sub_i32 s3, 0, s4
	s_mov_b32 s9, 0
	s_mul_i32 s3, s3, s2
	s_lshl_b64 s[16:17], s[8:9], 2
	s_mul_hi_u32 s3, s2, s3
	v_lshlrev_b32_e32 v3, 3, v0
	s_add_i32 s13, s2, s3
	v_mul_lo_u32 v4, v1, s12
	s_mul_hi_u32 s13, s8, s13
	s_delay_alu instid0(VALU_DEP_2)
	v_and_b32_e32 v5, 24, v3
	v_mov_b32_e32 v3, 0
	s_waitcnt lgkmcnt(0)
	s_add_u32 s2, s14, s16
	s_addc_u32 s3, s15, s17
	s_mul_i32 s15, s13, s4
	s_load_b32 s14, s[2:3], 0x0
	s_load_b128 s[0:3], s[0:1], 0x0
	s_sub_i32 s17, s8, s15
	s_add_i32 s18, s13, 1
	s_sub_i32 s19, s17, s4
	s_cmp_ge_u32 s17, s4
	s_mul_i32 s16, s12, s6
	s_cselect_b32 s13, s18, s13
	s_cselect_b32 s17, s19, s17
	s_add_i32 s18, s13, 1
	s_cmp_ge_u32 s17, s4
	s_mov_b32 s15, s9
	s_cselect_b32 s4, s18, s13
	s_waitcnt lgkmcnt(0)
	s_mul_i32 s13, s16, s14
	s_mul_i32 s14, s4, s7
	;; [unrolled: 1-line block ×3, first 2 shown]
	s_mul_hi_i32 s7, s13, 34
	s_add_u32 s0, s0, s4
	s_addc_u32 s1, s1, s7
	s_lshl_b64 s[14:15], s[14:15], 2
	s_delay_alu instid0(SALU_CYCLE_1)
	s_add_u32 s2, s2, s14
	s_addc_u32 s3, s3, s15
	s_set_inst_prefetch_distance 0x1
	.p2align	6
.LBB241_3:                              ; =>This Inner Loop Header: Depth=1
	v_add_nc_u32_e32 v10, v4, v2
	v_mad_i64_i32 v[6:7], null, v2, 36, s[2:3]
	v_add_nc_u32_e32 v2, 8, v2
	s_delay_alu instid0(VALU_DEP_3) | instskip(NEXT) | instid1(VALU_DEP_3)
	v_mad_i64_i32 v[8:9], null, v10, 34, s[0:1]
	v_add_co_u32 v10, vcc_lo, v6, v5
	s_delay_alu instid0(VALU_DEP_4) | instskip(NEXT) | instid1(VALU_DEP_3)
	v_add_co_ci_u32_e32 v11, vcc_lo, 0, v7, vcc_lo
	v_add_co_u32 v12, vcc_lo, v8, v5
	s_delay_alu instid0(VALU_DEP_4)
	v_add_co_ci_u32_e32 v13, vcc_lo, 0, v9, vcc_lo
	v_cmp_le_u32_e32 vcc_lo, s12, v2
	global_load_b64 v[10:11], v[10:11], off offset:4
	global_load_b64 v[12:13], v[12:13], off offset:2
	global_load_b32 v6, v[6:7], off
	global_load_u16 v7, v[8:9], off
	s_or_b32 s9, vcc_lo, s9
	s_waitcnt vmcnt(2)
	v_perm_b32 v8, v10, v13, 0x6050004
	v_perm_b32 v9, v12, v11, 0x6050004
	;; [unrolled: 1-line block ×4, first 2 shown]
	s_waitcnt vmcnt(1)
	v_cvt_f32_f16_e32 v6, v6
	s_waitcnt vmcnt(0)
	v_cvt_f32_f16_e32 v7, v7
	v_dot4_i32_iu8 v8, v9, v8, 0 neg_lo:[1,1,0]
	s_delay_alu instid0(VALU_DEP_2) | instskip(NEXT) | instid1(VALU_DEP_2)
	v_mul_f32_e32 v6, v7, v6
	v_dot4_i32_iu8 v8, v11, v10, v8 neg_lo:[1,1,0]
	s_delay_alu instid0(VALU_DEP_1) | instskip(NEXT) | instid1(VALU_DEP_1)
	v_cvt_f32_i32_e32 v7, v8
	v_fmac_f32_e32 v3, v6, v7
	s_and_not1_b32 exec_lo, exec_lo, s9
	s_cbranch_execnz .LBB241_3
; %bb.4:
	s_set_inst_prefetch_distance 0x2
	s_or_b32 exec_lo, exec_lo, s9
.LBB241_5:
	s_delay_alu instid0(SALU_CYCLE_1) | instskip(SKIP_1) | instid1(VALU_DEP_1)
	s_or_b32 exec_lo, exec_lo, s5
	v_mbcnt_lo_u32_b32 v2, -1, 0
	v_xor_b32_e32 v4, 16, v2
	v_xor_b32_e32 v5, 8, v2
	s_delay_alu instid0(VALU_DEP_2) | instskip(SKIP_1) | instid1(VALU_DEP_3)
	v_cmp_gt_i32_e32 vcc_lo, 32, v4
	v_cndmask_b32_e32 v4, v2, v4, vcc_lo
	v_cmp_gt_i32_e32 vcc_lo, 32, v5
	v_cndmask_b32_e32 v5, v2, v5, vcc_lo
	s_delay_alu instid0(VALU_DEP_1) | instskip(NEXT) | instid1(VALU_DEP_4)
	v_lshlrev_b32_e32 v5, 2, v5
	v_lshlrev_b32_e32 v4, 2, v4
	ds_bpermute_b32 v4, v4, v3
	s_waitcnt lgkmcnt(0)
	v_add_f32_e32 v3, v3, v4
	ds_bpermute_b32 v4, v5, v3
	v_xor_b32_e32 v5, 4, v2
	s_delay_alu instid0(VALU_DEP_1) | instskip(SKIP_1) | instid1(VALU_DEP_1)
	v_cmp_gt_i32_e32 vcc_lo, 32, v5
	v_cndmask_b32_e32 v5, v2, v5, vcc_lo
	v_lshlrev_b32_e32 v5, 2, v5
	s_waitcnt lgkmcnt(0)
	v_add_f32_e32 v3, v3, v4
	ds_bpermute_b32 v4, v5, v3
	v_xor_b32_e32 v5, 2, v2
	s_delay_alu instid0(VALU_DEP_1) | instskip(SKIP_1) | instid1(VALU_DEP_1)
	v_cmp_gt_i32_e32 vcc_lo, 32, v5
	v_cndmask_b32_e32 v5, v2, v5, vcc_lo
	v_lshlrev_b32_e32 v5, 2, v5
	s_waitcnt lgkmcnt(0)
	v_add_f32_e32 v3, v3, v4
	ds_bpermute_b32 v4, v5, v3
	v_xor_b32_e32 v5, 1, v2
	s_delay_alu instid0(VALU_DEP_1) | instskip(SKIP_3) | instid1(VALU_DEP_2)
	v_cmp_gt_i32_e32 vcc_lo, 32, v5
	v_cndmask_b32_e32 v5, v2, v5, vcc_lo
	v_cmp_eq_u32_e32 vcc_lo, 0, v0
	s_waitcnt lgkmcnt(0)
	v_dual_add_f32 v2, v3, v4 :: v_dual_lshlrev_b32 v3, 2, v5
	ds_bpermute_b32 v3, v3, v2
	s_and_b32 exec_lo, exec_lo, vcc_lo
	s_cbranch_execz .LBB241_7
; %bb.6:
	v_mad_u64_u32 v[4:5], null, s8, s6, v[1:2]
	s_waitcnt lgkmcnt(0)
	v_dual_mov_b32 v5, 0 :: v_dual_add_f32 v2, v2, v3
	s_delay_alu instid0(VALU_DEP_1) | instskip(NEXT) | instid1(VALU_DEP_1)
	v_lshlrev_b64 v[0:1], 2, v[4:5]
	v_add_co_u32 v0, vcc_lo, s10, v0
	s_delay_alu instid0(VALU_DEP_2)
	v_add_co_ci_u32_e32 v1, vcc_lo, s11, v1, vcc_lo
	global_store_b32 v[0:1], v2, off
.LBB241_7:
	s_nop 0
	s_sendmsg sendmsg(MSG_DEALLOC_VGPRS)
	s_endpgm
	.section	.rodata,"a",@progbits
	.p2align	6, 0x0
	.amdhsa_kernel _ZL9moe_vec_qIfLi32ELi8E10block_q8_0Li2EXadL_ZL17vec_dot_q8_0_q8_1PKvPK10block_q8_1RKiEEEvS2_S2_PT_PS6_iiii
		.amdhsa_group_segment_fixed_size 0
		.amdhsa_private_segment_fixed_size 0
		.amdhsa_kernarg_size 304
		.amdhsa_user_sgpr_count 14
		.amdhsa_user_sgpr_dispatch_ptr 0
		.amdhsa_user_sgpr_queue_ptr 0
		.amdhsa_user_sgpr_kernarg_segment_ptr 1
		.amdhsa_user_sgpr_dispatch_id 0
		.amdhsa_user_sgpr_private_segment_size 0
		.amdhsa_wavefront_size32 1
		.amdhsa_uses_dynamic_stack 0
		.amdhsa_enable_private_segment 0
		.amdhsa_system_sgpr_workgroup_id_x 1
		.amdhsa_system_sgpr_workgroup_id_y 0
		.amdhsa_system_sgpr_workgroup_id_z 1
		.amdhsa_system_sgpr_workgroup_info 0
		.amdhsa_system_vgpr_workitem_id 1
		.amdhsa_next_free_vgpr 14
		.amdhsa_next_free_sgpr 20
		.amdhsa_reserve_vcc 1
		.amdhsa_float_round_mode_32 0
		.amdhsa_float_round_mode_16_64 0
		.amdhsa_float_denorm_mode_32 3
		.amdhsa_float_denorm_mode_16_64 3
		.amdhsa_dx10_clamp 1
		.amdhsa_ieee_mode 1
		.amdhsa_fp16_overflow 0
		.amdhsa_workgroup_processor_mode 1
		.amdhsa_memory_ordered 1
		.amdhsa_forward_progress 0
		.amdhsa_shared_vgpr_count 0
		.amdhsa_exception_fp_ieee_invalid_op 0
		.amdhsa_exception_fp_denorm_src 0
		.amdhsa_exception_fp_ieee_div_zero 0
		.amdhsa_exception_fp_ieee_overflow 0
		.amdhsa_exception_fp_ieee_underflow 0
		.amdhsa_exception_fp_ieee_inexact 0
		.amdhsa_exception_int_div_zero 0
	.end_amdhsa_kernel
	.section	.text._ZL9moe_vec_qIfLi32ELi8E10block_q8_0Li2EXadL_ZL17vec_dot_q8_0_q8_1PKvPK10block_q8_1RKiEEEvS2_S2_PT_PS6_iiii,"axG",@progbits,_ZL9moe_vec_qIfLi32ELi8E10block_q8_0Li2EXadL_ZL17vec_dot_q8_0_q8_1PKvPK10block_q8_1RKiEEEvS2_S2_PT_PS6_iiii,comdat
.Lfunc_end241:
	.size	_ZL9moe_vec_qIfLi32ELi8E10block_q8_0Li2EXadL_ZL17vec_dot_q8_0_q8_1PKvPK10block_q8_1RKiEEEvS2_S2_PT_PS6_iiii, .Lfunc_end241-_ZL9moe_vec_qIfLi32ELi8E10block_q8_0Li2EXadL_ZL17vec_dot_q8_0_q8_1PKvPK10block_q8_1RKiEEEvS2_S2_PT_PS6_iiii
                                        ; -- End function
	.section	.AMDGPU.csdata,"",@progbits
; Kernel info:
; codeLenInByte = 836
; NumSgprs: 22
; NumVgprs: 14
; ScratchSize: 0
; MemoryBound: 0
; FloatMode: 240
; IeeeMode: 1
; LDSByteSize: 0 bytes/workgroup (compile time only)
; SGPRBlocks: 2
; VGPRBlocks: 1
; NumSGPRsForWavesPerEU: 22
; NumVGPRsForWavesPerEU: 14
; Occupancy: 16
; WaveLimiterHint : 1
; COMPUTE_PGM_RSRC2:SCRATCH_EN: 0
; COMPUTE_PGM_RSRC2:USER_SGPR: 14
; COMPUTE_PGM_RSRC2:TRAP_HANDLER: 0
; COMPUTE_PGM_RSRC2:TGID_X_EN: 1
; COMPUTE_PGM_RSRC2:TGID_Y_EN: 0
; COMPUTE_PGM_RSRC2:TGID_Z_EN: 1
; COMPUTE_PGM_RSRC2:TIDIG_COMP_CNT: 1
	.section	.text._ZL9moe_vec_qIfLi256ELi16E10block_q2_KLi1EXadL_ZL17vec_dot_q2_K_q8_1PKvPK10block_q8_1RKiEEEvS2_S2_PT_PS6_iiii,"axG",@progbits,_ZL9moe_vec_qIfLi256ELi16E10block_q2_KLi1EXadL_ZL17vec_dot_q2_K_q8_1PKvPK10block_q8_1RKiEEEvS2_S2_PT_PS6_iiii,comdat
	.globl	_ZL9moe_vec_qIfLi256ELi16E10block_q2_KLi1EXadL_ZL17vec_dot_q2_K_q8_1PKvPK10block_q8_1RKiEEEvS2_S2_PT_PS6_iiii ; -- Begin function _ZL9moe_vec_qIfLi256ELi16E10block_q2_KLi1EXadL_ZL17vec_dot_q2_K_q8_1PKvPK10block_q8_1RKiEEEvS2_S2_PT_PS6_iiii
	.p2align	8
	.type	_ZL9moe_vec_qIfLi256ELi16E10block_q2_KLi1EXadL_ZL17vec_dot_q2_K_q8_1PKvPK10block_q8_1RKiEEEvS2_S2_PT_PS6_iiii,@function
_ZL9moe_vec_qIfLi256ELi16E10block_q2_KLi1EXadL_ZL17vec_dot_q2_K_q8_1PKvPK10block_q8_1RKiEEEvS2_S2_PT_PS6_iiii: ; @_ZL9moe_vec_qIfLi256ELi16E10block_q2_KLi1EXadL_ZL17vec_dot_q2_K_q8_1PKvPK10block_q8_1RKiEEEvS2_S2_PT_PS6_iiii
; %bb.0:
	s_clause 0x1
	s_load_b32 s2, s[0:1], 0x3c
	s_load_b128 s[4:7], s[0:1], 0x20
	v_bfe_u32 v3, v0, 10, 10
	s_waitcnt lgkmcnt(0)
	s_lshr_b32 s2, s2, 16
	s_delay_alu instid0(VALU_DEP_1) | instid1(SALU_CYCLE_1)
	v_mad_u64_u32 v[1:2], null, s14, s2, v[3:4]
	s_mov_b32 s2, exec_lo
	s_delay_alu instid0(VALU_DEP_1)
	v_cmpx_gt_u32_e64 s6, v1
	s_cbranch_execz .LBB242_7
; %bb.1:
	v_cvt_f32_u32_e32 v2, s4
	s_load_b64 s[10:11], s[0:1], 0x10
	v_dual_mov_b32 v3, 0 :: v_dual_and_b32 v0, 0x3ff, v0
	s_ashr_i32 s2, s5, 31
	s_delay_alu instid0(VALU_DEP_2) | instskip(SKIP_1) | instid1(VALU_DEP_1)
	v_rcp_iflag_f32_e32 v2, v2
	s_lshr_b32 s2, s2, 24
	v_lshrrev_b32_e32 v8, 4, v0
	s_add_i32 s2, s5, s2
	s_mov_b32 s8, s15
	s_ashr_i32 s12, s2, 8
	s_mov_b32 s5, exec_lo
	s_waitcnt_depctr 0xfff
	v_mul_f32_e32 v2, 0x4f7ffffe, v2
	s_delay_alu instid0(VALU_DEP_1) | instskip(NEXT) | instid1(VALU_DEP_1)
	v_cvt_u32_f32_e32 v2, v2
	v_readfirstlane_b32 s13, v2
	v_cmpx_gt_u32_e64 s12, v8
	s_cbranch_execz .LBB242_5
; %bb.2:
	s_clause 0x1
	s_load_b64 s[14:15], s[0:1], 0x18
	s_load_b128 s[0:3], s[0:1], 0x0
	s_sub_i32 s16, 0, s4
	s_mov_b32 s9, 0
	s_mul_i32 s16, s16, s13
	v_dual_mov_b32 v3, 0 :: v_dual_and_b32 v4, 15, v0
	s_mul_hi_u32 s19, s13, s16
	s_lshl_b64 s[16:17], s[8:9], 2
	s_add_i32 s13, s13, s19
	s_delay_alu instid0(VALU_DEP_1)
	v_cmp_lt_u32_e32 vcc_lo, 7, v4
	s_mul_hi_u32 s13, s8, s13
	v_add_nc_u32_e32 v5, -8, v4
	s_mul_i32 s18, s12, s6
	v_mul_lo_u32 v9, v1, s12
	v_cndmask_b32_e64 v2, 0, 1, vcc_lo
	v_cmp_gt_u32_e32 vcc_lo, 8, v4
	v_lshlrev_b32_e32 v11, 2, v4
	v_lshlrev_b32_e32 v12, 3, v8
	s_delay_alu instid0(VALU_DEP_4)
	v_lshlrev_b32_e32 v6, 2, v2
	s_waitcnt lgkmcnt(0)
	s_add_u32 s14, s14, s16
	s_addc_u32 s15, s15, s17
	s_mul_i32 s16, s13, s4
	s_load_b32 s14, s[14:15], 0x0
	s_sub_i32 s16, s8, s16
	s_add_i32 s17, s13, 1
	s_sub_i32 s19, s16, s4
	s_cmp_ge_u32 s16, s4
	v_cndmask_b32_e32 v2, v5, v4, vcc_lo
	s_cselect_b32 s13, s17, s13
	s_cselect_b32 s16, s19, s16
	s_add_i32 s17, s13, 1
	s_cmp_ge_u32 s16, s4
	s_mov_b32 s15, s9
	s_cselect_b32 s4, s17, s13
	v_sub_nc_u32_e32 v5, v4, v2
	v_cmp_lt_u32_e32 vcc_lo, 3, v2
	s_delay_alu instid0(VALU_DEP_2)
	v_add_co_ci_u32_e32 v10, vcc_lo, 0, v5, vcc_lo
	s_waitcnt lgkmcnt(0)
	s_mul_i32 s13, s18, s14
	s_mul_i32 s14, s4, s7
	;; [unrolled: 1-line block ×3, first 2 shown]
	s_mul_hi_i32 s7, s13, 0x54
	s_add_u32 s0, s0, s4
	s_addc_u32 s1, s1, s7
	s_lshl_b64 s[14:15], s[14:15], 2
	s_delay_alu instid0(SALU_CYCLE_1) | instskip(SKIP_1) | instid1(SALU_CYCLE_1)
	s_add_u32 s2, s2, s14
	s_addc_u32 s3, s3, s15
	v_mad_u64_u32 v[4:5], null, v6, 36, s[2:3]
	v_lshlrev_b64 v[6:7], 2, v[2:3]
	v_ashrrev_i32_e32 v2, 31, v10
.LBB242_3:                              ; =>This Inner Loop Header: Depth=1
	s_delay_alu instid0(VALU_DEP_3)
	v_mad_i64_i32 v[13:14], null, v12, 36, v[4:5]
	v_add_nc_u32_e32 v17, v9, v8
	v_add_nc_u32_e32 v8, 2, v8
	;; [unrolled: 1-line block ×3, first 2 shown]
	s_clause 0x2
	global_load_b32 v27, v[13:14], off
	global_load_b32 v28, v[13:14], off offset:36
	global_load_b32 v29, v[13:14], off offset:72
	v_mad_i64_i32 v[15:16], null, 0x54, v17, s[0:1]
	v_add_co_u32 v17, vcc_lo, v13, v6
	v_add_co_ci_u32_e32 v18, vcc_lo, v14, v7, vcc_lo
	v_add_co_u32 v21, vcc_lo, v13, 36
	v_add_co_ci_u32_e32 v22, vcc_lo, 0, v14, vcc_lo
	;; [unrolled: 2-line block ×5, first 2 shown]
	global_load_b32 v30, v[17:18], off offset:4
	v_add_co_u32 v17, vcc_lo, v21, v6
	v_add_co_ci_u32_e32 v18, vcc_lo, v22, v7, vcc_lo
	v_add_co_u32 v21, vcc_lo, v23, v6
	v_add_co_ci_u32_e32 v22, vcc_lo, v24, v7, vcc_lo
	;; [unrolled: 2-line block ×4, first 2 shown]
	s_clause 0x1
	global_load_b32 v19, v[19:20], off offset:16
	global_load_u8 v20, v[25:26], off
	global_load_b32 v17, v[17:18], off offset:4
	global_load_u8 v18, v[25:26], off offset:2
	global_load_b32 v21, v[21:22], off offset:4
	global_load_u8 v22, v[25:26], off offset:4
	global_load_b32 v23, v[23:24], off offset:4
	s_clause 0x1
	global_load_u8 v24, v[25:26], off offset:6
	global_load_b32 v15, v[15:16], off offset:80
	global_load_b32 v13, v[13:14], off offset:108
	v_cmp_le_u32_e32 vcc_lo, s12, v8
	s_or_b32 s9, vcc_lo, s9
	s_waitcnt vmcnt(10)
	v_bfe_i32 v25, v30, 16, 8
	v_ashrrev_i32_e32 v26, 24, v30
	v_bfe_i32 v14, v30, 0, 8
	v_bfe_i32 v16, v30, 8, 8
	v_perm_b32 v30, v30, v30, 0xc0c0201
	s_waitcnt vmcnt(9)
	v_bfe_u32 v33, v19, 16, 2
	v_bfe_u32 v34, v19, 24, 2
	s_waitcnt vmcnt(8)
	v_and_b32_e32 v35, 15, v20
	v_lshrrev_b32_e32 v20, 4, v20
	v_and_b32_e32 v31, 3, v19
	v_ashrrev_i32_e32 v36, 2, v19
	v_ashrrev_i32_e32 v42, 4, v19
	s_waitcnt vmcnt(6)
	v_and_b32_e32 v41, 15, v18
	v_lshrrev_b32_e32 v18, 4, v18
	v_mul_i32_i24_e32 v25, v25, v33
	v_mul_i32_i24_e32 v33, v26, v34
	v_mul_lo_u32 v34, 0x1010101, v20
	v_bfe_u32 v32, v19, 8, 2
	v_bfe_i32 v37, v17, 0, 8
	s_waitcnt vmcnt(5)
	v_bfe_i32 v45, v21, 16, 8
	v_ashrrev_i32_e32 v19, 6, v19
	v_mul_i32_i24_e32 v31, v14, v31
	v_mul_i32_i24_e32 v14, v20, v14
	v_and_b32_e32 v20, 3, v36
	v_bfe_u32 v59, v42, 16, 2
	s_waitcnt vmcnt(4)
	v_and_b32_e32 v47, 15, v22
	v_lshrrev_b32_e32 v22, 4, v22
	v_mul_lo_u32 v56, 0x1010101, v18
	v_ashrrev_i32_e32 v40, 24, v17
	v_bfe_i32 v43, v21, 0, 8
	s_waitcnt vmcnt(3)
	v_bfe_i32 v50, v23, 16, 8
	v_bfe_u32 v54, v36, 8, 2
	v_bfe_u32 v55, v36, 16, 2
	;; [unrolled: 1-line block ×3, first 2 shown]
	v_mul_i32_i24_e32 v18, v18, v37
	v_and_b32_e32 v57, 3, v42
	v_bfe_u32 v63, v19, 16, 2
	v_mul_i32_i24_e32 v20, v37, v20
	v_mul_i32_i24_e32 v37, v45, v59
	v_lshrrev_b32_e32 v45, 24, v34
	v_perm_b32 v34, v34, v34, 0xc0c0201
	v_bfe_i32 v38, v17, 8, 8
	v_bfe_i32 v39, v17, 16, 8
	s_waitcnt vmcnt(2)
	v_and_b32_e32 v52, 15, v24
	v_lshrrev_b32_e32 v24, 4, v24
	v_mul_lo_u32 v60, 0x1010101, v22
	v_mad_i32_i24 v16, v16, v32, v31
	v_perm_b32 v17, v17, v17, 0xc0c0201
	v_ashrrev_i32_e32 v46, 24, v21
	v_bfe_i32 v48, v23, 0, 8
	v_bfe_u32 v58, v42, 8, 2
	v_bfe_u32 v42, v42, 24, 2
	v_mul_i32_i24_e32 v22, v22, v43
	v_and_b32_e32 v61, 3, v19
	v_mul_i32_i24_e32 v32, v40, v36
	v_mul_i32_i24_e32 v36, v43, v57
	;; [unrolled: 1-line block ×3, first 2 shown]
	v_perm_b32 v50, v56, v56, 0xc0c0201
	v_dot4_i32_iu8 v14, v34, v30, v14 neg_lo:[1,1,0]
	v_bfe_i32 v44, v21, 8, 8
	v_mul_lo_u32 v64, 0x1010101, v24
	v_mul_i32_i24_e32 v31, v39, v55
	v_add3_u32 v16, v16, v25, v33
	v_mad_i32_i24 v20, v38, v54, v20
	v_perm_b32 v21, v21, v21, 0xc0c0201
	v_mul_i32_i24_e32 v24, v24, v48
	v_mul_i32_i24_e32 v39, v46, v42
	;; [unrolled: 1-line block ×3, first 2 shown]
	v_lshrrev_b32_e32 v48, 24, v56
	v_perm_b32 v56, v60, v60, 0xc0c0201
	v_dot4_i32_iu8 v17, v50, v17, v18 neg_lo:[1,1,0]
	v_mad_i32_i24 v14, v45, v26, v14
	v_bfe_i32 v49, v23, 8, 8
	v_ashrrev_i32_e32 v51, 24, v23
	v_bfe_u32 v62, v19, 8, 2
	v_bfe_u32 v19, v19, 24, 2
	v_mad_i32_i24 v25, v44, v58, v36
	v_mul_lo_u32 v16, v35, v16
	v_add3_u32 v20, v20, v31, v32
	v_perm_b32 v23, v23, v23, 0xc0c0201
	v_lshrrev_b32_e32 v55, 24, v60
	v_perm_b32 v59, v64, v64, 0xc0c0201
	v_dot4_i32_iu8 v18, v56, v21, v22 neg_lo:[1,1,0]
	v_mad_i32_i24 v17, v48, v40, v17
	v_cvt_f32_i32_e32 v14, v14
	v_mul_i32_i24_e32 v19, v51, v19
	v_mad_i32_i24 v33, v49, v62, v42
	v_add3_u32 v22, v25, v37, v39
	v_mul_lo_u32 v20, v41, v20
	v_lshrrev_b32_e32 v57, 24, v64
	v_dot4_i32_iu8 v21, v59, v23, v24 neg_lo:[1,1,0]
	v_mad_i32_i24 v18, v55, v46, v18
	v_cvt_f32_i32_e32 v16, v16
	v_cvt_f32_i32_e32 v17, v17
	v_fma_mix_f32 v14, v27, v14, 0 op_sel_hi:[1,0,0]
	v_add3_u32 v19, v33, v43, v19
	v_mul_lo_u32 v22, v47, v22
	v_mad_i32_i24 v21, v57, v51, v21
	v_cvt_f32_i32_e32 v18, v18
	v_fma_mix_f32 v16, v27, v16, 0 op_sel_hi:[1,0,0]
	v_cvt_f32_i32_e32 v20, v20
	v_fma_mix_f32 v14, v28, v17, v14 op_sel_hi:[1,0,0]
	v_mul_lo_u32 v17, v52, v19
	s_waitcnt vmcnt(1)
	v_lshrrev_b32_e32 v53, 16, v15
	v_cvt_f32_i32_e32 v19, v21
	v_cvt_f32_i32_e32 v21, v22
	v_fma_mix_f32 v16, v28, v20, v16 op_sel_hi:[1,0,0]
	v_fma_mix_f32 v14, v29, v18, v14 op_sel_hi:[1,0,0]
	v_cvt_f32_f16_e32 v18, v53
	v_cvt_f32_i32_e32 v17, v17
	s_delay_alu instid0(VALU_DEP_4) | instskip(SKIP_2) | instid1(VALU_DEP_2)
	v_fma_mix_f32 v16, v29, v21, v16 op_sel_hi:[1,0,0]
	s_waitcnt vmcnt(0)
	v_fma_mix_f32 v14, v13, v19, v14 op_sel_hi:[1,0,0]
	v_fma_mix_f32 v13, v13, v17, v16 op_sel_hi:[1,0,0]
	s_delay_alu instid0(VALU_DEP_2) | instskip(NEXT) | instid1(VALU_DEP_1)
	v_mul_f32_e32 v14, v14, v18
	v_fma_mix_f32 v13, v13, v15, -v14 op_sel_hi:[0,1,0]
	s_delay_alu instid0(VALU_DEP_1)
	v_add_f32_e32 v3, v3, v13
	s_and_not1_b32 exec_lo, exec_lo, s9
	s_cbranch_execnz .LBB242_3
; %bb.4:
	s_or_b32 exec_lo, exec_lo, s9
.LBB242_5:
	s_delay_alu instid0(SALU_CYCLE_1) | instskip(SKIP_1) | instid1(VALU_DEP_1)
	s_or_b32 exec_lo, exec_lo, s5
	v_mbcnt_lo_u32_b32 v2, -1, 0
	v_xor_b32_e32 v4, 16, v2
	v_xor_b32_e32 v5, 8, v2
	s_delay_alu instid0(VALU_DEP_2) | instskip(SKIP_1) | instid1(VALU_DEP_3)
	v_cmp_gt_i32_e32 vcc_lo, 32, v4
	v_cndmask_b32_e32 v4, v2, v4, vcc_lo
	v_cmp_gt_i32_e32 vcc_lo, 32, v5
	v_cndmask_b32_e32 v5, v2, v5, vcc_lo
	s_delay_alu instid0(VALU_DEP_1) | instskip(NEXT) | instid1(VALU_DEP_4)
	v_lshlrev_b32_e32 v5, 2, v5
	v_lshlrev_b32_e32 v4, 2, v4
	ds_bpermute_b32 v4, v4, v3
	s_waitcnt lgkmcnt(0)
	v_add_f32_e32 v3, v3, v4
	ds_bpermute_b32 v4, v5, v3
	v_xor_b32_e32 v5, 4, v2
	s_delay_alu instid0(VALU_DEP_1) | instskip(SKIP_1) | instid1(VALU_DEP_1)
	v_cmp_gt_i32_e32 vcc_lo, 32, v5
	v_cndmask_b32_e32 v5, v2, v5, vcc_lo
	v_lshlrev_b32_e32 v5, 2, v5
	s_waitcnt lgkmcnt(0)
	v_add_f32_e32 v3, v3, v4
	ds_bpermute_b32 v4, v5, v3
	v_xor_b32_e32 v5, 2, v2
	s_delay_alu instid0(VALU_DEP_1) | instskip(SKIP_1) | instid1(VALU_DEP_1)
	v_cmp_gt_i32_e32 vcc_lo, 32, v5
	v_cndmask_b32_e32 v5, v2, v5, vcc_lo
	v_lshlrev_b32_e32 v5, 2, v5
	s_waitcnt lgkmcnt(0)
	v_add_f32_e32 v3, v3, v4
	ds_bpermute_b32 v4, v5, v3
	v_xor_b32_e32 v5, 1, v2
	s_delay_alu instid0(VALU_DEP_1) | instskip(SKIP_3) | instid1(VALU_DEP_2)
	v_cmp_gt_i32_e32 vcc_lo, 32, v5
	v_cndmask_b32_e32 v5, v2, v5, vcc_lo
	v_cmp_eq_u32_e32 vcc_lo, 0, v0
	s_waitcnt lgkmcnt(0)
	v_dual_add_f32 v2, v3, v4 :: v_dual_lshlrev_b32 v3, 2, v5
	ds_bpermute_b32 v3, v3, v2
	s_and_b32 exec_lo, exec_lo, vcc_lo
	s_cbranch_execz .LBB242_7
; %bb.6:
	v_mad_u64_u32 v[4:5], null, s8, s6, v[1:2]
	s_waitcnt lgkmcnt(0)
	v_dual_mov_b32 v5, 0 :: v_dual_add_f32 v2, v2, v3
	s_delay_alu instid0(VALU_DEP_1) | instskip(NEXT) | instid1(VALU_DEP_1)
	v_lshlrev_b64 v[0:1], 2, v[4:5]
	v_add_co_u32 v0, vcc_lo, s10, v0
	s_delay_alu instid0(VALU_DEP_2)
	v_add_co_ci_u32_e32 v1, vcc_lo, s11, v1, vcc_lo
	global_store_b32 v[0:1], v2, off
.LBB242_7:
	s_nop 0
	s_sendmsg sendmsg(MSG_DEALLOC_VGPRS)
	s_endpgm
	.section	.rodata,"a",@progbits
	.p2align	6, 0x0
	.amdhsa_kernel _ZL9moe_vec_qIfLi256ELi16E10block_q2_KLi1EXadL_ZL17vec_dot_q2_K_q8_1PKvPK10block_q8_1RKiEEEvS2_S2_PT_PS6_iiii
		.amdhsa_group_segment_fixed_size 0
		.amdhsa_private_segment_fixed_size 0
		.amdhsa_kernarg_size 304
		.amdhsa_user_sgpr_count 14
		.amdhsa_user_sgpr_dispatch_ptr 0
		.amdhsa_user_sgpr_queue_ptr 0
		.amdhsa_user_sgpr_kernarg_segment_ptr 1
		.amdhsa_user_sgpr_dispatch_id 0
		.amdhsa_user_sgpr_private_segment_size 0
		.amdhsa_wavefront_size32 1
		.amdhsa_uses_dynamic_stack 0
		.amdhsa_enable_private_segment 0
		.amdhsa_system_sgpr_workgroup_id_x 1
		.amdhsa_system_sgpr_workgroup_id_y 0
		.amdhsa_system_sgpr_workgroup_id_z 1
		.amdhsa_system_sgpr_workgroup_info 0
		.amdhsa_system_vgpr_workitem_id 1
		.amdhsa_next_free_vgpr 65
		.amdhsa_next_free_sgpr 20
		.amdhsa_reserve_vcc 1
		.amdhsa_float_round_mode_32 0
		.amdhsa_float_round_mode_16_64 0
		.amdhsa_float_denorm_mode_32 3
		.amdhsa_float_denorm_mode_16_64 3
		.amdhsa_dx10_clamp 1
		.amdhsa_ieee_mode 1
		.amdhsa_fp16_overflow 0
		.amdhsa_workgroup_processor_mode 1
		.amdhsa_memory_ordered 1
		.amdhsa_forward_progress 0
		.amdhsa_shared_vgpr_count 0
		.amdhsa_exception_fp_ieee_invalid_op 0
		.amdhsa_exception_fp_denorm_src 0
		.amdhsa_exception_fp_ieee_div_zero 0
		.amdhsa_exception_fp_ieee_overflow 0
		.amdhsa_exception_fp_ieee_underflow 0
		.amdhsa_exception_fp_ieee_inexact 0
		.amdhsa_exception_int_div_zero 0
	.end_amdhsa_kernel
	.section	.text._ZL9moe_vec_qIfLi256ELi16E10block_q2_KLi1EXadL_ZL17vec_dot_q2_K_q8_1PKvPK10block_q8_1RKiEEEvS2_S2_PT_PS6_iiii,"axG",@progbits,_ZL9moe_vec_qIfLi256ELi16E10block_q2_KLi1EXadL_ZL17vec_dot_q2_K_q8_1PKvPK10block_q8_1RKiEEEvS2_S2_PT_PS6_iiii,comdat
.Lfunc_end242:
	.size	_ZL9moe_vec_qIfLi256ELi16E10block_q2_KLi1EXadL_ZL17vec_dot_q2_K_q8_1PKvPK10block_q8_1RKiEEEvS2_S2_PT_PS6_iiii, .Lfunc_end242-_ZL9moe_vec_qIfLi256ELi16E10block_q2_KLi1EXadL_ZL17vec_dot_q2_K_q8_1PKvPK10block_q8_1RKiEEEvS2_S2_PT_PS6_iiii
                                        ; -- End function
	.section	.AMDGPU.csdata,"",@progbits
; Kernel info:
; codeLenInByte = 1816
; NumSgprs: 22
; NumVgprs: 65
; ScratchSize: 0
; MemoryBound: 0
; FloatMode: 240
; IeeeMode: 1
; LDSByteSize: 0 bytes/workgroup (compile time only)
; SGPRBlocks: 2
; VGPRBlocks: 8
; NumSGPRsForWavesPerEU: 22
; NumVGPRsForWavesPerEU: 65
; Occupancy: 16
; WaveLimiterHint : 1
; COMPUTE_PGM_RSRC2:SCRATCH_EN: 0
; COMPUTE_PGM_RSRC2:USER_SGPR: 14
; COMPUTE_PGM_RSRC2:TRAP_HANDLER: 0
; COMPUTE_PGM_RSRC2:TGID_X_EN: 1
; COMPUTE_PGM_RSRC2:TGID_Y_EN: 0
; COMPUTE_PGM_RSRC2:TGID_Z_EN: 1
; COMPUTE_PGM_RSRC2:TIDIG_COMP_CNT: 1
	.section	.text._ZL9moe_vec_qIfLi256ELi16E10block_q3_KLi1EXadL_ZL17vec_dot_q3_K_q8_1PKvPK10block_q8_1RKiEEEvS2_S2_PT_PS6_iiii,"axG",@progbits,_ZL9moe_vec_qIfLi256ELi16E10block_q3_KLi1EXadL_ZL17vec_dot_q3_K_q8_1PKvPK10block_q8_1RKiEEEvS2_S2_PT_PS6_iiii,comdat
	.globl	_ZL9moe_vec_qIfLi256ELi16E10block_q3_KLi1EXadL_ZL17vec_dot_q3_K_q8_1PKvPK10block_q8_1RKiEEEvS2_S2_PT_PS6_iiii ; -- Begin function _ZL9moe_vec_qIfLi256ELi16E10block_q3_KLi1EXadL_ZL17vec_dot_q3_K_q8_1PKvPK10block_q8_1RKiEEEvS2_S2_PT_PS6_iiii
	.p2align	8
	.type	_ZL9moe_vec_qIfLi256ELi16E10block_q3_KLi1EXadL_ZL17vec_dot_q3_K_q8_1PKvPK10block_q8_1RKiEEEvS2_S2_PT_PS6_iiii,@function
_ZL9moe_vec_qIfLi256ELi16E10block_q3_KLi1EXadL_ZL17vec_dot_q3_K_q8_1PKvPK10block_q8_1RKiEEEvS2_S2_PT_PS6_iiii: ; @_ZL9moe_vec_qIfLi256ELi16E10block_q3_KLi1EXadL_ZL17vec_dot_q3_K_q8_1PKvPK10block_q8_1RKiEEEvS2_S2_PT_PS6_iiii
; %bb.0:
	s_clause 0x1
	s_load_b32 s2, s[0:1], 0x3c
	s_load_b128 s[4:7], s[0:1], 0x20
	v_bfe_u32 v3, v0, 10, 10
	s_waitcnt lgkmcnt(0)
	s_lshr_b32 s2, s2, 16
	s_delay_alu instid0(VALU_DEP_1) | instid1(SALU_CYCLE_1)
	v_mad_u64_u32 v[1:2], null, s14, s2, v[3:4]
	s_mov_b32 s2, exec_lo
	s_delay_alu instid0(VALU_DEP_1)
	v_cmpx_gt_u32_e64 s6, v1
	s_cbranch_execz .LBB243_7
; %bb.1:
	v_cvt_f32_u32_e32 v2, s4
	s_load_b64 s[10:11], s[0:1], 0x10
	v_dual_mov_b32 v3, 0 :: v_dual_and_b32 v0, 0x3ff, v0
	s_ashr_i32 s2, s5, 31
	s_delay_alu instid0(VALU_DEP_2) | instskip(SKIP_1) | instid1(VALU_DEP_1)
	v_rcp_iflag_f32_e32 v2, v2
	s_lshr_b32 s2, s2, 24
	v_lshrrev_b32_e32 v8, 4, v0
	s_add_i32 s2, s5, s2
	s_mov_b32 s8, s15
	s_ashr_i32 s12, s2, 8
	s_mov_b32 s5, exec_lo
	s_waitcnt_depctr 0xfff
	v_mul_f32_e32 v2, 0x4f7ffffe, v2
	s_delay_alu instid0(VALU_DEP_1) | instskip(NEXT) | instid1(VALU_DEP_1)
	v_cvt_u32_f32_e32 v2, v2
	v_readfirstlane_b32 s13, v2
	v_cmpx_gt_u32_e64 s12, v8
	s_cbranch_execz .LBB243_5
; %bb.2:
	v_and_b32_e32 v3, 15, v0
	s_load_b64 s[14:15], s[0:1], 0x18
	s_sub_i32 s16, 0, s4
	s_mov_b32 s9, 0
	s_mul_i32 s16, s16, s13
	v_add_nc_u32_e32 v2, -8, v3
	v_cmp_gt_u32_e32 vcc_lo, 8, v3
	v_lshlrev_b32_e32 v11, 2, v3
	s_mul_hi_u32 s19, s13, s16
	s_lshl_b64 s[16:17], s[8:9], 2
	s_add_i32 s13, s13, s19
	v_cndmask_b32_e32 v2, v2, v3, vcc_lo
	s_load_b128 s[0:3], s[0:1], 0x0
	s_mul_hi_u32 s13, s8, s13
	s_mul_i32 s18, s12, s6
	v_mul_lo_u32 v9, v1, s12
	v_sub_nc_u32_e32 v4, v3, v2
	v_cmp_lt_u32_e32 vcc_lo, 3, v2
	v_lshlrev_b32_e32 v35, 3, v8
	s_waitcnt lgkmcnt(0)
	s_add_u32 s14, s14, s16
	v_add_co_ci_u32_e32 v6, vcc_lo, 0, v4, vcc_lo
	v_cmp_lt_u32_e32 vcc_lo, 7, v3
	v_mov_b32_e32 v3, 0
	s_addc_u32 s15, s15, s17
	s_delay_alu instid0(VALU_DEP_3)
	v_bfe_i32 v4, v6, 0, 8
	v_add_nc_u16 v7, v6, 2
	v_cndmask_b32_e64 v5, 0, 1, vcc_lo
	v_add_nc_u16 v26, v6, 4
	s_load_b32 s14, s[14:15], 0x0
	v_lshrrev_b16 v4, 7, v4
	v_bfe_i32 v13, v7, 0, 8
	s_mul_i32 s16, s13, s4
	v_bfe_i32 v18, v26, 0, 8
	s_sub_i32 s16, s8, s16
	v_and_b32_e32 v4, 0xff, v4
	s_add_i32 s17, s13, 1
	s_sub_i32 s19, s16, s4
	v_lshrrev_b16 v18, 7, v18
	s_cmp_ge_u32 s16, s4
	v_lshrrev_b16 v10, 5, v4
	v_lshrrev_b16 v4, 6, v4
	s_cselect_b32 s13, s17, s13
	v_and_b32_e32 v21, 0xff, v18
	s_cselect_b32 s16, s19, s16
	v_add_nc_u16 v12, v6, v10
	v_lshlrev_b32_e32 v10, 2, v5
	v_lshrrev_b16 v5, 7, v13
	v_lshrrev_b16 v22, 5, v21
	;; [unrolled: 1-line block ×3, first 2 shown]
	v_bfe_i32 v14, v12, 0, 8
	s_add_i32 s17, s13, 1
	v_and_b32_e32 v15, 0xff, v5
	v_add_nc_u16 v22, v26, v22
	s_cmp_ge_u32 s16, s4
	v_lshrrev_b16 v13, 3, v14
	v_add_nc_u16 v14, v6, v4
	v_and_b32_e32 v4, 0xf8, v12
	v_lshrrev_b16 v17, 5, v15
	v_bfe_i32 v25, v22, 0, 8
	v_and_b32_e32 v12, 0xff, v13
	v_bfe_i32 v13, v14, 0, 8
	v_sub_nc_u16 v16, v6, v4
	v_lshlrev_b64 v[4:5], 2, v[2:3]
	v_and_b32_e32 v14, 0xfc, v14
	v_lshlrev_b32_e32 v2, 2, v12
	v_ashrrev_i16 v13, 2, v13
	v_bfe_i32 v12, v16, 0, 8
	v_add_nc_u16 v16, v7, v17
	v_sub_nc_u16 v20, v6, v14
	v_add_nc_u16 v6, v6, 6
	v_bfe_i32 v17, v13, 0, 16
	v_and_b32_e32 v22, 0xf8, v22
	v_bfe_i32 v19, v16, 0, 8
	v_and_b32_e32 v16, 0xf8, v16
	v_bfe_i32 v24, v6, 0, 8
	v_lshlrev_b32_e32 v14, 1, v17
	v_lshrrev_b16 v17, 6, v15
	v_lshrrev_b16 v19, 3, v19
	v_bfe_i32 v15, v20, 0, 8
	v_lshrrev_b16 v24, 7, v24
	v_sub_nc_u16 v18, v7, v16
	v_add_nc_u16 v20, v7, v17
	v_and_b32_e32 v17, 0xff, v19
	s_cselect_b32 s4, s17, s13
	v_and_b32_e32 v27, 0xff, v24
	v_sub_nc_u16 v24, v26, v22
	v_bfe_i32 v19, v20, 0, 8
	v_and_b32_e32 v20, 0xfc, v20
	s_waitcnt lgkmcnt(0)
	s_mul_i32 s13, s18, s14
	v_lshrrev_b16 v29, 5, v27
	v_lshrrev_b16 v27, 6, v27
	v_ashrrev_i16 v23, 2, v19
	v_sub_nc_u16 v7, v7, v20
	s_mul_i32 s14, s4, s7
	s_mul_hi_i32 s4, s13, 0x6e
	v_add_nc_u16 v27, v6, v27
	v_bfe_i32 v23, v23, 0, 16
	s_mulk_i32 s13, 0x6e
	s_mov_b32 s15, s9
	s_add_u32 s0, s0, s13
	v_and_b32_e32 v31, 0xfc, v27
	v_lshlrev_b32_e32 v20, 1, v23
	v_lshrrev_b16 v23, 3, v25
	v_add_nc_u16 v25, v26, v21
	v_bfe_i32 v21, v7, 0, 8
	s_addc_u32 s1, s1, s4
	s_lshl_b64 s[14:15], s[14:15], 2
	v_and_b32_e32 v7, 0xff, v23
	v_bfe_i32 v28, v25, 0, 8
	s_add_u32 s2, s2, s14
	s_addc_u32 s3, s3, s15
	v_bfe_i32 v18, v18, 0, 8
	v_lshlrev_b32_e32 v23, 2, v7
	v_lshrrev_b16 v7, 2, v28
	v_add_nc_u16 v28, v6, v29
	v_and_b32_e32 v29, 0xfc, v25
	v_bfe_i32 v24, v24, 0, 8
	v_ashrrev_i32_e32 v13, 31, v12
	v_and_b32_e32 v7, 0xff, v7
	v_bfe_i32 v30, v28, 0, 8
	v_sub_nc_u16 v29, v26, v29
	v_and_b32_e32 v28, 0xf8, v28
	v_ashrrev_i32_e32 v16, 31, v15
	v_lshlrev_b32_e32 v26, 1, v7
	v_lshrrev_b16 v7, 3, v30
	v_bfe_i32 v30, v27, 0, 8
	v_sub_nc_u16 v28, v6, v28
	v_sub_nc_u16 v6, v6, v31
	v_bfe_i32 v27, v29, 0, 8
	v_and_b32_e32 v7, 0xff, v7
	v_lshrrev_b16 v32, 2, v30
	v_bfe_i32 v28, v28, 0, 8
	v_bfe_i32 v31, v6, 0, 8
	v_lshlrev_b32_e32 v17, 2, v17
	v_lshlrev_b32_e32 v30, 2, v7
	v_and_b32_e32 v33, 0xff, v32
	v_mad_u64_u32 v[6:7], null, v10, 36, s[2:3]
	v_ashrrev_i32_e32 v19, 31, v18
	v_ashrrev_i32_e32 v22, 31, v21
	;; [unrolled: 1-line block ×5, first 2 shown]
	v_lshlrev_b32_e32 v33, 1, v33
	v_ashrrev_i32_e32 v34, 31, v31
.LBB243_3:                              ; =>This Inner Loop Header: Depth=1
	v_mad_i64_i32 v[36:37], null, v35, 36, v[6:7]
	v_add_nc_u32_e32 v40, v9, v8
	v_add_nc_u32_e32 v8, 2, v8
	;; [unrolled: 1-line block ×3, first 2 shown]
	s_delay_alu instid0(VALU_DEP_3)
	v_mad_i64_i32 v[38:39], null, 0x6e, v40, s[0:1]
	v_add_co_u32 v40, vcc_lo, v36, v4
	v_add_co_ci_u32_e32 v41, vcc_lo, v37, v5, vcc_lo
	v_add_co_u32 v46, vcc_lo, v36, 36
	v_add_co_ci_u32_e32 v47, vcc_lo, 0, v37, vcc_lo
	;; [unrolled: 2-line block ×6, first 2 shown]
	global_load_b32 v65, v[40:41], off offset:4
	v_add_co_u32 v40, vcc_lo, v46, v4
	v_add_co_ci_u32_e32 v41, vcc_lo, v47, v5, vcc_lo
	v_add_co_u32 v46, vcc_lo, v48, v4
	v_add_co_ci_u32_e32 v47, vcc_lo, v49, v5, vcc_lo
	;; [unrolled: 2-line block ×9, first 2 shown]
	global_load_u16 v64, v[38:39], off offset:108
	v_add_co_u32 v38, vcc_lo, v38, v31
	v_add_co_ci_u32_e32 v39, vcc_lo, v39, v34, vcc_lo
	s_clause 0x5
	global_load_b32 v44, v[44:45], off
	global_load_u8 v45, v[48:49], off offset:96
	global_load_u8 v48, v[50:51], off offset:104
	global_load_b32 v42, v[42:43], off offset:32
	global_load_u8 v43, v[52:53], off offset:96
	global_load_u8 v49, v[54:55], off offset:104
	global_load_b32 v40, v[40:41], off offset:4
	s_clause 0x3
	global_load_u8 v41, v[56:57], off offset:96
	global_load_u8 v50, v[58:59], off offset:104
	;; [unrolled: 1-line block ×4, first 2 shown]
	global_load_b32 v46, v[46:47], off offset:4
	v_add_co_u32 v38, vcc_lo, v62, v4
	v_add_co_ci_u32_e32 v39, vcc_lo, v63, v5, vcc_lo
	s_clause 0x4
	global_load_b32 v38, v[38:39], off offset:4
	global_load_b32 v39, v[36:37], off
	global_load_b32 v47, v[36:37], off offset:36
	global_load_b32 v53, v[36:37], off offset:72
	;; [unrolled: 1-line block ×3, first 2 shown]
	v_cmp_le_u32_e32 vcc_lo, s12, v8
	s_or_b32 s9, vcc_lo, s9
	s_waitcnt vmcnt(18)
	v_perm_b32 v37, v65, v65, 0x30201
	s_waitcnt vmcnt(16)
	v_ashrrev_i32_e32 v44, v10, v44
	s_waitcnt vmcnt(15)
	v_bfe_u32 v45, v45, v2, 4
	s_waitcnt vmcnt(14)
	v_lshrrev_b32_e32 v48, v14, v48
	s_waitcnt vmcnt(13)
	v_lshrrev_b32_e32 v57, 4, v42
	v_and_b32_e32 v54, 0x3030303, v42
	v_not_b32_e32 v44, v44
	s_waitcnt vmcnt(11)
	v_lshrrev_b32_e32 v49, v20, v49
	v_lshlrev_b32_e32 v48, 4, v48
	s_waitcnt vmcnt(8)
	v_lshrrev_b32_e32 v50, v26, v50
	v_lshrrev_b32_e32 v56, 2, v42
	v_bfe_u32 v41, v41, v23, 4
	s_waitcnt vmcnt(6)
	v_lshrrev_b32_e32 v52, v33, v52
	v_and_or_b32 v45, v48, 48, v45
	v_lshlrev_b32_e32 v48, 2, v44
	v_lshrrev_b32_e32 v58, 6, v42
	v_lshlrev_b32_e32 v50, 4, v50
	v_and_b32_e32 v62, 0x3030303, v57
	v_lshlrev_b32_e32 v65, 1, v44
	v_and_b32_e32 v67, 0x4040404, v44
	v_lshrrev_b32_e32 v44, 1, v44
	v_and_b32_e32 v48, 0x4040404, v48
	v_bfe_u32 v55, v42, 24, 2
	v_bfe_u32 v43, v43, v17, 4
	;; [unrolled: 1-line block ×3, first 2 shown]
	v_lshrrev_b16 v59, 8, v54
	v_lshrrev_b32_e32 v60, 16, v54
	v_lshlrev_b32_e32 v49, 4, v49
	v_and_b32_e32 v61, 0x3030303, v56
	v_bfe_u32 v57, v57, 24, 2
	v_lshlrev_b32_e32 v52, 4, v52
	v_and_b32_e32 v58, 0x3030303, v58
	v_and_or_b32 v41, v50, 48, v41
	v_lshrrev_b16 v50, 8, v62
	v_lshrrev_b32_e32 v66, 16, v62
	v_and_b32_e32 v65, 0x4040404, v65
	v_lshrrev_b16 v69, 8, v67
	v_lshrrev_b32_e32 v70, 16, v67
	v_lshrrev_b32_e32 v71, 24, v67
	v_sub_nc_u16 v62, v62, v67
	v_and_b32_e32 v44, 0x4040404, v44
	v_lshrrev_b16 v67, 8, v48
	v_lshrrev_b32_e32 v72, 16, v48
	v_lshrrev_b32_e32 v73, 24, v48
	v_bfe_u32 v56, v56, 24, 2
	v_and_or_b32 v43, v49, 48, v43
	v_lshrrev_b16 v49, 8, v61
	v_lshrrev_b32_e32 v63, 16, v61
	v_and_or_b32 v51, v52, 48, v51
	v_lshrrev_b16 v52, 8, v58
	v_lshrrev_b32_e32 v68, 16, v58
	v_sub_nc_u16 v48, v54, v48
	v_lshrrev_b16 v54, 8, v65
	v_lshrrev_b32_e32 v74, 16, v65
	v_lshrrev_b32_e32 v75, 24, v65
	v_sub_nc_u16 v61, v61, v65
	v_sub_nc_u16 v57, v57, v71
	;; [unrolled: 1-line block ×4, first 2 shown]
	v_lshrrev_b16 v69, 8, v44
	v_lshrrev_b32_e32 v70, 16, v44
	v_lshrrev_b32_e32 v71, 24, v44
	v_sub_nc_u16 v44, v58, v44
	v_sub_nc_u16 v55, v55, v73
	;; [unrolled: 1-line block ×4, first 2 shown]
	v_lshrrev_b32_e32 v42, 30, v42
	v_and_b32_e32 v60, 0xff, v48
	v_sub_nc_u16 v56, v56, v75
	v_sub_nc_u16 v63, v63, v74
	;; [unrolled: 1-line block ×3, first 2 shown]
	v_lshlrev_b16 v54, 8, v57
	v_and_b32_e32 v57, 0xff, v65
	v_sub_nc_u16 v52, v52, v69
	v_lshlrev_b16 v55, 8, v55
	v_and_b32_e32 v69, 0xff, v58
	v_lshlrev_b16 v59, 8, v59
	v_and_b32_e32 v67, 0xff, v61
	v_sub_nc_u16 v42, v42, v71
	v_lshlrev_b16 v56, 8, v56
	v_and_b32_e32 v71, 0xff, v63
	v_lshlrev_b16 v49, 8, v49
	v_or_b32_e32 v54, v57, v54
	v_or_b32_e32 v57, v60, v59
	;; [unrolled: 1-line block ×3, first 2 shown]
	v_and_b32_e32 v66, 0xff, v62
	v_lshlrev_b16 v50, 8, v50
	v_sub_nc_u16 v68, v68, v70
	v_or_b32_e32 v56, v71, v56
	v_or_b32_e32 v49, v67, v49
	v_perm_b32 v57, v58, v57, 0xc0c0401
	v_perm_b32 v48, v48, v55, 0x4010c0c
	v_and_b32_e32 v70, 0xff, v44
	v_or_b32_e32 v50, v66, v50
	v_lshlrev_b16 v42, 8, v42
	v_and_b32_e32 v59, 0xff, v68
	v_lshlrev_b16 v52, 8, v52
	v_perm_b32 v49, v63, v49, 0xc0c0401
	v_perm_b32 v55, v61, v56, 0x4010c0c
	v_or_b32_e32 v48, v48, v57
	v_perm_b32 v40, v40, v40, 0x30201
	v_subrev_nc_u32_e32 v45, 32, v45
	v_perm_b32 v50, v65, v50, 0xc0c0401
	v_perm_b32 v54, v62, v54, 0x4010c0c
	v_or_b32_e32 v52, v70, v52
	v_or_b32_e32 v42, v59, v42
	;; [unrolled: 1-line block ×3, first 2 shown]
	v_dot4_i32_iu8 v37, v48, v37, 0 neg_lo:[1,1,0]
	s_waitcnt vmcnt(5)
	v_perm_b32 v46, v46, v46, 0x30201
	v_subrev_nc_u32_e32 v43, 32, v43
	v_or_b32_e32 v48, v54, v50
	v_perm_b32 v44, v52, v44, 0xc0c0500
	v_perm_b32 v42, v42, v68, 0x5000c0c
	v_dot4_i32_iu8 v40, v49, v40, 0 neg_lo:[1,1,0]
	v_mul_lo_u32 v37, v45, v37
	v_subrev_nc_u32_e32 v41, 32, v41
	v_dot4_i32_iu8 v45, v48, v46, 0 neg_lo:[1,1,0]
	v_or_b32_e32 v42, v42, v44
	v_mul_lo_u32 v40, v43, v40
	v_subrev_nc_u32_e32 v43, 32, v51
	s_delay_alu instid0(VALU_DEP_4)
	v_mul_lo_u32 v41, v41, v45
	v_cvt_f32_i32_e32 v37, v37
	s_waitcnt vmcnt(4)
	v_dot4_i32_iu8 v38, v38, v42, 0 neg_lo:[1,1,0]
	v_cvt_f32_i32_e32 v40, v40
	s_waitcnt vmcnt(3)
	v_fma_mix_f32 v37, v39, v37, 0 op_sel_hi:[1,0,0]
	s_delay_alu instid0(VALU_DEP_3) | instskip(SKIP_2) | instid1(VALU_DEP_3)
	v_mul_lo_u32 v38, v43, v38
	v_cvt_f32_i32_e32 v39, v41
	s_waitcnt vmcnt(2)
	v_fma_mix_f32 v37, v47, v40, v37 op_sel_hi:[1,0,0]
	s_delay_alu instid0(VALU_DEP_3) | instskip(SKIP_1) | instid1(VALU_DEP_2)
	v_cvt_f32_i32_e32 v38, v38
	s_waitcnt vmcnt(1)
	v_fma_mix_f32 v37, v53, v39, v37 op_sel_hi:[1,0,0]
	s_waitcnt vmcnt(0)
	s_delay_alu instid0(VALU_DEP_1) | instskip(NEXT) | instid1(VALU_DEP_1)
	v_fma_mix_f32 v36, v36, v38, v37 op_sel_hi:[1,0,0]
	v_fma_mix_f32 v3, v36, v64, v3 op_sel_hi:[0,1,0]
	s_and_not1_b32 exec_lo, exec_lo, s9
	s_cbranch_execnz .LBB243_3
; %bb.4:
	s_or_b32 exec_lo, exec_lo, s9
.LBB243_5:
	s_delay_alu instid0(SALU_CYCLE_1) | instskip(SKIP_1) | instid1(VALU_DEP_1)
	s_or_b32 exec_lo, exec_lo, s5
	v_mbcnt_lo_u32_b32 v2, -1, 0
	v_xor_b32_e32 v4, 16, v2
	v_xor_b32_e32 v5, 8, v2
	s_delay_alu instid0(VALU_DEP_2) | instskip(SKIP_1) | instid1(VALU_DEP_3)
	v_cmp_gt_i32_e32 vcc_lo, 32, v4
	v_cndmask_b32_e32 v4, v2, v4, vcc_lo
	v_cmp_gt_i32_e32 vcc_lo, 32, v5
	v_cndmask_b32_e32 v5, v2, v5, vcc_lo
	s_delay_alu instid0(VALU_DEP_1) | instskip(NEXT) | instid1(VALU_DEP_4)
	v_lshlrev_b32_e32 v5, 2, v5
	v_lshlrev_b32_e32 v4, 2, v4
	ds_bpermute_b32 v4, v4, v3
	s_waitcnt lgkmcnt(0)
	v_add_f32_e32 v3, v3, v4
	ds_bpermute_b32 v4, v5, v3
	v_xor_b32_e32 v5, 4, v2
	s_delay_alu instid0(VALU_DEP_1) | instskip(SKIP_1) | instid1(VALU_DEP_1)
	v_cmp_gt_i32_e32 vcc_lo, 32, v5
	v_cndmask_b32_e32 v5, v2, v5, vcc_lo
	v_lshlrev_b32_e32 v5, 2, v5
	s_waitcnt lgkmcnt(0)
	v_add_f32_e32 v3, v3, v4
	ds_bpermute_b32 v4, v5, v3
	v_xor_b32_e32 v5, 2, v2
	s_delay_alu instid0(VALU_DEP_1) | instskip(SKIP_1) | instid1(VALU_DEP_1)
	v_cmp_gt_i32_e32 vcc_lo, 32, v5
	v_cndmask_b32_e32 v5, v2, v5, vcc_lo
	v_lshlrev_b32_e32 v5, 2, v5
	s_waitcnt lgkmcnt(0)
	v_add_f32_e32 v3, v3, v4
	ds_bpermute_b32 v4, v5, v3
	v_xor_b32_e32 v5, 1, v2
	s_delay_alu instid0(VALU_DEP_1) | instskip(SKIP_3) | instid1(VALU_DEP_2)
	v_cmp_gt_i32_e32 vcc_lo, 32, v5
	v_cndmask_b32_e32 v5, v2, v5, vcc_lo
	v_cmp_eq_u32_e32 vcc_lo, 0, v0
	s_waitcnt lgkmcnt(0)
	v_dual_add_f32 v2, v3, v4 :: v_dual_lshlrev_b32 v3, 2, v5
	ds_bpermute_b32 v3, v3, v2
	s_and_b32 exec_lo, exec_lo, vcc_lo
	s_cbranch_execz .LBB243_7
; %bb.6:
	v_mad_u64_u32 v[4:5], null, s8, s6, v[1:2]
	s_waitcnt lgkmcnt(0)
	v_dual_mov_b32 v5, 0 :: v_dual_add_f32 v2, v2, v3
	s_delay_alu instid0(VALU_DEP_1) | instskip(NEXT) | instid1(VALU_DEP_1)
	v_lshlrev_b64 v[0:1], 2, v[4:5]
	v_add_co_u32 v0, vcc_lo, s10, v0
	s_delay_alu instid0(VALU_DEP_2)
	v_add_co_ci_u32_e32 v1, vcc_lo, s11, v1, vcc_lo
	global_store_b32 v[0:1], v2, off
.LBB243_7:
	s_nop 0
	s_sendmsg sendmsg(MSG_DEALLOC_VGPRS)
	s_endpgm
	.section	.rodata,"a",@progbits
	.p2align	6, 0x0
	.amdhsa_kernel _ZL9moe_vec_qIfLi256ELi16E10block_q3_KLi1EXadL_ZL17vec_dot_q3_K_q8_1PKvPK10block_q8_1RKiEEEvS2_S2_PT_PS6_iiii
		.amdhsa_group_segment_fixed_size 0
		.amdhsa_private_segment_fixed_size 0
		.amdhsa_kernarg_size 304
		.amdhsa_user_sgpr_count 14
		.amdhsa_user_sgpr_dispatch_ptr 0
		.amdhsa_user_sgpr_queue_ptr 0
		.amdhsa_user_sgpr_kernarg_segment_ptr 1
		.amdhsa_user_sgpr_dispatch_id 0
		.amdhsa_user_sgpr_private_segment_size 0
		.amdhsa_wavefront_size32 1
		.amdhsa_uses_dynamic_stack 0
		.amdhsa_enable_private_segment 0
		.amdhsa_system_sgpr_workgroup_id_x 1
		.amdhsa_system_sgpr_workgroup_id_y 0
		.amdhsa_system_sgpr_workgroup_id_z 1
		.amdhsa_system_sgpr_workgroup_info 0
		.amdhsa_system_vgpr_workitem_id 1
		.amdhsa_next_free_vgpr 76
		.amdhsa_next_free_sgpr 20
		.amdhsa_reserve_vcc 1
		.amdhsa_float_round_mode_32 0
		.amdhsa_float_round_mode_16_64 0
		.amdhsa_float_denorm_mode_32 3
		.amdhsa_float_denorm_mode_16_64 3
		.amdhsa_dx10_clamp 1
		.amdhsa_ieee_mode 1
		.amdhsa_fp16_overflow 0
		.amdhsa_workgroup_processor_mode 1
		.amdhsa_memory_ordered 1
		.amdhsa_forward_progress 0
		.amdhsa_shared_vgpr_count 0
		.amdhsa_exception_fp_ieee_invalid_op 0
		.amdhsa_exception_fp_denorm_src 0
		.amdhsa_exception_fp_ieee_div_zero 0
		.amdhsa_exception_fp_ieee_overflow 0
		.amdhsa_exception_fp_ieee_underflow 0
		.amdhsa_exception_fp_ieee_inexact 0
		.amdhsa_exception_int_div_zero 0
	.end_amdhsa_kernel
	.section	.text._ZL9moe_vec_qIfLi256ELi16E10block_q3_KLi1EXadL_ZL17vec_dot_q3_K_q8_1PKvPK10block_q8_1RKiEEEvS2_S2_PT_PS6_iiii,"axG",@progbits,_ZL9moe_vec_qIfLi256ELi16E10block_q3_KLi1EXadL_ZL17vec_dot_q3_K_q8_1PKvPK10block_q8_1RKiEEEvS2_S2_PT_PS6_iiii,comdat
.Lfunc_end243:
	.size	_ZL9moe_vec_qIfLi256ELi16E10block_q3_KLi1EXadL_ZL17vec_dot_q3_K_q8_1PKvPK10block_q8_1RKiEEEvS2_S2_PT_PS6_iiii, .Lfunc_end243-_ZL9moe_vec_qIfLi256ELi16E10block_q3_KLi1EXadL_ZL17vec_dot_q3_K_q8_1PKvPK10block_q8_1RKiEEEvS2_S2_PT_PS6_iiii
                                        ; -- End function
	.section	.AMDGPU.csdata,"",@progbits
; Kernel info:
; codeLenInByte = 2776
; NumSgprs: 22
; NumVgprs: 76
; ScratchSize: 0
; MemoryBound: 0
; FloatMode: 240
; IeeeMode: 1
; LDSByteSize: 0 bytes/workgroup (compile time only)
; SGPRBlocks: 2
; VGPRBlocks: 9
; NumSGPRsForWavesPerEU: 22
; NumVGPRsForWavesPerEU: 76
; Occupancy: 16
; WaveLimiterHint : 1
; COMPUTE_PGM_RSRC2:SCRATCH_EN: 0
; COMPUTE_PGM_RSRC2:USER_SGPR: 14
; COMPUTE_PGM_RSRC2:TRAP_HANDLER: 0
; COMPUTE_PGM_RSRC2:TGID_X_EN: 1
; COMPUTE_PGM_RSRC2:TGID_Y_EN: 0
; COMPUTE_PGM_RSRC2:TGID_Z_EN: 1
; COMPUTE_PGM_RSRC2:TIDIG_COMP_CNT: 1
	.section	.text._ZL9moe_vec_qIfLi256ELi32E10block_q4_KLi2EXadL_ZL17vec_dot_q4_K_q8_1PKvPK10block_q8_1RKiEEEvS2_S2_PT_PS6_iiii,"axG",@progbits,_ZL9moe_vec_qIfLi256ELi32E10block_q4_KLi2EXadL_ZL17vec_dot_q4_K_q8_1PKvPK10block_q8_1RKiEEEvS2_S2_PT_PS6_iiii,comdat
	.globl	_ZL9moe_vec_qIfLi256ELi32E10block_q4_KLi2EXadL_ZL17vec_dot_q4_K_q8_1PKvPK10block_q8_1RKiEEEvS2_S2_PT_PS6_iiii ; -- Begin function _ZL9moe_vec_qIfLi256ELi32E10block_q4_KLi2EXadL_ZL17vec_dot_q4_K_q8_1PKvPK10block_q8_1RKiEEEvS2_S2_PT_PS6_iiii
	.p2align	8
	.type	_ZL9moe_vec_qIfLi256ELi32E10block_q4_KLi2EXadL_ZL17vec_dot_q4_K_q8_1PKvPK10block_q8_1RKiEEEvS2_S2_PT_PS6_iiii,@function
_ZL9moe_vec_qIfLi256ELi32E10block_q4_KLi2EXadL_ZL17vec_dot_q4_K_q8_1PKvPK10block_q8_1RKiEEEvS2_S2_PT_PS6_iiii: ; @_ZL9moe_vec_qIfLi256ELi32E10block_q4_KLi2EXadL_ZL17vec_dot_q4_K_q8_1PKvPK10block_q8_1RKiEEEvS2_S2_PT_PS6_iiii
; %bb.0:
	s_clause 0x1
	s_load_b32 s2, s[0:1], 0x3c
	s_load_b128 s[4:7], s[0:1], 0x20
	v_bfe_u32 v3, v0, 10, 10
	s_waitcnt lgkmcnt(0)
	s_lshr_b32 s2, s2, 16
	s_delay_alu instid0(VALU_DEP_1) | instid1(SALU_CYCLE_1)
	v_mad_u64_u32 v[1:2], null, s14, s2, v[3:4]
	s_mov_b32 s2, exec_lo
	s_delay_alu instid0(VALU_DEP_1)
	v_cmpx_gt_u32_e64 s6, v1
	s_cbranch_execz .LBB244_11
; %bb.1:
	s_load_b64 s[10:11], s[0:1], 0x10
	v_dual_mov_b32 v9, 0 :: v_dual_and_b32 v0, 0x3ff, v0
	s_ashr_i32 s2, s5, 31
	s_mov_b32 s8, s15
	s_lshr_b32 s2, s2, 24
	s_delay_alu instid0(VALU_DEP_1)
	v_lshrrev_b32_e32 v8, 4, v0
	s_add_i32 s2, s5, s2
	s_mov_b32 s5, exec_lo
	s_ashr_i32 s14, s2, 8
	s_delay_alu instid0(VALU_DEP_1) | instid1(SALU_CYCLE_1)
	v_cmpx_gt_u32_e64 s14, v8
	s_cbranch_execz .LBB244_9
; %bb.2:
	s_load_b64 s[2:3], s[0:1], 0x18
	s_mov_b32 s9, 0
	v_cvt_f32_u32_e32 v2, s4
	s_lshl_b64 s[12:13], s[8:9], 2
	v_and_b32_e32 v4, 3, v0
	v_mul_lo_u32 v10, v1, s14
	v_lshlrev_b32_e32 v13, 3, v8
	v_rcp_iflag_f32_e32 v2, v2
	v_mov_b32_e32 v9, 0
	v_lshlrev_b32_e32 v11, 2, v4
	s_waitcnt_depctr 0xfff
	v_dual_mul_f32 v2, 0x4f7ffffe, v2 :: v_dual_lshlrev_b32 v15, 2, v4
	s_waitcnt lgkmcnt(0)
	s_add_u32 s2, s2, s12
	s_addc_u32 s3, s3, s13
	s_delay_alu instid0(VALU_DEP_1) | instskip(SKIP_3) | instid1(VALU_DEP_1)
	v_cvt_u32_f32_e32 v2, v2
	s_load_b32 s12, s[2:3], 0x0
	s_load_b128 s[0:3], s[0:1], 0x0
	s_mul_i32 s13, s14, s6
	v_readfirstlane_b32 s15, v2
	v_lshlrev_b32_e32 v2, 1, v0
	s_delay_alu instid0(VALU_DEP_1) | instskip(SKIP_1) | instid1(VALU_DEP_2)
	v_bfe_u32 v5, v2, 3, 2
	v_and_b32_e32 v2, 30, v2
	v_lshlrev_b32_e32 v6, 1, v5
	s_delay_alu instid0(VALU_DEP_2) | instskip(SKIP_4) | instid1(SALU_CYCLE_1)
	v_cmp_lt_u32_e32 vcc_lo, 15, v2
	v_lshlrev_b32_e32 v12, 5, v5
	v_lshlrev_b32_e32 v14, 1, v5
	s_waitcnt lgkmcnt(0)
	s_mul_i32 s12, s13, s12
	s_mul_i32 s13, s12, 0x90
	s_mul_hi_i32 s16, s12, 0x90
	s_add_u32 s12, s0, s13
	s_addc_u32 s13, s1, s16
	s_sub_i32 s0, 0, s4
	s_mov_b32 s1, s9
	s_mul_i32 s0, s0, s15
	s_delay_alu instid0(SALU_CYCLE_1) | instskip(NEXT) | instid1(SALU_CYCLE_1)
	s_mul_hi_u32 s0, s15, s0
	s_add_i32 s15, s15, s0
	s_delay_alu instid0(SALU_CYCLE_1) | instskip(NEXT) | instid1(SALU_CYCLE_1)
	s_mul_hi_u32 s0, s8, s15
	s_mul_i32 s15, s0, s4
	s_add_i32 s16, s0, 1
	s_sub_i32 s15, s8, s15
	s_delay_alu instid0(SALU_CYCLE_1)
	s_sub_i32 s17, s15, s4
	s_cmp_ge_u32 s15, s4
	s_cselect_b32 s0, s16, s0
	s_cselect_b32 s15, s17, s15
	s_add_i32 s16, s0, 1
	s_cmp_ge_u32 s15, s4
	s_cselect_b32 s0, s16, s0
	s_delay_alu instid0(SALU_CYCLE_1) | instskip(NEXT) | instid1(SALU_CYCLE_1)
	s_mul_i32 s0, s0, s7
	s_lshl_b64 s[0:1], s[0:1], 2
	s_delay_alu instid0(SALU_CYCLE_1) | instskip(SKIP_1) | instid1(SALU_CYCLE_1)
	s_add_u32 s0, s2, s0
	s_addc_u32 s1, s3, s1
	v_mad_u64_u32 v[2:3], null, v6, 36, s[0:1]
	s_branch .LBB244_4
.LBB244_3:                              ;   in Loop: Header=BB244_4 Depth=1
	s_or_b32 exec_lo, exec_lo, s0
	v_mad_i64_i32 v[6:7], null, v13, 36, v[2:3]
	s_waitcnt vmcnt(1)
	v_and_b32_e32 v25, 15, v16
	v_bfe_u32 v26, v16, 8, 4
	v_bfe_u32 v27, v16, 16, 4
	;; [unrolled: 1-line block ×3, first 2 shown]
	v_ashrrev_i32_e32 v16, 4, v16
	s_waitcnt vmcnt(0)
	v_and_b32_e32 v29, 15, v17
	v_add_co_u32 v20, s0, v6, v15
	s_delay_alu instid0(VALU_DEP_1)
	v_add_co_ci_u32_e64 v21, s0, 0, v7, s0
	v_bfe_u32 v30, v17, 8, 4
	v_bfe_u32 v31, v17, 16, 4
	v_bfe_u32 v32, v17, 24, 4
	s_clause 0x3
	global_load_b32 v22, v[20:21], off offset:4
	global_load_b32 v23, v[20:21], off offset:20
	;; [unrolled: 1-line block ×4, first 2 shown]
	global_load_b32 v4, v[4:5], off
	s_clause 0x1
	global_load_b32 v5, v[6:7], off
	global_load_b32 v6, v[6:7], off offset:36
	v_ashrrev_i32_e32 v17, 4, v17
	v_and_b32_e32 v33, 15, v16
	v_bfe_u32 v34, v16, 8, 4
	v_bfe_u32 v35, v16, 16, 4
	v_lshrrev_b16 v7, 8, v18
	v_and_b32_e32 v36, 15, v17
	v_and_b32_e32 v18, 0xff, v18
	v_bfe_u32 v16, v16, 24, 4
	v_bfe_u32 v37, v17, 8, 4
	v_lshrrev_b16 v21, 8, v19
	v_and_b32_e32 v19, 0xff, v19
	v_and_b32_e32 v18, 0xffff, v18
	v_bfe_u32 v38, v17, 16, 4
	v_bfe_u32 v17, v17, 24, 4
	v_and_b32_e32 v7, 0xffff, v7
	v_and_b32_e32 v19, 0xffff, v19
	;; [unrolled: 1-line block ×3, first 2 shown]
	v_add_nc_u32_e32 v8, 2, v8
	v_add_nc_u32_e32 v13, 16, v13
	s_delay_alu instid0(VALU_DEP_2) | instskip(NEXT) | instid1(VALU_DEP_1)
	v_cmp_le_u32_e64 s0, s14, v8
	s_or_b32 s9, s0, s9
	s_waitcnt vmcnt(6)
	v_bfe_i32 v39, v22, 0, 8
	s_waitcnt vmcnt(5)
	v_bfe_i32 v42, v23, 0, 8
	v_bfe_i32 v40, v22, 8, 8
	v_bfe_i32 v41, v22, 16, 8
	s_waitcnt vmcnt(4)
	v_bfe_i32 v45, v24, 0, 8
	s_waitcnt vmcnt(3)
	v_bfe_i32 v48, v20, 0, 8
	v_mul_i32_i24_e32 v25, v39, v25
	v_add_nc_u32_e32 v39, v42, v39
	v_ashrrev_i32_e32 v22, 24, v22
	v_bfe_i32 v43, v23, 8, 8
	v_bfe_i32 v46, v24, 8, 8
	;; [unrolled: 1-line block ×3, first 2 shown]
	v_mul_i32_i24_e32 v26, v40, v26
	v_mul_i32_i24_e32 v27, v41, v27
	;; [unrolled: 1-line block ×3, first 2 shown]
	v_add_nc_u32_e32 v45, v48, v45
	v_mad_i32_i24 v25, v42, v29, v25
	v_add3_u32 v29, v39, v40, v41
	v_bfe_i32 v44, v23, 16, 8
	v_ashrrev_i32_e32 v23, 24, v23
	v_ashrrev_i32_e32 v24, 24, v24
	v_bfe_i32 v49, v20, 8, 8
	v_mul_i32_i24_e32 v28, v22, v28
	v_mul_i32_i24_e32 v30, v43, v30
	;; [unrolled: 1-line block ×4, first 2 shown]
	v_mad_i32_i24 v33, v48, v36, v33
	v_add3_u32 v36, v45, v46, v47
	v_add3_u32 v25, v25, v26, v27
	;; [unrolled: 1-line block ×3, first 2 shown]
	v_bfe_i32 v50, v20, 16, 8
	v_ashrrev_i32_e32 v20, 24, v20
	v_mul_i32_i24_e32 v31, v44, v31
	v_mul_i32_i24_e32 v32, v23, v32
	;; [unrolled: 1-line block ×4, first 2 shown]
	v_add3_u32 v27, v33, v34, v35
	v_add3_u32 v24, v36, v24, v49
	;; [unrolled: 1-line block ×4, first 2 shown]
	v_mul_i32_i24_e32 v26, v50, v38
	v_mul_i32_i24_e32 v17, v20, v17
	v_add3_u32 v16, v27, v16, v37
	v_add3_u32 v20, v24, v50, v20
	;; [unrolled: 1-line block ×3, first 2 shown]
	v_mul_lo_u32 v18, v22, v18
	s_delay_alu instid0(VALU_DEP_4) | instskip(NEXT) | instid1(VALU_DEP_4)
	v_add3_u32 v16, v16, v26, v17
	v_mul_lo_u32 v7, v20, v7
	s_delay_alu instid0(VALU_DEP_4) | instskip(SKIP_4) | instid1(VALU_DEP_3)
	v_mul_lo_u32 v17, v23, v19
	s_waitcnt vmcnt(2)
	v_lshrrev_b32_e32 v19, 16, v4
	v_mul_lo_u32 v16, v16, v21
	v_cvt_f32_i32_e32 v18, v18
	v_cvt_f32_f16_e32 v19, v19
	v_cvt_f32_i32_e32 v7, v7
	v_cvt_f32_i32_e32 v17, v17
	s_waitcnt vmcnt(1)
	v_fma_mix_f32 v18, v5, v18, 0 op_sel_hi:[1,0,0]
	v_cvt_f32_i32_e32 v16, v16
	s_delay_alu instid0(VALU_DEP_3) | instskip(SKIP_1) | instid1(VALU_DEP_3)
	v_fma_mix_f32 v5, v5, v17, 0 op_sel_hi:[1,0,0]
	s_waitcnt vmcnt(0)
	v_fma_mix_f32 v7, v6, v7, v18 op_sel_hi:[1,0,0]
	s_delay_alu instid0(VALU_DEP_2) | instskip(NEXT) | instid1(VALU_DEP_2)
	v_fma_mix_f32 v5, v6, v16, v5 op_sel_hi:[1,0,0]
	v_mul_f32_e32 v6, v7, v19
	s_delay_alu instid0(VALU_DEP_1) | instskip(NEXT) | instid1(VALU_DEP_1)
	v_fma_mix_f32 v4, v5, v4, -v6 op_sel_hi:[0,1,0]
	v_add_f32_e32 v9, v9, v4
	s_and_not1_b32 exec_lo, exec_lo, s9
	s_cbranch_execz .LBB244_8
.LBB244_4:                              ; =>This Inner Loop Header: Depth=1
	v_add_nc_u32_e32 v6, v10, v8
                                        ; implicit-def: $vgpr19
                                        ; implicit-def: $vgpr18
	s_delay_alu instid0(VALU_DEP_1) | instskip(NEXT) | instid1(VALU_DEP_1)
	v_mad_i64_i32 v[4:5], null, 0x90, v6, s[12:13]
	v_add_co_u32 v6, s0, v4, v12
	s_delay_alu instid0(VALU_DEP_1) | instskip(NEXT) | instid1(VALU_DEP_2)
	v_add_co_ci_u32_e64 v7, s0, 0, v5, s0
	v_add_co_u32 v6, s0, v6, v11
	s_delay_alu instid0(VALU_DEP_1) | instskip(SKIP_4) | instid1(VALU_DEP_1)
	v_add_co_ci_u32_e64 v7, s0, 0, v7, s0
	s_clause 0x1
	global_load_b32 v16, v[6:7], off offset:16
	global_load_b32 v17, v[6:7], off offset:32
	v_add_co_u32 v6, s0, v4, v14
	v_add_co_ci_u32_e64 v7, s0, 0, v5, s0
	s_and_saveexec_b32 s0, vcc_lo
	s_delay_alu instid0(SALU_CYCLE_1)
	s_xor_b32 s0, exec_lo, s0
	s_cbranch_execz .LBB244_6
; %bb.5:                                ;   in Loop: Header=BB244_4 Depth=1
	s_clause 0x2
	global_load_u16 v18, v[6:7], off
	global_load_u16 v19, v[6:7], off offset:8
	global_load_u16 v6, v[6:7], off offset:4
	s_waitcnt vmcnt(2)
	v_lshrrev_b16 v7, 2, v18
	s_waitcnt vmcnt(1)
	v_lshrrev_b16 v18, 4, v19
	;; [unrolled: 2-line block ×3, first 2 shown]
	v_and_b32_e32 v19, 0xf0f, v19
	v_and_b32_e32 v7, 0x3030, v7
	v_and_b32_e32 v18, 0xf0f, v18
	s_delay_alu instid0(VALU_DEP_4) | instskip(NEXT) | instid1(VALU_DEP_3)
	v_and_b32_e32 v6, 0x3030, v6
	v_or_b32_e32 v19, v7, v19
	s_delay_alu instid0(VALU_DEP_2)
	v_or_b32_e32 v18, v6, v18
                                        ; implicit-def: $vgpr6_vgpr7
.LBB244_6:                              ;   in Loop: Header=BB244_4 Depth=1
	s_and_not1_saveexec_b32 s0, s0
	s_cbranch_execz .LBB244_3
; %bb.7:                                ;   in Loop: Header=BB244_4 Depth=1
	s_clause 0x1
	global_load_u16 v18, v[6:7], off offset:4
	global_load_u16 v6, v[6:7], off offset:8
	s_waitcnt vmcnt(1)
	v_and_b32_e32 v19, 0x3f3f, v18
	s_waitcnt vmcnt(0)
	v_and_b32_e32 v18, 0x3f3f, v6
	s_branch .LBB244_3
.LBB244_8:
	s_or_b32 exec_lo, exec_lo, s9
.LBB244_9:
	s_delay_alu instid0(SALU_CYCLE_1) | instskip(SKIP_1) | instid1(VALU_DEP_1)
	s_or_b32 exec_lo, exec_lo, s5
	v_mbcnt_lo_u32_b32 v2, -1, 0
	v_xor_b32_e32 v3, 16, v2
	v_xor_b32_e32 v4, 8, v2
	v_xor_b32_e32 v5, 4, v2
	s_delay_alu instid0(VALU_DEP_3) | instskip(SKIP_1) | instid1(VALU_DEP_4)
	v_cmp_gt_i32_e32 vcc_lo, 32, v3
	v_cndmask_b32_e32 v3, v2, v3, vcc_lo
	v_cmp_gt_i32_e32 vcc_lo, 32, v4
	v_cndmask_b32_e32 v4, v2, v4, vcc_lo
	v_cmp_gt_i32_e32 vcc_lo, 32, v5
	s_delay_alu instid0(VALU_DEP_2)
	v_lshlrev_b32_e32 v4, 2, v4
	v_lshlrev_b32_e32 v3, 2, v3
	v_cndmask_b32_e32 v5, v2, v5, vcc_lo
	ds_bpermute_b32 v3, v3, v9
	v_lshlrev_b32_e32 v5, 2, v5
	s_waitcnt lgkmcnt(0)
	v_add_f32_e32 v3, v9, v3
	ds_bpermute_b32 v4, v4, v3
	s_waitcnt lgkmcnt(0)
	v_add_f32_e32 v3, v3, v4
	ds_bpermute_b32 v4, v5, v3
	v_xor_b32_e32 v5, 2, v2
	s_delay_alu instid0(VALU_DEP_1) | instskip(SKIP_1) | instid1(VALU_DEP_1)
	v_cmp_gt_i32_e32 vcc_lo, 32, v5
	v_cndmask_b32_e32 v5, v2, v5, vcc_lo
	v_lshlrev_b32_e32 v5, 2, v5
	s_waitcnt lgkmcnt(0)
	v_add_f32_e32 v3, v3, v4
	ds_bpermute_b32 v4, v5, v3
	v_xor_b32_e32 v5, 1, v2
	s_delay_alu instid0(VALU_DEP_1) | instskip(SKIP_3) | instid1(VALU_DEP_2)
	v_cmp_gt_i32_e32 vcc_lo, 32, v5
	v_cndmask_b32_e32 v5, v2, v5, vcc_lo
	v_cmp_eq_u32_e32 vcc_lo, 0, v0
	s_waitcnt lgkmcnt(0)
	v_dual_add_f32 v2, v3, v4 :: v_dual_lshlrev_b32 v3, 2, v5
	ds_bpermute_b32 v3, v3, v2
	s_and_b32 exec_lo, exec_lo, vcc_lo
	s_cbranch_execz .LBB244_11
; %bb.10:
	v_mad_u64_u32 v[4:5], null, s8, s6, v[1:2]
	s_waitcnt lgkmcnt(0)
	v_dual_mov_b32 v5, 0 :: v_dual_add_f32 v2, v2, v3
	s_delay_alu instid0(VALU_DEP_1) | instskip(NEXT) | instid1(VALU_DEP_1)
	v_lshlrev_b64 v[0:1], 2, v[4:5]
	v_add_co_u32 v0, vcc_lo, s10, v0
	s_delay_alu instid0(VALU_DEP_2)
	v_add_co_ci_u32_e32 v1, vcc_lo, s11, v1, vcc_lo
	global_store_b32 v[0:1], v2, off
.LBB244_11:
	s_nop 0
	s_sendmsg sendmsg(MSG_DEALLOC_VGPRS)
	s_endpgm
	.section	.rodata,"a",@progbits
	.p2align	6, 0x0
	.amdhsa_kernel _ZL9moe_vec_qIfLi256ELi32E10block_q4_KLi2EXadL_ZL17vec_dot_q4_K_q8_1PKvPK10block_q8_1RKiEEEvS2_S2_PT_PS6_iiii
		.amdhsa_group_segment_fixed_size 0
		.amdhsa_private_segment_fixed_size 0
		.amdhsa_kernarg_size 304
		.amdhsa_user_sgpr_count 14
		.amdhsa_user_sgpr_dispatch_ptr 0
		.amdhsa_user_sgpr_queue_ptr 0
		.amdhsa_user_sgpr_kernarg_segment_ptr 1
		.amdhsa_user_sgpr_dispatch_id 0
		.amdhsa_user_sgpr_private_segment_size 0
		.amdhsa_wavefront_size32 1
		.amdhsa_uses_dynamic_stack 0
		.amdhsa_enable_private_segment 0
		.amdhsa_system_sgpr_workgroup_id_x 1
		.amdhsa_system_sgpr_workgroup_id_y 0
		.amdhsa_system_sgpr_workgroup_id_z 1
		.amdhsa_system_sgpr_workgroup_info 0
		.amdhsa_system_vgpr_workitem_id 1
		.amdhsa_next_free_vgpr 51
		.amdhsa_next_free_sgpr 18
		.amdhsa_reserve_vcc 1
		.amdhsa_float_round_mode_32 0
		.amdhsa_float_round_mode_16_64 0
		.amdhsa_float_denorm_mode_32 3
		.amdhsa_float_denorm_mode_16_64 3
		.amdhsa_dx10_clamp 1
		.amdhsa_ieee_mode 1
		.amdhsa_fp16_overflow 0
		.amdhsa_workgroup_processor_mode 1
		.amdhsa_memory_ordered 1
		.amdhsa_forward_progress 0
		.amdhsa_shared_vgpr_count 0
		.amdhsa_exception_fp_ieee_invalid_op 0
		.amdhsa_exception_fp_denorm_src 0
		.amdhsa_exception_fp_ieee_div_zero 0
		.amdhsa_exception_fp_ieee_overflow 0
		.amdhsa_exception_fp_ieee_underflow 0
		.amdhsa_exception_fp_ieee_inexact 0
		.amdhsa_exception_int_div_zero 0
	.end_amdhsa_kernel
	.section	.text._ZL9moe_vec_qIfLi256ELi32E10block_q4_KLi2EXadL_ZL17vec_dot_q4_K_q8_1PKvPK10block_q8_1RKiEEEvS2_S2_PT_PS6_iiii,"axG",@progbits,_ZL9moe_vec_qIfLi256ELi32E10block_q4_KLi2EXadL_ZL17vec_dot_q4_K_q8_1PKvPK10block_q8_1RKiEEEvS2_S2_PT_PS6_iiii,comdat
.Lfunc_end244:
	.size	_ZL9moe_vec_qIfLi256ELi32E10block_q4_KLi2EXadL_ZL17vec_dot_q4_K_q8_1PKvPK10block_q8_1RKiEEEvS2_S2_PT_PS6_iiii, .Lfunc_end244-_ZL9moe_vec_qIfLi256ELi32E10block_q4_KLi2EXadL_ZL17vec_dot_q4_K_q8_1PKvPK10block_q8_1RKiEEEvS2_S2_PT_PS6_iiii
                                        ; -- End function
	.section	.AMDGPU.csdata,"",@progbits
; Kernel info:
; codeLenInByte = 1736
; NumSgprs: 20
; NumVgprs: 51
; ScratchSize: 0
; MemoryBound: 0
; FloatMode: 240
; IeeeMode: 1
; LDSByteSize: 0 bytes/workgroup (compile time only)
; SGPRBlocks: 2
; VGPRBlocks: 6
; NumSGPRsForWavesPerEU: 20
; NumVGPRsForWavesPerEU: 51
; Occupancy: 16
; WaveLimiterHint : 1
; COMPUTE_PGM_RSRC2:SCRATCH_EN: 0
; COMPUTE_PGM_RSRC2:USER_SGPR: 14
; COMPUTE_PGM_RSRC2:TRAP_HANDLER: 0
; COMPUTE_PGM_RSRC2:TGID_X_EN: 1
; COMPUTE_PGM_RSRC2:TGID_Y_EN: 0
; COMPUTE_PGM_RSRC2:TGID_Z_EN: 1
; COMPUTE_PGM_RSRC2:TIDIG_COMP_CNT: 1
	.section	.text._ZL9moe_vec_qIfLi256ELi32E10block_q5_KLi2EXadL_ZL17vec_dot_q5_K_q8_1PKvPK10block_q8_1RKiEEEvS2_S2_PT_PS6_iiii,"axG",@progbits,_ZL9moe_vec_qIfLi256ELi32E10block_q5_KLi2EXadL_ZL17vec_dot_q5_K_q8_1PKvPK10block_q8_1RKiEEEvS2_S2_PT_PS6_iiii,comdat
	.globl	_ZL9moe_vec_qIfLi256ELi32E10block_q5_KLi2EXadL_ZL17vec_dot_q5_K_q8_1PKvPK10block_q8_1RKiEEEvS2_S2_PT_PS6_iiii ; -- Begin function _ZL9moe_vec_qIfLi256ELi32E10block_q5_KLi2EXadL_ZL17vec_dot_q5_K_q8_1PKvPK10block_q8_1RKiEEEvS2_S2_PT_PS6_iiii
	.p2align	8
	.type	_ZL9moe_vec_qIfLi256ELi32E10block_q5_KLi2EXadL_ZL17vec_dot_q5_K_q8_1PKvPK10block_q8_1RKiEEEvS2_S2_PT_PS6_iiii,@function
_ZL9moe_vec_qIfLi256ELi32E10block_q5_KLi2EXadL_ZL17vec_dot_q5_K_q8_1PKvPK10block_q8_1RKiEEEvS2_S2_PT_PS6_iiii: ; @_ZL9moe_vec_qIfLi256ELi32E10block_q5_KLi2EXadL_ZL17vec_dot_q5_K_q8_1PKvPK10block_q8_1RKiEEEvS2_S2_PT_PS6_iiii
; %bb.0:
	s_clause 0x1
	s_load_b32 s2, s[0:1], 0x3c
	s_load_b128 s[4:7], s[0:1], 0x20
	v_bfe_u32 v3, v0, 10, 10
	s_waitcnt lgkmcnt(0)
	s_lshr_b32 s2, s2, 16
	s_delay_alu instid0(VALU_DEP_1) | instid1(SALU_CYCLE_1)
	v_mad_u64_u32 v[1:2], null, s14, s2, v[3:4]
	s_mov_b32 s2, exec_lo
	s_delay_alu instid0(VALU_DEP_1)
	v_cmpx_gt_u32_e64 s6, v1
	s_cbranch_execz .LBB245_11
; %bb.1:
	s_load_b64 s[10:11], s[0:1], 0x10
	v_dual_mov_b32 v9, 0 :: v_dual_and_b32 v0, 0x3ff, v0
	s_ashr_i32 s2, s5, 31
	s_mov_b32 s8, s15
	s_lshr_b32 s2, s2, 24
	s_delay_alu instid0(VALU_DEP_1)
	v_lshrrev_b32_e32 v8, 4, v0
	s_add_i32 s2, s5, s2
	s_mov_b32 s5, exec_lo
	s_ashr_i32 s14, s2, 8
	s_delay_alu instid0(VALU_DEP_1) | instid1(SALU_CYCLE_1)
	v_cmpx_gt_u32_e64 s14, v8
	s_cbranch_execz .LBB245_9
; %bb.2:
	s_load_b64 s[2:3], s[0:1], 0x18
	s_mov_b32 s9, 0
	v_cvt_f32_u32_e32 v2, s4
	s_lshl_b64 s[12:13], s[8:9], 2
	v_and_b32_e32 v4, 3, v0
	v_mul_lo_u32 v10, v1, s14
	v_lshlrev_b32_e32 v14, 3, v8
	v_rcp_iflag_f32_e32 v2, v2
	v_mov_b32_e32 v9, 0
	v_lshlrev_b32_e32 v11, 2, v4
	v_lshlrev_b32_e32 v16, 2, v4
	s_waitcnt_depctr 0xfff
	v_mul_f32_e32 v2, 0x4f7ffffe, v2
	s_waitcnt lgkmcnt(0)
	s_add_u32 s2, s2, s12
	s_addc_u32 s3, s3, s13
	s_delay_alu instid0(VALU_DEP_1) | instskip(SKIP_3) | instid1(VALU_DEP_1)
	v_cvt_u32_f32_e32 v2, v2
	s_load_b32 s12, s[2:3], 0x0
	s_load_b128 s[0:3], s[0:1], 0x0
	s_mul_i32 s13, s14, s6
	v_readfirstlane_b32 s15, v2
	v_lshlrev_b32_e32 v2, 1, v0
	s_delay_alu instid0(VALU_DEP_1) | instskip(SKIP_1) | instid1(VALU_DEP_2)
	v_bfe_u32 v5, v2, 3, 2
	v_and_b32_e32 v2, 30, v2
	v_lshlrev_b32_e32 v13, 1, v5
	s_delay_alu instid0(VALU_DEP_2) | instskip(SKIP_4) | instid1(SALU_CYCLE_1)
	v_cmp_lt_u32_e32 vcc_lo, 15, v2
	v_lshlrev_b32_e32 v12, 5, v5
	v_lshlrev_b32_e32 v15, 1, v5
	s_waitcnt lgkmcnt(0)
	s_mul_i32 s12, s13, s12
	s_mul_i32 s13, s12, 0xb0
	s_mul_hi_i32 s16, s12, 0xb0
	s_add_u32 s12, s0, s13
	s_addc_u32 s13, s1, s16
	s_sub_i32 s0, 0, s4
	s_mov_b32 s1, s9
	s_mul_i32 s0, s0, s15
	s_delay_alu instid0(SALU_CYCLE_1) | instskip(NEXT) | instid1(SALU_CYCLE_1)
	s_mul_hi_u32 s0, s15, s0
	s_add_i32 s15, s15, s0
	s_delay_alu instid0(SALU_CYCLE_1) | instskip(NEXT) | instid1(SALU_CYCLE_1)
	s_mul_hi_u32 s0, s8, s15
	s_mul_i32 s15, s0, s4
	s_add_i32 s16, s0, 1
	s_sub_i32 s15, s8, s15
	s_delay_alu instid0(SALU_CYCLE_1)
	s_sub_i32 s17, s15, s4
	s_cmp_ge_u32 s15, s4
	s_cselect_b32 s0, s16, s0
	s_cselect_b32 s15, s17, s15
	s_add_i32 s16, s0, 1
	s_cmp_ge_u32 s15, s4
	s_cselect_b32 s0, s16, s0
	s_delay_alu instid0(SALU_CYCLE_1) | instskip(NEXT) | instid1(SALU_CYCLE_1)
	s_mul_i32 s0, s0, s7
	s_lshl_b64 s[0:1], s[0:1], 2
	s_delay_alu instid0(SALU_CYCLE_1) | instskip(SKIP_1) | instid1(SALU_CYCLE_1)
	s_add_u32 s0, s2, s0
	s_addc_u32 s1, s3, s1
	v_mad_u64_u32 v[2:3], null, v13, 36, s[0:1]
	s_branch .LBB245_4
.LBB245_3:                              ;   in Loop: Header=BB245_4 Depth=1
	s_or_b32 exec_lo, exec_lo, s0
	v_mad_i64_i32 v[6:7], null, v14, 36, v[2:3]
	s_waitcnt vmcnt(3)
	v_ashrrev_i32_e32 v21, v13, v21
	s_waitcnt vmcnt(0)
	v_ashrrev_i32_e32 v22, v13, v22
	v_and_b32_e32 v28, 0xf0f0f0f, v18
	v_lshrrev_b32_e32 v18, 4, v18
	v_and_b32_e32 v29, 0xf0f0f0f, v17
	v_lshlrev_b32_e32 v30, 4, v21
	v_add_co_u32 v23, s0, v6, v16
	s_delay_alu instid0(VALU_DEP_1)
	v_add_co_ci_u32_e64 v24, s0, 0, v7, s0
	v_lshrrev_b32_e32 v17, 4, v17
	v_lshlrev_b32_e32 v31, 4, v22
	v_and_b32_e32 v18, 0xf0f0f0f, v18
	s_clause 0x3
	global_load_b32 v25, v[23:24], off offset:20
	global_load_b32 v26, v[23:24], off offset:4
	;; [unrolled: 1-line block ×4, first 2 shown]
	global_load_b32 v4, v[4:5], off
	s_clause 0x1
	global_load_b32 v5, v[6:7], off
	global_load_b32 v6, v[6:7], off offset:36
	v_lshlrev_b32_e32 v21, 3, v21
	v_and_or_b32 v28, 0x10101010, v30, v28
	v_and_b32_e32 v17, 0xf0f0f0f, v17
	v_lshlrev_b32_e32 v22, 3, v22
	v_and_or_b32 v29, 0x10101010, v31, v29
	v_and_or_b32 v18, 0x10101010, v21, v18
	v_and_b32_e32 v31, 31, v28
	v_bfe_u32 v32, v28, 8, 5
	v_and_or_b32 v17, 0x10101010, v22, v17
	v_and_b32_e32 v21, 31, v29
	v_bfe_u32 v33, v28, 16, 5
	v_and_b32_e32 v37, 31, v18
	v_bfe_u32 v22, v29, 8, 5
	v_lshrrev_b32_e32 v28, 24, v28
	v_and_b32_e32 v34, 31, v17
	v_bfe_u32 v38, v18, 8, 5
	v_bfe_u32 v39, v18, 16, 5
	v_lshrrev_b16 v7, 8, v19
	v_and_b32_e32 v19, 0xff, v19
	v_bfe_u32 v30, v29, 16, 5
	v_lshrrev_b32_e32 v29, 24, v29
	v_bfe_u32 v35, v17, 8, 5
	v_lshrrev_b32_e32 v18, 24, v18
	v_lshrrev_b16 v24, 8, v20
	v_and_b32_e32 v20, 0xff, v20
	v_and_b32_e32 v19, 0xffff, v19
	v_bfe_u32 v36, v17, 16, 5
	v_lshrrev_b32_e32 v17, 24, v17
	v_and_b32_e32 v7, 0xffff, v7
	v_and_b32_e32 v20, 0xffff, v20
	v_add_nc_u32_e32 v8, 2, v8
	v_add_nc_u32_e32 v14, 16, v14
	s_delay_alu instid0(VALU_DEP_2) | instskip(NEXT) | instid1(VALU_DEP_1)
	v_cmp_le_u32_e64 s0, s14, v8
	s_or_b32 s9, s0, s9
	s_waitcnt vmcnt(6)
	v_bfe_i32 v40, v25, 0, 8
	s_waitcnt vmcnt(5)
	v_bfe_i32 v43, v26, 0, 8
	v_bfe_i32 v44, v26, 8, 8
	;; [unrolled: 1-line block ×3, first 2 shown]
	s_waitcnt vmcnt(4)
	v_bfe_i32 v46, v27, 0, 8
	s_waitcnt vmcnt(3)
	v_bfe_i32 v49, v23, 0, 8
	v_mul_i32_i24_e32 v31, v43, v31
	v_add_nc_u32_e32 v43, v40, v43
	v_bfe_i32 v41, v25, 8, 8
	v_ashrrev_i32_e32 v26, 24, v26
	v_bfe_i32 v50, v23, 8, 8
	v_bfe_i32 v51, v23, 16, 8
	v_mul_i32_i24_e32 v32, v44, v32
	v_mul_i32_i24_e32 v33, v45, v33
	;; [unrolled: 1-line block ×3, first 2 shown]
	v_add_nc_u32_e32 v49, v46, v49
	v_mad_i32_i24 v21, v40, v21, v31
	v_add3_u32 v31, v43, v44, v45
	v_bfe_i32 v42, v25, 16, 8
	v_ashrrev_i32_e32 v25, 24, v25
	v_bfe_i32 v47, v27, 8, 8
	v_ashrrev_i32_e32 v23, 24, v23
	v_mul_i32_i24_e32 v22, v41, v22
	v_mul_i32_i24_e32 v28, v26, v28
	;; [unrolled: 1-line block ×4, first 2 shown]
	v_mad_i32_i24 v34, v46, v34, v37
	v_add3_u32 v37, v49, v50, v51
	v_add3_u32 v21, v21, v32, v33
	;; [unrolled: 1-line block ×3, first 2 shown]
	v_bfe_i32 v48, v27, 16, 8
	v_ashrrev_i32_e32 v27, 24, v27
	v_mul_i32_i24_e32 v30, v42, v30
	v_mul_i32_i24_e32 v29, v25, v29
	;; [unrolled: 1-line block ×4, first 2 shown]
	v_add3_u32 v31, v34, v38, v39
	v_add3_u32 v23, v37, v23, v47
	;; [unrolled: 1-line block ×4, first 2 shown]
	v_mul_i32_i24_e32 v36, v48, v36
	v_mul_i32_i24_e32 v17, v27, v17
	v_add3_u32 v18, v31, v18, v35
	v_add3_u32 v23, v23, v48, v27
	;; [unrolled: 1-line block ×3, first 2 shown]
	v_mul_lo_u32 v19, v22, v19
	v_and_b32_e32 v22, 0xffff, v24
	v_add3_u32 v17, v18, v36, v17
	v_mul_lo_u32 v7, v23, v7
	v_mul_lo_u32 v18, v21, v20
	s_waitcnt vmcnt(2)
	v_lshrrev_b32_e32 v20, 16, v4
	v_mul_lo_u32 v17, v17, v22
	v_cvt_f32_i32_e32 v19, v19
	s_delay_alu instid0(VALU_DEP_3)
	v_cvt_f32_f16_e32 v20, v20
	v_cvt_f32_i32_e32 v7, v7
	v_cvt_f32_i32_e32 v18, v18
	s_waitcnt vmcnt(1)
	v_fma_mix_f32 v19, v5, v19, 0 op_sel_hi:[1,0,0]
	v_cvt_f32_i32_e32 v17, v17
	s_delay_alu instid0(VALU_DEP_3) | instskip(SKIP_1) | instid1(VALU_DEP_3)
	v_fma_mix_f32 v5, v5, v18, 0 op_sel_hi:[1,0,0]
	s_waitcnt vmcnt(0)
	v_fma_mix_f32 v7, v6, v7, v19 op_sel_hi:[1,0,0]
	s_delay_alu instid0(VALU_DEP_2) | instskip(NEXT) | instid1(VALU_DEP_2)
	v_fma_mix_f32 v5, v6, v17, v5 op_sel_hi:[1,0,0]
	v_mul_f32_e32 v6, v7, v20
	s_delay_alu instid0(VALU_DEP_1) | instskip(NEXT) | instid1(VALU_DEP_1)
	v_fma_mix_f32 v4, v5, v4, -v6 op_sel_hi:[0,1,0]
	v_add_f32_e32 v9, v9, v4
	s_and_not1_b32 exec_lo, exec_lo, s9
	s_cbranch_execz .LBB245_8
.LBB245_4:                              ; =>This Inner Loop Header: Depth=1
	v_add_nc_u32_e32 v6, v10, v8
                                        ; implicit-def: $vgpr20
	s_delay_alu instid0(VALU_DEP_1) | instskip(NEXT) | instid1(VALU_DEP_1)
	v_mad_i64_i32 v[4:5], null, 0xb0, v6, s[12:13]
	v_add_co_u32 v6, s0, v4, v11
	s_delay_alu instid0(VALU_DEP_1) | instskip(NEXT) | instid1(VALU_DEP_2)
	v_add_co_ci_u32_e64 v7, s0, 0, v5, s0
	v_add_co_u32 v18, s0, v6, v12
	s_delay_alu instid0(VALU_DEP_1)
	v_add_co_ci_u32_e64 v19, s0, 0, v7, s0
	s_clause 0x3
	global_load_b32 v21, v[6:7], off offset:16
	global_load_b32 v17, v[18:19], off offset:64
	;; [unrolled: 1-line block ×4, first 2 shown]
	v_add_co_u32 v6, s0, v4, v15
	s_delay_alu instid0(VALU_DEP_1) | instskip(SKIP_1) | instid1(SALU_CYCLE_1)
	v_add_co_ci_u32_e64 v7, s0, 0, v5, s0
                                        ; implicit-def: $vgpr19
	s_and_saveexec_b32 s0, vcc_lo
	s_xor_b32 s0, exec_lo, s0
	s_cbranch_execz .LBB245_6
; %bb.5:                                ;   in Loop: Header=BB245_4 Depth=1
	s_clause 0x2
	global_load_u16 v19, v[6:7], off
	global_load_u16 v20, v[6:7], off offset:8
	global_load_u16 v6, v[6:7], off offset:4
	s_waitcnt vmcnt(2)
	v_lshrrev_b16 v7, 2, v19
	s_waitcnt vmcnt(1)
	v_lshrrev_b16 v19, 4, v20
	;; [unrolled: 2-line block ×3, first 2 shown]
	v_and_b32_e32 v20, 0xf0f, v20
	v_and_b32_e32 v7, 0x3030, v7
	;; [unrolled: 1-line block ×3, first 2 shown]
	s_delay_alu instid0(VALU_DEP_4) | instskip(NEXT) | instid1(VALU_DEP_3)
	v_and_b32_e32 v6, 0x3030, v6
	v_or_b32_e32 v20, v7, v20
	s_delay_alu instid0(VALU_DEP_2)
	v_or_b32_e32 v19, v6, v19
                                        ; implicit-def: $vgpr6_vgpr7
.LBB245_6:                              ;   in Loop: Header=BB245_4 Depth=1
	s_and_not1_saveexec_b32 s0, s0
	s_cbranch_execz .LBB245_3
; %bb.7:                                ;   in Loop: Header=BB245_4 Depth=1
	s_clause 0x1
	global_load_u16 v19, v[6:7], off offset:4
	global_load_u16 v6, v[6:7], off offset:8
	s_waitcnt vmcnt(1)
	v_and_b32_e32 v20, 0x3f3f, v19
	s_waitcnt vmcnt(0)
	v_and_b32_e32 v19, 0x3f3f, v6
	s_branch .LBB245_3
.LBB245_8:
	s_or_b32 exec_lo, exec_lo, s9
.LBB245_9:
	s_delay_alu instid0(SALU_CYCLE_1) | instskip(SKIP_1) | instid1(VALU_DEP_1)
	s_or_b32 exec_lo, exec_lo, s5
	v_mbcnt_lo_u32_b32 v2, -1, 0
	v_xor_b32_e32 v3, 16, v2
	v_xor_b32_e32 v4, 8, v2
	v_xor_b32_e32 v5, 4, v2
	s_delay_alu instid0(VALU_DEP_3) | instskip(SKIP_1) | instid1(VALU_DEP_4)
	v_cmp_gt_i32_e32 vcc_lo, 32, v3
	v_cndmask_b32_e32 v3, v2, v3, vcc_lo
	v_cmp_gt_i32_e32 vcc_lo, 32, v4
	v_cndmask_b32_e32 v4, v2, v4, vcc_lo
	v_cmp_gt_i32_e32 vcc_lo, 32, v5
	s_delay_alu instid0(VALU_DEP_2)
	v_lshlrev_b32_e32 v4, 2, v4
	v_lshlrev_b32_e32 v3, 2, v3
	v_cndmask_b32_e32 v5, v2, v5, vcc_lo
	ds_bpermute_b32 v3, v3, v9
	v_lshlrev_b32_e32 v5, 2, v5
	s_waitcnt lgkmcnt(0)
	v_add_f32_e32 v3, v9, v3
	ds_bpermute_b32 v4, v4, v3
	s_waitcnt lgkmcnt(0)
	v_add_f32_e32 v3, v3, v4
	ds_bpermute_b32 v4, v5, v3
	v_xor_b32_e32 v5, 2, v2
	s_delay_alu instid0(VALU_DEP_1) | instskip(SKIP_1) | instid1(VALU_DEP_1)
	v_cmp_gt_i32_e32 vcc_lo, 32, v5
	v_cndmask_b32_e32 v5, v2, v5, vcc_lo
	v_lshlrev_b32_e32 v5, 2, v5
	s_waitcnt lgkmcnt(0)
	v_add_f32_e32 v3, v3, v4
	ds_bpermute_b32 v4, v5, v3
	v_xor_b32_e32 v5, 1, v2
	s_delay_alu instid0(VALU_DEP_1) | instskip(SKIP_3) | instid1(VALU_DEP_2)
	v_cmp_gt_i32_e32 vcc_lo, 32, v5
	v_cndmask_b32_e32 v5, v2, v5, vcc_lo
	v_cmp_eq_u32_e32 vcc_lo, 0, v0
	s_waitcnt lgkmcnt(0)
	v_dual_add_f32 v2, v3, v4 :: v_dual_lshlrev_b32 v3, 2, v5
	ds_bpermute_b32 v3, v3, v2
	s_and_b32 exec_lo, exec_lo, vcc_lo
	s_cbranch_execz .LBB245_11
; %bb.10:
	v_mad_u64_u32 v[4:5], null, s8, s6, v[1:2]
	s_waitcnt lgkmcnt(0)
	v_dual_mov_b32 v5, 0 :: v_dual_add_f32 v2, v2, v3
	s_delay_alu instid0(VALU_DEP_1) | instskip(NEXT) | instid1(VALU_DEP_1)
	v_lshlrev_b64 v[0:1], 2, v[4:5]
	v_add_co_u32 v0, vcc_lo, s10, v0
	s_delay_alu instid0(VALU_DEP_2)
	v_add_co_ci_u32_e32 v1, vcc_lo, s11, v1, vcc_lo
	global_store_b32 v[0:1], v2, off
.LBB245_11:
	s_nop 0
	s_sendmsg sendmsg(MSG_DEALLOC_VGPRS)
	s_endpgm
	.section	.rodata,"a",@progbits
	.p2align	6, 0x0
	.amdhsa_kernel _ZL9moe_vec_qIfLi256ELi32E10block_q5_KLi2EXadL_ZL17vec_dot_q5_K_q8_1PKvPK10block_q8_1RKiEEEvS2_S2_PT_PS6_iiii
		.amdhsa_group_segment_fixed_size 0
		.amdhsa_private_segment_fixed_size 0
		.amdhsa_kernarg_size 304
		.amdhsa_user_sgpr_count 14
		.amdhsa_user_sgpr_dispatch_ptr 0
		.amdhsa_user_sgpr_queue_ptr 0
		.amdhsa_user_sgpr_kernarg_segment_ptr 1
		.amdhsa_user_sgpr_dispatch_id 0
		.amdhsa_user_sgpr_private_segment_size 0
		.amdhsa_wavefront_size32 1
		.amdhsa_uses_dynamic_stack 0
		.amdhsa_enable_private_segment 0
		.amdhsa_system_sgpr_workgroup_id_x 1
		.amdhsa_system_sgpr_workgroup_id_y 0
		.amdhsa_system_sgpr_workgroup_id_z 1
		.amdhsa_system_sgpr_workgroup_info 0
		.amdhsa_system_vgpr_workitem_id 1
		.amdhsa_next_free_vgpr 52
		.amdhsa_next_free_sgpr 18
		.amdhsa_reserve_vcc 1
		.amdhsa_float_round_mode_32 0
		.amdhsa_float_round_mode_16_64 0
		.amdhsa_float_denorm_mode_32 3
		.amdhsa_float_denorm_mode_16_64 3
		.amdhsa_dx10_clamp 1
		.amdhsa_ieee_mode 1
		.amdhsa_fp16_overflow 0
		.amdhsa_workgroup_processor_mode 1
		.amdhsa_memory_ordered 1
		.amdhsa_forward_progress 0
		.amdhsa_shared_vgpr_count 0
		.amdhsa_exception_fp_ieee_invalid_op 0
		.amdhsa_exception_fp_denorm_src 0
		.amdhsa_exception_fp_ieee_div_zero 0
		.amdhsa_exception_fp_ieee_overflow 0
		.amdhsa_exception_fp_ieee_underflow 0
		.amdhsa_exception_fp_ieee_inexact 0
		.amdhsa_exception_int_div_zero 0
	.end_amdhsa_kernel
	.section	.text._ZL9moe_vec_qIfLi256ELi32E10block_q5_KLi2EXadL_ZL17vec_dot_q5_K_q8_1PKvPK10block_q8_1RKiEEEvS2_S2_PT_PS6_iiii,"axG",@progbits,_ZL9moe_vec_qIfLi256ELi32E10block_q5_KLi2EXadL_ZL17vec_dot_q5_K_q8_1PKvPK10block_q8_1RKiEEEvS2_S2_PT_PS6_iiii,comdat
.Lfunc_end245:
	.size	_ZL9moe_vec_qIfLi256ELi32E10block_q5_KLi2EXadL_ZL17vec_dot_q5_K_q8_1PKvPK10block_q8_1RKiEEEvS2_S2_PT_PS6_iiii, .Lfunc_end245-_ZL9moe_vec_qIfLi256ELi32E10block_q5_KLi2EXadL_ZL17vec_dot_q5_K_q8_1PKvPK10block_q8_1RKiEEEvS2_S2_PT_PS6_iiii
                                        ; -- End function
	.section	.AMDGPU.csdata,"",@progbits
; Kernel info:
; codeLenInByte = 1836
; NumSgprs: 20
; NumVgprs: 52
; ScratchSize: 0
; MemoryBound: 0
; FloatMode: 240
; IeeeMode: 1
; LDSByteSize: 0 bytes/workgroup (compile time only)
; SGPRBlocks: 2
; VGPRBlocks: 6
; NumSGPRsForWavesPerEU: 20
; NumVGPRsForWavesPerEU: 52
; Occupancy: 16
; WaveLimiterHint : 1
; COMPUTE_PGM_RSRC2:SCRATCH_EN: 0
; COMPUTE_PGM_RSRC2:USER_SGPR: 14
; COMPUTE_PGM_RSRC2:TRAP_HANDLER: 0
; COMPUTE_PGM_RSRC2:TGID_X_EN: 1
; COMPUTE_PGM_RSRC2:TGID_Y_EN: 0
; COMPUTE_PGM_RSRC2:TGID_Z_EN: 1
; COMPUTE_PGM_RSRC2:TIDIG_COMP_CNT: 1
	.section	.text._ZL9moe_vec_qIfLi256ELi32E10block_q6_KLi1EXadL_ZL17vec_dot_q6_K_q8_1PKvPK10block_q8_1RKiEEEvS2_S2_PT_PS6_iiii,"axG",@progbits,_ZL9moe_vec_qIfLi256ELi32E10block_q6_KLi1EXadL_ZL17vec_dot_q6_K_q8_1PKvPK10block_q8_1RKiEEEvS2_S2_PT_PS6_iiii,comdat
	.globl	_ZL9moe_vec_qIfLi256ELi32E10block_q6_KLi1EXadL_ZL17vec_dot_q6_K_q8_1PKvPK10block_q8_1RKiEEEvS2_S2_PT_PS6_iiii ; -- Begin function _ZL9moe_vec_qIfLi256ELi32E10block_q6_KLi1EXadL_ZL17vec_dot_q6_K_q8_1PKvPK10block_q8_1RKiEEEvS2_S2_PT_PS6_iiii
	.p2align	8
	.type	_ZL9moe_vec_qIfLi256ELi32E10block_q6_KLi1EXadL_ZL17vec_dot_q6_K_q8_1PKvPK10block_q8_1RKiEEEvS2_S2_PT_PS6_iiii,@function
_ZL9moe_vec_qIfLi256ELi32E10block_q6_KLi1EXadL_ZL17vec_dot_q6_K_q8_1PKvPK10block_q8_1RKiEEEvS2_S2_PT_PS6_iiii: ; @_ZL9moe_vec_qIfLi256ELi32E10block_q6_KLi1EXadL_ZL17vec_dot_q6_K_q8_1PKvPK10block_q8_1RKiEEEvS2_S2_PT_PS6_iiii
; %bb.0:
	s_clause 0x1
	s_load_b32 s2, s[0:1], 0x3c
	s_load_b128 s[4:7], s[0:1], 0x20
	v_bfe_u32 v3, v0, 10, 10
	s_waitcnt lgkmcnt(0)
	s_lshr_b32 s2, s2, 16
	s_delay_alu instid0(VALU_DEP_1) | instid1(SALU_CYCLE_1)
	v_mad_u64_u32 v[1:2], null, s14, s2, v[3:4]
	s_mov_b32 s2, exec_lo
	s_delay_alu instid0(VALU_DEP_1)
	v_cmpx_gt_u32_e64 s6, v1
	s_cbranch_execz .LBB246_7
; %bb.1:
	s_load_b64 s[10:11], s[0:1], 0x10
	v_dual_mov_b32 v5, 0 :: v_dual_and_b32 v0, 0x3ff, v0
	s_ashr_i32 s2, s5, 31
	s_mov_b32 s8, s15
	s_lshr_b32 s2, s2, 24
	s_delay_alu instid0(VALU_DEP_1)
	v_lshrrev_b32_e32 v4, 5, v0
	s_add_i32 s2, s5, s2
	s_mov_b32 s5, exec_lo
	s_ashr_i32 s12, s2, 8
	s_delay_alu instid0(VALU_DEP_1) | instid1(SALU_CYCLE_1)
	v_cmpx_gt_u32_e64 s12, v4
	s_cbranch_execz .LBB246_5
; %bb.2:
	s_load_b64 s[2:3], s[0:1], 0x18
	s_mov_b32 s9, 0
	v_cvt_f32_u32_e32 v2, s4
	s_lshl_b64 s[14:15], s[8:9], 2
	v_mul_lo_u32 v6, v1, s12
	v_and_b32_e32 v3, 31, v0
	v_mov_b32_e32 v5, 0
	v_rcp_iflag_f32_e32 v2, v2
	s_delay_alu instid0(VALU_DEP_2)
	v_cmp_lt_u32_e32 vcc_lo, 15, v3
	v_lshlrev_b32_e32 v7, 2, v3
	v_cndmask_b32_e64 v10, 0, 1, vcc_lo
	v_cmp_gt_u32_e32 vcc_lo, 16, v3
	s_waitcnt_depctr 0xfff
	v_mul_f32_e32 v2, 0x4f7ffffe, v2
	s_waitcnt lgkmcnt(0)
	s_add_u32 s2, s2, s14
	s_addc_u32 s3, s3, s15
	s_delay_alu instid0(VALU_DEP_1)
	v_cvt_u32_f32_e32 v2, v2
	s_load_b32 s13, s[2:3], 0x0
	s_load_b128 s[0:3], s[0:1], 0x0
	s_mul_i32 s14, s12, s6
	s_mov_b32 s15, s9
	v_lshlrev_b32_e32 v11, 3, v10
	s_waitcnt lgkmcnt(0)
	s_mul_i32 s13, s14, s13
	v_readfirstlane_b32 s14, v2
	s_mul_i32 s16, s13, 0xd2
	s_mul_hi_i32 s13, s13, 0xd2
	s_add_u32 s0, s0, s16
	s_addc_u32 s1, s1, s13
	s_sub_i32 s13, 0, s4
	v_add_nc_u32_e32 v2, 0xf0, v3
	s_mul_i32 s13, s13, s14
	v_and_b32_e32 v9, 7, v0
	s_mul_hi_u32 s13, s14, s13
	s_delay_alu instid0(VALU_DEP_2) | instskip(SKIP_1) | instid1(VALU_DEP_2)
	v_cndmask_b32_e32 v2, v2, v3, vcc_lo
	s_add_i32 s14, s14, s13
	v_or_b32_e32 v8, v11, v9
	s_mul_hi_u32 s13, s8, s14
	v_lshlrev_b32_e32 v9, 2, v9
	s_mul_i32 s14, s13, s4
	v_and_b32_e32 v3, 0xf8, v2
	s_sub_i32 s14, s8, s14
	s_add_i32 s16, s13, 1
	s_sub_i32 s17, s14, s4
	s_cmp_ge_u32 s14, s4
	v_cmp_ne_u32_e32 vcc_lo, 0, v3
	s_cselect_b32 s13, s16, s13
	s_cselect_b32 s14, s17, s14
	s_add_i32 s16, s13, 1
	s_cmp_ge_u32 s14, s4
	v_cndmask_b32_e64 v12, 0, 1, vcc_lo
	s_cselect_b32 s4, s16, s13
	v_bfe_u32 v13, v2, 2, 6
	s_mul_i32 s14, s4, s7
	v_lshlrev_b32_e32 v8, 2, v8
	s_lshl_b64 s[14:15], s[14:15], 2
	v_lshl_or_b32 v10, v10, 2, v12
	s_add_u32 s2, s2, s14
	s_addc_u32 s3, s3, s15
	v_add_nc_u32_e32 v11, v13, v11
	s_delay_alu instid0(VALU_DEP_2)
	v_mad_u64_u32 v[2:3], null, v10, 36, s[2:3]
	v_lshlrev_b32_e32 v10, 1, v12
	v_lshlrev_b32_e32 v12, 3, v4
.LBB246_3:                              ; =>This Inner Loop Header: Depth=1
	v_add_nc_u32_e32 v17, v6, v4
	s_delay_alu instid0(VALU_DEP_2) | instskip(SKIP_2) | instid1(VALU_DEP_4)
	v_mad_i64_i32 v[13:14], null, v12, 36, v[2:3]
	v_add_nc_u32_e32 v4, 1, v4
	v_add_nc_u32_e32 v12, 8, v12
	v_mad_i64_i32 v[15:16], null, 0xd2, v17, s[0:1]
	s_delay_alu instid0(VALU_DEP_4) | instskip(SKIP_1) | instid1(VALU_DEP_3)
	v_add_co_u32 v17, vcc_lo, v13, v9
	v_add_co_ci_u32_e32 v18, vcc_lo, 0, v14, vcc_lo
	v_add_co_u32 v19, vcc_lo, v15, v8
	s_delay_alu instid0(VALU_DEP_4)
	v_add_co_ci_u32_e32 v20, vcc_lo, 0, v16, vcc_lo
	v_add_co_u32 v21, vcc_lo, v15, v7
	v_add_co_ci_u32_e32 v22, vcc_lo, 0, v16, vcc_lo
	global_load_b32 v23, v[17:18], off offset:4
	s_clause 0x1
	global_load_b32 v19, v[19:20], off offset:128
	global_load_b32 v20, v[21:22], off
	global_load_b32 v21, v[17:18], off offset:76
	v_add_co_u32 v17, vcc_lo, v15, v11
	v_add_co_ci_u32_e32 v18, vcc_lo, 0, v16, vcc_lo
	v_cmp_le_u32_e32 vcc_lo, s12, v4
	s_clause 0x1
	global_load_i8 v22, v[17:18], off offset:192
	global_load_i8 v17, v[17:18], off offset:196
	s_clause 0x1
	global_load_b32 v18, v[13:14], off
	global_load_b32 v13, v[13:14], off offset:72
	global_load_u16 v14, v[15:16], off offset:208
	s_or_b32 s9, vcc_lo, s9
	s_waitcnt vmcnt(8)
	v_bfe_i32 v16, v23, 8, 8
	s_waitcnt vmcnt(7)
	v_ashrrev_i32_e32 v19, v10, v19
	s_waitcnt vmcnt(6)
	v_and_b32_e32 v28, 0xf0f0f0f, v20
	v_lshrrev_b32_e32 v20, 4, v20
	v_bfe_i32 v15, v23, 0, 8
	v_bfe_i32 v24, v23, 16, 8
	v_lshlrev_b32_e32 v29, 4, v19
	v_and_b32_e32 v19, 0x30303030, v19
	v_ashrrev_i32_e32 v23, 24, v23
	s_waitcnt vmcnt(5)
	v_bfe_i32 v26, v21, 8, 8
	v_bfe_i32 v25, v21, 0, 8
	v_and_or_b32 v28, 0x30303030, v29, v28
	v_and_or_b32 v19, 0xf0f0f0f, v20, v19
	v_bfe_i32 v27, v21, 16, 8
	v_ashrrev_i32_e32 v21, 24, v21
	s_delay_alu instid0(VALU_DEP_4)
	v_lshrrev_b32_e32 v20, 16, v28
	v_and_b32_e32 v29, 0x3f00, v28
	v_lshlrev_b16 v28, 8, v28
	v_lshrrev_b32_e32 v30, 16, v19
	v_and_b32_e32 v31, 0x3f00, v19
	v_lshlrev_b16 v19, 8, v19
	v_and_b32_e32 v32, 0x3f00, v20
	v_add_nc_u16 v28, v28, 0xe000
	v_lshlrev_b16 v20, 8, v20
	v_and_b32_e32 v33, 0x3f00, v30
	v_add_nc_u16 v19, v19, 0xe000
	v_lshlrev_b16 v30, 8, v30
	v_lshrrev_b16 v28, 8, v28
	v_add_nc_u16 v20, v20, 0xe000
	s_delay_alu instid0(VALU_DEP_4) | instskip(NEXT) | instid1(VALU_DEP_4)
	v_lshrrev_b16 v19, 8, v19
	v_add_nc_u16 v30, v30, 0xe000
	s_delay_alu instid0(VALU_DEP_4) | instskip(NEXT) | instid1(VALU_DEP_4)
	v_or_b32_e32 v28, v29, v28
	v_lshrrev_b16 v20, 8, v20
	s_delay_alu instid0(VALU_DEP_4) | instskip(NEXT) | instid1(VALU_DEP_4)
	v_or_b32_e32 v19, v31, v19
	v_lshrrev_b16 v29, 8, v30
	s_delay_alu instid0(VALU_DEP_4) | instskip(NEXT) | instid1(VALU_DEP_4)
	v_add_nc_u16 v28, v28, 0xe000
	v_or_b32_e32 v20, v32, v20
	s_delay_alu instid0(VALU_DEP_4) | instskip(NEXT) | instid1(VALU_DEP_4)
	v_add_nc_u16 v19, v19, 0xe000
	v_or_b32_e32 v29, v33, v29
	s_delay_alu instid0(VALU_DEP_4) | instskip(NEXT) | instid1(VALU_DEP_4)
	v_and_b32_e32 v28, 0xffff, v28
	v_add_nc_u16 v20, v20, 0xe000
	s_delay_alu instid0(VALU_DEP_4) | instskip(NEXT) | instid1(VALU_DEP_4)
	v_and_b32_e32 v19, 0xffff, v19
	v_add_nc_u16 v29, v29, 0xe000
	s_delay_alu instid0(VALU_DEP_4)
	v_bfe_i32 v30, v28, 0, 8
	v_bfe_i32 v28, v28, 8, 8
	;; [unrolled: 1-line block ×6, first 2 shown]
	v_mul_i32_i24_e32 v16, v28, v16
	v_bfe_i32 v33, v29, 0, 8
	v_bfe_i32 v28, v29, 8, 8
	v_mul_i32_i24_e32 v15, v30, v15
	v_mul_i32_i24_e32 v20, v20, v23
	;; [unrolled: 1-line block ×3, first 2 shown]
	v_mad_i32_i24 v16, v31, v24, v16
	v_mul_i32_i24_e32 v23, v32, v25
	v_mul_i32_i24_e32 v21, v28, v21
	s_delay_alu instid0(VALU_DEP_4) | instskip(NEXT) | instid1(VALU_DEP_4)
	v_mad_i32_i24 v19, v33, v27, v19
	v_add3_u32 v15, v16, v20, v15
	s_delay_alu instid0(VALU_DEP_2) | instskip(SKIP_1) | instid1(VALU_DEP_2)
	v_add3_u32 v16, v19, v21, v23
	s_waitcnt vmcnt(4)
	v_mul_lo_u32 v15, v15, v22
	s_waitcnt vmcnt(3)
	s_delay_alu instid0(VALU_DEP_2) | instskip(NEXT) | instid1(VALU_DEP_2)
	v_mul_lo_u32 v16, v16, v17
	v_cvt_f32_i32_e32 v15, v15
	s_delay_alu instid0(VALU_DEP_2) | instskip(SKIP_1) | instid1(VALU_DEP_2)
	v_cvt_f32_i32_e32 v16, v16
	s_waitcnt vmcnt(2)
	v_fma_mix_f32 v15, v18, v15, 0 op_sel_hi:[1,0,0]
	s_waitcnt vmcnt(1)
	s_delay_alu instid0(VALU_DEP_1) | instskip(SKIP_1) | instid1(VALU_DEP_1)
	v_fma_mix_f32 v13, v13, v16, v15 op_sel_hi:[1,0,0]
	s_waitcnt vmcnt(0)
	v_fma_mix_f32 v5, v13, v14, v5 op_sel_hi:[0,1,0]
	s_and_not1_b32 exec_lo, exec_lo, s9
	s_cbranch_execnz .LBB246_3
; %bb.4:
	s_or_b32 exec_lo, exec_lo, s9
.LBB246_5:
	s_delay_alu instid0(SALU_CYCLE_1) | instskip(SKIP_1) | instid1(VALU_DEP_1)
	s_or_b32 exec_lo, exec_lo, s5
	v_mbcnt_lo_u32_b32 v2, -1, 0
	v_xor_b32_e32 v3, 16, v2
	v_xor_b32_e32 v4, 8, v2
	s_delay_alu instid0(VALU_DEP_2) | instskip(SKIP_1) | instid1(VALU_DEP_3)
	v_cmp_gt_i32_e32 vcc_lo, 32, v3
	v_cndmask_b32_e32 v3, v2, v3, vcc_lo
	v_cmp_gt_i32_e32 vcc_lo, 32, v4
	v_cndmask_b32_e32 v4, v2, v4, vcc_lo
	s_delay_alu instid0(VALU_DEP_1) | instskip(NEXT) | instid1(VALU_DEP_4)
	v_lshlrev_b32_e32 v4, 2, v4
	v_lshlrev_b32_e32 v3, 2, v3
	ds_bpermute_b32 v3, v3, v5
	s_waitcnt lgkmcnt(0)
	v_add_f32_e32 v3, v5, v3
	v_xor_b32_e32 v5, 4, v2
	ds_bpermute_b32 v4, v4, v3
	v_cmp_gt_i32_e32 vcc_lo, 32, v5
	v_cndmask_b32_e32 v5, v2, v5, vcc_lo
	s_delay_alu instid0(VALU_DEP_1) | instskip(SKIP_4) | instid1(VALU_DEP_1)
	v_lshlrev_b32_e32 v5, 2, v5
	s_waitcnt lgkmcnt(0)
	v_add_f32_e32 v3, v3, v4
	ds_bpermute_b32 v4, v5, v3
	v_xor_b32_e32 v5, 2, v2
	v_cmp_gt_i32_e32 vcc_lo, 32, v5
	v_cndmask_b32_e32 v5, v2, v5, vcc_lo
	s_delay_alu instid0(VALU_DEP_1) | instskip(SKIP_4) | instid1(VALU_DEP_1)
	v_lshlrev_b32_e32 v5, 2, v5
	s_waitcnt lgkmcnt(0)
	v_add_f32_e32 v3, v3, v4
	ds_bpermute_b32 v4, v5, v3
	v_xor_b32_e32 v5, 1, v2
	v_cmp_gt_i32_e32 vcc_lo, 32, v5
	v_cndmask_b32_e32 v5, v2, v5, vcc_lo
	v_cmp_eq_u32_e32 vcc_lo, 0, v0
	s_waitcnt lgkmcnt(0)
	s_delay_alu instid0(VALU_DEP_2)
	v_dual_add_f32 v2, v3, v4 :: v_dual_lshlrev_b32 v3, 2, v5
	ds_bpermute_b32 v3, v3, v2
	s_and_b32 exec_lo, exec_lo, vcc_lo
	s_cbranch_execz .LBB246_7
; %bb.6:
	v_mad_u64_u32 v[4:5], null, s8, s6, v[1:2]
	s_waitcnt lgkmcnt(0)
	v_dual_mov_b32 v5, 0 :: v_dual_add_f32 v2, v2, v3
	s_delay_alu instid0(VALU_DEP_1) | instskip(NEXT) | instid1(VALU_DEP_1)
	v_lshlrev_b64 v[0:1], 2, v[4:5]
	v_add_co_u32 v0, vcc_lo, s10, v0
	s_delay_alu instid0(VALU_DEP_2)
	v_add_co_ci_u32_e32 v1, vcc_lo, s11, v1, vcc_lo
	global_store_b32 v[0:1], v2, off
.LBB246_7:
	s_nop 0
	s_sendmsg sendmsg(MSG_DEALLOC_VGPRS)
	s_endpgm
	.section	.rodata,"a",@progbits
	.p2align	6, 0x0
	.amdhsa_kernel _ZL9moe_vec_qIfLi256ELi32E10block_q6_KLi1EXadL_ZL17vec_dot_q6_K_q8_1PKvPK10block_q8_1RKiEEEvS2_S2_PT_PS6_iiii
		.amdhsa_group_segment_fixed_size 0
		.amdhsa_private_segment_fixed_size 0
		.amdhsa_kernarg_size 304
		.amdhsa_user_sgpr_count 14
		.amdhsa_user_sgpr_dispatch_ptr 0
		.amdhsa_user_sgpr_queue_ptr 0
		.amdhsa_user_sgpr_kernarg_segment_ptr 1
		.amdhsa_user_sgpr_dispatch_id 0
		.amdhsa_user_sgpr_private_segment_size 0
		.amdhsa_wavefront_size32 1
		.amdhsa_uses_dynamic_stack 0
		.amdhsa_enable_private_segment 0
		.amdhsa_system_sgpr_workgroup_id_x 1
		.amdhsa_system_sgpr_workgroup_id_y 0
		.amdhsa_system_sgpr_workgroup_id_z 1
		.amdhsa_system_sgpr_workgroup_info 0
		.amdhsa_system_vgpr_workitem_id 1
		.amdhsa_next_free_vgpr 34
		.amdhsa_next_free_sgpr 18
		.amdhsa_reserve_vcc 1
		.amdhsa_float_round_mode_32 0
		.amdhsa_float_round_mode_16_64 0
		.amdhsa_float_denorm_mode_32 3
		.amdhsa_float_denorm_mode_16_64 3
		.amdhsa_dx10_clamp 1
		.amdhsa_ieee_mode 1
		.amdhsa_fp16_overflow 0
		.amdhsa_workgroup_processor_mode 1
		.amdhsa_memory_ordered 1
		.amdhsa_forward_progress 0
		.amdhsa_shared_vgpr_count 0
		.amdhsa_exception_fp_ieee_invalid_op 0
		.amdhsa_exception_fp_denorm_src 0
		.amdhsa_exception_fp_ieee_div_zero 0
		.amdhsa_exception_fp_ieee_overflow 0
		.amdhsa_exception_fp_ieee_underflow 0
		.amdhsa_exception_fp_ieee_inexact 0
		.amdhsa_exception_int_div_zero 0
	.end_amdhsa_kernel
	.section	.text._ZL9moe_vec_qIfLi256ELi32E10block_q6_KLi1EXadL_ZL17vec_dot_q6_K_q8_1PKvPK10block_q8_1RKiEEEvS2_S2_PT_PS6_iiii,"axG",@progbits,_ZL9moe_vec_qIfLi256ELi32E10block_q6_KLi1EXadL_ZL17vec_dot_q6_K_q8_1PKvPK10block_q8_1RKiEEEvS2_S2_PT_PS6_iiii,comdat
.Lfunc_end246:
	.size	_ZL9moe_vec_qIfLi256ELi32E10block_q6_KLi1EXadL_ZL17vec_dot_q6_K_q8_1PKvPK10block_q8_1RKiEEEvS2_S2_PT_PS6_iiii, .Lfunc_end246-_ZL9moe_vec_qIfLi256ELi32E10block_q6_KLi1EXadL_ZL17vec_dot_q6_K_q8_1PKvPK10block_q8_1RKiEEEvS2_S2_PT_PS6_iiii
                                        ; -- End function
	.section	.AMDGPU.csdata,"",@progbits
; Kernel info:
; codeLenInByte = 1528
; NumSgprs: 20
; NumVgprs: 34
; ScratchSize: 0
; MemoryBound: 0
; FloatMode: 240
; IeeeMode: 1
; LDSByteSize: 0 bytes/workgroup (compile time only)
; SGPRBlocks: 2
; VGPRBlocks: 4
; NumSGPRsForWavesPerEU: 20
; NumVGPRsForWavesPerEU: 34
; Occupancy: 16
; WaveLimiterHint : 1
; COMPUTE_PGM_RSRC2:SCRATCH_EN: 0
; COMPUTE_PGM_RSRC2:USER_SGPR: 14
; COMPUTE_PGM_RSRC2:TRAP_HANDLER: 0
; COMPUTE_PGM_RSRC2:TGID_X_EN: 1
; COMPUTE_PGM_RSRC2:TGID_Y_EN: 0
; COMPUTE_PGM_RSRC2:TGID_Z_EN: 1
; COMPUTE_PGM_RSRC2:TIDIG_COMP_CNT: 1
	.section	.text._ZL9moe_vec_qIfLi256ELi8E13block_iq2_xxsLi1EXadL_ZL20vec_dot_iq2_xxs_q8_1PKvPK10block_q8_1RKiEEEvS2_S2_PT_PS6_iiii,"axG",@progbits,_ZL9moe_vec_qIfLi256ELi8E13block_iq2_xxsLi1EXadL_ZL20vec_dot_iq2_xxs_q8_1PKvPK10block_q8_1RKiEEEvS2_S2_PT_PS6_iiii,comdat
	.globl	_ZL9moe_vec_qIfLi256ELi8E13block_iq2_xxsLi1EXadL_ZL20vec_dot_iq2_xxs_q8_1PKvPK10block_q8_1RKiEEEvS2_S2_PT_PS6_iiii ; -- Begin function _ZL9moe_vec_qIfLi256ELi8E13block_iq2_xxsLi1EXadL_ZL20vec_dot_iq2_xxs_q8_1PKvPK10block_q8_1RKiEEEvS2_S2_PT_PS6_iiii
	.p2align	8
	.type	_ZL9moe_vec_qIfLi256ELi8E13block_iq2_xxsLi1EXadL_ZL20vec_dot_iq2_xxs_q8_1PKvPK10block_q8_1RKiEEEvS2_S2_PT_PS6_iiii,@function
_ZL9moe_vec_qIfLi256ELi8E13block_iq2_xxsLi1EXadL_ZL20vec_dot_iq2_xxs_q8_1PKvPK10block_q8_1RKiEEEvS2_S2_PT_PS6_iiii: ; @_ZL9moe_vec_qIfLi256ELi8E13block_iq2_xxsLi1EXadL_ZL20vec_dot_iq2_xxs_q8_1PKvPK10block_q8_1RKiEEEvS2_S2_PT_PS6_iiii
; %bb.0:
	s_clause 0x1
	s_load_b32 s2, s[0:1], 0x3c
	s_load_b128 s[16:19], s[0:1], 0x20
	v_bfe_u32 v3, v0, 10, 10
	s_waitcnt lgkmcnt(0)
	s_lshr_b32 s2, s2, 16
	s_delay_alu instid0(VALU_DEP_1) | instid1(SALU_CYCLE_1)
	v_mad_u64_u32 v[1:2], null, s14, s2, v[3:4]
	s_mov_b32 s2, exec_lo
	s_delay_alu instid0(VALU_DEP_1)
	v_cmpx_gt_u32_e64 s18, v1
	s_cbranch_execz .LBB247_7
; %bb.1:
	s_mov_b32 s12, s15
	s_load_b64 s[14:15], s[0:1], 0x10
	v_dual_mov_b32 v5, 0 :: v_dual_and_b32 v0, 0x3ff, v0
	s_ashr_i32 s2, s17, 31
	s_mov_b32 s11, exec_lo
	s_lshr_b32 s2, s2, 24
	s_delay_alu instid0(VALU_DEP_1) | instskip(SKIP_1) | instid1(SALU_CYCLE_1)
	v_lshrrev_b32_e32 v4, 3, v0
	s_add_i32 s2, s17, s2
	s_ashr_i32 s17, s2, 8
	s_delay_alu instid0(VALU_DEP_1) | instid1(SALU_CYCLE_1)
	v_cmpx_gt_u32_e64 s17, v4
	s_cbranch_execz .LBB247_5
; %bb.2:
	s_load_b64 s[2:3], s[0:1], 0x18
	s_mov_b32 s13, 0
	v_cvt_f32_u32_e32 v2, s16
	s_lshl_b64 s[4:5], s[12:13], 2
	v_mul_lo_u32 v6, v1, s17
	v_lshlrev_b32_e32 v7, 3, v4
	v_and_b32_e32 v5, 7, v0
	v_rcp_iflag_f32_e32 v2, v2
	s_delay_alu instid0(VALU_DEP_1)
	v_lshlrev_b32_e32 v8, 2, v5
	s_waitcnt_depctr 0xfff
	v_mul_f32_e32 v2, 0x4f7ffffe, v2
	s_waitcnt lgkmcnt(0)
	s_add_u32 s2, s2, s4
	s_addc_u32 s3, s3, s5
	s_delay_alu instid0(VALU_DEP_1)
	v_cvt_u32_f32_e32 v2, v2
	s_load_b32 s4, s[2:3], 0x0
	s_load_b128 s[0:3], s[0:1], 0x0
	s_mul_i32 s5, s17, s18
	s_waitcnt lgkmcnt(0)
	s_mul_i32 s4, s5, s4
	v_readfirstlane_b32 s5, v2
	s_mul_i32 s6, s4, 0x42
	s_mul_hi_i32 s4, s4, 0x42
	s_add_u32 s20, s0, s6
	s_addc_u32 s21, s1, s4
	s_sub_i32 s0, 0, s16
	s_delay_alu instid0(SALU_CYCLE_1) | instskip(NEXT) | instid1(SALU_CYCLE_1)
	s_mul_i32 s0, s0, s5
	s_mul_hi_u32 s0, s5, s0
	s_delay_alu instid0(SALU_CYCLE_1) | instskip(NEXT) | instid1(SALU_CYCLE_1)
	s_add_i32 s5, s5, s0
	s_mul_hi_u32 s0, s12, s5
	s_delay_alu instid0(SALU_CYCLE_1) | instskip(SKIP_2) | instid1(SALU_CYCLE_1)
	s_mul_i32 s1, s0, s16
	s_add_i32 s4, s0, 1
	s_sub_i32 s1, s12, s1
	s_sub_i32 s5, s1, s16
	s_cmp_ge_u32 s1, s16
	s_cselect_b32 s0, s4, s0
	s_cselect_b32 s1, s5, s1
	s_add_i32 s4, s0, 1
	s_cmp_ge_u32 s1, s16
	s_mov_b32 s1, s13
	s_cselect_b32 s0, s4, s0
	s_delay_alu instid0(SALU_CYCLE_1) | instskip(NEXT) | instid1(SALU_CYCLE_1)
	s_mul_i32 s0, s0, s19
	s_lshl_b64 s[0:1], s[0:1], 2
	s_delay_alu instid0(SALU_CYCLE_1) | instskip(SKIP_1) | instid1(SALU_CYCLE_1)
	s_add_u32 s0, s2, s0
	s_addc_u32 s1, s3, s1
	v_mad_u64_u32 v[2:3], null, v5, 36, s[0:1]
	v_dual_mov_b32 v5, 0 :: v_dual_lshlrev_b32 v8, 1, v8
.LBB247_3:                              ; =>This Inner Loop Header: Depth=1
	v_add_nc_u32_e32 v9, v6, v4
	s_delay_alu instid0(VALU_DEP_3)
	v_mad_i64_i32 v[19:20], null, v7, 36, v[2:3]
	s_getpc_b64 s[0:1]
	s_add_u32 s0, s0, _ZL11iq2xxs_grid@rel32@lo+4
	s_addc_u32 s1, s1, _ZL11iq2xxs_grid@rel32@hi+12
	s_getpc_b64 s[2:3]
	s_add_u32 s2, s2, _ZL12ksigns_iq2xs@rel32@lo+4
	s_addc_u32 s3, s3, _ZL12ksigns_iq2xs@rel32@hi+12
	v_mad_i64_i32 v[17:18], null, 0x42, v9, s[20:21]
	v_add_nc_u32_e32 v4, 4, v4
	v_add_nc_u32_e32 v7, 32, v7
	s_delay_alu instid0(VALU_DEP_3) | instskip(NEXT) | instid1(VALU_DEP_4)
	v_add_co_u32 v9, vcc_lo, v17, v8
	v_add_co_ci_u32_e32 v10, vcc_lo, 0, v18, vcc_lo
	s_clause 0x1
	global_load_b32 v27, v[9:10], off offset:6
	global_load_b32 v21, v[9:10], off offset:2
	s_clause 0x1
	global_load_b128 v[9:12], v[19:20], off offset:4
	global_load_b128 v[13:16], v[19:20], off offset:20
	global_load_u16 v28, v[17:18], off
	s_waitcnt vmcnt(2)
	v_bfe_i32 v37, v9, 8, 8
	v_and_b32_e32 v29, 0x7f, v27
	v_bfe_u32 v30, v27, 7, 7
	v_bfe_u32 v31, v27, 21, 7
	v_lshrrev_b32_e32 v22, 5, v21
	v_lshrrev_b32_e32 v23, 13, v21
	s_clause 0x2
	global_load_i8 v32, v29, s[2:3]
	global_load_i8 v33, v30, s[2:3]
	;; [unrolled: 1-line block ×3, first 2 shown]
	s_waitcnt vmcnt(3)
	v_cvt_f32_f16_e32 v28, v28
	v_and_b32_e32 v22, 0x7f8, v22
	v_and_b32_e32 v23, 0x7f8, v23
	v_bfe_i32 v39, v10, 0, 8
	v_bfe_i32 v38, v9, 16, 8
	;; [unrolled: 1-line block ×12, first 2 shown]
	v_ashrrev_i32_e32 v14, 24, v14
	v_bfe_i32 v41, v10, 16, 8
	v_ashrrev_i32_e32 v10, 24, v10
	v_bfe_i32 v42, v11, 0, 8
	v_bfe_i32 v43, v11, 8, 8
	v_bfe_i32 v44, v11, 16, 8
	v_ashrrev_i32_e32 v11, 24, v11
	v_bfe_i32 v45, v12, 0, 8
	v_bfe_i32 v46, v12, 8, 8
	;; [unrolled: 4-line block ×3, first 2 shown]
	v_bfe_i32 v50, v13, 16, 8
	v_ashrrev_i32_e32 v13, 24, v13
	v_ashrrev_i32_e32 v15, 24, v15
	;; [unrolled: 1-line block ×3, first 2 shown]
	s_waitcnt vmcnt(2)
	v_and_b32_e32 v60, 2, v32
	v_and_b32_e32 v62, 8, v32
	;; [unrolled: 1-line block ×5, first 2 shown]
	v_cmp_eq_u16_e32 vcc_lo, 0, v60
	v_and_b32_e32 v17, 0xffff0000, v27
	s_waitcnt vmcnt(1)
	v_and_b32_e32 v65, 1, v33
	v_and_b32_e32 v66, 2, v33
	;; [unrolled: 1-line block ×4, first 2 shown]
	v_and_or_b32 v17, 0xffff, v27, v17
	v_lshrrev_b32_e32 v27, 28, v27
	v_and_b32_e32 v93, 16, v33
	v_cmp_gt_i16_e64 s6, 0, v33
	v_cmp_eq_u16_e64 s4, 0, v68
	v_bfe_u32 v35, v17, 14, 7
	v_cvt_f32_ubyte0_e32 v27, v27
	v_and_b32_e32 v18, 0xff, v21
	v_lshrrev_b32_e32 v21, 21, v21
	s_delay_alu instid0(VALU_DEP_2) | instskip(NEXT) | instid1(VALU_DEP_1)
	v_dual_add_f32 v27, 0.5, v27 :: v_dual_lshlrev_b32 v18, 3, v18
	v_mul_f32_e32 v27, v27, v28
	s_delay_alu instid0(VALU_DEP_3)
	v_and_b32_e32 v25, 0x7f8, v21
	s_clause 0x3
	global_load_b64 v[17:18], v18, s[0:1]
	global_load_b64 v[21:22], v22, s[0:1]
	global_load_b64 v[23:24], v23, s[0:1]
	global_load_b64 v[25:26], v25, s[0:1]
	global_load_i8 v36, v35, s[2:3]
	global_load_u16 v19, v[19:20], off
	v_bfe_i32 v20, v9, 0, 8
	v_ashrrev_i32_e32 v9, 24, v9
	v_cmp_eq_u16_e64 s0, 0, v62
	v_cmp_eq_u16_e64 s1, 0, v64
	v_cmp_gt_i16_e64 s2, 0, v32
	v_cmp_eq_u16_e64 s3, 0, v66
	s_waitcnt vmcnt(5)
	v_bfe_u32 v72, v17, 8, 8
	v_and_b32_e32 v73, 0xff, v18
	v_lshrrev_b32_e32 v69, 24, v17
	v_and_b32_e32 v71, 0xff, v17
	v_bfe_u32 v17, v17, 16, 8
	s_waitcnt vmcnt(2)
	v_lshrrev_b32_e32 v87, 24, v25
	v_and_b32_e32 v89, 0xff, v25
	v_bfe_u32 v90, v25, 8, 8
	v_bfe_u32 v25, v25, 16, 8
	;; [unrolled: 1-line block ×3, first 2 shown]
	v_mul_i32_i24_e32 v37, v72, v37
	v_mul_i32_i24_e32 v39, v73, v39
	v_lshrrev_b32_e32 v82, 24, v24
	v_and_b32_e32 v85, 0xff, v24
	v_bfe_u32 v86, v24, 8, 8
	v_bfe_u32 v24, v24, 16, 8
	v_lshrrev_b32_e32 v88, 24, v26
	v_and_b32_e32 v91, 0xff, v26
	v_bfe_u32 v26, v26, 16, 8
	v_mul_i32_i24_e32 v20, v71, v20
	v_mul_i32_i24_e32 v17, v17, v38
	;; [unrolled: 1-line block ×4, first 2 shown]
	v_sub_nc_u32_e32 v58, 0, v37
	v_sub_nc_u32_e32 v62, 0, v39
	v_and_b32_e32 v28, 1, v32
	v_bfe_u32 v74, v18, 8, 8
	v_mul_i32_i24_e32 v9, v69, v9
	v_mul_i32_i24_e32 v24, v24, v53
	;; [unrolled: 1-line block ×6, first 2 shown]
	v_sub_nc_u32_e32 v57, 0, v20
	v_sub_nc_u32_e32 v59, 0, v17
	v_cmp_eq_u16_e64 s10, 0, v28
	v_cndmask_b32_e32 v28, v58, v37, vcc_lo
	v_cmp_eq_u16_e32 vcc_lo, 0, v61
	v_lshrrev_b32_e32 v70, 24, v18
	v_bfe_u32 v18, v18, 16, 8
	v_and_b32_e32 v77, 0xff, v21
	v_mul_i32_i24_e32 v40, v74, v40
	v_mul_i32_i24_e32 v14, v82, v14
	v_sub_nc_u32_e32 v60, 0, v9
	v_cndmask_b32_e64 v20, v57, v20, s10
	v_cndmask_b32_e32 v17, v59, v17, vcc_lo
	v_cmp_eq_u16_e32 vcc_lo, 0, v63
	v_bfe_u32 v78, v21, 8, 8
	v_mul_i32_i24_e32 v18, v18, v41
	v_mul_i32_i24_e32 v10, v70, v10
	;; [unrolled: 1-line block ×3, first 2 shown]
	v_cndmask_b32_e32 v39, v62, v39, vcc_lo
	v_sub_nc_u32_e32 v77, 0, v40
	v_cndmask_b32_e64 v9, v60, v9, s0
	v_add_nc_u32_e32 v20, v28, v20
	v_sub_nc_u32_e32 v28, 0, v14
	s_waitcnt vmcnt(1)
	v_cmp_gt_i16_e32 vcc_lo, 0, v36
	v_lshrrev_b32_e32 v75, 24, v21
	v_bfe_u32 v21, v21, 16, 8
	v_and_b32_e32 v79, 0xff, v22
	v_mul_i32_i24_e32 v43, v78, v43
	v_sub_nc_u32_e32 v64, 0, v18
	v_sub_nc_u32_e32 v78, 0, v10
	v_cndmask_b32_e64 v40, v77, v40, s1
	v_add3_u32 v9, v20, v17, v9
	v_cndmask_b32_e32 v14, v14, v28, vcc_lo
	v_cmp_gt_u32_e64 s0, 64, v29
	v_bfe_u32 v80, v22, 8, 8
	v_mul_i32_i24_e32 v21, v21, v44
	v_mul_i32_i24_e32 v11, v75, v11
	;; [unrolled: 1-line block ×3, first 2 shown]
	v_sub_nc_u32_e32 v32, 0, v42
	v_sub_nc_u32_e32 v79, 0, v43
	v_cndmask_b32_e64 v17, v64, v18, s0
	v_cndmask_b32_e64 v10, v10, v78, s2
	v_add3_u32 v9, v9, v39, v40
	v_cmp_eq_u16_e64 s0, 0, v65
	v_lshrrev_b32_e32 v76, 24, v22
	v_bfe_u32 v22, v22, 16, 8
	v_lshrrev_b32_e32 v81, 24, v23
	v_and_b32_e32 v71, 32, v33
	v_mul_i32_i24_e32 v45, v80, v46
	v_sub_nc_u32_e32 v66, 0, v21
	v_sub_nc_u32_e32 v80, 0, v11
	v_cndmask_b32_e64 v20, v32, v42, s0
	v_cndmask_b32_e64 v29, v79, v43, s3
	v_add3_u32 v9, v9, v17, v10
	v_cmp_eq_u16_e64 s0, 0, v67
	v_and_b32_e32 v83, 0xff, v23
	v_bfe_u32 v84, v23, 8, 8
	v_mul_i32_i24_e32 v22, v22, v47
	v_mul_i32_i24_e32 v12, v76, v12
	;; [unrolled: 1-line block ×3, first 2 shown]
	v_sub_nc_u32_e32 v68, 0, v44
	v_sub_nc_u32_e32 v81, 0, v45
	v_cmp_eq_u16_e64 s5, 0, v71
	v_cndmask_b32_e64 v17, v66, v21, s0
	v_cndmask_b32_e64 v11, v80, v11, s4
	v_add3_u32 v9, v9, v20, v29
	v_cmp_eq_u16_e64 s1, 0, v93
	v_bfe_u32 v23, v23, 16, 8
	v_mul_i32_i24_e32 v46, v83, v48
	v_and_b32_e32 v47, 1, v36
	v_mul_i32_i24_e32 v48, v84, v49
	v_and_b32_e32 v49, 2, v36
	v_sub_nc_u32_e32 v71, 0, v22
	v_sub_nc_u32_e32 v82, 0, v12
	v_cndmask_b32_e64 v20, v68, v44, s1
	v_cndmask_b32_e64 v21, v81, v45, s5
	v_add3_u32 v9, v9, v17, v11
	v_cmp_gt_u32_e64 s1, 64, v30
	v_mul_i32_i24_e32 v23, v23, v50
	v_and_b32_e32 v50, 4, v36
	v_and_b32_e32 v70, 8, v36
	v_sub_nc_u32_e32 v33, 0, v46
	v_sub_nc_u32_e32 v83, 0, v48
	v_cmp_eq_u16_e64 s7, 0, v49
	v_cndmask_b32_e64 v17, v71, v22, s1
	v_cndmask_b32_e64 v12, v12, v82, s6
	v_add3_u32 v9, v9, v20, v21
	v_cmp_eq_u16_e64 s1, 0, v47
	v_mul_i32_i24_e32 v51, v85, v51
	v_and_b32_e32 v75, 16, v36
	v_mul_i32_i24_e32 v52, v86, v52
	v_and_b32_e32 v76, 32, v36
	v_sub_nc_u32_e32 v49, 0, v23
	v_sub_nc_u32_e32 v84, 0, v13
	v_cmp_eq_u16_e64 s8, 0, v70
	v_cndmask_b32_e64 v21, v33, v46, s1
	v_cndmask_b32_e64 v22, v83, v48, s7
	v_add3_u32 v9, v9, v17, v12
	v_cmp_eq_u16_e64 s2, 0, v50
	v_sub_nc_u32_e32 v70, 0, v51
	v_sub_nc_u32_e32 v85, 0, v52
	v_cmp_eq_u16_e64 s9, 0, v76
	v_cndmask_b32_e64 v13, v84, v13, s8
	v_cndmask_b32_e64 v12, v49, v23, s2
	v_add3_u32 v9, v9, v21, v22
	v_cmp_eq_u16_e64 s2, 0, v75
	v_and_b32_e32 v72, 1, v34
	v_and_b32_e32 v38, 2, v34
	v_sub_nc_u32_e32 v37, 0, v24
	v_cndmask_b32_e64 v22, v85, v52, s9
	v_cndmask_b32_e64 v21, v70, v51, s2
	v_add3_u32 v9, v9, v12, v13
	v_cmp_gt_u32_e64 s2, 64, v35
	v_and_b32_e32 v69, 4, v34
	v_and_b32_e32 v73, 8, v34
	v_mul_i32_i24_e32 v15, v87, v15
	v_sub_nc_u32_e32 v18, 0, v53
	v_sub_nc_u32_e32 v10, 0, v54
	v_cmp_eq_u16_e64 s0, 0, v38
	v_cndmask_b32_e64 v13, v37, v24, s2
	v_add3_u32 v9, v9, v21, v22
	v_cmp_eq_u16_e64 s2, 0, v72
	v_and_b32_e32 v74, 16, v34
	v_and_b32_e32 v41, 32, v34
	v_sub_nc_u32_e32 v11, 0, v25
	v_sub_nc_u32_e32 v20, 0, v15
	v_cmp_eq_u16_e64 s1, 0, v73
	v_cndmask_b32_e64 v18, v18, v53, s2
	v_cndmask_b32_e64 v10, v10, v54, s0
	v_add3_u32 v9, v9, v13, v14
	v_cmp_eq_u16_e64 s0, 0, v69
	v_mul_i32_i24_e32 v16, v88, v16
	v_sub_nc_u32_e32 v17, 0, v55
	v_sub_nc_u32_e32 v12, 0, v56
	v_cmp_eq_u16_e32 vcc_lo, 0, v41
	v_cndmask_b32_e64 v11, v11, v25, s0
	v_cndmask_b32_e64 v14, v20, v15, s1
	v_add3_u32 v9, v9, v18, v10
	v_cmp_eq_u16_e64 s0, 0, v74
	v_sub_nc_u32_e32 v13, 0, v26
	v_sub_nc_u32_e32 v10, 0, v16
	v_cndmask_b32_e32 v12, v12, v56, vcc_lo
	v_add3_u32 v9, v9, v11, v14
	v_cndmask_b32_e64 v15, v17, v55, s0
	v_cmp_gt_i16_e32 vcc_lo, 0, v34
	v_cmp_gt_u32_e64 s0, 64, v31
	s_waitcnt vmcnt(0)
	v_cvt_f32_f16_e32 v19, v19
	v_add3_u32 v9, v9, v15, v12
	v_cndmask_b32_e32 v10, v16, v10, vcc_lo
	v_cndmask_b32_e64 v11, v13, v26, s0
	s_delay_alu instid0(VALU_DEP_4) | instskip(SKIP_1) | instid1(VALU_DEP_3)
	v_mul_f32_e32 v12, v27, v19
	v_cmp_le_u32_e32 vcc_lo, s17, v4
	v_add3_u32 v9, v9, v11, v10
	s_delay_alu instid0(VALU_DEP_3) | instskip(SKIP_1) | instid1(VALU_DEP_2)
	v_mul_f32_e32 v10, 0x3e800000, v12
	s_or_b32 s13, vcc_lo, s13
	v_cvt_f32_i32_e32 v9, v9
	s_delay_alu instid0(VALU_DEP_1)
	v_fmac_f32_e32 v5, v10, v9
	s_and_not1_b32 exec_lo, exec_lo, s13
	s_cbranch_execnz .LBB247_3
; %bb.4:
	s_or_b32 exec_lo, exec_lo, s13
.LBB247_5:
	s_delay_alu instid0(SALU_CYCLE_1) | instskip(SKIP_1) | instid1(VALU_DEP_1)
	s_or_b32 exec_lo, exec_lo, s11
	v_mbcnt_lo_u32_b32 v2, -1, 0
	v_xor_b32_e32 v3, 16, v2
	v_xor_b32_e32 v4, 8, v2
	s_delay_alu instid0(VALU_DEP_2) | instskip(SKIP_1) | instid1(VALU_DEP_3)
	v_cmp_gt_i32_e32 vcc_lo, 32, v3
	v_cndmask_b32_e32 v3, v2, v3, vcc_lo
	v_cmp_gt_i32_e32 vcc_lo, 32, v4
	v_cndmask_b32_e32 v4, v2, v4, vcc_lo
	s_delay_alu instid0(VALU_DEP_1) | instskip(NEXT) | instid1(VALU_DEP_4)
	v_lshlrev_b32_e32 v4, 2, v4
	v_lshlrev_b32_e32 v3, 2, v3
	ds_bpermute_b32 v3, v3, v5
	s_waitcnt lgkmcnt(0)
	v_add_f32_e32 v3, v5, v3
	v_xor_b32_e32 v5, 4, v2
	ds_bpermute_b32 v4, v4, v3
	v_cmp_gt_i32_e32 vcc_lo, 32, v5
	v_cndmask_b32_e32 v5, v2, v5, vcc_lo
	s_delay_alu instid0(VALU_DEP_1) | instskip(SKIP_4) | instid1(VALU_DEP_1)
	v_lshlrev_b32_e32 v5, 2, v5
	s_waitcnt lgkmcnt(0)
	v_add_f32_e32 v3, v3, v4
	ds_bpermute_b32 v4, v5, v3
	v_xor_b32_e32 v5, 2, v2
	v_cmp_gt_i32_e32 vcc_lo, 32, v5
	v_cndmask_b32_e32 v5, v2, v5, vcc_lo
	s_delay_alu instid0(VALU_DEP_1) | instskip(SKIP_4) | instid1(VALU_DEP_1)
	v_lshlrev_b32_e32 v5, 2, v5
	s_waitcnt lgkmcnt(0)
	v_add_f32_e32 v3, v3, v4
	ds_bpermute_b32 v4, v5, v3
	v_xor_b32_e32 v5, 1, v2
	v_cmp_gt_i32_e32 vcc_lo, 32, v5
	v_cndmask_b32_e32 v5, v2, v5, vcc_lo
	v_cmp_eq_u32_e32 vcc_lo, 0, v0
	s_waitcnt lgkmcnt(0)
	s_delay_alu instid0(VALU_DEP_2)
	v_dual_add_f32 v2, v3, v4 :: v_dual_lshlrev_b32 v3, 2, v5
	ds_bpermute_b32 v3, v3, v2
	s_and_b32 exec_lo, exec_lo, vcc_lo
	s_cbranch_execz .LBB247_7
; %bb.6:
	v_mad_u64_u32 v[4:5], null, s12, s18, v[1:2]
	s_waitcnt lgkmcnt(0)
	v_dual_mov_b32 v5, 0 :: v_dual_add_f32 v2, v2, v3
	s_delay_alu instid0(VALU_DEP_1) | instskip(NEXT) | instid1(VALU_DEP_1)
	v_lshlrev_b64 v[0:1], 2, v[4:5]
	v_add_co_u32 v0, vcc_lo, s14, v0
	s_delay_alu instid0(VALU_DEP_2)
	v_add_co_ci_u32_e32 v1, vcc_lo, s15, v1, vcc_lo
	global_store_b32 v[0:1], v2, off
.LBB247_7:
	s_nop 0
	s_sendmsg sendmsg(MSG_DEALLOC_VGPRS)
	s_endpgm
	.section	.rodata,"a",@progbits
	.p2align	6, 0x0
	.amdhsa_kernel _ZL9moe_vec_qIfLi256ELi8E13block_iq2_xxsLi1EXadL_ZL20vec_dot_iq2_xxs_q8_1PKvPK10block_q8_1RKiEEEvS2_S2_PT_PS6_iiii
		.amdhsa_group_segment_fixed_size 0
		.amdhsa_private_segment_fixed_size 0
		.amdhsa_kernarg_size 304
		.amdhsa_user_sgpr_count 14
		.amdhsa_user_sgpr_dispatch_ptr 0
		.amdhsa_user_sgpr_queue_ptr 0
		.amdhsa_user_sgpr_kernarg_segment_ptr 1
		.amdhsa_user_sgpr_dispatch_id 0
		.amdhsa_user_sgpr_private_segment_size 0
		.amdhsa_wavefront_size32 1
		.amdhsa_uses_dynamic_stack 0
		.amdhsa_enable_private_segment 0
		.amdhsa_system_sgpr_workgroup_id_x 1
		.amdhsa_system_sgpr_workgroup_id_y 0
		.amdhsa_system_sgpr_workgroup_id_z 1
		.amdhsa_system_sgpr_workgroup_info 0
		.amdhsa_system_vgpr_workitem_id 1
		.amdhsa_next_free_vgpr 94
		.amdhsa_next_free_sgpr 22
		.amdhsa_reserve_vcc 1
		.amdhsa_float_round_mode_32 0
		.amdhsa_float_round_mode_16_64 0
		.amdhsa_float_denorm_mode_32 3
		.amdhsa_float_denorm_mode_16_64 3
		.amdhsa_dx10_clamp 1
		.amdhsa_ieee_mode 1
		.amdhsa_fp16_overflow 0
		.amdhsa_workgroup_processor_mode 1
		.amdhsa_memory_ordered 1
		.amdhsa_forward_progress 0
		.amdhsa_shared_vgpr_count 0
		.amdhsa_exception_fp_ieee_invalid_op 0
		.amdhsa_exception_fp_denorm_src 0
		.amdhsa_exception_fp_ieee_div_zero 0
		.amdhsa_exception_fp_ieee_overflow 0
		.amdhsa_exception_fp_ieee_underflow 0
		.amdhsa_exception_fp_ieee_inexact 0
		.amdhsa_exception_int_div_zero 0
	.end_amdhsa_kernel
	.section	.text._ZL9moe_vec_qIfLi256ELi8E13block_iq2_xxsLi1EXadL_ZL20vec_dot_iq2_xxs_q8_1PKvPK10block_q8_1RKiEEEvS2_S2_PT_PS6_iiii,"axG",@progbits,_ZL9moe_vec_qIfLi256ELi8E13block_iq2_xxsLi1EXadL_ZL20vec_dot_iq2_xxs_q8_1PKvPK10block_q8_1RKiEEEvS2_S2_PT_PS6_iiii,comdat
.Lfunc_end247:
	.size	_ZL9moe_vec_qIfLi256ELi8E13block_iq2_xxsLi1EXadL_ZL20vec_dot_iq2_xxs_q8_1PKvPK10block_q8_1RKiEEEvS2_S2_PT_PS6_iiii, .Lfunc_end247-_ZL9moe_vec_qIfLi256ELi8E13block_iq2_xxsLi1EXadL_ZL20vec_dot_iq2_xxs_q8_1PKvPK10block_q8_1RKiEEEvS2_S2_PT_PS6_iiii
                                        ; -- End function
	.section	.AMDGPU.csdata,"",@progbits
; Kernel info:
; codeLenInByte = 2480
; NumSgprs: 24
; NumVgprs: 94
; ScratchSize: 0
; MemoryBound: 0
; FloatMode: 240
; IeeeMode: 1
; LDSByteSize: 0 bytes/workgroup (compile time only)
; SGPRBlocks: 2
; VGPRBlocks: 11
; NumSGPRsForWavesPerEU: 24
; NumVGPRsForWavesPerEU: 94
; Occupancy: 16
; WaveLimiterHint : 1
; COMPUTE_PGM_RSRC2:SCRATCH_EN: 0
; COMPUTE_PGM_RSRC2:USER_SGPR: 14
; COMPUTE_PGM_RSRC2:TRAP_HANDLER: 0
; COMPUTE_PGM_RSRC2:TGID_X_EN: 1
; COMPUTE_PGM_RSRC2:TGID_Y_EN: 0
; COMPUTE_PGM_RSRC2:TGID_Z_EN: 1
; COMPUTE_PGM_RSRC2:TIDIG_COMP_CNT: 1
	.section	.text._ZL9moe_vec_qIfLi256ELi8E12block_iq2_xsLi1EXadL_ZL19vec_dot_iq2_xs_q8_1PKvPK10block_q8_1RKiEEEvS2_S2_PT_PS6_iiii,"axG",@progbits,_ZL9moe_vec_qIfLi256ELi8E12block_iq2_xsLi1EXadL_ZL19vec_dot_iq2_xs_q8_1PKvPK10block_q8_1RKiEEEvS2_S2_PT_PS6_iiii,comdat
	.globl	_ZL9moe_vec_qIfLi256ELi8E12block_iq2_xsLi1EXadL_ZL19vec_dot_iq2_xs_q8_1PKvPK10block_q8_1RKiEEEvS2_S2_PT_PS6_iiii ; -- Begin function _ZL9moe_vec_qIfLi256ELi8E12block_iq2_xsLi1EXadL_ZL19vec_dot_iq2_xs_q8_1PKvPK10block_q8_1RKiEEEvS2_S2_PT_PS6_iiii
	.p2align	8
	.type	_ZL9moe_vec_qIfLi256ELi8E12block_iq2_xsLi1EXadL_ZL19vec_dot_iq2_xs_q8_1PKvPK10block_q8_1RKiEEEvS2_S2_PT_PS6_iiii,@function
_ZL9moe_vec_qIfLi256ELi8E12block_iq2_xsLi1EXadL_ZL19vec_dot_iq2_xs_q8_1PKvPK10block_q8_1RKiEEEvS2_S2_PT_PS6_iiii: ; @_ZL9moe_vec_qIfLi256ELi8E12block_iq2_xsLi1EXadL_ZL19vec_dot_iq2_xs_q8_1PKvPK10block_q8_1RKiEEEvS2_S2_PT_PS6_iiii
; %bb.0:
	s_clause 0x1
	s_load_b32 s2, s[0:1], 0x3c
	s_load_b128 s[28:31], s[0:1], 0x20
	v_bfe_u32 v3, v0, 10, 10
	s_waitcnt lgkmcnt(0)
	s_lshr_b32 s2, s2, 16
	s_delay_alu instid0(VALU_DEP_1) | instid1(SALU_CYCLE_1)
	v_mad_u64_u32 v[1:2], null, s14, s2, v[3:4]
	s_mov_b32 s2, exec_lo
	s_delay_alu instid0(VALU_DEP_1)
	v_cmpx_gt_u32_e64 s30, v1
	s_cbranch_execz .LBB248_7
; %bb.1:
	s_load_b64 s[36:37], s[0:1], 0x10
	v_dual_mov_b32 v7, 0 :: v_dual_and_b32 v0, 0x3ff, v0
	s_ashr_i32 s2, s29, 31
	s_mov_b32 s34, s15
	s_lshr_b32 s2, s2, 24
	s_delay_alu instid0(VALU_DEP_1)
	v_lshrrev_b32_e32 v6, 3, v0
	s_add_i32 s2, s29, s2
	s_mov_b32 s33, exec_lo
	s_ashr_i32 s40, s2, 8
	s_delay_alu instid0(VALU_DEP_1) | instid1(SALU_CYCLE_1)
	v_cmpx_gt_u32_e64 s40, v6
	s_cbranch_execz .LBB248_5
; %bb.2:
	s_load_b64 s[2:3], s[0:1], 0x18
	s_mov_b32 s35, 0
	v_cvt_f32_u32_e32 v2, s28
	s_lshl_b64 s[4:5], s[34:35], 2
	v_and_b32_e32 v8, 7, v0
	v_mul_lo_u32 v9, v1, s40
	v_lshlrev_b32_e32 v10, 3, v6
	v_rcp_iflag_f32_e32 v2, v2
	s_delay_alu instid0(VALU_DEP_3)
	v_dual_mov_b32 v7, 0 :: v_dual_lshlrev_b32 v4, 2, v8
	s_waitcnt_depctr 0xfff
	v_dual_mul_f32 v2, 0x4f7ffffe, v2 :: v_dual_lshlrev_b32 v11, 1, v4
	s_waitcnt lgkmcnt(0)
	s_add_u32 s2, s2, s4
	s_addc_u32 s3, s3, s5
	s_delay_alu instid0(VALU_DEP_1)
	v_cvt_u32_f32_e32 v2, v2
	s_load_b32 s4, s[2:3], 0x0
	s_load_b128 s[0:3], s[0:1], 0x0
	s_mul_i32 s5, s40, s30
	s_waitcnt lgkmcnt(0)
	s_mul_i32 s4, s5, s4
	v_readfirstlane_b32 s5, v2
	s_mul_i32 s6, s4, 0x4a
	s_mul_hi_i32 s4, s4, 0x4a
	s_add_u32 s38, s0, s6
	s_addc_u32 s39, s1, s4
	s_sub_i32 s0, 0, s28
	s_delay_alu instid0(SALU_CYCLE_1) | instskip(NEXT) | instid1(SALU_CYCLE_1)
	s_mul_i32 s0, s0, s5
	s_mul_hi_u32 s0, s5, s0
	s_delay_alu instid0(SALU_CYCLE_1) | instskip(NEXT) | instid1(SALU_CYCLE_1)
	s_add_i32 s5, s5, s0
	s_mul_hi_u32 s0, s34, s5
	s_delay_alu instid0(SALU_CYCLE_1) | instskip(SKIP_2) | instid1(SALU_CYCLE_1)
	s_mul_i32 s1, s0, s28
	s_add_i32 s4, s0, 1
	s_sub_i32 s1, s34, s1
	s_sub_i32 s5, s1, s28
	s_cmp_ge_u32 s1, s28
	s_cselect_b32 s0, s4, s0
	s_cselect_b32 s1, s5, s1
	s_add_i32 s4, s0, 1
	s_cmp_ge_u32 s1, s28
	s_mov_b32 s1, s35
	s_cselect_b32 s0, s4, s0
	s_delay_alu instid0(SALU_CYCLE_1) | instskip(NEXT) | instid1(SALU_CYCLE_1)
	s_mul_i32 s0, s0, s31
	s_lshl_b64 s[0:1], s[0:1], 2
	s_delay_alu instid0(SALU_CYCLE_1) | instskip(SKIP_1) | instid1(SALU_CYCLE_1)
	s_add_u32 s0, s2, s0
	s_addc_u32 s1, s3, s1
	v_mad_u64_u32 v[2:3], null, v8, 36, s[0:1]
.LBB248_3:                              ; =>This Inner Loop Header: Depth=1
	v_add_nc_u32_e32 v4, v9, v6
	s_delay_alu instid0(VALU_DEP_2)
	v_mad_i64_i32 v[22:23], null, v10, 36, v[2:3]
	s_getpc_b64 s[0:1]
	s_add_u32 s0, s0, _ZL10iq2xs_grid@rel32@lo+4
	s_addc_u32 s1, s1, _ZL10iq2xs_grid@rel32@hi+12
	s_getpc_b64 s[2:3]
	s_add_u32 s2, s2, _ZL12ksigns_iq2xs@rel32@lo+4
	s_addc_u32 s3, s3, _ZL12ksigns_iq2xs@rel32@hi+12
	v_mad_i64_i32 v[20:21], null, 0x4a, v4, s[38:39]
	v_add_nc_u32_e32 v6, 4, v6
	v_add_nc_u32_e32 v10, 32, v10
	s_delay_alu instid0(VALU_DEP_3) | instskip(NEXT) | instid1(VALU_DEP_4)
	v_add_co_u32 v4, vcc_lo, v20, v11
	v_add_co_ci_u32_e32 v5, vcc_lo, 0, v21, vcc_lo
	v_add_co_u32 v24, vcc_lo, v20, v8
	v_add_co_ci_u32_e32 v25, vcc_lo, 0, v21, vcc_lo
	global_load_b64 v[4:5], v[4:5], off offset:2
	s_clause 0x1
	global_load_b128 v[12:15], v[22:23], off offset:4
	global_load_b128 v[16:19], v[22:23], off offset:20
	s_clause 0x1
	global_load_u8 v30, v[24:25], off offset:66
	global_load_u16 v31, v[20:21], off
	s_waitcnt vmcnt(3)
	v_bfe_i32 v36, v12, 8, 8
	v_and_b32_e32 v20, 0x1ff, v4
	v_lshrrev_b32_e32 v24, 13, v4
	v_and_b32_e32 v26, 0x1ff, v5
	v_lshrrev_b32_e32 v28, 13, v5
	v_bfe_u32 v21, v4, 9, 7
	v_lshrrev_b32_e32 v25, 25, v4
	v_bfe_u32 v27, v5, 9, 7
	v_lshrrev_b32_e32 v29, 25, v5
	v_lshlrev_b32_e32 v20, 3, v20
	v_and_b32_e32 v24, 0xff8, v24
	v_lshlrev_b32_e32 v26, 3, v26
	v_and_b32_e32 v28, 0xff8, v28
	s_clause 0x3
	global_load_i8 v32, v21, s[2:3]
	global_load_i8 v33, v25, s[2:3]
	;; [unrolled: 1-line block ×4, first 2 shown]
	s_clause 0x3
	global_load_b64 v[20:21], v20, s[0:1]
	global_load_b64 v[24:25], v24, s[0:1]
	;; [unrolled: 1-line block ×4, first 2 shown]
	global_load_u16 v22, v[22:23], off
	v_bfe_i32 v38, v13, 0, 8
	v_bfe_i32 v39, v13, 8, 8
	s_waitcnt vmcnt(11)
	v_bfe_i32 v47, v16, 0, 8
	v_bfe_i32 v48, v16, 8, 8
	s_waitcnt vmcnt(10)
	v_lshrrev_b16 v59, 4, v30
	v_bfe_i32 v23, v12, 0, 8
	v_bfe_i32 v37, v12, 16, 8
	v_ashrrev_i32_e32 v12, 24, v12
	v_bfe_i32 v40, v13, 16, 8
	v_ashrrev_i32_e32 v13, 24, v13
	;; [unrolled: 2-line block ×3, first 2 shown]
	v_bfe_i32 v50, v17, 0, 8
	v_bfe_i32 v51, v17, 8, 8
	;; [unrolled: 1-line block ×4, first 2 shown]
	v_cvt_f32_ubyte0_e32 v59, v59
	v_bfe_i32 v41, v14, 0, 8
	v_bfe_i32 v42, v14, 8, 8
	;; [unrolled: 1-line block ×3, first 2 shown]
	v_ashrrev_i32_e32 v14, 24, v14
	v_bfe_i32 v44, v15, 0, 8
	v_bfe_i32 v45, v15, 8, 8
	;; [unrolled: 1-line block ×3, first 2 shown]
	v_ashrrev_i32_e32 v15, 24, v15
	v_bfe_i32 v55, v18, 16, 8
	v_bfe_i32 v52, v17, 16, 8
	v_ashrrev_i32_e32 v17, 24, v17
	v_bfe_i32 v54, v18, 8, 8
	v_bfe_i32 v57, v19, 8, 8
	;; [unrolled: 1-line block ×3, first 2 shown]
	v_lshrrev_b32_e32 v60, 16, v4
	v_cmp_gt_i16_e64 s4, 0, v4
	v_ashrrev_i32_e32 v18, 24, v18
	v_lshrrev_b32_e32 v61, 16, v5
	v_cmp_gt_i16_e64 s19, 0, v5
	v_ashrrev_i32_e32 v19, 24, v19
	v_and_b32_e32 v30, 15, v30
	s_delay_alu instid0(VALU_DEP_4)
	v_cmp_gt_i16_e64 s27, 0, v61
	s_waitcnt vmcnt(5)
	v_cmp_gt_i16_e64 s28, 0, v35
	s_waitcnt vmcnt(4)
	v_bfe_u32 v72, v20, 8, 8
	v_and_b32_e32 v73, 0xff, v21
	v_bfe_u32 v74, v21, 8, 8
	s_waitcnt vmcnt(2)
	v_and_b32_e32 v83, 0xff, v26
	v_bfe_u32 v84, v26, 8, 8
	v_and_b32_e32 v63, 2, v32
	v_and_b32_e32 v64, 4, v32
	;; [unrolled: 1-line block ×4, first 2 shown]
	v_lshrrev_b32_e32 v69, 24, v20
	v_lshrrev_b32_e32 v70, 24, v21
	v_and_b32_e32 v71, 0xff, v20
	v_bfe_u32 v20, v20, 16, 8
	v_bfe_u32 v21, v21, 16, 8
	v_lshrrev_b32_e32 v81, 24, v26
	v_bfe_u32 v26, v26, 16, 8
	v_and_b32_e32 v85, 0xff, v27
	v_bfe_u32 v86, v27, 8, 8
	s_waitcnt vmcnt(1)
	v_and_b32_e32 v89, 0xff, v28
	v_and_b32_e32 v91, 0xff, v29
	v_mul_i32_i24_e32 v36, v72, v36
	v_mul_i32_i24_e32 v38, v73, v38
	v_and_b32_e32 v73, 1, v34
	v_mul_i32_i24_e32 v39, v74, v39
	v_and_b32_e32 v74, 2, v34
	v_mul_i32_i24_e32 v47, v83, v47
	v_mul_i32_i24_e32 v48, v84, v48
	v_and_b32_e32 v62, 1, v32
	v_and_b32_e32 v68, 1, v33
	v_lshrrev_b32_e32 v75, 24, v24
	v_lshrrev_b32_e32 v76, 24, v25
	v_and_b32_e32 v77, 0xff, v24
	v_bfe_u32 v78, v24, 8, 8
	v_bfe_u32 v24, v24, 16, 8
	v_and_b32_e32 v79, 0xff, v25
	v_bfe_u32 v80, v25, 8, 8
	v_bfe_u32 v25, v25, 16, 8
	v_lshrrev_b32_e32 v87, 24, v28
	v_bfe_u32 v90, v28, 8, 8
	v_bfe_u32 v28, v28, 16, 8
	v_and_b32_e32 v93, 2, v33
	v_mul_i32_i24_e32 v23, v71, v23
	v_and_b32_e32 v71, 4, v33
	v_and_b32_e32 v72, 8, v33
	v_mul_i32_i24_e32 v20, v20, v37
	v_and_b32_e32 v37, 16, v33
	v_mul_i32_i24_e32 v12, v69, v12
	;; [unrolled: 2-line block ×5, first 2 shown]
	v_mul_i32_i24_e32 v16, v81, v16
	v_mul_i32_i24_e32 v49, v85, v50
	;; [unrolled: 1-line block ×5, first 2 shown]
	v_sub_nc_u32_e32 v56, 0, v36
	v_cmp_eq_u16_e32 vcc_lo, 0, v63
	v_cmp_eq_u16_e64 s0, 0, v64
	v_sub_nc_u32_e32 v63, 0, v38
	v_cmp_eq_u16_e64 s2, 0, v66
	v_sub_nc_u32_e32 v64, 0, v39
	v_cmp_eq_u16_e64 s3, 0, v67
	v_cmp_gt_i16_e64 s12, 0, v33
	v_sub_nc_u32_e32 v33, 0, v47
	v_cmp_eq_u16_e64 s13, 0, v73
	v_sub_nc_u32_e32 v73, 0, v48
	v_cmp_eq_u16_e64 s14, 0, v74
	s_waitcnt vmcnt(0)
	v_cvt_f32_f16_e32 v22, v22
	v_and_b32_e32 v65, 8, v32
	v_lshrrev_b32_e32 v82, 24, v27
	v_bfe_u32 v27, v27, 16, 8
	v_lshrrev_b32_e32 v88, 24, v29
	v_bfe_u32 v92, v29, 8, 8
	v_bfe_u32 v29, v29, 16, 8
	v_mul_i32_i24_e32 v41, v77, v41
	v_and_b32_e32 v77, 16, v34
	v_mul_i32_i24_e32 v42, v78, v42
	v_and_b32_e32 v78, 32, v34
	;; [unrolled: 2-line block ×8, first 2 shown]
	v_mul_i32_i24_e32 v28, v28, v55
	v_sub_nc_u32_e32 v55, 0, v23
	v_sub_nc_u32_e32 v4, 0, v13
	v_cmp_gt_i16_e64 s5, 0, v32
	v_sub_nc_u32_e32 v74, 0, v26
	v_cmp_eq_u16_e64 s15, 0, v40
	v_sub_nc_u32_e32 v40, 0, v16
	v_cmp_eq_u16_e64 s16, 0, v70
	v_cmp_eq_u16_e64 s29, 0, v62
	v_cndmask_b32_e32 v35, v56, v36, vcc_lo
	v_cndmask_b32_e64 v36, v63, v38, s2
	v_cndmask_b32_e64 v38, v64, v39, s3
	;; [unrolled: 1-line block ×4, first 2 shown]
	v_mul_i32_i24_e32 v27, v27, v52
	v_mul_i32_i24_e32 v17, v82, v17
	;; [unrolled: 1-line block ×5, first 2 shown]
	v_sub_nc_u32_e32 v57, 0, v20
	v_sub_nc_u32_e32 v58, 0, v12
	v_cmp_eq_u16_e64 s1, 0, v65
	v_sub_nc_u32_e32 v70, 0, v49
	v_cmp_eq_u16_e64 s17, 0, v77
	;; [unrolled: 2-line block ×3, first 2 shown]
	v_cndmask_b32_e64 v23, v55, v23, s29
	v_cndmask_b32_e64 v4, v13, v4, s5
	;; [unrolled: 1-line block ×4, first 2 shown]
	v_add_nc_u32_e32 v26, v39, v33
	v_sub_nc_u32_e32 v78, 0, v27
	v_sub_nc_u32_e32 v5, 0, v17
	v_cmp_gt_i16_e64 s20, 0, v34
	v_cndmask_b32_e64 v20, v57, v20, s0
	v_cndmask_b32_e64 v12, v58, v12, s1
	;; [unrolled: 1-line block ×4, first 2 shown]
	v_add_nc_u32_e32 v23, v35, v23
	v_add3_u32 v13, v26, v13, v16
	v_mul_i32_i24_e32 v18, v87, v18
	v_sub_nc_u32_e32 v65, 0, v21
	v_sub_nc_u32_e32 v34, 0, v51
	v_cmp_eq_u16_e64 s21, 0, v43
	v_sub_nc_u32_e32 v43, 0, v52
	v_cmp_eq_u16_e64 s22, 0, v75
	v_cndmask_b32_e64 v26, v27, v78, s19
	v_cndmask_b32_e64 v5, v17, v5, s20
	v_add3_u32 v12, v23, v20, v12
	v_add3_u32 v13, v13, v33, v39
	v_sub_nc_u32_e32 v32, 0, v41
	v_cmp_eq_u16_e64 s6, 0, v68
	v_sub_nc_u32_e32 v66, 0, v42
	v_cmp_eq_u16_e64 s7, 0, v93
	;; [unrolled: 2-line block ×5, first 2 shown]
	v_cndmask_b32_e64 v21, v21, v65, s4
	v_cndmask_b32_e64 v20, v34, v51, s21
	;; [unrolled: 1-line block ×3, first 2 shown]
	v_add3_u32 v12, v12, v36, v38
	v_add3_u32 v5, v13, v26, v5
	v_mul_i32_i24_e32 v19, v88, v19
	v_sub_nc_u32_e32 v67, 0, v24
	v_cmp_eq_u16_e64 s8, 0, v71
	v_sub_nc_u32_e32 v80, 0, v53
	v_cmp_eq_u16_e64 s25, 0, v46
	;; [unrolled: 2-line block ×3, first 2 shown]
	v_cndmask_b32_e64 v32, v32, v41, s6
	v_cndmask_b32_e64 v16, v66, v42, s7
	;; [unrolled: 1-line block ×5, first 2 shown]
	v_add3_u32 v4, v12, v21, v4
	v_add3_u32 v5, v5, v20, v23
	v_sub_nc_u32_e32 v71, 0, v44
	v_cmp_eq_u16_e64 s10, 0, v37
	v_sub_nc_u32_e32 v37, 0, v45
	v_cmp_eq_u16_e64 s11, 0, v69
	v_sub_nc_u32_e32 v76, 0, v29
	v_sub_nc_u32_e32 v61, 0, v19
	v_cndmask_b32_e64 v17, v67, v24, s8
	v_cndmask_b32_e64 v20, v80, v53, s25
	;; [unrolled: 1-line block ×3, first 2 shown]
	v_add3_u32 v4, v4, v32, v16
	v_add3_u32 v5, v5, v14, v18
	v_sub_nc_u32_e32 v69, 0, v25
	v_sub_nc_u32_e32 v72, 0, v15
	v_cndmask_b32_e64 v12, v71, v44, s10
	v_cndmask_b32_e64 v14, v37, v45, s11
	;; [unrolled: 1-line block ×4, first 2 shown]
	v_add3_u32 v4, v4, v17, v13
	v_add3_u32 v5, v5, v20, v21
	v_cmp_gt_i16_e32 vcc_lo, 0, v60
	v_cndmask_b32_e64 v15, v15, v72, s12
	s_delay_alu instid0(VALU_DEP_4) | instskip(NEXT) | instid1(VALU_DEP_4)
	v_add3_u32 v4, v4, v12, v14
	v_add3_u32 v5, v5, v16, v18
	v_cndmask_b32_e32 v13, v25, v69, vcc_lo
	v_cvt_f32_f16_e32 v12, v31
	v_cvt_f32_ubyte0_e32 v14, v30
	v_add_f32_e32 v16, 0.5, v59
	v_cvt_f32_i32_e32 v5, v5
	v_add3_u32 v4, v4, v13, v15
	v_mul_f32_e32 v12, v12, v22
	v_add_f32_e32 v13, 0.5, v14
	v_cmp_le_u32_e32 vcc_lo, s40, v6
	v_mul_f32_e32 v5, v16, v5
	v_cvt_f32_i32_e32 v4, v4
	v_mul_f32_e32 v12, 0x3e800000, v12
	s_or_b32 s35, vcc_lo, s35
	s_delay_alu instid0(VALU_DEP_2) | instskip(NEXT) | instid1(VALU_DEP_1)
	v_fmac_f32_e32 v5, v13, v4
	v_fmac_f32_e32 v7, v12, v5
	s_and_not1_b32 exec_lo, exec_lo, s35
	s_cbranch_execnz .LBB248_3
; %bb.4:
	s_or_b32 exec_lo, exec_lo, s35
.LBB248_5:
	s_delay_alu instid0(SALU_CYCLE_1) | instskip(SKIP_1) | instid1(VALU_DEP_1)
	s_or_b32 exec_lo, exec_lo, s33
	v_mbcnt_lo_u32_b32 v2, -1, 0
	v_xor_b32_e32 v3, 16, v2
	v_xor_b32_e32 v4, 8, v2
	;; [unrolled: 1-line block ×3, first 2 shown]
	s_delay_alu instid0(VALU_DEP_3) | instskip(SKIP_1) | instid1(VALU_DEP_4)
	v_cmp_gt_i32_e32 vcc_lo, 32, v3
	v_cndmask_b32_e32 v3, v2, v3, vcc_lo
	v_cmp_gt_i32_e32 vcc_lo, 32, v4
	v_cndmask_b32_e32 v4, v2, v4, vcc_lo
	v_cmp_gt_i32_e32 vcc_lo, 32, v5
	s_delay_alu instid0(VALU_DEP_2)
	v_lshlrev_b32_e32 v4, 2, v4
	v_lshlrev_b32_e32 v3, 2, v3
	v_cndmask_b32_e32 v5, v2, v5, vcc_lo
	ds_bpermute_b32 v3, v3, v7
	v_lshlrev_b32_e32 v5, 2, v5
	s_waitcnt lgkmcnt(0)
	v_add_f32_e32 v3, v7, v3
	ds_bpermute_b32 v4, v4, v3
	s_waitcnt lgkmcnt(0)
	v_add_f32_e32 v3, v3, v4
	ds_bpermute_b32 v4, v5, v3
	v_xor_b32_e32 v5, 2, v2
	s_delay_alu instid0(VALU_DEP_1) | instskip(SKIP_1) | instid1(VALU_DEP_1)
	v_cmp_gt_i32_e32 vcc_lo, 32, v5
	v_cndmask_b32_e32 v5, v2, v5, vcc_lo
	v_lshlrev_b32_e32 v5, 2, v5
	s_waitcnt lgkmcnt(0)
	v_add_f32_e32 v3, v3, v4
	ds_bpermute_b32 v4, v5, v3
	v_xor_b32_e32 v5, 1, v2
	s_delay_alu instid0(VALU_DEP_1) | instskip(SKIP_3) | instid1(VALU_DEP_2)
	v_cmp_gt_i32_e32 vcc_lo, 32, v5
	v_cndmask_b32_e32 v5, v2, v5, vcc_lo
	v_cmp_eq_u32_e32 vcc_lo, 0, v0
	s_waitcnt lgkmcnt(0)
	v_dual_add_f32 v2, v3, v4 :: v_dual_lshlrev_b32 v3, 2, v5
	ds_bpermute_b32 v3, v3, v2
	s_and_b32 exec_lo, exec_lo, vcc_lo
	s_cbranch_execz .LBB248_7
; %bb.6:
	v_mad_u64_u32 v[4:5], null, s34, s30, v[1:2]
	s_waitcnt lgkmcnt(0)
	v_dual_mov_b32 v5, 0 :: v_dual_add_f32 v2, v2, v3
	s_delay_alu instid0(VALU_DEP_1) | instskip(NEXT) | instid1(VALU_DEP_1)
	v_lshlrev_b64 v[0:1], 2, v[4:5]
	v_add_co_u32 v0, vcc_lo, s36, v0
	s_delay_alu instid0(VALU_DEP_2)
	v_add_co_ci_u32_e32 v1, vcc_lo, s37, v1, vcc_lo
	global_store_b32 v[0:1], v2, off
.LBB248_7:
	s_nop 0
	s_sendmsg sendmsg(MSG_DEALLOC_VGPRS)
	s_endpgm
	.section	.rodata,"a",@progbits
	.p2align	6, 0x0
	.amdhsa_kernel _ZL9moe_vec_qIfLi256ELi8E12block_iq2_xsLi1EXadL_ZL19vec_dot_iq2_xs_q8_1PKvPK10block_q8_1RKiEEEvS2_S2_PT_PS6_iiii
		.amdhsa_group_segment_fixed_size 0
		.amdhsa_private_segment_fixed_size 0
		.amdhsa_kernarg_size 304
		.amdhsa_user_sgpr_count 14
		.amdhsa_user_sgpr_dispatch_ptr 0
		.amdhsa_user_sgpr_queue_ptr 0
		.amdhsa_user_sgpr_kernarg_segment_ptr 1
		.amdhsa_user_sgpr_dispatch_id 0
		.amdhsa_user_sgpr_private_segment_size 0
		.amdhsa_wavefront_size32 1
		.amdhsa_uses_dynamic_stack 0
		.amdhsa_enable_private_segment 0
		.amdhsa_system_sgpr_workgroup_id_x 1
		.amdhsa_system_sgpr_workgroup_id_y 0
		.amdhsa_system_sgpr_workgroup_id_z 1
		.amdhsa_system_sgpr_workgroup_info 0
		.amdhsa_system_vgpr_workitem_id 1
		.amdhsa_next_free_vgpr 94
		.amdhsa_next_free_sgpr 41
		.amdhsa_reserve_vcc 1
		.amdhsa_float_round_mode_32 0
		.amdhsa_float_round_mode_16_64 0
		.amdhsa_float_denorm_mode_32 3
		.amdhsa_float_denorm_mode_16_64 3
		.amdhsa_dx10_clamp 1
		.amdhsa_ieee_mode 1
		.amdhsa_fp16_overflow 0
		.amdhsa_workgroup_processor_mode 1
		.amdhsa_memory_ordered 1
		.amdhsa_forward_progress 0
		.amdhsa_shared_vgpr_count 0
		.amdhsa_exception_fp_ieee_invalid_op 0
		.amdhsa_exception_fp_denorm_src 0
		.amdhsa_exception_fp_ieee_div_zero 0
		.amdhsa_exception_fp_ieee_overflow 0
		.amdhsa_exception_fp_ieee_underflow 0
		.amdhsa_exception_fp_ieee_inexact 0
		.amdhsa_exception_int_div_zero 0
	.end_amdhsa_kernel
	.section	.text._ZL9moe_vec_qIfLi256ELi8E12block_iq2_xsLi1EXadL_ZL19vec_dot_iq2_xs_q8_1PKvPK10block_q8_1RKiEEEvS2_S2_PT_PS6_iiii,"axG",@progbits,_ZL9moe_vec_qIfLi256ELi8E12block_iq2_xsLi1EXadL_ZL19vec_dot_iq2_xs_q8_1PKvPK10block_q8_1RKiEEEvS2_S2_PT_PS6_iiii,comdat
.Lfunc_end248:
	.size	_ZL9moe_vec_qIfLi256ELi8E12block_iq2_xsLi1EXadL_ZL19vec_dot_iq2_xs_q8_1PKvPK10block_q8_1RKiEEEvS2_S2_PT_PS6_iiii, .Lfunc_end248-_ZL9moe_vec_qIfLi256ELi8E12block_iq2_xsLi1EXadL_ZL19vec_dot_iq2_xs_q8_1PKvPK10block_q8_1RKiEEEvS2_S2_PT_PS6_iiii
                                        ; -- End function
	.section	.AMDGPU.csdata,"",@progbits
; Kernel info:
; codeLenInByte = 2512
; NumSgprs: 43
; NumVgprs: 94
; ScratchSize: 0
; MemoryBound: 0
; FloatMode: 240
; IeeeMode: 1
; LDSByteSize: 0 bytes/workgroup (compile time only)
; SGPRBlocks: 5
; VGPRBlocks: 11
; NumSGPRsForWavesPerEU: 43
; NumVGPRsForWavesPerEU: 94
; Occupancy: 16
; WaveLimiterHint : 1
; COMPUTE_PGM_RSRC2:SCRATCH_EN: 0
; COMPUTE_PGM_RSRC2:USER_SGPR: 14
; COMPUTE_PGM_RSRC2:TRAP_HANDLER: 0
; COMPUTE_PGM_RSRC2:TGID_X_EN: 1
; COMPUTE_PGM_RSRC2:TGID_Y_EN: 0
; COMPUTE_PGM_RSRC2:TGID_Z_EN: 1
; COMPUTE_PGM_RSRC2:TIDIG_COMP_CNT: 1
	.section	.text._ZL9moe_vec_qIfLi256ELi8E13block_iq3_xxsLi1EXadL_ZL20vec_dot_iq3_xxs_q8_1PKvPK10block_q8_1RKiEEEvS2_S2_PT_PS6_iiii,"axG",@progbits,_ZL9moe_vec_qIfLi256ELi8E13block_iq3_xxsLi1EXadL_ZL20vec_dot_iq3_xxs_q8_1PKvPK10block_q8_1RKiEEEvS2_S2_PT_PS6_iiii,comdat
	.globl	_ZL9moe_vec_qIfLi256ELi8E13block_iq3_xxsLi1EXadL_ZL20vec_dot_iq3_xxs_q8_1PKvPK10block_q8_1RKiEEEvS2_S2_PT_PS6_iiii ; -- Begin function _ZL9moe_vec_qIfLi256ELi8E13block_iq3_xxsLi1EXadL_ZL20vec_dot_iq3_xxs_q8_1PKvPK10block_q8_1RKiEEEvS2_S2_PT_PS6_iiii
	.p2align	8
	.type	_ZL9moe_vec_qIfLi256ELi8E13block_iq3_xxsLi1EXadL_ZL20vec_dot_iq3_xxs_q8_1PKvPK10block_q8_1RKiEEEvS2_S2_PT_PS6_iiii,@function
_ZL9moe_vec_qIfLi256ELi8E13block_iq3_xxsLi1EXadL_ZL20vec_dot_iq3_xxs_q8_1PKvPK10block_q8_1RKiEEEvS2_S2_PT_PS6_iiii: ; @_ZL9moe_vec_qIfLi256ELi8E13block_iq3_xxsLi1EXadL_ZL20vec_dot_iq3_xxs_q8_1PKvPK10block_q8_1RKiEEEvS2_S2_PT_PS6_iiii
; %bb.0:
	s_clause 0x1
	s_load_b32 s2, s[0:1], 0x3c
	s_load_b128 s[4:7], s[0:1], 0x20
	v_bfe_u32 v3, v0, 10, 10
	s_waitcnt lgkmcnt(0)
	s_lshr_b32 s2, s2, 16
	s_delay_alu instid0(VALU_DEP_1) | instid1(SALU_CYCLE_1)
	v_mad_u64_u32 v[1:2], null, s14, s2, v[3:4]
	s_mov_b32 s2, exec_lo
	s_delay_alu instid0(VALU_DEP_1)
	v_cmpx_gt_u32_e64 s6, v1
	s_cbranch_execz .LBB249_9
; %bb.1:
	s_load_b64 s[10:11], s[0:1], 0x10
	v_dual_mov_b32 v15, 0 :: v_dual_and_b32 v0, 0x3ff, v0
	s_ashr_i32 s2, s5, 31
	s_mov_b32 s8, s15
	s_lshr_b32 s2, s2, 24
	s_delay_alu instid0(VALU_DEP_1)
	v_lshrrev_b32_e32 v14, 3, v0
	s_add_i32 s2, s5, s2
	s_mov_b32 s5, exec_lo
	s_ashr_i32 s12, s2, 8
	s_delay_alu instid0(VALU_DEP_1) | instid1(SALU_CYCLE_1)
	v_cmpx_gt_u32_e64 s12, v14
	s_cbranch_execz .LBB249_7
; %bb.2:
	s_load_b64 s[2:3], s[0:1], 0x18
	s_mov_b32 s9, 0
	v_cvt_f32_u32_e32 v2, s4
	s_lshl_b64 s[14:15], s[8:9], 2
	v_and_b32_e32 v4, 7, v0
	v_mul_lo_u32 v16, v1, s12
	v_lshlrev_b32_e32 v17, 3, v14
	v_rcp_iflag_f32_e32 v2, v2
	v_mov_b32_e32 v15, 0
	v_lshlrev_b32_e32 v5, 3, v4
	v_lshlrev_b32_e32 v8, 1, v4
	v_add_nc_u32_e32 v18, v14, v16
	s_waitcnt_depctr 0xfff
	v_dual_mul_f32 v2, 0x4f7ffffe, v2 :: v_dual_lshlrev_b32 v19, 1, v8
	s_waitcnt lgkmcnt(0)
	s_add_u32 s2, s2, s14
	s_addc_u32 s3, s3, s15
	s_delay_alu instid0(VALU_DEP_1)
	v_cvt_u32_f32_e32 v2, v2
	s_load_b32 s13, s[2:3], 0x0
	s_load_b128 s[0:3], s[0:1], 0x0
	s_mul_i32 s14, s12, s6
	s_waitcnt lgkmcnt(0)
	s_mul_i32 s13, s14, s13
	v_readfirstlane_b32 s14, v2
	s_mul_i32 s15, s13, 0x62
	s_mul_hi_i32 s13, s13, 0x62
	s_add_u32 s0, s0, s15
	s_addc_u32 s1, s1, s13
	s_sub_i32 s13, 0, s4
	s_delay_alu instid0(SALU_CYCLE_1) | instskip(NEXT) | instid1(SALU_CYCLE_1)
	s_mul_i32 s13, s13, s14
	s_mul_hi_u32 s13, s14, s13
	s_delay_alu instid0(SALU_CYCLE_1) | instskip(NEXT) | instid1(SALU_CYCLE_1)
	s_add_i32 s14, s14, s13
	s_mul_hi_u32 s13, s8, s14
	s_delay_alu instid0(SALU_CYCLE_1) | instskip(SKIP_2) | instid1(SALU_CYCLE_1)
	s_mul_i32 s14, s13, s4
	s_add_i32 s15, s13, 1
	s_sub_i32 s14, s8, s14
	s_sub_i32 s16, s14, s4
	s_cmp_ge_u32 s14, s4
	s_cselect_b32 s13, s15, s13
	s_cselect_b32 s14, s16, s14
	s_add_i32 s15, s13, 1
	s_cmp_ge_u32 s14, s4
	s_cselect_b32 s4, s15, s13
	s_mov_b32 s15, s9
	s_mul_i32 s14, s4, s7
	s_delay_alu instid0(SALU_CYCLE_1) | instskip(NEXT) | instid1(SALU_CYCLE_1)
	s_lshl_b64 s[14:15], s[14:15], 2
	s_add_u32 s2, s2, s14
	s_addc_u32 s3, s3, s15
	s_getpc_b64 s[14:15]
	s_add_u32 s14, s14, _ZL11iq3xxs_grid@rel32@lo+4
	s_addc_u32 s15, s15, _ZL11iq3xxs_grid@rel32@hi+12
	v_mad_u64_u32 v[2:3], null, v4, 36, s[2:3]
	v_add_co_u32 v4, s2, s0, v5
	s_delay_alu instid0(VALU_DEP_1)
	v_add_co_ci_u32_e64 v5, null, s1, 0, s2
	s_getpc_b64 s[16:17]
	s_add_u32 s16, s16, _ZL8ksigns64@rel32@lo+4
	s_addc_u32 s17, s17, _ZL8ksigns64@rel32@hi+12
	v_add_co_u32 v4, vcc_lo, v4, 2
	v_add_co_ci_u32_e32 v5, vcc_lo, 0, v5, vcc_lo
	v_add_co_u32 v6, vcc_lo, v2, 4
	v_add_co_ci_u32_e32 v7, vcc_lo, 0, v3, vcc_lo
.LBB249_3:                              ; =>This Loop Header: Depth=1
                                        ;     Child Loop BB249_4 Depth 2
	v_dual_mov_b32 v21, 0 :: v_dual_add_nc_u32 v10, v14, v16
	s_delay_alu instid0(VALU_DEP_4) | instskip(SKIP_1) | instid1(VALU_DEP_2)
	v_mad_i64_i32 v[12:13], null, 0x62, v18, v[4:5]
	s_mov_b64 s[2:3], 0
	v_mad_i64_i32 v[8:9], null, 0x62, v10, s[0:1]
	s_delay_alu instid0(VALU_DEP_1) | instskip(NEXT) | instid1(VALU_DEP_2)
	v_add_co_u32 v10, vcc_lo, v8, v19
	v_add_co_ci_u32_e32 v11, vcc_lo, 0, v9, vcc_lo
	global_load_b32 v20, v[10:11], off offset:66
	v_mad_i64_i32 v[10:11], null, v17, 36, v[6:7]
.LBB249_4:                              ;   Parent Loop BB249_3 Depth=1
                                        ; =>  This Inner Loop Header: Depth=2
	global_load_u16 v26, v[12:13], off
	s_waitcnt vmcnt(1)
	v_and_b32_e32 v24, 0x7f, v20
	v_add_co_u32 v22, vcc_lo, v10, s2
	v_add_co_ci_u32_e32 v23, vcc_lo, s3, v11, vcc_lo
	s_delay_alu instid0(VALU_DEP_3)
	v_lshlrev_b32_e32 v24, 3, v24
	v_add_co_u32 v12, vcc_lo, v12, 2
	v_lshrrev_b32_e32 v20, 7, v20
	v_add_co_ci_u32_e32 v13, vcc_lo, 0, v13, vcc_lo
	global_load_b64 v[24:25], v24, s[16:17]
	s_add_u32 s2, s2, 8
	s_addc_u32 s3, s3, 0
	s_cmp_lg_u32 s2, 32
	s_waitcnt vmcnt(1)
	v_lshrrev_b16 v27, 8, v26
	v_and_b32_e32 v26, 0xff, v26
	s_delay_alu instid0(VALU_DEP_2) | instskip(NEXT) | instid1(VALU_DEP_2)
	v_and_b32_e32 v27, 0xffff, v27
	v_lshlrev_b32_e32 v26, 2, v26
	s_delay_alu instid0(VALU_DEP_2)
	v_lshlrev_b32_e32 v27, 2, v27
	s_clause 0x1
	global_load_b32 v26, v26, s[14:15]
	global_load_b32 v27, v27, s[14:15]
	global_load_b64 v[22:23], v[22:23], off
	s_waitcnt vmcnt(3)
	v_and_b32_e32 v32, 0xff0000, v24
	v_and_b32_e32 v33, 0xff00, v24
	;; [unrolled: 1-line block ×6, first 2 shown]
	s_waitcnt vmcnt(2)
	v_xor_b32_e32 v26, v24, v26
	s_waitcnt vmcnt(1)
	v_xor_b32_e32 v27, v25, v27
	s_waitcnt vmcnt(0)
	v_bfe_i32 v28, v22, 0, 8
	v_bfe_i32 v29, v23, 0, 8
	v_perm_b32 v30, v22, v22, 0xc0c0201
	v_sub_nc_u32_e32 v32, v26, v32
	v_sub_nc_u32_e32 v33, v26, v33
	;; [unrolled: 1-line block ×5, first 2 shown]
	v_perm_b32 v22, v23, v22, 0x7060503
	v_perm_b32 v26, v32, v33, 0xc06010c
	v_sub_nc_u32_e32 v32, v27, v35
	v_sub_nc_u32_e32 v35, v27, v36
	v_bfe_i32 v24, v24, 0, 8
	v_bfe_i32 v25, v25, 0, 8
	v_sub_nc_u32_e32 v27, v27, v34
	v_perm_b32 v26, v26, v33, 0xc0c0601
	v_perm_b32 v32, v32, v35, 0xc06010c
	v_mul_i32_i24_e32 v24, v28, v24
	v_mul_i32_i24_e32 v25, v29, v25
	v_perm_b32 v28, v35, v31, 0xc0c0503
	s_delay_alu instid0(VALU_DEP_4) | instskip(NEXT) | instid1(VALU_DEP_3)
	v_perm_b32 v27, v27, v32, 0x7020c0c
	v_add3_u32 v21, v24, v21, v25
	s_delay_alu instid0(VALU_DEP_2) | instskip(NEXT) | instid1(VALU_DEP_2)
	v_or_b32_e32 v23, v27, v28
	v_dot4_i32_iu8 v21, v26, v30, v21 neg_lo:[1,1,0]
	s_delay_alu instid0(VALU_DEP_1)
	v_dot4_i32_iu8 v21, v23, v22, v21 neg_lo:[1,1,0]
	s_cbranch_scc1 .LBB249_4
; %bb.5:                                ;   in Loop: Header=BB249_3 Depth=1
	v_lshlrev_b32_e32 v12, 3, v14
	v_add_nc_u32_e32 v14, 4, v14
	v_add_nc_u32_e32 v18, 4, v18
	;; [unrolled: 1-line block ×3, first 2 shown]
	s_delay_alu instid0(VALU_DEP_4) | instskip(SKIP_4) | instid1(VALU_DEP_2)
	v_mad_i64_i32 v[10:11], null, v12, 36, v[2:3]
	global_load_u16 v8, v[8:9], off
	global_load_b32 v9, v[10:11], off
	v_cvt_f32_u32_e32 v10, v20
	v_cmp_le_u32_e32 vcc_lo, s12, v14
	v_add_f32_e32 v10, 0.5, v10
	s_or_b32 s9, vcc_lo, s9
	s_waitcnt vmcnt(1)
	v_cvt_f32_f16_e32 v8, v8
	s_waitcnt vmcnt(0)
	v_cvt_f32_f16_e32 v9, v9
	s_delay_alu instid0(VALU_DEP_2) | instskip(NEXT) | instid1(VALU_DEP_1)
	v_mul_f32_e32 v8, v10, v8
	v_mul_f32_e32 v8, v8, v9
	v_cvt_f32_i32_e32 v9, v21
	s_delay_alu instid0(VALU_DEP_2) | instskip(NEXT) | instid1(VALU_DEP_1)
	v_mul_f32_e32 v8, 0.5, v8
	v_fmac_f32_e32 v15, v8, v9
	s_and_not1_b32 exec_lo, exec_lo, s9
	s_cbranch_execnz .LBB249_3
; %bb.6:
	s_or_b32 exec_lo, exec_lo, s9
.LBB249_7:
	s_delay_alu instid0(SALU_CYCLE_1) | instskip(SKIP_1) | instid1(VALU_DEP_1)
	s_or_b32 exec_lo, exec_lo, s5
	v_mbcnt_lo_u32_b32 v2, -1, 0
	v_xor_b32_e32 v3, 16, v2
	v_xor_b32_e32 v4, 8, v2
	v_xor_b32_e32 v5, 4, v2
	s_delay_alu instid0(VALU_DEP_3) | instskip(SKIP_1) | instid1(VALU_DEP_4)
	v_cmp_gt_i32_e32 vcc_lo, 32, v3
	v_cndmask_b32_e32 v3, v2, v3, vcc_lo
	v_cmp_gt_i32_e32 vcc_lo, 32, v4
	v_cndmask_b32_e32 v4, v2, v4, vcc_lo
	v_cmp_gt_i32_e32 vcc_lo, 32, v5
	s_delay_alu instid0(VALU_DEP_2)
	v_lshlrev_b32_e32 v4, 2, v4
	v_lshlrev_b32_e32 v3, 2, v3
	v_cndmask_b32_e32 v5, v2, v5, vcc_lo
	ds_bpermute_b32 v3, v3, v15
	v_lshlrev_b32_e32 v5, 2, v5
	s_waitcnt lgkmcnt(0)
	v_add_f32_e32 v3, v15, v3
	ds_bpermute_b32 v4, v4, v3
	s_waitcnt lgkmcnt(0)
	v_add_f32_e32 v3, v3, v4
	ds_bpermute_b32 v4, v5, v3
	v_xor_b32_e32 v5, 2, v2
	s_delay_alu instid0(VALU_DEP_1) | instskip(SKIP_1) | instid1(VALU_DEP_1)
	v_cmp_gt_i32_e32 vcc_lo, 32, v5
	v_cndmask_b32_e32 v5, v2, v5, vcc_lo
	v_lshlrev_b32_e32 v5, 2, v5
	s_waitcnt lgkmcnt(0)
	v_add_f32_e32 v3, v3, v4
	ds_bpermute_b32 v4, v5, v3
	v_xor_b32_e32 v5, 1, v2
	s_delay_alu instid0(VALU_DEP_1) | instskip(SKIP_3) | instid1(VALU_DEP_2)
	v_cmp_gt_i32_e32 vcc_lo, 32, v5
	v_cndmask_b32_e32 v5, v2, v5, vcc_lo
	v_cmp_eq_u32_e32 vcc_lo, 0, v0
	s_waitcnt lgkmcnt(0)
	v_dual_add_f32 v2, v3, v4 :: v_dual_lshlrev_b32 v3, 2, v5
	ds_bpermute_b32 v3, v3, v2
	s_and_b32 exec_lo, exec_lo, vcc_lo
	s_cbranch_execz .LBB249_9
; %bb.8:
	v_mad_u64_u32 v[4:5], null, s8, s6, v[1:2]
	s_waitcnt lgkmcnt(0)
	v_dual_mov_b32 v5, 0 :: v_dual_add_f32 v2, v2, v3
	s_delay_alu instid0(VALU_DEP_1) | instskip(NEXT) | instid1(VALU_DEP_1)
	v_lshlrev_b64 v[0:1], 2, v[4:5]
	v_add_co_u32 v0, vcc_lo, s10, v0
	s_delay_alu instid0(VALU_DEP_2)
	v_add_co_ci_u32_e32 v1, vcc_lo, s11, v1, vcc_lo
	global_store_b32 v[0:1], v2, off
.LBB249_9:
	s_nop 0
	s_sendmsg sendmsg(MSG_DEALLOC_VGPRS)
	s_endpgm
	.section	.rodata,"a",@progbits
	.p2align	6, 0x0
	.amdhsa_kernel _ZL9moe_vec_qIfLi256ELi8E13block_iq3_xxsLi1EXadL_ZL20vec_dot_iq3_xxs_q8_1PKvPK10block_q8_1RKiEEEvS2_S2_PT_PS6_iiii
		.amdhsa_group_segment_fixed_size 0
		.amdhsa_private_segment_fixed_size 0
		.amdhsa_kernarg_size 304
		.amdhsa_user_sgpr_count 14
		.amdhsa_user_sgpr_dispatch_ptr 0
		.amdhsa_user_sgpr_queue_ptr 0
		.amdhsa_user_sgpr_kernarg_segment_ptr 1
		.amdhsa_user_sgpr_dispatch_id 0
		.amdhsa_user_sgpr_private_segment_size 0
		.amdhsa_wavefront_size32 1
		.amdhsa_uses_dynamic_stack 0
		.amdhsa_enable_private_segment 0
		.amdhsa_system_sgpr_workgroup_id_x 1
		.amdhsa_system_sgpr_workgroup_id_y 0
		.amdhsa_system_sgpr_workgroup_id_z 1
		.amdhsa_system_sgpr_workgroup_info 0
		.amdhsa_system_vgpr_workitem_id 1
		.amdhsa_next_free_vgpr 37
		.amdhsa_next_free_sgpr 18
		.amdhsa_reserve_vcc 1
		.amdhsa_float_round_mode_32 0
		.amdhsa_float_round_mode_16_64 0
		.amdhsa_float_denorm_mode_32 3
		.amdhsa_float_denorm_mode_16_64 3
		.amdhsa_dx10_clamp 1
		.amdhsa_ieee_mode 1
		.amdhsa_fp16_overflow 0
		.amdhsa_workgroup_processor_mode 1
		.amdhsa_memory_ordered 1
		.amdhsa_forward_progress 0
		.amdhsa_shared_vgpr_count 0
		.amdhsa_exception_fp_ieee_invalid_op 0
		.amdhsa_exception_fp_denorm_src 0
		.amdhsa_exception_fp_ieee_div_zero 0
		.amdhsa_exception_fp_ieee_overflow 0
		.amdhsa_exception_fp_ieee_underflow 0
		.amdhsa_exception_fp_ieee_inexact 0
		.amdhsa_exception_int_div_zero 0
	.end_amdhsa_kernel
	.section	.text._ZL9moe_vec_qIfLi256ELi8E13block_iq3_xxsLi1EXadL_ZL20vec_dot_iq3_xxs_q8_1PKvPK10block_q8_1RKiEEEvS2_S2_PT_PS6_iiii,"axG",@progbits,_ZL9moe_vec_qIfLi256ELi8E13block_iq3_xxsLi1EXadL_ZL20vec_dot_iq3_xxs_q8_1PKvPK10block_q8_1RKiEEEvS2_S2_PT_PS6_iiii,comdat
.Lfunc_end249:
	.size	_ZL9moe_vec_qIfLi256ELi8E13block_iq3_xxsLi1EXadL_ZL20vec_dot_iq3_xxs_q8_1PKvPK10block_q8_1RKiEEEvS2_S2_PT_PS6_iiii, .Lfunc_end249-_ZL9moe_vec_qIfLi256ELi8E13block_iq3_xxsLi1EXadL_ZL20vec_dot_iq3_xxs_q8_1PKvPK10block_q8_1RKiEEEvS2_S2_PT_PS6_iiii
                                        ; -- End function
	.section	.AMDGPU.csdata,"",@progbits
; Kernel info:
; codeLenInByte = 1344
; NumSgprs: 20
; NumVgprs: 37
; ScratchSize: 0
; MemoryBound: 0
; FloatMode: 240
; IeeeMode: 1
; LDSByteSize: 0 bytes/workgroup (compile time only)
; SGPRBlocks: 2
; VGPRBlocks: 4
; NumSGPRsForWavesPerEU: 20
; NumVGPRsForWavesPerEU: 37
; Occupancy: 16
; WaveLimiterHint : 1
; COMPUTE_PGM_RSRC2:SCRATCH_EN: 0
; COMPUTE_PGM_RSRC2:USER_SGPR: 14
; COMPUTE_PGM_RSRC2:TRAP_HANDLER: 0
; COMPUTE_PGM_RSRC2:TGID_X_EN: 1
; COMPUTE_PGM_RSRC2:TGID_Y_EN: 0
; COMPUTE_PGM_RSRC2:TGID_Z_EN: 1
; COMPUTE_PGM_RSRC2:TIDIG_COMP_CNT: 1
	.section	.text._ZL9moe_vec_qIfLi256ELi8E11block_iq1_sLi1EXadL_ZL18vec_dot_iq1_s_q8_1PKvPK10block_q8_1RKiEEEvS2_S2_PT_PS6_iiii,"axG",@progbits,_ZL9moe_vec_qIfLi256ELi8E11block_iq1_sLi1EXadL_ZL18vec_dot_iq1_s_q8_1PKvPK10block_q8_1RKiEEEvS2_S2_PT_PS6_iiii,comdat
	.globl	_ZL9moe_vec_qIfLi256ELi8E11block_iq1_sLi1EXadL_ZL18vec_dot_iq1_s_q8_1PKvPK10block_q8_1RKiEEEvS2_S2_PT_PS6_iiii ; -- Begin function _ZL9moe_vec_qIfLi256ELi8E11block_iq1_sLi1EXadL_ZL18vec_dot_iq1_s_q8_1PKvPK10block_q8_1RKiEEEvS2_S2_PT_PS6_iiii
	.p2align	8
	.type	_ZL9moe_vec_qIfLi256ELi8E11block_iq1_sLi1EXadL_ZL18vec_dot_iq1_s_q8_1PKvPK10block_q8_1RKiEEEvS2_S2_PT_PS6_iiii,@function
_ZL9moe_vec_qIfLi256ELi8E11block_iq1_sLi1EXadL_ZL18vec_dot_iq1_s_q8_1PKvPK10block_q8_1RKiEEEvS2_S2_PT_PS6_iiii: ; @_ZL9moe_vec_qIfLi256ELi8E11block_iq1_sLi1EXadL_ZL18vec_dot_iq1_s_q8_1PKvPK10block_q8_1RKiEEEvS2_S2_PT_PS6_iiii
; %bb.0:
	s_clause 0x1
	s_load_b32 s2, s[0:1], 0x3c
	s_load_b128 s[4:7], s[0:1], 0x20
	v_bfe_u32 v3, v0, 10, 10
	s_waitcnt lgkmcnt(0)
	s_lshr_b32 s2, s2, 16
	s_delay_alu instid0(VALU_DEP_1) | instid1(SALU_CYCLE_1)
	v_mad_u64_u32 v[1:2], null, s14, s2, v[3:4]
	s_mov_b32 s2, exec_lo
	s_delay_alu instid0(VALU_DEP_1)
	v_cmpx_gt_u32_e64 s6, v1
	s_cbranch_execz .LBB250_7
; %bb.1:
	v_cvt_f32_u32_e32 v2, s4
	s_load_b64 s[10:11], s[0:1], 0x10
	s_ashr_i32 s2, s5, 31
	v_and_b32_e32 v0, 0x3ff, v0
	s_lshr_b32 s2, s2, 24
	v_rcp_iflag_f32_e32 v2, v2
	s_add_i32 s2, s5, s2
	s_mov_b32 s8, s15
	s_ashr_i32 s13, s2, 8
	s_mov_b32 s12, exec_lo
	s_waitcnt_depctr 0xfff
	v_mul_f32_e32 v3, 0x4f7ffffe, v2
	s_delay_alu instid0(VALU_DEP_1) | instskip(NEXT) | instid1(VALU_DEP_1)
	v_cvt_u32_f32_e32 v3, v3
	v_readfirstlane_b32 s2, v3
	v_mov_b32_e32 v3, 0
	v_lshrrev_b32_e32 v2, 3, v0
	s_delay_alu instid0(VALU_DEP_1)
	v_cmpx_gt_u32_e64 s13, v2
	s_cbranch_execz .LBB250_5
; %bb.2:
	s_load_b64 s[14:15], s[0:1], 0x18
	s_sub_i32 s3, 0, s4
	s_mov_b32 s9, 0
	s_mul_i32 s3, s3, s2
	s_lshl_b64 s[16:17], s[8:9], 2
	s_mul_hi_u32 s3, s2, s3
	v_and_b32_e32 v5, 7, v0
	s_add_i32 s5, s2, s3
	v_mul_lo_u32 v4, v1, s13
	v_dual_mov_b32 v3, 0 :: v_dual_lshlrev_b32 v6, 3, v2
	s_delay_alu instid0(VALU_DEP_3) | instskip(SKIP_1) | instid1(VALU_DEP_2)
	v_lshlrev_b32_e32 v8, 1, v5
	v_lshlrev_b32_e32 v7, 1, v5
	;; [unrolled: 1-line block ×3, first 2 shown]
	s_waitcnt lgkmcnt(0)
	s_add_u32 s14, s14, s16
	s_addc_u32 s15, s15, s17
	s_load_b128 s[0:3], s[0:1], 0x0
	s_load_b32 s14, s[14:15], 0x0
	s_mul_hi_u32 s16, s8, s5
	s_mul_i32 s15, s13, s6
	s_mul_i32 s17, s16, s4
	s_add_i32 s18, s16, 1
	s_sub_i32 s17, s8, s17
	s_mov_b32 s5, s9
	s_sub_i32 s19, s17, s4
	s_cmp_ge_u32 s17, s4
	s_cselect_b32 s16, s18, s16
	s_cselect_b32 s17, s19, s17
	s_add_i32 s18, s16, 1
	s_cmp_ge_u32 s17, s4
	s_cselect_b32 s4, s18, s16
	s_delay_alu instid0(SALU_CYCLE_1) | instskip(SKIP_2) | instid1(SALU_CYCLE_1)
	s_mul_i32 s4, s4, s7
	s_waitcnt lgkmcnt(0)
	s_mul_i32 s14, s15, s14
	s_mul_i32 s7, s14, 50
	s_mul_hi_i32 s14, s14, 50
	s_add_u32 s0, s0, s7
	s_addc_u32 s1, s1, s14
	s_lshl_b64 s[4:5], s[4:5], 2
	s_mov_b32 s7, 0xb7000000
	s_add_u32 s2, s2, s4
	s_addc_u32 s3, s3, s5
.LBB250_3:                              ; =>This Inner Loop Header: Depth=1
	v_add_nc_u32_e32 v9, v4, v2
	s_getpc_b64 s[4:5]
	s_add_u32 s4, s4, _ZL13iq1s_grid_gpu@rel32@lo+4
	s_addc_u32 s5, s5, _ZL13iq1s_grid_gpu@rel32@hi+12
	v_add_nc_u32_e32 v2, 4, v2
	v_mad_i64_i32 v[17:18], null, v9, 50, s[0:1]
	s_delay_alu instid0(VALU_DEP_1) | instskip(NEXT) | instid1(VALU_DEP_2)
	v_add_co_u32 v9, vcc_lo, v17, v8
	v_add_co_ci_u32_e32 v10, vcc_lo, 0, v18, vcc_lo
	v_add_co_u32 v11, vcc_lo, v17, v7
	v_add_co_ci_u32_e32 v12, vcc_lo, 0, v18, vcc_lo
	v_cmp_le_u32_e32 vcc_lo, s13, v2
	s_clause 0x1
	global_load_b32 v21, v[9:10], off offset:2
	global_load_u16 v22, v[11:12], off offset:34
	v_mad_i64_i32 v[9:10], null, v6, 36, s[2:3]
	v_add_nc_u32_e32 v6, 32, v6
	s_or_b32 s9, vcc_lo, s9
	s_delay_alu instid0(VALU_DEP_2)
	v_mad_u64_u32 v[19:20], null, v5, 36, v[9:10]
	s_clause 0x1
	global_load_b128 v[9:12], v[19:20], off
	global_load_b128 v[13:16], v[19:20], off offset:16
	global_load_u16 v17, v[17:18], off
	global_load_b32 v19, v[19:20], off offset:32
	s_waitcnt vmcnt(5)
	v_and_b32_e32 v18, 0xff, v21
	s_waitcnt vmcnt(4)
	v_lshlrev_b32_e32 v23, 8, v22
	v_lshrrev_b16 v24, 8, v21
	v_lshlrev_b32_e32 v25, 5, v22
	v_bfe_u32 v20, v21, 16, 8
	v_lshrrev_b32_e32 v21, 24, v21
	v_and_or_b32 v18, 0x700, v23, v18
	v_and_b32_e32 v23, 0xffff, v24
	v_lshlrev_b32_e32 v24, 2, v22
	s_delay_alu instid0(VALU_DEP_3) | instskip(NEXT) | instid1(VALU_DEP_3)
	v_lshlrev_b32_e32 v18, 3, v18
	v_and_or_b32 v23, 0x700, v25, v23
	s_delay_alu instid0(VALU_DEP_3)
	v_and_or_b32 v20, 0x700, v24, v20
	v_lshrrev_b32_e32 v24, 1, v22
	global_load_b32 v18, v18, s[4:5]
	v_lshlrev_b32_e32 v23, 3, v23
	v_lshlrev_b32_e32 v20, 3, v20
	v_and_or_b32 v21, 0x700, v24, v21
	s_waitcnt vmcnt(4)
	v_bfe_i32 v24, v10, 0, 8
	v_bfe_i32 v25, v10, 8, 8
	s_clause 0x1
	global_load_b32 v23, v23, s[4:5]
	global_load_b32 v20, v20, s[4:5]
	v_lshlrev_b32_e32 v21, 3, v21
	v_bfe_i32 v26, v10, 16, 8
	v_bfe_i32 v27, v11, 0, 8
	v_ashrrev_i32_e32 v10, 24, v10
	v_bfe_i32 v28, v11, 8, 8
	global_load_b32 v21, v21, s[4:5]
	v_bfe_i32 v29, v11, 16, 8
	v_ashrrev_i32_e32 v11, 24, v11
	v_bfe_i32 v30, v12, 0, 8
	s_waitcnt vmcnt(6)
	v_bfe_i32 v33, v13, 0, 8
	v_bfe_i32 v31, v12, 8, 8
	;; [unrolled: 1-line block ×3, first 2 shown]
	v_ashrrev_i32_e32 v12, 24, v12
	v_bfe_i32 v34, v13, 8, 8
	v_bfe_i32 v35, v13, 16, 8
	v_ashrrev_i32_e32 v13, 24, v13
	v_bfe_i32 v36, v14, 0, 8
	v_bfe_i32 v39, v15, 0, 8
	v_bfe_i32 v37, v14, 8, 8
	v_bfe_i32 v38, v14, 16, 8
	v_ashrrev_i32_e32 v14, 24, v14
	v_bfe_i32 v40, v15, 8, 8
	v_bfe_i32 v41, v15, 16, 8
	v_ashrrev_i32_e32 v15, 24, v15
	v_bfe_i32 v42, v16, 0, 8
	s_waitcnt vmcnt(4)
	v_bfe_i32 v45, v19, 0, 8
	v_bfe_i32 v43, v16, 8, 8
	;; [unrolled: 1-line block ×3, first 2 shown]
	v_ashrrev_i32_e32 v16, 24, v16
	v_bfe_i32 v46, v19, 8, 8
	v_bfe_i32 v47, v19, 16, 8
	v_ashrrev_i32_e32 v19, 24, v19
	s_waitcnt vmcnt(3)
	v_and_b32_e32 v48, 15, v18
	v_bfe_u32 v49, v18, 8, 4
	v_bfe_u32 v50, v18, 16, 4
	;; [unrolled: 1-line block ×4, first 2 shown]
	v_mul_i32_i24_e32 v24, v24, v48
	v_bfe_u32 v48, v18, 24, 4
	v_mul_i32_i24_e32 v25, v49, v25
	v_mul_i32_i24_e32 v26, v50, v26
	;; [unrolled: 1-line block ×3, first 2 shown]
	v_mad_i32_i24 v24, v27, v51, v24
	v_bfe_u32 v27, v18, 20, 4
	v_lshrrev_b32_e32 v18, 28, v18
	v_mul_i32_i24_e32 v10, v48, v10
	s_delay_alu instid0(VALU_DEP_4) | instskip(NEXT) | instid1(VALU_DEP_4)
	v_add3_u32 v24, v24, v25, v26
	v_mul_i32_i24_e32 v25, v27, v29
	s_delay_alu instid0(VALU_DEP_4)
	v_mul_i32_i24_e32 v11, v18, v11
	s_waitcnt vmcnt(2)
	v_and_b32_e32 v18, 15, v23
	v_bfe_u32 v26, v23, 4, 4
	v_add3_u32 v10, v24, v10, v28
	v_bfe_u32 v24, v23, 8, 4
	v_bfe_u32 v27, v23, 16, 4
	v_mul_i32_i24_e32 v18, v30, v18
	v_mul_i32_i24_e32 v26, v33, v26
	v_add3_u32 v10, v10, v25, v11
	v_bfe_u32 v11, v23, 24, 4
	v_bfe_u32 v25, v23, 12, 4
	v_mul_i32_i24_e32 v24, v24, v31
	v_mul_i32_i24_e32 v27, v27, v32
	v_add3_u32 v10, v10, v18, v26
	v_bfe_u32 v18, v23, 20, 4
	v_lshrrev_b32_e32 v23, 28, v23
	v_mul_i32_i24_e32 v11, v11, v12
	v_mul_i32_i24_e32 v12, v25, v34
	v_add3_u32 v10, v10, v24, v27
	s_waitcnt vmcnt(1)
	v_and_b32_e32 v24, 15, v20
	v_bfe_u32 v25, v20, 4, 4
	v_mul_i32_i24_e32 v18, v18, v35
	v_mul_i32_i24_e32 v13, v23, v13
	v_add3_u32 v10, v10, v11, v12
	v_bfe_u32 v11, v20, 8, 4
	v_bfe_u32 v12, v20, 16, 4
	v_mul_i32_i24_e32 v23, v36, v24
	v_mul_i32_i24_e32 v24, v39, v25
	v_add3_u32 v10, v10, v18, v13
	v_bfe_u32 v13, v20, 24, 4
	;; [unrolled: 5-line block ×3, first 2 shown]
	v_lshrrev_b32_e32 v20, 28, v20
	v_mul_i32_i24_e32 v13, v13, v14
	v_mul_i32_i24_e32 v14, v18, v40
	v_add3_u32 v10, v10, v11, v12
	s_waitcnt vmcnt(0)
	v_and_b32_e32 v11, 15, v21
	v_bfe_u32 v12, v21, 4, 4
	v_mul_i32_i24_e32 v18, v23, v41
	v_mul_i32_i24_e32 v15, v20, v15
	v_add3_u32 v10, v10, v13, v14
	v_bfe_u32 v13, v21, 8, 4
	v_bfe_u32 v14, v21, 16, 4
	v_mul_i32_i24_e32 v11, v42, v11
	v_mul_i32_i24_e32 v12, v45, v12
	v_add3_u32 v10, v10, v18, v15
	v_bfe_u32 v15, v21, 24, 4
	;; [unrolled: 5-line block ×3, first 2 shown]
	v_lshrrev_b32_e32 v12, 28, v21
	v_mul_i32_i24_e32 v15, v15, v16
	v_mul_i32_i24_e32 v16, v18, v46
	v_add3_u32 v10, v10, v13, v14
	v_mul_i32_i24_e32 v11, v11, v47
	v_mul_i32_i24_e32 v12, v12, v19
	v_lshrrev_b32_e32 v13, 11, v22
	v_and_b32_e32 v14, 0x8000, v22
	v_add3_u32 v10, v10, v15, v16
	s_delay_alu instid0(VALU_DEP_1)
	v_add3_u32 v10, v10, v11, v12
	v_cvt_f32_f16_e32 v11, v9
	v_and_or_b32 v12, v13, 14, 1
	v_cvt_f32_u32_e32 v13, v14
	v_cvt_f32_f16_e32 v14, v17
	v_cvt_f32_i32_e32 v10, v10
	s_delay_alu instid0(VALU_DEP_4) | instskip(NEXT) | instid1(VALU_DEP_2)
	v_cvt_f32_ubyte0_e32 v12, v12
	v_dual_fmaak_f32 v13, s7, v13, 0xbf600000 :: v_dual_mul_f32 v10, v11, v10
	s_delay_alu instid0(VALU_DEP_2) | instskip(NEXT) | instid1(VALU_DEP_2)
	v_mul_f32_e32 v11, v12, v14
	v_fma_mix_f32 v9, v13, v9, v10 op_sel:[0,1,0] op_sel_hi:[0,1,0]
	s_delay_alu instid0(VALU_DEP_1)
	v_fmac_f32_e32 v3, v11, v9
	s_and_not1_b32 exec_lo, exec_lo, s9
	s_cbranch_execnz .LBB250_3
; %bb.4:
	s_or_b32 exec_lo, exec_lo, s9
.LBB250_5:
	s_delay_alu instid0(SALU_CYCLE_1) | instskip(SKIP_1) | instid1(VALU_DEP_1)
	s_or_b32 exec_lo, exec_lo, s12
	v_mbcnt_lo_u32_b32 v2, -1, 0
	v_xor_b32_e32 v4, 16, v2
	v_xor_b32_e32 v5, 8, v2
	s_delay_alu instid0(VALU_DEP_2) | instskip(SKIP_1) | instid1(VALU_DEP_3)
	v_cmp_gt_i32_e32 vcc_lo, 32, v4
	v_cndmask_b32_e32 v4, v2, v4, vcc_lo
	v_cmp_gt_i32_e32 vcc_lo, 32, v5
	v_cndmask_b32_e32 v5, v2, v5, vcc_lo
	s_delay_alu instid0(VALU_DEP_1) | instskip(NEXT) | instid1(VALU_DEP_4)
	v_lshlrev_b32_e32 v5, 2, v5
	v_lshlrev_b32_e32 v4, 2, v4
	ds_bpermute_b32 v4, v4, v3
	s_waitcnt lgkmcnt(0)
	v_add_f32_e32 v3, v3, v4
	ds_bpermute_b32 v4, v5, v3
	v_xor_b32_e32 v5, 4, v2
	s_delay_alu instid0(VALU_DEP_1) | instskip(SKIP_1) | instid1(VALU_DEP_1)
	v_cmp_gt_i32_e32 vcc_lo, 32, v5
	v_cndmask_b32_e32 v5, v2, v5, vcc_lo
	v_lshlrev_b32_e32 v5, 2, v5
	s_waitcnt lgkmcnt(0)
	v_add_f32_e32 v3, v3, v4
	ds_bpermute_b32 v4, v5, v3
	v_xor_b32_e32 v5, 2, v2
	s_delay_alu instid0(VALU_DEP_1) | instskip(SKIP_1) | instid1(VALU_DEP_1)
	v_cmp_gt_i32_e32 vcc_lo, 32, v5
	v_cndmask_b32_e32 v5, v2, v5, vcc_lo
	v_lshlrev_b32_e32 v5, 2, v5
	s_waitcnt lgkmcnt(0)
	v_add_f32_e32 v3, v3, v4
	ds_bpermute_b32 v4, v5, v3
	v_xor_b32_e32 v5, 1, v2
	s_delay_alu instid0(VALU_DEP_1) | instskip(SKIP_3) | instid1(VALU_DEP_2)
	v_cmp_gt_i32_e32 vcc_lo, 32, v5
	v_cndmask_b32_e32 v5, v2, v5, vcc_lo
	v_cmp_eq_u32_e32 vcc_lo, 0, v0
	s_waitcnt lgkmcnt(0)
	v_dual_add_f32 v2, v3, v4 :: v_dual_lshlrev_b32 v3, 2, v5
	ds_bpermute_b32 v3, v3, v2
	s_and_b32 exec_lo, exec_lo, vcc_lo
	s_cbranch_execz .LBB250_7
; %bb.6:
	v_mad_u64_u32 v[4:5], null, s8, s6, v[1:2]
	s_waitcnt lgkmcnt(0)
	v_dual_mov_b32 v5, 0 :: v_dual_add_f32 v2, v2, v3
	s_delay_alu instid0(VALU_DEP_1) | instskip(NEXT) | instid1(VALU_DEP_1)
	v_lshlrev_b64 v[0:1], 2, v[4:5]
	v_add_co_u32 v0, vcc_lo, s10, v0
	s_delay_alu instid0(VALU_DEP_2)
	v_add_co_ci_u32_e32 v1, vcc_lo, s11, v1, vcc_lo
	global_store_b32 v[0:1], v2, off
.LBB250_7:
	s_nop 0
	s_sendmsg sendmsg(MSG_DEALLOC_VGPRS)
	s_endpgm
	.section	.rodata,"a",@progbits
	.p2align	6, 0x0
	.amdhsa_kernel _ZL9moe_vec_qIfLi256ELi8E11block_iq1_sLi1EXadL_ZL18vec_dot_iq1_s_q8_1PKvPK10block_q8_1RKiEEEvS2_S2_PT_PS6_iiii
		.amdhsa_group_segment_fixed_size 0
		.amdhsa_private_segment_fixed_size 0
		.amdhsa_kernarg_size 304
		.amdhsa_user_sgpr_count 14
		.amdhsa_user_sgpr_dispatch_ptr 0
		.amdhsa_user_sgpr_queue_ptr 0
		.amdhsa_user_sgpr_kernarg_segment_ptr 1
		.amdhsa_user_sgpr_dispatch_id 0
		.amdhsa_user_sgpr_private_segment_size 0
		.amdhsa_wavefront_size32 1
		.amdhsa_uses_dynamic_stack 0
		.amdhsa_enable_private_segment 0
		.amdhsa_system_sgpr_workgroup_id_x 1
		.amdhsa_system_sgpr_workgroup_id_y 0
		.amdhsa_system_sgpr_workgroup_id_z 1
		.amdhsa_system_sgpr_workgroup_info 0
		.amdhsa_system_vgpr_workitem_id 1
		.amdhsa_next_free_vgpr 53
		.amdhsa_next_free_sgpr 20
		.amdhsa_reserve_vcc 1
		.amdhsa_float_round_mode_32 0
		.amdhsa_float_round_mode_16_64 0
		.amdhsa_float_denorm_mode_32 3
		.amdhsa_float_denorm_mode_16_64 3
		.amdhsa_dx10_clamp 1
		.amdhsa_ieee_mode 1
		.amdhsa_fp16_overflow 0
		.amdhsa_workgroup_processor_mode 1
		.amdhsa_memory_ordered 1
		.amdhsa_forward_progress 0
		.amdhsa_shared_vgpr_count 0
		.amdhsa_exception_fp_ieee_invalid_op 0
		.amdhsa_exception_fp_denorm_src 0
		.amdhsa_exception_fp_ieee_div_zero 0
		.amdhsa_exception_fp_ieee_overflow 0
		.amdhsa_exception_fp_ieee_underflow 0
		.amdhsa_exception_fp_ieee_inexact 0
		.amdhsa_exception_int_div_zero 0
	.end_amdhsa_kernel
	.section	.text._ZL9moe_vec_qIfLi256ELi8E11block_iq1_sLi1EXadL_ZL18vec_dot_iq1_s_q8_1PKvPK10block_q8_1RKiEEEvS2_S2_PT_PS6_iiii,"axG",@progbits,_ZL9moe_vec_qIfLi256ELi8E11block_iq1_sLi1EXadL_ZL18vec_dot_iq1_s_q8_1PKvPK10block_q8_1RKiEEEvS2_S2_PT_PS6_iiii,comdat
.Lfunc_end250:
	.size	_ZL9moe_vec_qIfLi256ELi8E11block_iq1_sLi1EXadL_ZL18vec_dot_iq1_s_q8_1PKvPK10block_q8_1RKiEEEvS2_S2_PT_PS6_iiii, .Lfunc_end250-_ZL9moe_vec_qIfLi256ELi8E11block_iq1_sLi1EXadL_ZL18vec_dot_iq1_s_q8_1PKvPK10block_q8_1RKiEEEvS2_S2_PT_PS6_iiii
                                        ; -- End function
	.section	.AMDGPU.csdata,"",@progbits
; Kernel info:
; codeLenInByte = 1784
; NumSgprs: 22
; NumVgprs: 53
; ScratchSize: 0
; MemoryBound: 0
; FloatMode: 240
; IeeeMode: 1
; LDSByteSize: 0 bytes/workgroup (compile time only)
; SGPRBlocks: 2
; VGPRBlocks: 6
; NumSGPRsForWavesPerEU: 22
; NumVGPRsForWavesPerEU: 53
; Occupancy: 16
; WaveLimiterHint : 1
; COMPUTE_PGM_RSRC2:SCRATCH_EN: 0
; COMPUTE_PGM_RSRC2:USER_SGPR: 14
; COMPUTE_PGM_RSRC2:TRAP_HANDLER: 0
; COMPUTE_PGM_RSRC2:TGID_X_EN: 1
; COMPUTE_PGM_RSRC2:TGID_Y_EN: 0
; COMPUTE_PGM_RSRC2:TGID_Z_EN: 1
; COMPUTE_PGM_RSRC2:TIDIG_COMP_CNT: 1
	.section	.text._ZL9moe_vec_qIfLi32ELi4E12block_iq4_nlLi2EXadL_ZL19vec_dot_iq4_nl_q8_1PKvPK10block_q8_1RKiEEEvS2_S2_PT_PS6_iiii,"axG",@progbits,_ZL9moe_vec_qIfLi32ELi4E12block_iq4_nlLi2EXadL_ZL19vec_dot_iq4_nl_q8_1PKvPK10block_q8_1RKiEEEvS2_S2_PT_PS6_iiii,comdat
	.globl	_ZL9moe_vec_qIfLi32ELi4E12block_iq4_nlLi2EXadL_ZL19vec_dot_iq4_nl_q8_1PKvPK10block_q8_1RKiEEEvS2_S2_PT_PS6_iiii ; -- Begin function _ZL9moe_vec_qIfLi32ELi4E12block_iq4_nlLi2EXadL_ZL19vec_dot_iq4_nl_q8_1PKvPK10block_q8_1RKiEEEvS2_S2_PT_PS6_iiii
	.p2align	8
	.type	_ZL9moe_vec_qIfLi32ELi4E12block_iq4_nlLi2EXadL_ZL19vec_dot_iq4_nl_q8_1PKvPK10block_q8_1RKiEEEvS2_S2_PT_PS6_iiii,@function
_ZL9moe_vec_qIfLi32ELi4E12block_iq4_nlLi2EXadL_ZL19vec_dot_iq4_nl_q8_1PKvPK10block_q8_1RKiEEEvS2_S2_PT_PS6_iiii: ; @_ZL9moe_vec_qIfLi32ELi4E12block_iq4_nlLi2EXadL_ZL19vec_dot_iq4_nl_q8_1PKvPK10block_q8_1RKiEEEvS2_S2_PT_PS6_iiii
; %bb.0:
	s_clause 0x1
	s_load_b32 s2, s[0:1], 0x3c
	s_load_b128 s[4:7], s[0:1], 0x20
	v_bfe_u32 v3, v0, 10, 10
	s_waitcnt lgkmcnt(0)
	s_lshr_b32 s2, s2, 16
	s_delay_alu instid0(VALU_DEP_1) | instid1(SALU_CYCLE_1)
	v_mad_u64_u32 v[1:2], null, s14, s2, v[3:4]
	s_mov_b32 s2, exec_lo
	s_delay_alu instid0(VALU_DEP_1)
	v_cmpx_gt_u32_e64 s6, v1
	s_cbranch_execz .LBB251_7
; %bb.1:
	v_cvt_f32_u32_e32 v2, s4
	s_load_b64 s[10:11], s[0:1], 0x10
	s_ashr_i32 s2, s5, 31
	v_and_b32_e32 v0, 0x3ff, v0
	s_lshr_b32 s2, s2, 27
	v_rcp_iflag_f32_e32 v2, v2
	s_add_i32 s2, s5, s2
	s_mov_b32 s8, s15
	s_ashr_i32 s12, s2, 5
	s_mov_b32 s5, exec_lo
	s_waitcnt_depctr 0xfff
	v_mul_f32_e32 v3, 0x4f7ffffe, v2
	s_delay_alu instid0(VALU_DEP_1) | instskip(NEXT) | instid1(VALU_DEP_1)
	v_cvt_u32_f32_e32 v3, v3
	v_readfirstlane_b32 s2, v3
	v_mov_b32_e32 v3, 0
	v_lshrrev_b32_e32 v2, 1, v0
	s_delay_alu instid0(VALU_DEP_1)
	v_cmpx_gt_u32_e64 s12, v2
	s_cbranch_execz .LBB251_5
; %bb.2:
	s_load_b64 s[14:15], s[0:1], 0x18
	s_sub_i32 s3, 0, s4
	s_mov_b32 s9, 0
	s_mul_i32 s3, s3, s2
	s_lshl_b64 s[16:17], s[8:9], 2
	s_mul_hi_u32 s3, s2, s3
	v_lshlrev_b32_e32 v5, 1, v0
	s_add_i32 s13, s2, s3
	v_mov_b32_e32 v3, 0
	s_mul_hi_u32 s13, s8, s13
	v_mul_lo_u32 v4, v1, s12
	v_and_b32_e32 v6, 2, v5
	s_delay_alu instid0(VALU_DEP_1)
	v_lshlrev_b32_e32 v5, 1, v6
	v_lshlrev_b32_e32 v6, 2, v6
	s_waitcnt lgkmcnt(0)
	s_add_u32 s14, s14, s16
	s_addc_u32 s15, s15, s17
	s_load_b128 s[0:3], s[0:1], 0x0
	s_load_b32 s14, s[14:15], 0x0
	s_mul_i32 s17, s13, s4
	s_add_i32 s18, s13, 1
	s_sub_i32 s17, s8, s17
	s_mul_i32 s16, s12, s6
	s_sub_i32 s19, s17, s4
	s_cmp_ge_u32 s17, s4
	s_mov_b32 s15, s9
	s_cselect_b32 s13, s18, s13
	s_cselect_b32 s17, s19, s17
	s_add_i32 s18, s13, 1
	s_cmp_ge_u32 s17, s4
	v_lshlrev_b32_e32 v5, 1, v5
	s_cselect_b32 s4, s18, s13
	s_waitcnt lgkmcnt(0)
	s_mul_i32 s13, s16, s14
	s_mul_i32 s14, s4, s7
	;; [unrolled: 1-line block ×3, first 2 shown]
	s_mul_hi_i32 s7, s13, 18
	s_add_u32 s0, s0, s4
	s_addc_u32 s1, s1, s7
	s_lshl_b64 s[14:15], s[14:15], 2
	s_delay_alu instid0(SALU_CYCLE_1)
	s_add_u32 s2, s2, s14
	s_addc_u32 s3, s3, s15
	s_getpc_b64 s[14:15]
	s_add_u32 s14, s14, _ZL13kvalues_iq4nl@rel32@lo+4
	s_addc_u32 s15, s15, _ZL13kvalues_iq4nl@rel32@hi+12
.LBB251_3:                              ; =>This Inner Loop Header: Depth=1
	v_add_nc_u32_e32 v9, v4, v2
	v_mad_i64_i32 v[11:12], null, v2, 36, s[2:3]
	s_delay_alu instid0(VALU_DEP_2) | instskip(NEXT) | instid1(VALU_DEP_1)
	v_mad_i64_i32 v[7:8], null, v9, 18, s[0:1]
	v_add_co_u32 v9, vcc_lo, v7, v5
	s_delay_alu instid0(VALU_DEP_2) | instskip(NEXT) | instid1(VALU_DEP_4)
	v_add_co_ci_u32_e32 v10, vcc_lo, 0, v8, vcc_lo
	v_add_co_u32 v13, vcc_lo, v11, v6
	v_add_co_ci_u32_e32 v14, vcc_lo, 0, v12, vcc_lo
	global_load_b64 v[9:10], v[9:10], off offset:2
	global_load_b64 v[15:16], v[13:14], off offset:4
	s_waitcnt vmcnt(1)
	v_bfe_u32 v19, v9, 8, 4
	v_bfe_u32 v20, v9, 16, 4
	;; [unrolled: 1-line block ×5, first 2 shown]
	v_and_b32_e32 v18, 15, v9
	v_lshrrev_b32_e32 v23, 28, v9
	v_bfe_u32 v9, v9, 4, 4
	s_clause 0x7
	global_load_i8 v19, v19, s[14:15]
	global_load_i8 v20, v20, s[14:15]
	;; [unrolled: 1-line block ×8, first 2 shown]
	v_bfe_u32 v26, v10, 8, 4
	v_bfe_u32 v27, v10, 16, 4
	;; [unrolled: 1-line block ×5, first 2 shown]
	v_and_b32_e32 v25, 15, v10
	v_lshrrev_b32_e32 v30, 28, v10
	v_bfe_u32 v9, v10, 4, 4
	s_clause 0x7
	global_load_i8 v26, v26, s[14:15]
	global_load_i8 v27, v27, s[14:15]
	;; [unrolled: 1-line block ×8, first 2 shown]
	s_clause 0x1
	global_load_b64 v[9:10], v[13:14], off offset:20
	global_load_b32 v11, v[11:12], off
	global_load_u16 v7, v[7:8], off
	s_waitcnt vmcnt(14)
	v_perm_b32 v13, v21, v31, 0xc0c0400
	s_waitcnt vmcnt(13)
	v_perm_b32 v14, v23, v22, 0x4000c0c
	;; [unrolled: 2-line block ×4, first 2 shown]
	v_or_b32_e32 v13, v14, v13
	s_delay_alu instid0(VALU_DEP_2)
	v_or_b32_e32 v8, v12, v8
	s_waitcnt vmcnt(5)
	v_perm_b32 v12, v26, v25, 0xc0c0400
	s_waitcnt vmcnt(4)
	v_perm_b32 v17, v24, v27, 0x4000c0c
	;; [unrolled: 2-line block ×3, first 2 shown]
	s_waitcnt vmcnt(1)
	v_cvt_f32_f16_e32 v11, v11
	v_dot4_i32_iu8 v8, v15, v8, 0 neg_lo:[1,1,0]
	v_perm_b32 v15, v30, v29, 0x4000c0c
	v_or_b32_e32 v12, v17, v12
	s_waitcnt vmcnt(0)
	v_cvt_f32_f16_e32 v7, v7
	v_dot4_i32_iu8 v8, v9, v13, v8 neg_lo:[1,1,0]
	v_or_b32_e32 v9, v15, v14
	s_delay_alu instid0(VALU_DEP_3) | instskip(NEXT) | instid1(VALU_DEP_3)
	v_mul_f32_e32 v7, v7, v11
	v_dot4_i32_iu8 v8, v16, v12, v8 neg_lo:[1,1,0]
	s_delay_alu instid0(VALU_DEP_1) | instskip(NEXT) | instid1(VALU_DEP_1)
	v_dot4_i32_iu8 v8, v10, v9, v8 neg_lo:[1,1,0]
	v_cvt_f32_i32_e32 v8, v8
	s_delay_alu instid0(VALU_DEP_1) | instskip(NEXT) | instid1(VALU_DEP_1)
	v_dual_fmac_f32 v3, v7, v8 :: v_dual_add_nc_u32 v2, 16, v2
	v_cmp_le_u32_e32 vcc_lo, s12, v2
	s_or_b32 s9, vcc_lo, s9
	s_delay_alu instid0(SALU_CYCLE_1)
	s_and_not1_b32 exec_lo, exec_lo, s9
	s_cbranch_execnz .LBB251_3
; %bb.4:
	s_or_b32 exec_lo, exec_lo, s9
.LBB251_5:
	s_delay_alu instid0(SALU_CYCLE_1) | instskip(SKIP_1) | instid1(VALU_DEP_1)
	s_or_b32 exec_lo, exec_lo, s5
	v_mbcnt_lo_u32_b32 v2, -1, 0
	v_xor_b32_e32 v4, 16, v2
	v_xor_b32_e32 v5, 8, v2
	s_delay_alu instid0(VALU_DEP_2) | instskip(SKIP_1) | instid1(VALU_DEP_3)
	v_cmp_gt_i32_e32 vcc_lo, 32, v4
	v_cndmask_b32_e32 v4, v2, v4, vcc_lo
	v_cmp_gt_i32_e32 vcc_lo, 32, v5
	v_cndmask_b32_e32 v5, v2, v5, vcc_lo
	s_delay_alu instid0(VALU_DEP_1) | instskip(NEXT) | instid1(VALU_DEP_4)
	v_lshlrev_b32_e32 v5, 2, v5
	v_lshlrev_b32_e32 v4, 2, v4
	ds_bpermute_b32 v4, v4, v3
	s_waitcnt lgkmcnt(0)
	v_add_f32_e32 v3, v3, v4
	ds_bpermute_b32 v4, v5, v3
	v_xor_b32_e32 v5, 4, v2
	s_delay_alu instid0(VALU_DEP_1) | instskip(SKIP_1) | instid1(VALU_DEP_1)
	v_cmp_gt_i32_e32 vcc_lo, 32, v5
	v_cndmask_b32_e32 v5, v2, v5, vcc_lo
	v_lshlrev_b32_e32 v5, 2, v5
	s_waitcnt lgkmcnt(0)
	v_add_f32_e32 v3, v3, v4
	ds_bpermute_b32 v4, v5, v3
	v_xor_b32_e32 v5, 2, v2
	s_delay_alu instid0(VALU_DEP_1) | instskip(SKIP_1) | instid1(VALU_DEP_1)
	v_cmp_gt_i32_e32 vcc_lo, 32, v5
	v_cndmask_b32_e32 v5, v2, v5, vcc_lo
	v_lshlrev_b32_e32 v5, 2, v5
	s_waitcnt lgkmcnt(0)
	v_add_f32_e32 v3, v3, v4
	ds_bpermute_b32 v4, v5, v3
	v_xor_b32_e32 v5, 1, v2
	s_delay_alu instid0(VALU_DEP_1) | instskip(SKIP_3) | instid1(VALU_DEP_2)
	v_cmp_gt_i32_e32 vcc_lo, 32, v5
	v_cndmask_b32_e32 v5, v2, v5, vcc_lo
	v_cmp_eq_u32_e32 vcc_lo, 0, v0
	s_waitcnt lgkmcnt(0)
	v_dual_add_f32 v2, v3, v4 :: v_dual_lshlrev_b32 v3, 2, v5
	ds_bpermute_b32 v3, v3, v2
	s_and_b32 exec_lo, exec_lo, vcc_lo
	s_cbranch_execz .LBB251_7
; %bb.6:
	v_mad_u64_u32 v[4:5], null, s8, s6, v[1:2]
	s_waitcnt lgkmcnt(0)
	v_dual_mov_b32 v5, 0 :: v_dual_add_f32 v2, v2, v3
	s_delay_alu instid0(VALU_DEP_1) | instskip(NEXT) | instid1(VALU_DEP_1)
	v_lshlrev_b64 v[0:1], 2, v[4:5]
	v_add_co_u32 v0, vcc_lo, s10, v0
	s_delay_alu instid0(VALU_DEP_2)
	v_add_co_ci_u32_e32 v1, vcc_lo, s11, v1, vcc_lo
	global_store_b32 v[0:1], v2, off
.LBB251_7:
	s_nop 0
	s_sendmsg sendmsg(MSG_DEALLOC_VGPRS)
	s_endpgm
	.section	.rodata,"a",@progbits
	.p2align	6, 0x0
	.amdhsa_kernel _ZL9moe_vec_qIfLi32ELi4E12block_iq4_nlLi2EXadL_ZL19vec_dot_iq4_nl_q8_1PKvPK10block_q8_1RKiEEEvS2_S2_PT_PS6_iiii
		.amdhsa_group_segment_fixed_size 0
		.amdhsa_private_segment_fixed_size 0
		.amdhsa_kernarg_size 304
		.amdhsa_user_sgpr_count 14
		.amdhsa_user_sgpr_dispatch_ptr 0
		.amdhsa_user_sgpr_queue_ptr 0
		.amdhsa_user_sgpr_kernarg_segment_ptr 1
		.amdhsa_user_sgpr_dispatch_id 0
		.amdhsa_user_sgpr_private_segment_size 0
		.amdhsa_wavefront_size32 1
		.amdhsa_uses_dynamic_stack 0
		.amdhsa_enable_private_segment 0
		.amdhsa_system_sgpr_workgroup_id_x 1
		.amdhsa_system_sgpr_workgroup_id_y 0
		.amdhsa_system_sgpr_workgroup_id_z 1
		.amdhsa_system_sgpr_workgroup_info 0
		.amdhsa_system_vgpr_workitem_id 1
		.amdhsa_next_free_vgpr 33
		.amdhsa_next_free_sgpr 20
		.amdhsa_reserve_vcc 1
		.amdhsa_float_round_mode_32 0
		.amdhsa_float_round_mode_16_64 0
		.amdhsa_float_denorm_mode_32 3
		.amdhsa_float_denorm_mode_16_64 3
		.amdhsa_dx10_clamp 1
		.amdhsa_ieee_mode 1
		.amdhsa_fp16_overflow 0
		.amdhsa_workgroup_processor_mode 1
		.amdhsa_memory_ordered 1
		.amdhsa_forward_progress 0
		.amdhsa_shared_vgpr_count 0
		.amdhsa_exception_fp_ieee_invalid_op 0
		.amdhsa_exception_fp_denorm_src 0
		.amdhsa_exception_fp_ieee_div_zero 0
		.amdhsa_exception_fp_ieee_overflow 0
		.amdhsa_exception_fp_ieee_underflow 0
		.amdhsa_exception_fp_ieee_inexact 0
		.amdhsa_exception_int_div_zero 0
	.end_amdhsa_kernel
	.section	.text._ZL9moe_vec_qIfLi32ELi4E12block_iq4_nlLi2EXadL_ZL19vec_dot_iq4_nl_q8_1PKvPK10block_q8_1RKiEEEvS2_S2_PT_PS6_iiii,"axG",@progbits,_ZL9moe_vec_qIfLi32ELi4E12block_iq4_nlLi2EXadL_ZL19vec_dot_iq4_nl_q8_1PKvPK10block_q8_1RKiEEEvS2_S2_PT_PS6_iiii,comdat
.Lfunc_end251:
	.size	_ZL9moe_vec_qIfLi32ELi4E12block_iq4_nlLi2EXadL_ZL19vec_dot_iq4_nl_q8_1PKvPK10block_q8_1RKiEEEvS2_S2_PT_PS6_iiii, .Lfunc_end251-_ZL9moe_vec_qIfLi32ELi4E12block_iq4_nlLi2EXadL_ZL19vec_dot_iq4_nl_q8_1PKvPK10block_q8_1RKiEEEvS2_S2_PT_PS6_iiii
                                        ; -- End function
	.section	.AMDGPU.csdata,"",@progbits
; Kernel info:
; codeLenInByte = 1236
; NumSgprs: 22
; NumVgprs: 33
; ScratchSize: 0
; MemoryBound: 0
; FloatMode: 240
; IeeeMode: 1
; LDSByteSize: 0 bytes/workgroup (compile time only)
; SGPRBlocks: 2
; VGPRBlocks: 4
; NumSGPRsForWavesPerEU: 22
; NumVGPRsForWavesPerEU: 33
; Occupancy: 16
; WaveLimiterHint : 1
; COMPUTE_PGM_RSRC2:SCRATCH_EN: 0
; COMPUTE_PGM_RSRC2:USER_SGPR: 14
; COMPUTE_PGM_RSRC2:TRAP_HANDLER: 0
; COMPUTE_PGM_RSRC2:TGID_X_EN: 1
; COMPUTE_PGM_RSRC2:TGID_Y_EN: 0
; COMPUTE_PGM_RSRC2:TGID_Z_EN: 1
; COMPUTE_PGM_RSRC2:TIDIG_COMP_CNT: 1
	.section	.text._ZL9moe_vec_qIfLi256ELi8E11block_iq3_sLi1EXadL_ZL18vec_dot_iq3_s_q8_1PKvPK10block_q8_1RKiEEEvS2_S2_PT_PS6_iiii,"axG",@progbits,_ZL9moe_vec_qIfLi256ELi8E11block_iq3_sLi1EXadL_ZL18vec_dot_iq3_s_q8_1PKvPK10block_q8_1RKiEEEvS2_S2_PT_PS6_iiii,comdat
	.globl	_ZL9moe_vec_qIfLi256ELi8E11block_iq3_sLi1EXadL_ZL18vec_dot_iq3_s_q8_1PKvPK10block_q8_1RKiEEEvS2_S2_PT_PS6_iiii ; -- Begin function _ZL9moe_vec_qIfLi256ELi8E11block_iq3_sLi1EXadL_ZL18vec_dot_iq3_s_q8_1PKvPK10block_q8_1RKiEEEvS2_S2_PT_PS6_iiii
	.p2align	8
	.type	_ZL9moe_vec_qIfLi256ELi8E11block_iq3_sLi1EXadL_ZL18vec_dot_iq3_s_q8_1PKvPK10block_q8_1RKiEEEvS2_S2_PT_PS6_iiii,@function
_ZL9moe_vec_qIfLi256ELi8E11block_iq3_sLi1EXadL_ZL18vec_dot_iq3_s_q8_1PKvPK10block_q8_1RKiEEEvS2_S2_PT_PS6_iiii: ; @_ZL9moe_vec_qIfLi256ELi8E11block_iq3_sLi1EXadL_ZL18vec_dot_iq3_s_q8_1PKvPK10block_q8_1RKiEEEvS2_S2_PT_PS6_iiii
; %bb.0:
	s_clause 0x1
	s_load_b32 s2, s[0:1], 0x3c
	s_load_b128 s[4:7], s[0:1], 0x20
	v_bfe_u32 v3, v0, 10, 10
	s_waitcnt lgkmcnt(0)
	s_lshr_b32 s2, s2, 16
	s_delay_alu instid0(VALU_DEP_1) | instid1(SALU_CYCLE_1)
	v_mad_u64_u32 v[1:2], null, s14, s2, v[3:4]
	s_mov_b32 s2, exec_lo
	s_delay_alu instid0(VALU_DEP_1)
	v_cmpx_gt_u32_e64 s6, v1
	s_cbranch_execz .LBB252_9
; %bb.1:
	s_load_b64 s[10:11], s[0:1], 0x10
	v_dual_mov_b32 v19, 0 :: v_dual_and_b32 v0, 0x3ff, v0
	s_ashr_i32 s2, s5, 31
	s_mov_b32 s8, s15
	s_lshr_b32 s2, s2, 24
	s_delay_alu instid0(VALU_DEP_1)
	v_lshrrev_b32_e32 v18, 3, v0
	s_add_i32 s2, s5, s2
	s_mov_b32 s5, exec_lo
	s_ashr_i32 s12, s2, 8
	s_delay_alu instid0(VALU_DEP_1) | instid1(SALU_CYCLE_1)
	v_cmpx_gt_u32_e64 s12, v18
	s_cbranch_execz .LBB252_7
; %bb.2:
	s_load_b64 s[2:3], s[0:1], 0x18
	s_mov_b32 s9, 0
	v_cvt_f32_u32_e32 v2, s4
	s_lshl_b64 s[14:15], s[8:9], 2
	v_mov_b32_e32 v19, 0
	v_mul_lo_u32 v20, v1, s12
	v_bfe_u32 v22, v0, 1, 2
	v_rcp_iflag_f32_e32 v2, v2
	v_and_b32_e32 v21, 7, v0
	s_delay_alu instid0(VALU_DEP_3)
	v_add_nc_u32_e32 v24, v18, v20
	s_waitcnt_depctr 0xfff
	v_dual_mul_f32 v2, 0x4f7ffffe, v2 :: v_dual_lshlrev_b32 v3, 3, v21
	s_waitcnt lgkmcnt(0)
	s_add_u32 s2, s2, s14
	s_addc_u32 s3, s3, s15
	s_delay_alu instid0(VALU_DEP_1)
	v_cvt_u32_f32_e32 v2, v2
	s_load_b32 s13, s[2:3], 0x0
	s_load_b128 s[0:3], s[0:1], 0x0
	s_mul_i32 s14, s12, s6
	s_waitcnt lgkmcnt(0)
	s_mul_i32 s13, s14, s13
	v_readfirstlane_b32 s14, v2
	s_mul_i32 s15, s13, 0x6e
	s_mul_hi_i32 s13, s13, 0x6e
	s_add_u32 s0, s0, s15
	s_addc_u32 s1, s1, s13
	s_sub_i32 s13, 0, s4
	v_lshlrev_b32_e32 v2, 2, v0
	s_mul_i32 s13, s13, s14
	s_mov_b32 s15, s9
	s_mul_hi_u32 s13, s14, s13
	s_delay_alu instid0(SALU_CYCLE_1)
	s_add_i32 s14, s14, s13
	v_and_b32_e32 v23, 4, v2
	s_mul_hi_u32 s13, s8, s14
	v_lshlrev_b32_e32 v2, 2, v21
	s_mul_i32 s14, s13, s4
	s_add_i32 s16, s13, 1
	s_sub_i32 s14, s8, s14
	s_delay_alu instid0(SALU_CYCLE_1)
	s_sub_i32 s17, s14, s4
	s_cmp_ge_u32 s14, s4
	s_cselect_b32 s13, s16, s13
	s_cselect_b32 s14, s17, s14
	s_add_i32 s16, s13, 1
	s_cmp_ge_u32 s14, s4
	s_cselect_b32 s4, s16, s13
	v_add_co_u32 v2, s13, s0, v2
	s_mul_i32 s14, s4, s7
	v_add_co_ci_u32_e64 v4, null, s1, 0, s13
	s_lshl_b64 s[14:15], s[14:15], 2
	v_add_co_u32 v6, s4, s0, v3
	s_add_u32 s2, s2, s14
	v_add_co_ci_u32_e64 v7, null, s1, 0, s4
	v_add_co_u32 v2, vcc_lo, 0x4a, v2
	s_addc_u32 s3, s3, s15
	v_add_co_ci_u32_e32 v3, vcc_lo, 0, v4, vcc_lo
	v_mad_u64_u32 v[4:5], null, v21, 36, s[2:3]
	v_add_co_u32 v6, vcc_lo, v6, 2
	v_add_co_ci_u32_e32 v7, vcc_lo, 0, v7, vcc_lo
	s_getpc_b64 s[14:15]
	s_add_u32 s14, s14, _ZL10iq3xs_grid@rel32@lo+4
	s_addc_u32 s15, s15, _ZL10iq3xs_grid@rel32@hi+12
.LBB252_3:                              ; =>This Loop Header: Depth=1
                                        ;     Child Loop BB252_4 Depth 2
	v_dual_mov_b32 v25, 0 :: v_dual_add_nc_u32 v10, v18, v20
	v_lshlrev_b32_e32 v12, 3, v18
	v_mad_i64_i32 v[14:15], null, 0x6e, v24, v[6:7]
	s_delay_alu instid0(VALU_DEP_3) | instskip(SKIP_1) | instid1(VALU_DEP_1)
	v_mad_i64_i32 v[8:9], null, 0x6e, v10, s[0:1]
	s_mov_b32 s2, 7
	v_add_co_u32 v10, vcc_lo, v8, v21
	s_delay_alu instid0(VALU_DEP_2) | instskip(SKIP_3) | instid1(VALU_DEP_2)
	v_add_co_ci_u32_e32 v11, vcc_lo, 0, v9, vcc_lo
	global_load_u8 v26, v[10:11], off offset:66
	v_mad_i64_i32 v[10:11], null, v12, 36, v[4:5]
	v_mad_i64_i32 v[12:13], null, 0x6e, v24, v[2:3]
	v_add_co_u32 v16, vcc_lo, v10, 4
	s_delay_alu instid0(VALU_DEP_3)
	v_add_co_ci_u32_e32 v17, vcc_lo, 0, v11, vcc_lo
.LBB252_4:                              ;   Parent Loop BB252_3 Depth=1
                                        ; =>  This Inner Loop Header: Depth=2
	global_load_u16 v27, v[14:15], off
	global_load_u8 v29, v[12:13], off
	s_add_i32 s3, s2, 1
	s_waitcnt vmcnt(2)
	v_lshlrev_b32_e32 v28, s2, v26
	v_lshlrev_b32_e32 v30, s3, v26
	s_add_i32 s2, s2, -2
	s_delay_alu instid0(SALU_CYCLE_1)
	s_cmp_lg_u32 s2, -1
	s_waitcnt vmcnt(1)
	v_lshrrev_b16 v31, 8, v27
	v_and_b32_e32 v27, 0xff, v27
	s_waitcnt vmcnt(0)
	v_and_b32_e32 v32, 15, v29
	v_lshrrev_b16 v29, 4, v29
	v_and_b32_e32 v31, 0xffff, v31
	v_and_or_b32 v27, 0x100, v30, v27
	s_delay_alu instid0(VALU_DEP_4) | instskip(NEXT) | instid1(VALU_DEP_4)
	v_and_b32_e32 v32, 0xffff, v32
	v_and_b32_e32 v29, 0xffff, v29
	s_delay_alu instid0(VALU_DEP_4) | instskip(NEXT) | instid1(VALU_DEP_4)
	v_and_or_b32 v28, 0x100, v28, v31
	v_lshlrev_b32_e32 v27, 2, v27
	s_delay_alu instid0(VALU_DEP_4) | instskip(NEXT) | instid1(VALU_DEP_4)
	v_mul_lo_u32 v32, 0x1010101, v32
	v_mul_lo_u32 v29, 0x1010101, v29
	s_delay_alu instid0(VALU_DEP_4)
	v_lshlrev_b32_e32 v28, 2, v28
	s_clause 0x1
	global_load_b32 v30, v27, s[14:15]
	global_load_b32 v31, v28, s[14:15]
	global_load_b64 v[27:28], v[16:17], off
	v_not_b32_e32 v32, v32
	v_add_co_u32 v16, vcc_lo, v16, 8
	v_add_co_ci_u32_e32 v17, vcc_lo, 0, v17, vcc_lo
	s_delay_alu instid0(VALU_DEP_3)
	v_and_b32_e32 v33, 0x8040201, v32
	v_and_b32_e32 v34, 0x40000, v32
	v_and_b32_e32 v35, 0x200, v32
	v_not_b32_e32 v29, v29
	v_and_b32_e32 v32, 1, v32
	v_cmp_gt_u32_e32 vcc_lo, 0x1000000, v33
	s_delay_alu instid0(VALU_DEP_3)
	v_and_b32_e32 v36, 0x8040201, v29
	v_and_b32_e32 v38, 0x200, v29
	v_cndmask_b32_e64 v33, 0, -1, vcc_lo
	v_cmp_eq_u32_e32 vcc_lo, 0, v34
	v_and_b32_e32 v37, 0x40000, v29
	v_and_b32_e32 v29, 1, v29
	s_delay_alu instid0(VALU_DEP_4)
	v_lshlrev_b32_e32 v33, 24, v33
	v_cndmask_b32_e64 v34, 0, 0xff0000, vcc_lo
	v_cmp_eq_u32_e32 vcc_lo, 0, v35
	v_cndmask_b32_e64 v35, 0, 0xff00, vcc_lo
	v_cmp_eq_u32_e32 vcc_lo, 0, v32
	v_cndmask_b32_e64 v32, 0, 0xff, vcc_lo
	v_cmp_gt_u32_e32 vcc_lo, 0x1000000, v36
	s_delay_alu instid0(VALU_DEP_2) | instskip(SKIP_2) | instid1(VALU_DEP_3)
	v_or_b32_e32 v39, v35, v32
	v_cndmask_b32_e64 v36, 0, -1, vcc_lo
	v_cmp_eq_u32_e32 vcc_lo, 0, v38
	v_or3_b32 v39, v39, v34, v33
	s_delay_alu instid0(VALU_DEP_3) | instskip(SKIP_4) | instid1(VALU_DEP_2)
	v_lshlrev_b32_e32 v36, 24, v36
	v_cndmask_b32_e64 v38, 0, 0xff00, vcc_lo
	v_cmp_eq_u32_e32 vcc_lo, 0, v29
	v_cndmask_b32_e64 v29, 0, 0xff, vcc_lo
	v_cmp_eq_u32_e32 vcc_lo, 0, v37
	v_or_b32_e32 v40, v38, v29
	v_cndmask_b32_e64 v37, 0, 0xff0000, vcc_lo
	v_add_co_u32 v12, vcc_lo, v12, 1
	v_add_co_ci_u32_e32 v13, vcc_lo, 0, v13, vcc_lo
	s_delay_alu instid0(VALU_DEP_3)
	v_or3_b32 v40, v40, v37, v36
	v_add_co_u32 v14, vcc_lo, v14, 2
	v_add_co_ci_u32_e32 v15, vcc_lo, 0, v15, vcc_lo
	s_waitcnt vmcnt(2)
	v_xor_b32_e32 v30, v39, v30
	s_waitcnt vmcnt(1)
	v_xor_b32_e32 v31, v40, v31
	s_waitcnt vmcnt(0)
	v_bfe_i32 v41, v27, 0, 8
	v_bfe_i32 v39, v28, 0, 8
	v_sub_nc_u32_e32 v32, v30, v32
	v_sub_nc_u32_e32 v29, v31, v29
	;; [unrolled: 1-line block ×7, first 2 shown]
	v_bfe_i32 v32, v32, 0, 8
	v_bfe_i32 v29, v29, 0, 8
	v_perm_b32 v34, v34, v30, 0xc06010c
	v_sub_nc_u32_e32 v31, v31, v36
	v_perm_b32 v35, v35, v37, 0xc06010c
	v_mul_i32_i24_e32 v32, v32, v41
	v_mul_i32_i24_e32 v29, v29, v39
	v_perm_b32 v36, v27, v27, 0xc0c0201
	v_perm_b32 v30, v34, v30, 0xc0c0601
	;; [unrolled: 1-line block ×4, first 2 shown]
	v_add3_u32 v25, v32, v25, v29
	v_perm_b32 v27, v28, v27, 0x7060503
	s_delay_alu instid0(VALU_DEP_3) | instskip(NEXT) | instid1(VALU_DEP_3)
	v_or_b32_e32 v28, v31, v33
	v_dot4_i32_iu8 v25, v30, v36, v25 neg_lo:[1,1,0]
	s_delay_alu instid0(VALU_DEP_1)
	v_dot4_i32_iu8 v25, v28, v27, v25 neg_lo:[1,1,0]
	s_cbranch_scc1 .LBB252_4
; %bb.5:                                ;   in Loop: Header=BB252_3 Depth=1
	v_add_co_u32 v12, vcc_lo, v8, v22
	v_add_co_ci_u32_e32 v13, vcc_lo, 0, v9, vcc_lo
	v_add_nc_u32_e32 v18, 4, v18
	v_add_nc_u32_e32 v24, 4, v24
	s_clause 0x1
	global_load_u8 v12, v[12:13], off offset:106
	global_load_u16 v8, v[8:9], off
	global_load_b32 v9, v[10:11], off
	v_cmp_le_u32_e32 vcc_lo, s12, v18
	s_or_b32 s9, vcc_lo, s9
	s_waitcnt vmcnt(2)
	v_bfe_u32 v10, v12, v23, 4
	s_waitcnt vmcnt(1)
	v_cvt_f32_f16_e32 v8, v8
	s_waitcnt vmcnt(0)
	v_cvt_f32_f16_e32 v9, v9
	v_cvt_f32_ubyte0_e32 v10, v10
	s_delay_alu instid0(VALU_DEP_1) | instskip(NEXT) | instid1(VALU_DEP_1)
	v_add_f32_e32 v10, 0.5, v10
	v_mul_f32_e32 v8, v10, v8
	s_delay_alu instid0(VALU_DEP_1) | instskip(SKIP_1) | instid1(VALU_DEP_2)
	v_mul_f32_e32 v8, v8, v9
	v_cvt_f32_i32_e32 v9, v25
	v_mul_f32_e32 v8, 0.5, v8
	s_delay_alu instid0(VALU_DEP_1)
	v_fmac_f32_e32 v19, v8, v9
	s_and_not1_b32 exec_lo, exec_lo, s9
	s_cbranch_execnz .LBB252_3
; %bb.6:
	s_or_b32 exec_lo, exec_lo, s9
.LBB252_7:
	s_delay_alu instid0(SALU_CYCLE_1) | instskip(SKIP_1) | instid1(VALU_DEP_1)
	s_or_b32 exec_lo, exec_lo, s5
	v_mbcnt_lo_u32_b32 v2, -1, 0
	v_xor_b32_e32 v3, 16, v2
	v_xor_b32_e32 v4, 8, v2
	;; [unrolled: 1-line block ×3, first 2 shown]
	s_delay_alu instid0(VALU_DEP_3) | instskip(SKIP_1) | instid1(VALU_DEP_4)
	v_cmp_gt_i32_e32 vcc_lo, 32, v3
	v_cndmask_b32_e32 v3, v2, v3, vcc_lo
	v_cmp_gt_i32_e32 vcc_lo, 32, v4
	v_cndmask_b32_e32 v4, v2, v4, vcc_lo
	v_cmp_gt_i32_e32 vcc_lo, 32, v5
	s_delay_alu instid0(VALU_DEP_2)
	v_lshlrev_b32_e32 v4, 2, v4
	v_lshlrev_b32_e32 v3, 2, v3
	v_cndmask_b32_e32 v5, v2, v5, vcc_lo
	ds_bpermute_b32 v3, v3, v19
	v_lshlrev_b32_e32 v5, 2, v5
	s_waitcnt lgkmcnt(0)
	v_add_f32_e32 v3, v19, v3
	ds_bpermute_b32 v4, v4, v3
	s_waitcnt lgkmcnt(0)
	v_add_f32_e32 v3, v3, v4
	ds_bpermute_b32 v4, v5, v3
	v_xor_b32_e32 v5, 2, v2
	s_delay_alu instid0(VALU_DEP_1) | instskip(SKIP_1) | instid1(VALU_DEP_1)
	v_cmp_gt_i32_e32 vcc_lo, 32, v5
	v_cndmask_b32_e32 v5, v2, v5, vcc_lo
	v_lshlrev_b32_e32 v5, 2, v5
	s_waitcnt lgkmcnt(0)
	v_add_f32_e32 v3, v3, v4
	ds_bpermute_b32 v4, v5, v3
	v_xor_b32_e32 v5, 1, v2
	s_delay_alu instid0(VALU_DEP_1) | instskip(SKIP_3) | instid1(VALU_DEP_2)
	v_cmp_gt_i32_e32 vcc_lo, 32, v5
	v_cndmask_b32_e32 v5, v2, v5, vcc_lo
	v_cmp_eq_u32_e32 vcc_lo, 0, v0
	s_waitcnt lgkmcnt(0)
	v_dual_add_f32 v2, v3, v4 :: v_dual_lshlrev_b32 v3, 2, v5
	ds_bpermute_b32 v3, v3, v2
	s_and_b32 exec_lo, exec_lo, vcc_lo
	s_cbranch_execz .LBB252_9
; %bb.8:
	v_mad_u64_u32 v[4:5], null, s8, s6, v[1:2]
	s_waitcnt lgkmcnt(0)
	v_dual_mov_b32 v5, 0 :: v_dual_add_f32 v2, v2, v3
	s_delay_alu instid0(VALU_DEP_1) | instskip(NEXT) | instid1(VALU_DEP_1)
	v_lshlrev_b64 v[0:1], 2, v[4:5]
	v_add_co_u32 v0, vcc_lo, s10, v0
	s_delay_alu instid0(VALU_DEP_2)
	v_add_co_ci_u32_e32 v1, vcc_lo, s11, v1, vcc_lo
	global_store_b32 v[0:1], v2, off
.LBB252_9:
	s_nop 0
	s_sendmsg sendmsg(MSG_DEALLOC_VGPRS)
	s_endpgm
	.section	.rodata,"a",@progbits
	.p2align	6, 0x0
	.amdhsa_kernel _ZL9moe_vec_qIfLi256ELi8E11block_iq3_sLi1EXadL_ZL18vec_dot_iq3_s_q8_1PKvPK10block_q8_1RKiEEEvS2_S2_PT_PS6_iiii
		.amdhsa_group_segment_fixed_size 0
		.amdhsa_private_segment_fixed_size 0
		.amdhsa_kernarg_size 304
		.amdhsa_user_sgpr_count 14
		.amdhsa_user_sgpr_dispatch_ptr 0
		.amdhsa_user_sgpr_queue_ptr 0
		.amdhsa_user_sgpr_kernarg_segment_ptr 1
		.amdhsa_user_sgpr_dispatch_id 0
		.amdhsa_user_sgpr_private_segment_size 0
		.amdhsa_wavefront_size32 1
		.amdhsa_uses_dynamic_stack 0
		.amdhsa_enable_private_segment 0
		.amdhsa_system_sgpr_workgroup_id_x 1
		.amdhsa_system_sgpr_workgroup_id_y 0
		.amdhsa_system_sgpr_workgroup_id_z 1
		.amdhsa_system_sgpr_workgroup_info 0
		.amdhsa_system_vgpr_workitem_id 1
		.amdhsa_next_free_vgpr 42
		.amdhsa_next_free_sgpr 18
		.amdhsa_reserve_vcc 1
		.amdhsa_float_round_mode_32 0
		.amdhsa_float_round_mode_16_64 0
		.amdhsa_float_denorm_mode_32 3
		.amdhsa_float_denorm_mode_16_64 3
		.amdhsa_dx10_clamp 1
		.amdhsa_ieee_mode 1
		.amdhsa_fp16_overflow 0
		.amdhsa_workgroup_processor_mode 1
		.amdhsa_memory_ordered 1
		.amdhsa_forward_progress 0
		.amdhsa_shared_vgpr_count 0
		.amdhsa_exception_fp_ieee_invalid_op 0
		.amdhsa_exception_fp_denorm_src 0
		.amdhsa_exception_fp_ieee_div_zero 0
		.amdhsa_exception_fp_ieee_overflow 0
		.amdhsa_exception_fp_ieee_underflow 0
		.amdhsa_exception_fp_ieee_inexact 0
		.amdhsa_exception_int_div_zero 0
	.end_amdhsa_kernel
	.section	.text._ZL9moe_vec_qIfLi256ELi8E11block_iq3_sLi1EXadL_ZL18vec_dot_iq3_s_q8_1PKvPK10block_q8_1RKiEEEvS2_S2_PT_PS6_iiii,"axG",@progbits,_ZL9moe_vec_qIfLi256ELi8E11block_iq3_sLi1EXadL_ZL18vec_dot_iq3_s_q8_1PKvPK10block_q8_1RKiEEEvS2_S2_PT_PS6_iiii,comdat
.Lfunc_end252:
	.size	_ZL9moe_vec_qIfLi256ELi8E11block_iq3_sLi1EXadL_ZL18vec_dot_iq3_s_q8_1PKvPK10block_q8_1RKiEEEvS2_S2_PT_PS6_iiii, .Lfunc_end252-_ZL9moe_vec_qIfLi256ELi8E11block_iq3_sLi1EXadL_ZL18vec_dot_iq3_s_q8_1PKvPK10block_q8_1RKiEEEvS2_S2_PT_PS6_iiii
                                        ; -- End function
	.section	.AMDGPU.csdata,"",@progbits
; Kernel info:
; codeLenInByte = 1680
; NumSgprs: 20
; NumVgprs: 42
; ScratchSize: 0
; MemoryBound: 0
; FloatMode: 240
; IeeeMode: 1
; LDSByteSize: 0 bytes/workgroup (compile time only)
; SGPRBlocks: 2
; VGPRBlocks: 5
; NumSGPRsForWavesPerEU: 20
; NumVGPRsForWavesPerEU: 42
; Occupancy: 16
; WaveLimiterHint : 1
; COMPUTE_PGM_RSRC2:SCRATCH_EN: 0
; COMPUTE_PGM_RSRC2:USER_SGPR: 14
; COMPUTE_PGM_RSRC2:TRAP_HANDLER: 0
; COMPUTE_PGM_RSRC2:TGID_X_EN: 1
; COMPUTE_PGM_RSRC2:TGID_Y_EN: 0
; COMPUTE_PGM_RSRC2:TGID_Z_EN: 1
; COMPUTE_PGM_RSRC2:TIDIG_COMP_CNT: 1
	.section	.text._ZL9moe_vec_qIfLi256ELi8E11block_iq2_sLi1EXadL_ZL18vec_dot_iq2_s_q8_1PKvPK10block_q8_1RKiEEEvS2_S2_PT_PS6_iiii,"axG",@progbits,_ZL9moe_vec_qIfLi256ELi8E11block_iq2_sLi1EXadL_ZL18vec_dot_iq2_s_q8_1PKvPK10block_q8_1RKiEEEvS2_S2_PT_PS6_iiii,comdat
	.globl	_ZL9moe_vec_qIfLi256ELi8E11block_iq2_sLi1EXadL_ZL18vec_dot_iq2_s_q8_1PKvPK10block_q8_1RKiEEEvS2_S2_PT_PS6_iiii ; -- Begin function _ZL9moe_vec_qIfLi256ELi8E11block_iq2_sLi1EXadL_ZL18vec_dot_iq2_s_q8_1PKvPK10block_q8_1RKiEEEvS2_S2_PT_PS6_iiii
	.p2align	8
	.type	_ZL9moe_vec_qIfLi256ELi8E11block_iq2_sLi1EXadL_ZL18vec_dot_iq2_s_q8_1PKvPK10block_q8_1RKiEEEvS2_S2_PT_PS6_iiii,@function
_ZL9moe_vec_qIfLi256ELi8E11block_iq2_sLi1EXadL_ZL18vec_dot_iq2_s_q8_1PKvPK10block_q8_1RKiEEEvS2_S2_PT_PS6_iiii: ; @_ZL9moe_vec_qIfLi256ELi8E11block_iq2_sLi1EXadL_ZL18vec_dot_iq2_s_q8_1PKvPK10block_q8_1RKiEEEvS2_S2_PT_PS6_iiii
; %bb.0:
	s_clause 0x1
	s_load_b32 s2, s[0:1], 0x3c
	s_load_b128 s[4:7], s[0:1], 0x20
	v_bfe_u32 v3, v0, 10, 10
	s_waitcnt lgkmcnt(0)
	s_lshr_b32 s2, s2, 16
	s_delay_alu instid0(VALU_DEP_1) | instid1(SALU_CYCLE_1)
	v_mad_u64_u32 v[1:2], null, s14, s2, v[3:4]
	s_mov_b32 s2, exec_lo
	s_delay_alu instid0(VALU_DEP_1)
	v_cmpx_gt_u32_e64 s6, v1
	s_cbranch_execz .LBB253_11
; %bb.1:
	s_load_b64 s[10:11], s[0:1], 0x10
	v_dual_mov_b32 v15, 0 :: v_dual_and_b32 v0, 0x3ff, v0
	s_ashr_i32 s2, s5, 31
	s_mov_b32 s8, s15
	s_lshr_b32 s2, s2, 24
	s_delay_alu instid0(VALU_DEP_1)
	v_lshrrev_b32_e32 v14, 3, v0
	s_add_i32 s2, s5, s2
	s_mov_b32 s5, exec_lo
	s_ashr_i32 s14, s2, 8
	s_delay_alu instid0(VALU_DEP_1) | instid1(SALU_CYCLE_1)
	v_cmpx_gt_u32_e64 s14, v14
	s_cbranch_execz .LBB253_9
; %bb.2:
	s_load_b64 s[2:3], s[0:1], 0x18
	s_mov_b32 s9, 0
	v_cvt_f32_u32_e32 v2, s4
	s_lshl_b64 s[12:13], s[8:9], 2
	v_mul_lo_u32 v16, v1, s14
	v_and_b32_e32 v17, 7, v0
	v_mov_b32_e32 v15, 0
	v_rcp_iflag_f32_e32 v2, v2
	s_delay_alu instid0(VALU_DEP_2)
	v_lshlrev_b32_e32 v18, 2, v17
	s_waitcnt_depctr 0xfff
	v_dual_mul_f32 v2, 0x4f7ffffe, v2 :: v_dual_add_nc_u32 v19, v14, v16
	s_waitcnt lgkmcnt(0)
	s_add_u32 s2, s2, s12
	s_addc_u32 s3, s3, s13
	s_delay_alu instid0(VALU_DEP_1) | instskip(SKIP_3) | instid1(VALU_DEP_1)
	v_cvt_u32_f32_e32 v2, v2
	s_load_b32 s12, s[2:3], 0x0
	s_load_b128 s[0:3], s[0:1], 0x0
	s_mul_i32 s13, s14, s6
	v_readfirstlane_b32 s15, v2
	s_waitcnt lgkmcnt(0)
	s_mul_i32 s12, s13, s12
	s_delay_alu instid0(SALU_CYCLE_1) | instskip(SKIP_4) | instid1(SALU_CYCLE_1)
	s_mul_i32 s13, s12, 0x52
	s_mul_hi_i32 s16, s12, 0x52
	s_add_u32 s12, s0, s13
	s_addc_u32 s13, s1, s16
	s_sub_i32 s0, 0, s4
	s_mul_i32 s0, s0, s15
	s_delay_alu instid0(SALU_CYCLE_1) | instskip(NEXT) | instid1(SALU_CYCLE_1)
	s_mul_hi_u32 s0, s15, s0
	s_add_i32 s15, s15, s0
	s_delay_alu instid0(SALU_CYCLE_1) | instskip(NEXT) | instid1(SALU_CYCLE_1)
	s_mul_hi_u32 s0, s8, s15
	s_mul_i32 s1, s0, s4
	s_add_i32 s15, s0, 1
	s_sub_i32 s1, s8, s1
	s_delay_alu instid0(SALU_CYCLE_1)
	s_sub_i32 s16, s1, s4
	s_cmp_ge_u32 s1, s4
	s_cselect_b32 s0, s15, s0
	s_cselect_b32 s1, s16, s1
	s_add_i32 s15, s0, 1
	s_cmp_ge_u32 s1, s4
	s_mov_b32 s1, s9
	s_cselect_b32 s0, s15, s0
	v_add_co_u32 v4, s4, s12, v18
	s_mul_i32 s0, s0, s7
	v_add_co_ci_u32_e64 v5, null, s13, 0, s4
	s_lshl_b64 s[0:1], s[0:1], 2
	s_delay_alu instid0(VALU_DEP_2)
	v_add_co_u32 v4, vcc_lo, v4, 36
	s_add_u32 s0, s2, s0
	s_addc_u32 s1, s3, s1
	v_add_co_ci_u32_e32 v5, vcc_lo, 0, v5, vcc_lo
	v_mad_u64_u32 v[2:3], null, v17, 36, s[0:1]
.LBB253_3:                              ; =>This Loop Header: Depth=1
                                        ;     Child Loop BB253_4 Depth 2
                                        ;     Child Loop BB253_6 Depth 2
	v_add_nc_u32_e32 v8, v14, v16
	v_lshlrev_b32_e32 v10, 3, v14
	s_mov_b32 s0, -1
	s_mov_b32 s1, 0
	s_delay_alu instid0(VALU_DEP_2) | instskip(NEXT) | instid1(VALU_DEP_1)
	v_mad_i64_i32 v[6:7], null, 0x52, v8, s[12:13]
	v_add_co_u32 v8, vcc_lo, v6, v17
	s_delay_alu instid0(VALU_DEP_2) | instskip(SKIP_4) | instid1(VALU_DEP_1)
	v_add_co_ci_u32_e32 v9, vcc_lo, 0, v7, vcc_lo
	s_clause 0x1
	global_load_u8 v20, v[8:9], off offset:74
	global_load_u8 v21, v[8:9], off offset:66
	v_mad_i64_i32 v[8:9], null, v10, 36, v[2:3]
	v_add_co_u32 v10, vcc_lo, v8, 4
	s_delay_alu instid0(VALU_DEP_2) | instskip(SKIP_4) | instid1(VALU_DEP_4)
	v_add_co_ci_u32_e32 v11, vcc_lo, 0, v9, vcc_lo
	v_add_co_u32 v22, vcc_lo, v6, v18
	v_add_co_ci_u32_e32 v24, vcc_lo, 0, v7, vcc_lo
	v_add_co_u32 v12, vcc_lo, v6, 2
	;; [unrolled: 2-line block ×3, first 2 shown]
	s_delay_alu instid0(VALU_DEP_4)
	v_add_co_ci_u32_e32 v24, vcc_lo, 0, v24, vcc_lo
	v_mov_b32_e32 v22, 0
.LBB253_4:                              ;   Parent Loop BB253_3 Depth=1
                                        ; =>  This Inner Loop Header: Depth=2
	v_or_b32_e32 v25, s1, v18
	s_delay_alu instid0(VALU_DEP_1)
	v_add_co_u32 v25, vcc_lo, v12, v25
	v_add_co_ci_u32_e32 v26, vcc_lo, 0, v13, vcc_lo
	global_load_u8 v27, v[25:26], off
	v_add_co_u32 v25, vcc_lo, v23, s1
	v_add_co_ci_u32_e32 v26, vcc_lo, 0, v24, vcc_lo
	s_lshl_b32 s1, s1, 1
	s_getpc_b64 s[2:3]
	s_add_u32 s2, s2, _ZL9iq2s_grid@rel32@lo+4
	s_addc_u32 s3, s3, _ZL9iq2s_grid@rel32@hi+12
	s_sub_i32 s1, 8, s1
	global_load_u8 v29, v[25:26], off
	s_waitcnt vmcnt(2)
	v_lshlrev_b32_e32 v25, s1, v21
	s_mov_b32 s1, 1
	s_waitcnt vmcnt(1)
	s_delay_alu instid0(VALU_DEP_1) | instskip(NEXT) | instid1(VALU_DEP_1)
	v_and_or_b32 v25, 0x300, v25, v27
	v_lshlrev_b32_e32 v25, 3, v25
	global_load_b64 v[25:26], v25, s[2:3]
	global_load_b64 v[27:28], v[10:11], off
	s_waitcnt vmcnt(2)
	v_and_b32_e32 v30, 15, v29
	v_lshrrev_b16 v29, 4, v29
	s_delay_alu instid0(VALU_DEP_2) | instskip(NEXT) | instid1(VALU_DEP_2)
	v_and_b32_e32 v30, 0xffff, v30
	v_and_b32_e32 v29, 0xffff, v29
	s_delay_alu instid0(VALU_DEP_2) | instskip(NEXT) | instid1(VALU_DEP_2)
	v_mul_lo_u32 v30, 0x1010101, v30
	v_mul_lo_u32 v29, 0x1010101, v29
	s_delay_alu instid0(VALU_DEP_2) | instskip(NEXT) | instid1(VALU_DEP_2)
	v_not_b32_e32 v30, v30
	v_not_b32_e32 v29, v29
	s_delay_alu instid0(VALU_DEP_2)
	v_and_b32_e32 v31, 0x8040201, v30
	v_and_b32_e32 v32, 0x40000, v30
	;; [unrolled: 1-line block ×5, first 2 shown]
	v_cmp_gt_u32_e32 vcc_lo, 0x1000000, v31
	v_and_b32_e32 v35, 0x40000, v29
	v_and_b32_e32 v36, 0x200, v29
	;; [unrolled: 1-line block ×3, first 2 shown]
	v_cndmask_b32_e64 v31, 0, -1, vcc_lo
	v_cmp_eq_u32_e32 vcc_lo, 0, v32
	s_delay_alu instid0(VALU_DEP_2)
	v_lshlrev_b32_e32 v31, 24, v31
	v_cndmask_b32_e64 v32, 0, 0xff0000, vcc_lo
	v_cmp_eq_u32_e32 vcc_lo, 0, v33
	v_cndmask_b32_e64 v33, 0, 0xff00, vcc_lo
	v_cmp_eq_u32_e32 vcc_lo, 0, v30
	v_cndmask_b32_e64 v30, 0, 0xff, vcc_lo
	v_cmp_gt_u32_e32 vcc_lo, 0x1000000, v34
	s_delay_alu instid0(VALU_DEP_2) | instskip(SKIP_2) | instid1(VALU_DEP_3)
	v_or_b32_e32 v37, v33, v30
	v_cndmask_b32_e64 v34, 0, -1, vcc_lo
	v_cmp_eq_u32_e32 vcc_lo, 0, v35
	v_or3_b32 v37, v37, v32, v31
	s_delay_alu instid0(VALU_DEP_3)
	v_lshlrev_b32_e32 v34, 24, v34
	v_cndmask_b32_e64 v35, 0, 0xff0000, vcc_lo
	v_cmp_eq_u32_e32 vcc_lo, 0, v36
	v_cndmask_b32_e64 v36, 0, 0xff00, vcc_lo
	v_cmp_eq_u32_e32 vcc_lo, 0, v29
	v_cndmask_b32_e64 v29, 0, 0xff, vcc_lo
	v_add_co_u32 v10, vcc_lo, v10, 8
	v_add_co_ci_u32_e32 v11, vcc_lo, 0, v11, vcc_lo
	s_delay_alu instid0(VALU_DEP_3) | instskip(SKIP_2) | instid1(VALU_DEP_1)
	v_or_b32_e32 v38, v36, v29
	s_and_b32 vcc_lo, exec_lo, s0
	s_mov_b32 s0, 0
	v_or3_b32 v38, v38, v35, v34
	s_waitcnt vmcnt(1)
	v_xor_b32_e32 v25, v37, v25
	s_delay_alu instid0(VALU_DEP_2)
	v_xor_b32_e32 v26, v38, v26
	s_waitcnt vmcnt(0)
	v_bfe_i32 v39, v27, 0, 8
	v_bfe_i32 v37, v28, 0, 8
	v_sub_nc_u32_e32 v30, v25, v30
	v_sub_nc_u32_e32 v29, v26, v29
	;; [unrolled: 1-line block ×7, first 2 shown]
	v_bfe_i32 v30, v30, 0, 8
	v_bfe_i32 v29, v29, 0, 8
	v_sub_nc_u32_e32 v26, v26, v34
	v_perm_b32 v32, v32, v25, 0xc06010c
	v_perm_b32 v33, v33, v35, 0xc06010c
	v_mul_i32_i24_e32 v30, v30, v39
	v_mul_i32_i24_e32 v29, v29, v37
	v_perm_b32 v34, v27, v27, 0xc0c0201
	v_perm_b32 v31, v35, v31, 0xc0c0503
	;; [unrolled: 1-line block ×4, first 2 shown]
	v_add3_u32 v22, v30, v22, v29
	v_perm_b32 v27, v28, v27, 0x7060503
	s_delay_alu instid0(VALU_DEP_3) | instskip(NEXT) | instid1(VALU_DEP_3)
	v_or_b32_e32 v26, v26, v31
	v_dot4_i32_iu8 v22, v25, v34, v22 neg_lo:[1,1,0]
	s_delay_alu instid0(VALU_DEP_1)
	v_dot4_i32_iu8 v22, v26, v27, v22 neg_lo:[1,1,0]
	s_cbranch_vccnz .LBB253_4
; %bb.5:                                ;   in Loop: Header=BB253_3 Depth=1
	v_mad_i64_i32 v[12:13], null, 0x52, v19, v[4:5]
	v_mov_b32_e32 v23, 0
	s_mov_b32 s1, 4
.LBB253_6:                              ;   Parent Loop BB253_3 Depth=1
                                        ; =>  This Inner Loop Header: Depth=2
	s_clause 0x1
	global_load_u8 v24, v[12:13], off offset:-32
	global_load_u8 v28, v[12:13], off
	v_lshlrev_b32_e32 v25, s1, v21
	s_getpc_b64 s[2:3]
	s_add_u32 s2, s2, _ZL9iq2s_grid@rel32@lo+4
	s_addc_u32 s3, s3, _ZL9iq2s_grid@rel32@hi+12
	s_add_i32 s1, s1, -2
	s_delay_alu instid0(SALU_CYCLE_1)
	s_cmp_lg_u32 s1, 0
	s_waitcnt vmcnt(1)
	v_and_or_b32 v24, 0x300, v25, v24
	s_waitcnt vmcnt(0)
	v_and_b32_e32 v29, 15, v28
	v_lshrrev_b16 v28, 4, v28
	s_delay_alu instid0(VALU_DEP_3) | instskip(NEXT) | instid1(VALU_DEP_3)
	v_lshlrev_b32_e32 v24, 3, v24
	v_and_b32_e32 v29, 0xffff, v29
	s_delay_alu instid0(VALU_DEP_3)
	v_and_b32_e32 v28, 0xffff, v28
	global_load_b64 v[24:25], v24, s[2:3]
	global_load_b64 v[26:27], v[10:11], off
	v_mul_lo_u32 v29, 0x1010101, v29
	v_mul_lo_u32 v28, 0x1010101, v28
	v_add_co_u32 v10, vcc_lo, v10, 8
	v_add_co_ci_u32_e32 v11, vcc_lo, 0, v11, vcc_lo
	v_add_co_u32 v12, vcc_lo, v12, 1
	v_not_b32_e32 v29, v29
	v_not_b32_e32 v28, v28
	v_add_co_ci_u32_e32 v13, vcc_lo, 0, v13, vcc_lo
	s_delay_alu instid0(VALU_DEP_3)
	v_and_b32_e32 v33, 0x8040201, v29
	v_and_b32_e32 v34, 0x40000, v29
	;; [unrolled: 1-line block ×5, first 2 shown]
	v_cmp_gt_u32_e64 s0, 0x1000000, v33
	v_and_b32_e32 v37, 0x40000, v28
	v_and_b32_e32 v38, 0x200, v28
	;; [unrolled: 1-line block ×3, first 2 shown]
	s_delay_alu instid0(VALU_DEP_4) | instskip(SKIP_1) | instid1(VALU_DEP_2)
	v_cndmask_b32_e64 v33, 0, -1, s0
	v_cmp_eq_u32_e64 s0, 0, v34
	v_lshlrev_b32_e32 v33, 24, v33
	s_delay_alu instid0(VALU_DEP_2) | instskip(SKIP_1) | instid1(VALU_DEP_1)
	v_cndmask_b32_e64 v34, 0, 0xff0000, s0
	v_cmp_eq_u32_e64 s0, 0, v35
	v_cndmask_b32_e64 v35, 0, 0xff00, s0
	v_cmp_eq_u32_e64 s0, 0, v29
	s_delay_alu instid0(VALU_DEP_1) | instskip(SKIP_1) | instid1(VALU_DEP_2)
	v_cndmask_b32_e64 v29, 0, 0xff, s0
	v_cmp_gt_u32_e64 s0, 0x1000000, v36
	v_or_b32_e32 v39, v35, v29
	s_delay_alu instid0(VALU_DEP_2) | instskip(SKIP_1) | instid1(VALU_DEP_3)
	v_cndmask_b32_e64 v36, 0, -1, s0
	v_cmp_eq_u32_e64 s0, 0, v37
	v_or3_b32 v39, v39, v34, v33
	s_delay_alu instid0(VALU_DEP_3) | instskip(NEXT) | instid1(VALU_DEP_3)
	v_lshlrev_b32_e32 v36, 24, v36
	v_cndmask_b32_e64 v37, 0, 0xff0000, s0
	v_cmp_eq_u32_e64 s0, 0, v38
	s_delay_alu instid0(VALU_DEP_1) | instskip(SKIP_1) | instid1(VALU_DEP_1)
	v_cndmask_b32_e64 v38, 0, 0xff00, s0
	v_cmp_eq_u32_e64 s0, 0, v28
	v_cndmask_b32_e64 v28, 0, 0xff, s0
	s_delay_alu instid0(VALU_DEP_1) | instskip(NEXT) | instid1(VALU_DEP_1)
	v_or_b32_e32 v40, v38, v28
	v_or3_b32 v40, v40, v37, v36
	s_waitcnt vmcnt(1)
	v_xor_b32_e32 v24, v39, v24
	s_delay_alu instid0(VALU_DEP_2)
	v_xor_b32_e32 v25, v40, v25
	s_waitcnt vmcnt(0)
	v_bfe_i32 v30, v26, 0, 8
	v_bfe_i32 v31, v27, 0, 8
	v_perm_b32 v32, v26, v26, 0xc0c0201
	v_sub_nc_u32_e32 v33, v24, v33
	v_sub_nc_u32_e32 v34, v24, v34
	;; [unrolled: 1-line block ×8, first 2 shown]
	v_bfe_i32 v24, v24, 0, 8
	v_bfe_i32 v28, v28, 0, 8
	v_perm_b32 v34, v34, v35, 0xc06010c
	s_delay_alu instid0(VALU_DEP_4) | instskip(NEXT) | instid1(VALU_DEP_4)
	v_perm_b32 v36, v36, v25, 0xc06010c
	v_mul_i32_i24_e32 v24, v24, v30
	s_delay_alu instid0(VALU_DEP_4) | instskip(SKIP_3) | instid1(VALU_DEP_4)
	v_mul_i32_i24_e32 v28, v28, v31
	v_perm_b32 v25, v25, v33, 0xc0c0503
	v_perm_b32 v30, v34, v35, 0xc0c0601
	v_perm_b32 v29, v29, v36, 0x7020c0c
	v_add3_u32 v23, v24, v23, v28
	v_perm_b32 v24, v27, v26, 0x7060503
	s_delay_alu instid0(VALU_DEP_3) | instskip(NEXT) | instid1(VALU_DEP_3)
	v_or_b32_e32 v25, v29, v25
	v_dot4_i32_iu8 v23, v30, v32, v23 neg_lo:[1,1,0]
	s_delay_alu instid0(VALU_DEP_1)
	v_dot4_i32_iu8 v23, v25, v24, v23 neg_lo:[1,1,0]
	s_cbranch_scc1 .LBB253_6
; %bb.7:                                ;   in Loop: Header=BB253_3 Depth=1
	global_load_u16 v6, v[6:7], off
	global_load_b32 v7, v[8:9], off
	v_lshrrev_b16 v8, 4, v20
	v_cvt_f32_i32_e32 v10, v23
	v_and_b32_e32 v9, 15, v20
	v_cvt_f32_i32_e32 v11, v22
	v_add_nc_u32_e32 v14, 4, v14
	v_add_nc_u32_e32 v19, 4, v19
	s_delay_alu instid0(VALU_DEP_4) | instskip(SKIP_1) | instid1(VALU_DEP_4)
	v_cvt_f32_ubyte0_e32 v9, v9
	v_and_b32_e32 v8, 15, v8
	v_cmp_le_u32_e32 vcc_lo, s14, v14
	s_delay_alu instid0(VALU_DEP_3) | instskip(NEXT) | instid1(VALU_DEP_3)
	v_add_f32_e32 v9, 0.5, v9
	v_cvt_f32_ubyte0_e32 v8, v8
	s_or_b32 s9, vcc_lo, s9
	s_delay_alu instid0(VALU_DEP_1) | instskip(NEXT) | instid1(VALU_DEP_1)
	v_add_f32_e32 v8, 0.5, v8
	v_mul_f32_e32 v8, v8, v10
	s_delay_alu instid0(VALU_DEP_1) | instskip(SKIP_4) | instid1(VALU_DEP_1)
	v_fmac_f32_e32 v8, v9, v11
	s_waitcnt vmcnt(1)
	v_cvt_f32_f16_e32 v6, v6
	s_waitcnt vmcnt(0)
	v_cvt_f32_f16_e32 v7, v7
	v_mul_f32_e32 v6, v6, v7
	s_delay_alu instid0(VALU_DEP_1) | instskip(NEXT) | instid1(VALU_DEP_1)
	v_mul_f32_e32 v6, 0x3e800000, v6
	v_fmac_f32_e32 v15, v8, v6
	s_and_not1_b32 exec_lo, exec_lo, s9
	s_cbranch_execnz .LBB253_3
; %bb.8:
	s_or_b32 exec_lo, exec_lo, s9
.LBB253_9:
	s_delay_alu instid0(SALU_CYCLE_1) | instskip(SKIP_1) | instid1(VALU_DEP_1)
	s_or_b32 exec_lo, exec_lo, s5
	v_mbcnt_lo_u32_b32 v2, -1, 0
	v_xor_b32_e32 v3, 16, v2
	v_xor_b32_e32 v4, 8, v2
	;; [unrolled: 1-line block ×3, first 2 shown]
	s_delay_alu instid0(VALU_DEP_3) | instskip(SKIP_1) | instid1(VALU_DEP_4)
	v_cmp_gt_i32_e32 vcc_lo, 32, v3
	v_cndmask_b32_e32 v3, v2, v3, vcc_lo
	v_cmp_gt_i32_e32 vcc_lo, 32, v4
	v_cndmask_b32_e32 v4, v2, v4, vcc_lo
	v_cmp_gt_i32_e32 vcc_lo, 32, v5
	s_delay_alu instid0(VALU_DEP_2)
	v_lshlrev_b32_e32 v4, 2, v4
	v_lshlrev_b32_e32 v3, 2, v3
	v_cndmask_b32_e32 v5, v2, v5, vcc_lo
	ds_bpermute_b32 v3, v3, v15
	v_lshlrev_b32_e32 v5, 2, v5
	s_waitcnt lgkmcnt(0)
	v_add_f32_e32 v3, v15, v3
	ds_bpermute_b32 v4, v4, v3
	s_waitcnt lgkmcnt(0)
	v_add_f32_e32 v3, v3, v4
	ds_bpermute_b32 v4, v5, v3
	v_xor_b32_e32 v5, 2, v2
	s_delay_alu instid0(VALU_DEP_1) | instskip(SKIP_1) | instid1(VALU_DEP_1)
	v_cmp_gt_i32_e32 vcc_lo, 32, v5
	v_cndmask_b32_e32 v5, v2, v5, vcc_lo
	v_lshlrev_b32_e32 v5, 2, v5
	s_waitcnt lgkmcnt(0)
	v_add_f32_e32 v3, v3, v4
	ds_bpermute_b32 v4, v5, v3
	v_xor_b32_e32 v5, 1, v2
	s_delay_alu instid0(VALU_DEP_1) | instskip(SKIP_3) | instid1(VALU_DEP_2)
	v_cmp_gt_i32_e32 vcc_lo, 32, v5
	v_cndmask_b32_e32 v5, v2, v5, vcc_lo
	v_cmp_eq_u32_e32 vcc_lo, 0, v0
	s_waitcnt lgkmcnt(0)
	v_dual_add_f32 v2, v3, v4 :: v_dual_lshlrev_b32 v3, 2, v5
	ds_bpermute_b32 v3, v3, v2
	s_and_b32 exec_lo, exec_lo, vcc_lo
	s_cbranch_execz .LBB253_11
; %bb.10:
	v_mad_u64_u32 v[4:5], null, s8, s6, v[1:2]
	s_waitcnt lgkmcnt(0)
	v_dual_mov_b32 v5, 0 :: v_dual_add_f32 v2, v2, v3
	s_delay_alu instid0(VALU_DEP_1) | instskip(NEXT) | instid1(VALU_DEP_1)
	v_lshlrev_b64 v[0:1], 2, v[4:5]
	v_add_co_u32 v0, vcc_lo, s10, v0
	s_delay_alu instid0(VALU_DEP_2)
	v_add_co_ci_u32_e32 v1, vcc_lo, s11, v1, vcc_lo
	global_store_b32 v[0:1], v2, off
.LBB253_11:
	s_nop 0
	s_sendmsg sendmsg(MSG_DEALLOC_VGPRS)
	s_endpgm
	.section	.rodata,"a",@progbits
	.p2align	6, 0x0
	.amdhsa_kernel _ZL9moe_vec_qIfLi256ELi8E11block_iq2_sLi1EXadL_ZL18vec_dot_iq2_s_q8_1PKvPK10block_q8_1RKiEEEvS2_S2_PT_PS6_iiii
		.amdhsa_group_segment_fixed_size 0
		.amdhsa_private_segment_fixed_size 0
		.amdhsa_kernarg_size 304
		.amdhsa_user_sgpr_count 14
		.amdhsa_user_sgpr_dispatch_ptr 0
		.amdhsa_user_sgpr_queue_ptr 0
		.amdhsa_user_sgpr_kernarg_segment_ptr 1
		.amdhsa_user_sgpr_dispatch_id 0
		.amdhsa_user_sgpr_private_segment_size 0
		.amdhsa_wavefront_size32 1
		.amdhsa_uses_dynamic_stack 0
		.amdhsa_enable_private_segment 0
		.amdhsa_system_sgpr_workgroup_id_x 1
		.amdhsa_system_sgpr_workgroup_id_y 0
		.amdhsa_system_sgpr_workgroup_id_z 1
		.amdhsa_system_sgpr_workgroup_info 0
		.amdhsa_system_vgpr_workitem_id 1
		.amdhsa_next_free_vgpr 41
		.amdhsa_next_free_sgpr 17
		.amdhsa_reserve_vcc 1
		.amdhsa_float_round_mode_32 0
		.amdhsa_float_round_mode_16_64 0
		.amdhsa_float_denorm_mode_32 3
		.amdhsa_float_denorm_mode_16_64 3
		.amdhsa_dx10_clamp 1
		.amdhsa_ieee_mode 1
		.amdhsa_fp16_overflow 0
		.amdhsa_workgroup_processor_mode 1
		.amdhsa_memory_ordered 1
		.amdhsa_forward_progress 0
		.amdhsa_shared_vgpr_count 0
		.amdhsa_exception_fp_ieee_invalid_op 0
		.amdhsa_exception_fp_denorm_src 0
		.amdhsa_exception_fp_ieee_div_zero 0
		.amdhsa_exception_fp_ieee_overflow 0
		.amdhsa_exception_fp_ieee_underflow 0
		.amdhsa_exception_fp_ieee_inexact 0
		.amdhsa_exception_int_div_zero 0
	.end_amdhsa_kernel
	.section	.text._ZL9moe_vec_qIfLi256ELi8E11block_iq2_sLi1EXadL_ZL18vec_dot_iq2_s_q8_1PKvPK10block_q8_1RKiEEEvS2_S2_PT_PS6_iiii,"axG",@progbits,_ZL9moe_vec_qIfLi256ELi8E11block_iq2_sLi1EXadL_ZL18vec_dot_iq2_s_q8_1PKvPK10block_q8_1RKiEEEvS2_S2_PT_PS6_iiii,comdat
.Lfunc_end253:
	.size	_ZL9moe_vec_qIfLi256ELi8E11block_iq2_sLi1EXadL_ZL18vec_dot_iq2_s_q8_1PKvPK10block_q8_1RKiEEEvS2_S2_PT_PS6_iiii, .Lfunc_end253-_ZL9moe_vec_qIfLi256ELi8E11block_iq2_sLi1EXadL_ZL18vec_dot_iq2_s_q8_1PKvPK10block_q8_1RKiEEEvS2_S2_PT_PS6_iiii
                                        ; -- End function
	.section	.AMDGPU.csdata,"",@progbits
; Kernel info:
; codeLenInByte = 2344
; NumSgprs: 19
; NumVgprs: 41
; ScratchSize: 0
; MemoryBound: 0
; FloatMode: 240
; IeeeMode: 1
; LDSByteSize: 0 bytes/workgroup (compile time only)
; SGPRBlocks: 2
; VGPRBlocks: 5
; NumSGPRsForWavesPerEU: 19
; NumVGPRsForWavesPerEU: 41
; Occupancy: 16
; WaveLimiterHint : 1
; COMPUTE_PGM_RSRC2:SCRATCH_EN: 0
; COMPUTE_PGM_RSRC2:USER_SGPR: 14
; COMPUTE_PGM_RSRC2:TRAP_HANDLER: 0
; COMPUTE_PGM_RSRC2:TGID_X_EN: 1
; COMPUTE_PGM_RSRC2:TGID_Y_EN: 0
; COMPUTE_PGM_RSRC2:TGID_Z_EN: 1
; COMPUTE_PGM_RSRC2:TIDIG_COMP_CNT: 1
	.section	.text._ZL9moe_vec_qIfLi256ELi8E12block_iq4_xsLi1EXadL_ZL19vec_dot_iq4_xs_q8_1PKvPK10block_q8_1RKiEEEvS2_S2_PT_PS6_iiii,"axG",@progbits,_ZL9moe_vec_qIfLi256ELi8E12block_iq4_xsLi1EXadL_ZL19vec_dot_iq4_xs_q8_1PKvPK10block_q8_1RKiEEEvS2_S2_PT_PS6_iiii,comdat
	.globl	_ZL9moe_vec_qIfLi256ELi8E12block_iq4_xsLi1EXadL_ZL19vec_dot_iq4_xs_q8_1PKvPK10block_q8_1RKiEEEvS2_S2_PT_PS6_iiii ; -- Begin function _ZL9moe_vec_qIfLi256ELi8E12block_iq4_xsLi1EXadL_ZL19vec_dot_iq4_xs_q8_1PKvPK10block_q8_1RKiEEEvS2_S2_PT_PS6_iiii
	.p2align	8
	.type	_ZL9moe_vec_qIfLi256ELi8E12block_iq4_xsLi1EXadL_ZL19vec_dot_iq4_xs_q8_1PKvPK10block_q8_1RKiEEEvS2_S2_PT_PS6_iiii,@function
_ZL9moe_vec_qIfLi256ELi8E12block_iq4_xsLi1EXadL_ZL19vec_dot_iq4_xs_q8_1PKvPK10block_q8_1RKiEEEvS2_S2_PT_PS6_iiii: ; @_ZL9moe_vec_qIfLi256ELi8E12block_iq4_xsLi1EXadL_ZL19vec_dot_iq4_xs_q8_1PKvPK10block_q8_1RKiEEEvS2_S2_PT_PS6_iiii
; %bb.0:
	s_clause 0x1
	s_load_b32 s2, s[0:1], 0x3c
	s_load_b128 s[4:7], s[0:1], 0x20
	v_bfe_u32 v3, v0, 10, 10
	s_waitcnt lgkmcnt(0)
	s_lshr_b32 s2, s2, 16
	s_delay_alu instid0(VALU_DEP_1) | instid1(SALU_CYCLE_1)
	v_mad_u64_u32 v[1:2], null, s14, s2, v[3:4]
	s_mov_b32 s2, exec_lo
	s_delay_alu instid0(VALU_DEP_1)
	v_cmpx_gt_u32_e64 s6, v1
	s_cbranch_execz .LBB254_9
; %bb.1:
	s_load_b64 s[10:11], s[0:1], 0x10
	v_dual_mov_b32 v11, 0 :: v_dual_and_b32 v0, 0x3ff, v0
	s_ashr_i32 s2, s5, 31
	s_mov_b32 s8, s15
	s_lshr_b32 s2, s2, 24
	s_delay_alu instid0(VALU_DEP_1)
	v_lshrrev_b32_e32 v10, 3, v0
	s_add_i32 s2, s5, s2
	s_mov_b32 s5, exec_lo
	s_ashr_i32 s12, s2, 8
	s_delay_alu instid0(VALU_DEP_1) | instid1(SALU_CYCLE_1)
	v_cmpx_gt_u32_e64 s12, v10
	s_cbranch_execz .LBB254_7
; %bb.2:
	s_load_b64 s[2:3], s[0:1], 0x18
	s_mov_b32 s9, 0
	v_cvt_f32_u32_e32 v2, s4
	s_lshl_b64 s[14:15], s[8:9], 2
	v_and_b32_e32 v4, 7, v0
	v_mul_lo_u32 v12, v1, s12
	v_bfe_u32 v13, v0, 1, 2
	v_rcp_iflag_f32_e32 v2, v2
	v_lshlrev_b32_e32 v14, 3, v10
	v_dual_mov_b32 v11, 0 :: v_dual_lshlrev_b32 v16, 1, v4
	s_waitcnt_depctr 0xfff
	v_dual_mul_f32 v2, 0x4f7ffffe, v2 :: v_dual_add_nc_u32 v17, v10, v12
	s_waitcnt lgkmcnt(0)
	s_add_u32 s2, s2, s14
	s_addc_u32 s3, s3, s15
	s_delay_alu instid0(VALU_DEP_1)
	v_cvt_u32_f32_e32 v2, v2
	s_load_b32 s13, s[2:3], 0x0
	s_load_b128 s[0:3], s[0:1], 0x0
	s_mul_i32 s14, s12, s6
	s_waitcnt lgkmcnt(0)
	s_mul_i32 s13, s14, s13
	v_readfirstlane_b32 s14, v2
	s_mul_i32 s15, s13, 0x88
	s_mul_hi_i32 s13, s13, 0x88
	s_add_u32 s0, s0, s15
	s_addc_u32 s1, s1, s13
	s_sub_i32 s13, 0, s4
	v_lshlrev_b32_e32 v2, 2, v0
	s_mul_i32 s13, s13, s14
	s_mov_b32 s15, s9
	s_mul_hi_u32 s13, s14, s13
	s_delay_alu instid0(SALU_CYCLE_1)
	s_add_i32 s14, s14, s13
	v_and_b32_e32 v15, 4, v2
	s_mul_hi_u32 s13, s8, s14
	v_lshlrev_b32_e32 v2, 4, v4
	s_mul_i32 s14, s13, s4
	s_add_i32 s16, s13, 1
	s_sub_i32 s14, s8, s14
	s_delay_alu instid0(SALU_CYCLE_1)
	s_sub_i32 s17, s14, s4
	s_cmp_ge_u32 s14, s4
	s_cselect_b32 s13, s16, s13
	s_cselect_b32 s14, s17, s14
	s_add_i32 s16, s13, 1
	s_cmp_ge_u32 s14, s4
	s_cselect_b32 s4, s16, s13
	s_delay_alu instid0(SALU_CYCLE_1)
	s_mul_i32 s14, s4, s7
	v_add_co_u32 v5, s4, s0, v2
	s_lshl_b64 s[14:15], s[14:15], 2
	v_add_co_ci_u32_e64 v6, null, s1, 0, s4
	s_add_u32 s2, s2, s14
	s_addc_u32 s3, s3, s15
	s_getpc_b64 s[14:15]
	s_add_u32 s14, s14, _ZL13kvalues_iq4nl@rel32@lo+4
	s_addc_u32 s15, s15, _ZL13kvalues_iq4nl@rel32@hi+12
	v_mad_u64_u32 v[2:3], null, v4, 36, s[2:3]
	v_add_co_u32 v4, vcc_lo, v5, 8
	v_add_co_ci_u32_e32 v5, vcc_lo, 0, v6, vcc_lo
.LBB254_3:                              ; =>This Loop Header: Depth=1
                                        ;     Child Loop BB254_4 Depth 2
	v_dual_mov_b32 v21, 0 :: v_dual_add_nc_u32 v8, v10, v12
	v_lshlrev_b32_e32 v18, 3, v10
	s_mov_b64 s[2:3], 0
	s_delay_alu instid0(VALU_DEP_2) | instskip(NEXT) | instid1(VALU_DEP_2)
	v_mad_i64_i32 v[6:7], null, 0x88, v8, s[0:1]
	v_mad_i64_i32 v[8:9], null, v18, 36, v[2:3]
	s_delay_alu instid0(VALU_DEP_2) | instskip(NEXT) | instid1(VALU_DEP_3)
	v_add_co_u32 v19, vcc_lo, v6, v13
	v_add_co_ci_u32_e32 v20, vcc_lo, 0, v7, vcc_lo
	s_clause 0x1
	global_load_b32 v18, v[6:7], off
	global_load_u8 v22, v[19:20], off offset:4
	global_load_b32 v19, v[8:9], off
	v_mad_i64_i32 v[6:7], null, v14, 36, v[2:3]
	v_mad_i64_i32 v[8:9], null, 0x88, v17, v[4:5]
	v_mov_b32_e32 v20, 0
.LBB254_4:                              ;   Parent Loop BB254_3 Depth=1
                                        ; =>  This Inner Loop Header: Depth=2
	s_delay_alu instid0(VALU_DEP_2) | instskip(NEXT) | instid1(VALU_DEP_3)
	v_add_co_u32 v23, vcc_lo, v8, s2
	v_add_co_ci_u32_e32 v24, vcc_lo, s3, v9, vcc_lo
	global_load_b32 v23, v[23:24], off
	s_waitcnt vmcnt(0)
	v_bfe_u32 v27, v23, 12, 4
	v_bfe_u32 v26, v23, 8, 4
	;; [unrolled: 1-line block ×4, first 2 shown]
	v_and_b32_e32 v25, 15, v23
	v_lshrrev_b32_e32 v30, 28, v23
	v_bfe_u32 v24, v23, 24, 4
	v_bfe_u32 v23, v23, 4, 4
	s_clause 0x7
	global_load_i8 v27, v27, s[14:15]
	global_load_i8 v26, v26, s[14:15]
	;; [unrolled: 1-line block ×8, first 2 shown]
	v_add_co_u32 v23, vcc_lo, v6, s2
	v_add_co_ci_u32_e32 v24, vcc_lo, s3, v7, vcc_lo
	s_clause 0x1
	global_load_b32 v33, v[23:24], off offset:4
	global_load_b32 v23, v[23:24], off offset:20
	s_add_u32 s2, s2, 4
	s_addc_u32 s3, s3, 0
	s_cmp_lg_u32 s2, 16
	s_waitcnt vmcnt(4)
	v_perm_b32 v24, v26, v25, 0xc0c0400
	s_waitcnt vmcnt(3)
	v_perm_b32 v25, v31, v28, 0x4000c0c
	;; [unrolled: 2-line block ×3, first 2 shown]
	v_perm_b32 v27, v30, v29, 0x4000c0c
	s_delay_alu instid0(VALU_DEP_3) | instskip(NEXT) | instid1(VALU_DEP_2)
	v_or_b32_e32 v24, v25, v24
	v_or_b32_e32 v25, v27, v26
	s_waitcnt vmcnt(1)
	s_delay_alu instid0(VALU_DEP_2) | instskip(SKIP_1) | instid1(VALU_DEP_2)
	v_dot4_i32_iu8 v21, v33, v24, v21 neg_lo:[1,1,0]
	s_waitcnt vmcnt(0)
	v_dot4_i32_iu8 v20, v23, v25, v20 neg_lo:[1,1,0]
	s_cbranch_scc1 .LBB254_4
; %bb.5:                                ;   in Loop: Header=BB254_3 Depth=1
	v_lshrrev_b32_e32 v6, 16, v18
	v_cvt_f32_f16_e32 v8, v19
	v_and_b32_e32 v7, 0xff, v22
	v_add_nc_u32_e32 v14, 32, v14
	v_add_nc_u32_e32 v17, 4, v17
	v_lshrrev_b32_e32 v6, v16, v6
	s_delay_alu instid0(VALU_DEP_4) | instskip(NEXT) | instid1(VALU_DEP_2)
	v_bfe_u32 v7, v7, v15, 4
	v_lshlrev_b32_e32 v6, 4, v6
	s_delay_alu instid0(VALU_DEP_1) | instskip(SKIP_1) | instid1(VALU_DEP_2)
	v_and_or_b32 v6, v6, 48, v7
	v_cvt_f32_f16_e32 v7, v18
	v_subrev_nc_u32_e32 v6, 32, v6
	s_delay_alu instid0(VALU_DEP_1) | instskip(NEXT) | instid1(VALU_DEP_1)
	v_cvt_f32_i32_e32 v6, v6
	v_dual_mul_f32 v6, v7, v6 :: v_dual_add_nc_u32 v9, v20, v21
	s_delay_alu instid0(VALU_DEP_1) | instskip(NEXT) | instid1(VALU_DEP_2)
	v_cvt_f32_i32_e32 v7, v9
	v_mul_f32_e32 v6, v6, v8
	s_delay_alu instid0(VALU_DEP_1) | instskip(NEXT) | instid1(VALU_DEP_1)
	v_dual_fmac_f32 v11, v6, v7 :: v_dual_add_nc_u32 v10, 4, v10
	v_cmp_le_u32_e32 vcc_lo, s12, v10
	s_or_b32 s9, vcc_lo, s9
	s_delay_alu instid0(SALU_CYCLE_1)
	s_and_not1_b32 exec_lo, exec_lo, s9
	s_cbranch_execnz .LBB254_3
; %bb.6:
	s_or_b32 exec_lo, exec_lo, s9
.LBB254_7:
	s_delay_alu instid0(SALU_CYCLE_1) | instskip(SKIP_1) | instid1(VALU_DEP_1)
	s_or_b32 exec_lo, exec_lo, s5
	v_mbcnt_lo_u32_b32 v2, -1, 0
	v_xor_b32_e32 v3, 16, v2
	v_xor_b32_e32 v4, 8, v2
	;; [unrolled: 1-line block ×3, first 2 shown]
	s_delay_alu instid0(VALU_DEP_3) | instskip(SKIP_1) | instid1(VALU_DEP_4)
	v_cmp_gt_i32_e32 vcc_lo, 32, v3
	v_cndmask_b32_e32 v3, v2, v3, vcc_lo
	v_cmp_gt_i32_e32 vcc_lo, 32, v4
	v_cndmask_b32_e32 v4, v2, v4, vcc_lo
	v_cmp_gt_i32_e32 vcc_lo, 32, v5
	s_delay_alu instid0(VALU_DEP_2)
	v_lshlrev_b32_e32 v4, 2, v4
	v_lshlrev_b32_e32 v3, 2, v3
	v_cndmask_b32_e32 v5, v2, v5, vcc_lo
	ds_bpermute_b32 v3, v3, v11
	v_lshlrev_b32_e32 v5, 2, v5
	s_waitcnt lgkmcnt(0)
	v_add_f32_e32 v3, v11, v3
	ds_bpermute_b32 v4, v4, v3
	s_waitcnt lgkmcnt(0)
	v_add_f32_e32 v3, v3, v4
	ds_bpermute_b32 v4, v5, v3
	v_xor_b32_e32 v5, 2, v2
	s_delay_alu instid0(VALU_DEP_1) | instskip(SKIP_1) | instid1(VALU_DEP_1)
	v_cmp_gt_i32_e32 vcc_lo, 32, v5
	v_cndmask_b32_e32 v5, v2, v5, vcc_lo
	v_lshlrev_b32_e32 v5, 2, v5
	s_waitcnt lgkmcnt(0)
	v_add_f32_e32 v3, v3, v4
	ds_bpermute_b32 v4, v5, v3
	v_xor_b32_e32 v5, 1, v2
	s_delay_alu instid0(VALU_DEP_1) | instskip(SKIP_3) | instid1(VALU_DEP_2)
	v_cmp_gt_i32_e32 vcc_lo, 32, v5
	v_cndmask_b32_e32 v5, v2, v5, vcc_lo
	v_cmp_eq_u32_e32 vcc_lo, 0, v0
	s_waitcnt lgkmcnt(0)
	v_dual_add_f32 v2, v3, v4 :: v_dual_lshlrev_b32 v3, 2, v5
	ds_bpermute_b32 v3, v3, v2
	s_and_b32 exec_lo, exec_lo, vcc_lo
	s_cbranch_execz .LBB254_9
; %bb.8:
	v_mad_u64_u32 v[4:5], null, s8, s6, v[1:2]
	s_waitcnt lgkmcnt(0)
	v_dual_mov_b32 v5, 0 :: v_dual_add_f32 v2, v2, v3
	s_delay_alu instid0(VALU_DEP_1) | instskip(NEXT) | instid1(VALU_DEP_1)
	v_lshlrev_b64 v[0:1], 2, v[4:5]
	v_add_co_u32 v0, vcc_lo, s10, v0
	s_delay_alu instid0(VALU_DEP_2)
	v_add_co_ci_u32_e32 v1, vcc_lo, s11, v1, vcc_lo
	global_store_b32 v[0:1], v2, off
.LBB254_9:
	s_nop 0
	s_sendmsg sendmsg(MSG_DEALLOC_VGPRS)
	s_endpgm
	.section	.rodata,"a",@progbits
	.p2align	6, 0x0
	.amdhsa_kernel _ZL9moe_vec_qIfLi256ELi8E12block_iq4_xsLi1EXadL_ZL19vec_dot_iq4_xs_q8_1PKvPK10block_q8_1RKiEEEvS2_S2_PT_PS6_iiii
		.amdhsa_group_segment_fixed_size 0
		.amdhsa_private_segment_fixed_size 0
		.amdhsa_kernarg_size 304
		.amdhsa_user_sgpr_count 14
		.amdhsa_user_sgpr_dispatch_ptr 0
		.amdhsa_user_sgpr_queue_ptr 0
		.amdhsa_user_sgpr_kernarg_segment_ptr 1
		.amdhsa_user_sgpr_dispatch_id 0
		.amdhsa_user_sgpr_private_segment_size 0
		.amdhsa_wavefront_size32 1
		.amdhsa_uses_dynamic_stack 0
		.amdhsa_enable_private_segment 0
		.amdhsa_system_sgpr_workgroup_id_x 1
		.amdhsa_system_sgpr_workgroup_id_y 0
		.amdhsa_system_sgpr_workgroup_id_z 1
		.amdhsa_system_sgpr_workgroup_info 0
		.amdhsa_system_vgpr_workitem_id 1
		.amdhsa_next_free_vgpr 34
		.amdhsa_next_free_sgpr 18
		.amdhsa_reserve_vcc 1
		.amdhsa_float_round_mode_32 0
		.amdhsa_float_round_mode_16_64 0
		.amdhsa_float_denorm_mode_32 3
		.amdhsa_float_denorm_mode_16_64 3
		.amdhsa_dx10_clamp 1
		.amdhsa_ieee_mode 1
		.amdhsa_fp16_overflow 0
		.amdhsa_workgroup_processor_mode 1
		.amdhsa_memory_ordered 1
		.amdhsa_forward_progress 0
		.amdhsa_shared_vgpr_count 0
		.amdhsa_exception_fp_ieee_invalid_op 0
		.amdhsa_exception_fp_denorm_src 0
		.amdhsa_exception_fp_ieee_div_zero 0
		.amdhsa_exception_fp_ieee_overflow 0
		.amdhsa_exception_fp_ieee_underflow 0
		.amdhsa_exception_fp_ieee_inexact 0
		.amdhsa_exception_int_div_zero 0
	.end_amdhsa_kernel
	.section	.text._ZL9moe_vec_qIfLi256ELi8E12block_iq4_xsLi1EXadL_ZL19vec_dot_iq4_xs_q8_1PKvPK10block_q8_1RKiEEEvS2_S2_PT_PS6_iiii,"axG",@progbits,_ZL9moe_vec_qIfLi256ELi8E12block_iq4_xsLi1EXadL_ZL19vec_dot_iq4_xs_q8_1PKvPK10block_q8_1RKiEEEvS2_S2_PT_PS6_iiii,comdat
.Lfunc_end254:
	.size	_ZL9moe_vec_qIfLi256ELi8E12block_iq4_xsLi1EXadL_ZL19vec_dot_iq4_xs_q8_1PKvPK10block_q8_1RKiEEEvS2_S2_PT_PS6_iiii, .Lfunc_end254-_ZL9moe_vec_qIfLi256ELi8E12block_iq4_xsLi1EXadL_ZL19vec_dot_iq4_xs_q8_1PKvPK10block_q8_1RKiEEEvS2_S2_PT_PS6_iiii
                                        ; -- End function
	.section	.AMDGPU.csdata,"",@progbits
; Kernel info:
; codeLenInByte = 1244
; NumSgprs: 20
; NumVgprs: 34
; ScratchSize: 0
; MemoryBound: 0
; FloatMode: 240
; IeeeMode: 1
; LDSByteSize: 0 bytes/workgroup (compile time only)
; SGPRBlocks: 2
; VGPRBlocks: 4
; NumSGPRsForWavesPerEU: 20
; NumVGPRsForWavesPerEU: 34
; Occupancy: 16
; WaveLimiterHint : 1
; COMPUTE_PGM_RSRC2:SCRATCH_EN: 0
; COMPUTE_PGM_RSRC2:USER_SGPR: 14
; COMPUTE_PGM_RSRC2:TRAP_HANDLER: 0
; COMPUTE_PGM_RSRC2:TGID_X_EN: 1
; COMPUTE_PGM_RSRC2:TGID_Y_EN: 0
; COMPUTE_PGM_RSRC2:TGID_Z_EN: 1
; COMPUTE_PGM_RSRC2:TIDIG_COMP_CNT: 1
	.section	.text._ZL9moe_vec_qIfLi256ELi8E11block_iq1_mLi1EXadL_ZL18vec_dot_iq1_m_q8_1PKvPK10block_q8_1RKiEEEvS2_S2_PT_PS6_iiii,"axG",@progbits,_ZL9moe_vec_qIfLi256ELi8E11block_iq1_mLi1EXadL_ZL18vec_dot_iq1_m_q8_1PKvPK10block_q8_1RKiEEEvS2_S2_PT_PS6_iiii,comdat
	.globl	_ZL9moe_vec_qIfLi256ELi8E11block_iq1_mLi1EXadL_ZL18vec_dot_iq1_m_q8_1PKvPK10block_q8_1RKiEEEvS2_S2_PT_PS6_iiii ; -- Begin function _ZL9moe_vec_qIfLi256ELi8E11block_iq1_mLi1EXadL_ZL18vec_dot_iq1_m_q8_1PKvPK10block_q8_1RKiEEEvS2_S2_PT_PS6_iiii
	.p2align	8
	.type	_ZL9moe_vec_qIfLi256ELi8E11block_iq1_mLi1EXadL_ZL18vec_dot_iq1_m_q8_1PKvPK10block_q8_1RKiEEEvS2_S2_PT_PS6_iiii,@function
_ZL9moe_vec_qIfLi256ELi8E11block_iq1_mLi1EXadL_ZL18vec_dot_iq1_m_q8_1PKvPK10block_q8_1RKiEEEvS2_S2_PT_PS6_iiii: ; @_ZL9moe_vec_qIfLi256ELi8E11block_iq1_mLi1EXadL_ZL18vec_dot_iq1_m_q8_1PKvPK10block_q8_1RKiEEEvS2_S2_PT_PS6_iiii
; %bb.0:
	s_clause 0x1
	s_load_b32 s2, s[0:1], 0x3c
	s_load_b128 s[4:7], s[0:1], 0x20
	v_bfe_u32 v3, v0, 10, 10
	s_waitcnt lgkmcnt(0)
	s_lshr_b32 s2, s2, 16
	s_delay_alu instid0(VALU_DEP_1) | instid1(SALU_CYCLE_1)
	v_mad_u64_u32 v[1:2], null, s14, s2, v[3:4]
	s_mov_b32 s2, exec_lo
	s_delay_alu instid0(VALU_DEP_1)
	v_cmpx_gt_u32_e64 s6, v1
	s_cbranch_execz .LBB255_7
; %bb.1:
	v_cvt_f32_u32_e32 v2, s4
	s_load_b64 s[10:11], s[0:1], 0x10
	v_and_b32_e32 v0, 0x3ff, v0
	s_ashr_i32 s2, s5, 31
	s_mov_b32 s8, s15
	v_rcp_iflag_f32_e32 v2, v2
	s_lshr_b32 s2, s2, 24
	s_mov_b32 s12, exec_lo
	s_add_i32 s2, s5, s2
	s_delay_alu instid0(SALU_CYCLE_1) | instskip(SKIP_2) | instid1(VALU_DEP_1)
	s_ashr_i32 s13, s2, 8
	s_waitcnt_depctr 0xfff
	v_mul_f32_e32 v3, 0x4f7ffffe, v2
	v_cvt_u32_f32_e32 v3, v3
	s_delay_alu instid0(VALU_DEP_1) | instskip(SKIP_2) | instid1(VALU_DEP_1)
	v_readfirstlane_b32 s5, v3
	v_mov_b32_e32 v3, 0
	v_lshrrev_b32_e32 v2, 3, v0
	v_cmpx_gt_u32_e64 s13, v2
	s_cbranch_execz .LBB255_5
; %bb.2:
	s_clause 0x1
	s_load_b64 s[14:15], s[0:1], 0x18
	s_load_b128 s[0:3], s[0:1], 0x0
	s_sub_i32 s16, 0, s4
	s_mov_b32 s9, 0
	s_mul_i32 s16, s16, s5
	v_dual_mov_b32 v3, 0 :: v_dual_and_b32 v8, 1, v0
	s_mul_hi_u32 s19, s5, s16
	s_lshl_b64 s[16:17], s[8:9], 2
	s_add_i32 s5, s5, s19
	s_mul_i32 s18, s13, s6
	v_and_b32_e32 v5, 7, v0
	v_bfe_u32 v10, v0, 1, 2
	v_cmp_eq_u32_e32 vcc_lo, 1, v8
	v_mul_lo_u32 v4, v1, s13
	v_lshlrev_b32_e32 v6, 3, v2
	v_lshlrev_b32_e32 v7, 1, v5
	;; [unrolled: 1-line block ×3, first 2 shown]
	v_cndmask_b32_e64 v8, 0, 6, vcc_lo
	v_lshlrev_b32_e32 v10, 1, v10
	s_waitcnt lgkmcnt(0)
	s_add_u32 s14, s14, s16
	s_addc_u32 s15, s15, s17
	s_load_b32 s14, s[14:15], 0x0
	s_mul_hi_u32 s15, s8, s5
	s_mov_b32 s5, s9
	s_mul_i32 s16, s15, s4
	s_add_i32 s17, s15, 1
	s_sub_i32 s16, s8, s16
	s_delay_alu instid0(SALU_CYCLE_1)
	s_sub_i32 s19, s16, s4
	s_cmp_ge_u32 s16, s4
	s_cselect_b32 s15, s17, s15
	s_cselect_b32 s16, s19, s16
	s_add_i32 s17, s15, 1
	s_cmp_ge_u32 s16, s4
	s_cselect_b32 s4, s17, s15
	s_delay_alu instid0(SALU_CYCLE_1) | instskip(SKIP_2) | instid1(SALU_CYCLE_1)
	s_mul_i32 s4, s4, s7
	s_waitcnt lgkmcnt(0)
	s_mul_i32 s14, s18, s14
	s_mul_i32 s7, s14, 56
	s_mul_hi_i32 s14, s14, 56
	s_add_u32 s0, s0, s7
	s_addc_u32 s1, s1, s14
	s_lshl_b64 s[4:5], s[4:5], 2
	s_mov_b32 s7, 0xbd000000
	s_add_u32 s2, s2, s4
	s_addc_u32 s3, s3, s5
.LBB255_3:                              ; =>This Inner Loop Header: Depth=1
	v_add_nc_u32_e32 v11, v4, v2
	s_getpc_b64 s[4:5]
	s_add_u32 s4, s4, _ZL13iq1s_grid_gpu@rel32@lo+4
	s_addc_u32 s5, s5, _ZL13iq1s_grid_gpu@rel32@hi+12
	v_add_nc_u32_e32 v2, 4, v2
	v_mad_i64_i32 v[19:20], null, v11, 56, s[0:1]
	s_delay_alu instid0(VALU_DEP_1) | instskip(NEXT) | instid1(VALU_DEP_2)
	v_add_co_u32 v11, vcc_lo, v19, v9
	v_add_co_ci_u32_e32 v12, vcc_lo, 0, v20, vcc_lo
	v_add_co_u32 v13, vcc_lo, v19, v7
	v_add_co_ci_u32_e32 v14, vcc_lo, 0, v20, vcc_lo
	v_add_co_u32 v21, vcc_lo, v19, v10
	s_clause 0x1
	global_load_b32 v23, v[11:12], off
	global_load_u16 v24, v[13:14], off offset:32
	v_mad_i64_i32 v[11:12], null, v6, 36, s[2:3]
	v_add_co_ci_u32_e32 v22, vcc_lo, 0, v20, vcc_lo
	v_cmp_le_u32_e32 vcc_lo, s13, v2
	v_add_nc_u32_e32 v6, 32, v6
	s_delay_alu instid0(VALU_DEP_4)
	v_mad_u64_u32 v[15:16], null, v5, 36, v[11:12]
	s_or_b32 s9, vcc_lo, s9
	s_clause 0x2
	global_load_b128 v[11:14], v[15:16], off
	global_load_b32 v25, v[15:16], off offset:32
	global_load_b128 v[15:18], v[15:16], off offset:16
	global_load_b64 v[19:20], v[19:20], off offset:48
	s_waitcnt vmcnt(5)
	v_and_b32_e32 v28, 0xff, v23
	s_waitcnt vmcnt(4)
	v_lshrrev_b16 v27, 8, v24
	v_lshlrev_b32_e32 v29, 8, v24
	v_bfe_u32 v30, v23, 8, 8
	v_lshlrev_b32_e32 v31, 4, v24
	v_and_b32_e32 v53, 8, v24
	v_and_b32_e32 v27, 0xffff, v27
	v_lshrrev_b32_e32 v26, 24, v23
	v_bfe_u32 v23, v23, 16, 8
	v_and_or_b32 v28, 0x700, v29, v28
	v_and_or_b32 v29, 0x700, v31, v30
	v_cvt_f32_ubyte0_e32 v53, v53
	v_lshlrev_b32_e32 v30, 8, v27
	v_lshlrev_b32_e32 v31, 4, v27
	;; [unrolled: 1-line block ×4, first 2 shown]
	v_fmaak_f32 v53, s7, v53, 0xbf600000
	v_and_or_b32 v23, 0x700, v30, v23
	v_and_or_b32 v26, 0x700, v31, v26
	s_clause 0x1
	global_load_b32 v28, v28, s[4:5]
	global_load_b32 v29, v29, s[4:5]
	s_waitcnt vmcnt(5)
	v_bfe_i32 v30, v12, 8, 8
	v_bfe_i32 v35, v14, 0, 8
	v_lshlrev_b32_e32 v23, 3, v23
	v_lshlrev_b32_e32 v26, 3, v26
	v_bfe_i32 v36, v14, 8, 8
	s_clause 0x1
	global_load_b32 v23, v23, s[4:5]
	global_load_b32 v26, v26, s[4:5]
	global_load_u16 v21, v[21:22], off offset:48
	v_bfe_i32 v22, v12, 0, 8
	s_waitcnt vmcnt(6)
	v_bfe_i32 v41, v16, 0, 8
	v_bfe_i32 v42, v16, 8, 8
	v_bfe_i32 v47, v18, 0, 8
	v_bfe_i32 v48, v18, 8, 8
	v_bfe_i32 v31, v12, 16, 8
	v_ashrrev_i32_e32 v12, 24, v12
	v_bfe_i32 v37, v14, 16, 8
	v_ashrrev_i32_e32 v14, 24, v14
	v_bfe_i32 v43, v16, 16, 8
	;; [unrolled: 2-line block ×3, first 2 shown]
	v_ashrrev_i32_e32 v18, 24, v18
	s_waitcnt vmcnt(5)
	v_lshrrev_b16 v55, 12, v19
	v_lshrrev_b32_e32 v19, 24, v19
	v_add_nc_u32_e32 v56, v22, v30
	v_add_nc_u32_e32 v57, v35, v36
	;; [unrolled: 1-line block ×3, first 2 shown]
	v_cvt_f32_f16_e32 v11, v11
	v_add_nc_u32_e32 v58, v41, v42
	v_bfe_i32 v32, v13, 0, 8
	v_bfe_i32 v33, v13, 8, 8
	;; [unrolled: 1-line block ×8, first 2 shown]
	v_lshrrev_b32_e32 v54, 16, v20
	v_lshrrev_b16 v20, 4, v20
	v_and_b32_e32 v19, 0xf0, v19
	v_add3_u32 v56, v56, v31, v12
	v_add3_u32 v57, v57, v37, v14
	;; [unrolled: 1-line block ×4, first 2 shown]
	v_and_b32_e32 v61, 8, v27
	v_bfe_i32 v34, v13, 16, 8
	v_ashrrev_i32_e32 v13, 24, v13
	v_bfe_i32 v40, v15, 16, 8
	v_ashrrev_i32_e32 v15, 24, v15
	;; [unrolled: 2-line block ×4, first 2 shown]
	v_and_b32_e32 v20, 0xf00, v20
	v_or_b32_e32 v19, v19, v55
	v_add3_u32 v56, v56, v32, v33
	v_add3_u32 v57, v57, v38, v39
	v_add3_u32 v58, v58, v44, v45
	v_add3_u32 v59, v59, v50, v51
	v_or_b32_e32 v19, v19, v20
	v_add3_u32 v20, v56, v34, v13
	v_add3_u32 v56, v57, v40, v15
	;; [unrolled: 1-line block ×4, first 2 shown]
	v_lshrrev_b32_e32 v24, 4, v24
	v_cvt_f32_i32_e32 v20, v20
	s_delay_alu instid0(VALU_DEP_4) | instskip(NEXT) | instid1(VALU_DEP_4)
	v_cvt_f32_i32_e32 v57, v57
	v_cvt_f32_i32_e32 v58, v58
	s_waitcnt vmcnt(4)
	v_bfe_u32 v62, v28, 8, 4
	v_bfe_u32 v63, v28, 16, 4
	;; [unrolled: 1-line block ×5, first 2 shown]
	s_waitcnt vmcnt(3)
	v_and_b32_e32 v68, 15, v29
	v_bfe_u32 v69, v29, 8, 4
	v_bfe_u32 v70, v29, 16, 4
	;; [unrolled: 1-line block ×3, first 2 shown]
	s_waitcnt vmcnt(0)
	v_lshrrev_b32_e32 v21, v8, v21
	v_mul_i32_i24_e32 v31, v63, v31
	v_bfe_u32 v63, v23, 4, 4
	v_mul_i32_i24_e32 v30, v62, v30
	v_mul_i32_i24_e32 v12, v64, v12
	v_lshlrev_b32_e32 v60, 1, v21
	v_bfe_u32 v62, v23, 24, 4
	v_bfe_u32 v64, v23, 12, 4
	v_mul_i32_i24_e32 v33, v66, v33
	v_bfe_u32 v71, v29, 24, 4
	v_and_or_b32 v55, v60, 14, 1
	v_cvt_f32_ubyte0_e32 v60, v61
	v_and_b32_e32 v61, 15, v28
	v_mul_i32_i24_e32 v16, v62, v16
	v_mul_i32_i24_e32 v45, v64, v45
	v_bfe_u32 v73, v29, 12, 4
	v_fmaak_f32 v59, s7, v60, 0xbf600000
	v_bfe_u32 v60, v28, 20, 4
	v_lshrrev_b32_e32 v28, 28, v28
	v_mul_i32_i24_e32 v22, v22, v61
	v_bfe_u32 v61, v23, 16, 4
	v_lshrrev_b32_e32 v21, 2, v21
	v_mul_i32_i24_e32 v34, v60, v34
	v_mul_i32_i24_e32 v13, v28, v13
	;; [unrolled: 1-line block ×6, first 2 shown]
	v_and_b32_e32 v38, 15, v23
	v_bfe_u32 v60, v23, 8, 4
	v_mad_i32_i24 v22, v32, v65, v22
	v_mul_i32_i24_e32 v43, v61, v43
	v_bfe_u32 v32, v23, 20, 4
	v_mul_i32_i24_e32 v38, v41, v38
	v_mul_i32_i24_e32 v42, v60, v42
	v_lshrrev_b32_e32 v23, 28, v23
	v_add3_u32 v22, v22, v30, v31
	v_and_b32_e32 v65, 15, v26
	v_mad_i32_i24 v38, v44, v63, v38
	v_mul_i32_i24_e32 v30, v32, v46
	v_mul_i32_i24_e32 v17, v23, v17
	v_add3_u32 v12, v22, v12, v33
	v_bfe_u32 v44, v26, 8, 4
	v_add3_u32 v38, v38, v42, v43
	v_bfe_u32 v42, v26, 4, 4
	v_bfe_u32 v60, v26, 16, 4
	v_mul_i32_i24_e32 v31, v47, v65
	v_add3_u32 v12, v12, v34, v13
	v_add3_u32 v16, v38, v16, v45
	v_mul_i32_i24_e32 v32, v50, v42
	v_bfe_u32 v23, v26, 24, 4
	v_mul_i32_i24_e32 v22, v44, v48
	v_add3_u32 v12, v12, v28, v37
	v_add3_u32 v16, v16, v30, v17
	v_bfe_u32 v17, v26, 12, 4
	v_mul_i32_i24_e32 v30, v60, v49
	v_bfe_u32 v67, v29, 20, 4
	v_lshrrev_b32_e32 v29, 28, v29
	v_add3_u32 v13, v16, v31, v32
	v_mul_i32_i24_e32 v14, v71, v14
	v_mul_i32_i24_e32 v18, v23, v18
	;; [unrolled: 1-line block ×3, first 2 shown]
	v_add3_u32 v12, v12, v35, v36
	v_add3_u32 v13, v13, v22, v30
	v_mul_i32_i24_e32 v22, v73, v39
	v_and_or_b32 v21, v21, 14, 1
	v_mul_i32_i24_e32 v15, v29, v15
	v_bfe_u32 v41, v26, 20, 4
	v_add3_u32 v13, v13, v18, v17
	v_mul_i32_i24_e32 v18, v67, v40
	v_add3_u32 v12, v12, v14, v22
	v_lshrrev_b32_e32 v16, 28, v26
	v_mul_i32_i24_e32 v23, v41, v52
	v_cvt_f32_i32_e32 v14, v56
	v_fma_f32 v17, v59, v57, 0
	v_add3_u32 v12, v12, v18, v15
	v_cvt_f32_ubyte0_e32 v15, v21
	v_and_b32_e32 v24, 8, v24
	v_mul_i32_i24_e32 v16, v16, v25
	s_delay_alu instid0(VALU_DEP_4) | instskip(NEXT) | instid1(VALU_DEP_3)
	v_cvt_f32_i32_e32 v12, v12
	v_cvt_f32_ubyte0_e32 v24, v24
	s_delay_alu instid0(VALU_DEP_3) | instskip(SKIP_1) | instid1(VALU_DEP_3)
	v_add3_u32 v13, v13, v23, v16
	v_fma_f32 v16, v53, v20, 0
	v_fmaak_f32 v24, s7, v24, 0xbf600000
	s_delay_alu instid0(VALU_DEP_3) | instskip(NEXT) | instid1(VALU_DEP_2)
	v_cvt_f32_i32_e32 v13, v13
	v_fmac_f32_e32 v16, v24, v14
	v_cvt_f32_ubyte0_e32 v14, v55
	s_delay_alu instid0(VALU_DEP_2) | instskip(SKIP_1) | instid1(VALU_DEP_1)
	v_add_f32_e32 v12, v16, v12
	v_lshrrev_b32_e32 v27, 4, v27
	v_and_b32_e32 v27, 8, v27
	s_delay_alu instid0(VALU_DEP_1) | instskip(NEXT) | instid1(VALU_DEP_1)
	v_cvt_f32_ubyte0_e32 v27, v27
	v_fmaak_f32 v27, s7, v27, 0xbf600000
	s_delay_alu instid0(VALU_DEP_1) | instskip(NEXT) | instid1(VALU_DEP_1)
	v_fmac_f32_e32 v17, v27, v58
	v_add_f32_e32 v13, v17, v13
	s_delay_alu instid0(VALU_DEP_1) | instskip(NEXT) | instid1(VALU_DEP_1)
	v_mul_f32_e32 v13, v13, v15
	v_fmac_f32_e32 v13, v12, v14
	v_and_b32_e32 v54, 0xfffff000, v54
	s_delay_alu instid0(VALU_DEP_1) | instskip(NEXT) | instid1(VALU_DEP_1)
	v_or_b32_e32 v18, v19, v54
	v_cvt_f32_f16_e32 v17, v18
	s_delay_alu instid0(VALU_DEP_1) | instskip(NEXT) | instid1(VALU_DEP_1)
	v_mul_f32_e32 v11, v11, v17
	v_fmac_f32_e32 v3, v11, v13
	s_and_not1_b32 exec_lo, exec_lo, s9
	s_cbranch_execnz .LBB255_3
; %bb.4:
	s_or_b32 exec_lo, exec_lo, s9
.LBB255_5:
	s_delay_alu instid0(SALU_CYCLE_1) | instskip(SKIP_1) | instid1(VALU_DEP_1)
	s_or_b32 exec_lo, exec_lo, s12
	v_mbcnt_lo_u32_b32 v2, -1, 0
	v_xor_b32_e32 v4, 16, v2
	v_xor_b32_e32 v5, 8, v2
	s_delay_alu instid0(VALU_DEP_2) | instskip(SKIP_1) | instid1(VALU_DEP_3)
	v_cmp_gt_i32_e32 vcc_lo, 32, v4
	v_cndmask_b32_e32 v4, v2, v4, vcc_lo
	v_cmp_gt_i32_e32 vcc_lo, 32, v5
	v_cndmask_b32_e32 v5, v2, v5, vcc_lo
	s_delay_alu instid0(VALU_DEP_1) | instskip(NEXT) | instid1(VALU_DEP_4)
	v_lshlrev_b32_e32 v5, 2, v5
	v_lshlrev_b32_e32 v4, 2, v4
	ds_bpermute_b32 v4, v4, v3
	s_waitcnt lgkmcnt(0)
	v_add_f32_e32 v3, v3, v4
	ds_bpermute_b32 v4, v5, v3
	v_xor_b32_e32 v5, 4, v2
	s_delay_alu instid0(VALU_DEP_1) | instskip(SKIP_1) | instid1(VALU_DEP_1)
	v_cmp_gt_i32_e32 vcc_lo, 32, v5
	v_cndmask_b32_e32 v5, v2, v5, vcc_lo
	v_lshlrev_b32_e32 v5, 2, v5
	s_waitcnt lgkmcnt(0)
	v_add_f32_e32 v3, v3, v4
	ds_bpermute_b32 v4, v5, v3
	v_xor_b32_e32 v5, 2, v2
	s_delay_alu instid0(VALU_DEP_1) | instskip(SKIP_1) | instid1(VALU_DEP_1)
	v_cmp_gt_i32_e32 vcc_lo, 32, v5
	v_cndmask_b32_e32 v5, v2, v5, vcc_lo
	v_lshlrev_b32_e32 v5, 2, v5
	s_waitcnt lgkmcnt(0)
	v_add_f32_e32 v3, v3, v4
	ds_bpermute_b32 v4, v5, v3
	v_xor_b32_e32 v5, 1, v2
	s_delay_alu instid0(VALU_DEP_1) | instskip(SKIP_3) | instid1(VALU_DEP_2)
	v_cmp_gt_i32_e32 vcc_lo, 32, v5
	v_cndmask_b32_e32 v5, v2, v5, vcc_lo
	v_cmp_eq_u32_e32 vcc_lo, 0, v0
	s_waitcnt lgkmcnt(0)
	v_dual_add_f32 v2, v3, v4 :: v_dual_lshlrev_b32 v3, 2, v5
	ds_bpermute_b32 v3, v3, v2
	s_and_b32 exec_lo, exec_lo, vcc_lo
	s_cbranch_execz .LBB255_7
; %bb.6:
	v_mad_u64_u32 v[4:5], null, s8, s6, v[1:2]
	s_waitcnt lgkmcnt(0)
	v_dual_mov_b32 v5, 0 :: v_dual_add_f32 v2, v2, v3
	s_delay_alu instid0(VALU_DEP_1) | instskip(NEXT) | instid1(VALU_DEP_1)
	v_lshlrev_b64 v[0:1], 2, v[4:5]
	v_add_co_u32 v0, vcc_lo, s10, v0
	s_delay_alu instid0(VALU_DEP_2)
	v_add_co_ci_u32_e32 v1, vcc_lo, s11, v1, vcc_lo
	global_store_b32 v[0:1], v2, off
.LBB255_7:
	s_nop 0
	s_sendmsg sendmsg(MSG_DEALLOC_VGPRS)
	s_endpgm
	.section	.rodata,"a",@progbits
	.p2align	6, 0x0
	.amdhsa_kernel _ZL9moe_vec_qIfLi256ELi8E11block_iq1_mLi1EXadL_ZL18vec_dot_iq1_m_q8_1PKvPK10block_q8_1RKiEEEvS2_S2_PT_PS6_iiii
		.amdhsa_group_segment_fixed_size 0
		.amdhsa_private_segment_fixed_size 0
		.amdhsa_kernarg_size 304
		.amdhsa_user_sgpr_count 14
		.amdhsa_user_sgpr_dispatch_ptr 0
		.amdhsa_user_sgpr_queue_ptr 0
		.amdhsa_user_sgpr_kernarg_segment_ptr 1
		.amdhsa_user_sgpr_dispatch_id 0
		.amdhsa_user_sgpr_private_segment_size 0
		.amdhsa_wavefront_size32 1
		.amdhsa_uses_dynamic_stack 0
		.amdhsa_enable_private_segment 0
		.amdhsa_system_sgpr_workgroup_id_x 1
		.amdhsa_system_sgpr_workgroup_id_y 0
		.amdhsa_system_sgpr_workgroup_id_z 1
		.amdhsa_system_sgpr_workgroup_info 0
		.amdhsa_system_vgpr_workitem_id 1
		.amdhsa_next_free_vgpr 74
		.amdhsa_next_free_sgpr 20
		.amdhsa_reserve_vcc 1
		.amdhsa_float_round_mode_32 0
		.amdhsa_float_round_mode_16_64 0
		.amdhsa_float_denorm_mode_32 3
		.amdhsa_float_denorm_mode_16_64 3
		.amdhsa_dx10_clamp 1
		.amdhsa_ieee_mode 1
		.amdhsa_fp16_overflow 0
		.amdhsa_workgroup_processor_mode 1
		.amdhsa_memory_ordered 1
		.amdhsa_forward_progress 0
		.amdhsa_shared_vgpr_count 0
		.amdhsa_exception_fp_ieee_invalid_op 0
		.amdhsa_exception_fp_denorm_src 0
		.amdhsa_exception_fp_ieee_div_zero 0
		.amdhsa_exception_fp_ieee_overflow 0
		.amdhsa_exception_fp_ieee_underflow 0
		.amdhsa_exception_fp_ieee_inexact 0
		.amdhsa_exception_int_div_zero 0
	.end_amdhsa_kernel
	.section	.text._ZL9moe_vec_qIfLi256ELi8E11block_iq1_mLi1EXadL_ZL18vec_dot_iq1_m_q8_1PKvPK10block_q8_1RKiEEEvS2_S2_PT_PS6_iiii,"axG",@progbits,_ZL9moe_vec_qIfLi256ELi8E11block_iq1_mLi1EXadL_ZL18vec_dot_iq1_m_q8_1PKvPK10block_q8_1RKiEEEvS2_S2_PT_PS6_iiii,comdat
.Lfunc_end255:
	.size	_ZL9moe_vec_qIfLi256ELi8E11block_iq1_mLi1EXadL_ZL18vec_dot_iq1_m_q8_1PKvPK10block_q8_1RKiEEEvS2_S2_PT_PS6_iiii, .Lfunc_end255-_ZL9moe_vec_qIfLi256ELi8E11block_iq1_mLi1EXadL_ZL18vec_dot_iq1_m_q8_1PKvPK10block_q8_1RKiEEEvS2_S2_PT_PS6_iiii
                                        ; -- End function
	.section	.AMDGPU.csdata,"",@progbits
; Kernel info:
; codeLenInByte = 2136
; NumSgprs: 22
; NumVgprs: 74
; ScratchSize: 0
; MemoryBound: 0
; FloatMode: 240
; IeeeMode: 1
; LDSByteSize: 0 bytes/workgroup (compile time only)
; SGPRBlocks: 2
; VGPRBlocks: 9
; NumSGPRsForWavesPerEU: 22
; NumVGPRsForWavesPerEU: 74
; Occupancy: 16
; WaveLimiterHint : 1
; COMPUTE_PGM_RSRC2:SCRATCH_EN: 0
; COMPUTE_PGM_RSRC2:USER_SGPR: 14
; COMPUTE_PGM_RSRC2:TRAP_HANDLER: 0
; COMPUTE_PGM_RSRC2:TGID_X_EN: 1
; COMPUTE_PGM_RSRC2:TGID_Y_EN: 0
; COMPUTE_PGM_RSRC2:TGID_Z_EN: 1
; COMPUTE_PGM_RSRC2:TIDIG_COMP_CNT: 1
	.section	.text._ZL9moe_vec_qIN3c104HalfELi32ELi4E10block_q4_0Li2EXadL_ZL17vec_dot_q4_0_q8_1PKvPK10block_q8_1RKiEEEvS4_S4_PT_PS8_iiii,"axG",@progbits,_ZL9moe_vec_qIN3c104HalfELi32ELi4E10block_q4_0Li2EXadL_ZL17vec_dot_q4_0_q8_1PKvPK10block_q8_1RKiEEEvS4_S4_PT_PS8_iiii,comdat
	.globl	_ZL9moe_vec_qIN3c104HalfELi32ELi4E10block_q4_0Li2EXadL_ZL17vec_dot_q4_0_q8_1PKvPK10block_q8_1RKiEEEvS4_S4_PT_PS8_iiii ; -- Begin function _ZL9moe_vec_qIN3c104HalfELi32ELi4E10block_q4_0Li2EXadL_ZL17vec_dot_q4_0_q8_1PKvPK10block_q8_1RKiEEEvS4_S4_PT_PS8_iiii
	.p2align	8
	.type	_ZL9moe_vec_qIN3c104HalfELi32ELi4E10block_q4_0Li2EXadL_ZL17vec_dot_q4_0_q8_1PKvPK10block_q8_1RKiEEEvS4_S4_PT_PS8_iiii,@function
_ZL9moe_vec_qIN3c104HalfELi32ELi4E10block_q4_0Li2EXadL_ZL17vec_dot_q4_0_q8_1PKvPK10block_q8_1RKiEEEvS4_S4_PT_PS8_iiii: ; @_ZL9moe_vec_qIN3c104HalfELi32ELi4E10block_q4_0Li2EXadL_ZL17vec_dot_q4_0_q8_1PKvPK10block_q8_1RKiEEEvS4_S4_PT_PS8_iiii
; %bb.0:
	s_clause 0x1
	s_load_b32 s2, s[0:1], 0x3c
	s_load_b128 s[4:7], s[0:1], 0x20
	v_bfe_u32 v3, v0, 10, 10
	s_waitcnt lgkmcnt(0)
	s_lshr_b32 s2, s2, 16
	s_delay_alu instid0(VALU_DEP_1) | instid1(SALU_CYCLE_1)
	v_mad_u64_u32 v[1:2], null, s14, s2, v[3:4]
	s_mov_b32 s2, exec_lo
	s_delay_alu instid0(VALU_DEP_1)
	v_cmpx_gt_u32_e64 s6, v1
	s_cbranch_execz .LBB256_7
; %bb.1:
	v_cvt_f32_u32_e32 v2, s4
	s_load_b64 s[10:11], s[0:1], 0x10
	s_ashr_i32 s2, s5, 31
	v_and_b32_e32 v0, 0x3ff, v0
	s_lshr_b32 s2, s2, 27
	v_rcp_iflag_f32_e32 v2, v2
	s_add_i32 s2, s5, s2
	s_mov_b32 s8, s15
	s_ashr_i32 s12, s2, 5
	s_mov_b32 s5, exec_lo
	s_waitcnt_depctr 0xfff
	v_mul_f32_e32 v3, 0x4f7ffffe, v2
	s_delay_alu instid0(VALU_DEP_1) | instskip(NEXT) | instid1(VALU_DEP_1)
	v_cvt_u32_f32_e32 v3, v3
	v_readfirstlane_b32 s2, v3
	v_mov_b32_e32 v3, 0
	v_lshrrev_b32_e32 v2, 1, v0
	s_delay_alu instid0(VALU_DEP_1)
	v_cmpx_gt_u32_e64 s12, v2
	s_cbranch_execz .LBB256_5
; %bb.2:
	s_load_b64 s[14:15], s[0:1], 0x18
	s_sub_i32 s3, 0, s4
	s_mov_b32 s9, 0
	s_mul_i32 s3, s3, s2
	s_lshl_b64 s[16:17], s[8:9], 2
	s_mul_hi_u32 s3, s2, s3
	v_lshlrev_b32_e32 v3, 3, v0
	s_add_i32 s13, s2, s3
	v_mul_lo_u32 v4, v1, s12
	s_mul_hi_u32 s13, s8, s13
	s_delay_alu instid0(VALU_DEP_2)
	v_and_b32_e32 v5, 8, v3
	v_mov_b32_e32 v3, 0
	s_waitcnt lgkmcnt(0)
	s_add_u32 s2, s14, s16
	s_addc_u32 s3, s15, s17
	s_mul_i32 s15, s13, s4
	s_load_b32 s14, s[2:3], 0x0
	s_load_b128 s[0:3], s[0:1], 0x0
	s_sub_i32 s17, s8, s15
	s_add_i32 s18, s13, 1
	s_sub_i32 s19, s17, s4
	s_cmp_ge_u32 s17, s4
	s_mul_i32 s16, s12, s6
	s_cselect_b32 s13, s18, s13
	s_cselect_b32 s17, s19, s17
	s_add_i32 s18, s13, 1
	s_cmp_ge_u32 s17, s4
	s_mov_b32 s15, s9
	s_cselect_b32 s4, s18, s13
	s_waitcnt lgkmcnt(0)
	s_mul_i32 s13, s16, s14
	s_mul_i32 s14, s4, s7
	;; [unrolled: 1-line block ×3, first 2 shown]
	s_mul_hi_i32 s7, s13, 18
	s_add_u32 s0, s0, s4
	s_addc_u32 s1, s1, s7
	s_lshl_b64 s[14:15], s[14:15], 2
	s_delay_alu instid0(SALU_CYCLE_1)
	s_add_u32 s2, s2, s14
	s_addc_u32 s3, s3, s15
.LBB256_3:                              ; =>This Inner Loop Header: Depth=1
	v_add_nc_u32_e32 v10, v4, v2
	v_mad_i64_i32 v[6:7], null, v2, 36, s[2:3]
	v_add_nc_u32_e32 v2, 16, v2
	s_delay_alu instid0(VALU_DEP_3) | instskip(NEXT) | instid1(VALU_DEP_3)
	v_mad_i64_i32 v[8:9], null, v10, 18, s[0:1]
	v_add_co_u32 v10, vcc_lo, v6, v5
	s_delay_alu instid0(VALU_DEP_4) | instskip(NEXT) | instid1(VALU_DEP_3)
	v_add_co_ci_u32_e32 v11, vcc_lo, 0, v7, vcc_lo
	v_add_co_u32 v12, vcc_lo, v8, v5
	s_delay_alu instid0(VALU_DEP_4)
	v_add_co_ci_u32_e32 v13, vcc_lo, 0, v9, vcc_lo
	v_cmp_le_u32_e32 vcc_lo, s12, v2
	global_load_b64 v[14:15], v[10:11], off offset:4
	global_load_b64 v[12:13], v[12:13], off offset:2
	s_clause 0x1
	global_load_b64 v[10:11], v[10:11], off offset:20
	global_load_b32 v6, v[6:7], off
	global_load_u16 v7, v[8:9], off
	s_or_b32 s9, vcc_lo, s9
	s_waitcnt vmcnt(4)
	v_bfe_i32 v8, v14, 0, 8
	s_waitcnt vmcnt(3)
	v_and_b32_e32 v26, 15, v12
	v_bfe_i32 v9, v14, 8, 8
	s_waitcnt vmcnt(2)
	v_bfe_i32 v17, v10, 0, 8
	v_bfe_i32 v20, v15, 0, 8
	v_bfe_u32 v27, v12, 8, 4
	v_bfe_u32 v28, v12, 4, 4
	v_and_b32_e32 v29, 15, v13
	v_mul_i32_i24_e32 v8, v8, v26
	v_bfe_i32 v16, v14, 16, 8
	v_ashrrev_i32_e32 v14, 24, v14
	v_bfe_u32 v26, v12, 16, 4
	v_bfe_u32 v30, v12, 24, 4
	v_mul_i32_i24_e32 v9, v27, v9
	v_mul_i32_i24_e32 v20, v20, v29
	v_mad_i32_i24 v8, v28, v17, v8
	v_bfe_i32 v18, v10, 8, 8
	v_bfe_i32 v19, v10, 16, 8
	v_bfe_u32 v17, v12, 20, 4
	v_bfe_u32 v27, v12, 12, 4
	v_mul_i32_i24_e32 v16, v26, v16
	v_mul_i32_i24_e32 v14, v30, v14
	v_add3_u32 v8, v8, v20, v9
	v_ashrrev_i32_e32 v10, 24, v10
	v_bfe_i32 v23, v11, 0, 8
	v_lshrrev_b32_e32 v9, 28, v12
	v_bfe_u32 v12, v13, 4, 4
	v_mul_i32_i24_e32 v18, v27, v18
	v_mul_i32_i24_e32 v17, v17, v19
	v_add3_u32 v8, v8, v16, v14
	v_bfe_i32 v21, v15, 8, 8
	v_bfe_i32 v22, v15, 16, 8
	v_bfe_u32 v14, v13, 8, 4
	v_bfe_u32 v16, v13, 16, 4
	v_mul_i32_i24_e32 v9, v9, v10
	v_mul_i32_i24_e32 v10, v12, v23
	v_add3_u32 v8, v8, v18, v17
	v_ashrrev_i32_e32 v15, 24, v15
	v_bfe_i32 v24, v11, 8, 8
	v_bfe_u32 v12, v13, 24, 4
	v_bfe_u32 v17, v13, 12, 4
	v_mul_i32_i24_e32 v14, v14, v21
	v_mul_i32_i24_e32 v16, v16, v22
	v_add3_u32 v8, v8, v9, v10
	v_bfe_i32 v25, v11, 16, 8
	v_ashrrev_i32_e32 v11, 24, v11
	v_bfe_u32 v9, v13, 20, 4
	v_lshrrev_b32_e32 v10, 28, v13
	v_mul_i32_i24_e32 v12, v12, v15
	v_mul_i32_i24_e32 v13, v17, v24
	v_add3_u32 v8, v8, v14, v16
	s_waitcnt vmcnt(1)
	v_lshrrev_b32_e32 v14, 16, v6
	v_mul_i32_i24_e32 v9, v9, v25
	v_mul_i32_i24_e32 v10, v10, v11
	v_add3_u32 v8, v8, v12, v13
	s_delay_alu instid0(VALU_DEP_4) | instskip(NEXT) | instid1(VALU_DEP_2)
	v_cvt_f32_f16_e32 v11, v14
	v_add3_u32 v8, v8, v9, v10
	s_delay_alu instid0(VALU_DEP_2) | instskip(NEXT) | instid1(VALU_DEP_2)
	v_mul_f32_e32 v9, -4.0, v11
	v_cvt_f32_i32_e32 v8, v8
	s_delay_alu instid0(VALU_DEP_1) | instskip(SKIP_1) | instid1(VALU_DEP_1)
	v_fma_mix_f32 v6, v6, v8, v9 op_sel_hi:[1,0,0]
	s_waitcnt vmcnt(0)
	v_fma_mix_f32 v3, v6, v7, v3 op_sel_hi:[0,1,0]
	s_and_not1_b32 exec_lo, exec_lo, s9
	s_cbranch_execnz .LBB256_3
; %bb.4:
	s_or_b32 exec_lo, exec_lo, s9
.LBB256_5:
	s_delay_alu instid0(SALU_CYCLE_1) | instskip(SKIP_1) | instid1(VALU_DEP_1)
	s_or_b32 exec_lo, exec_lo, s5
	v_mbcnt_lo_u32_b32 v2, -1, 0
	v_xor_b32_e32 v4, 16, v2
	v_xor_b32_e32 v5, 8, v2
	s_delay_alu instid0(VALU_DEP_2) | instskip(SKIP_1) | instid1(VALU_DEP_3)
	v_cmp_gt_i32_e32 vcc_lo, 32, v4
	v_cndmask_b32_e32 v4, v2, v4, vcc_lo
	v_cmp_gt_i32_e32 vcc_lo, 32, v5
	v_cndmask_b32_e32 v5, v2, v5, vcc_lo
	s_delay_alu instid0(VALU_DEP_1) | instskip(NEXT) | instid1(VALU_DEP_4)
	v_lshlrev_b32_e32 v5, 2, v5
	v_lshlrev_b32_e32 v4, 2, v4
	ds_bpermute_b32 v4, v4, v3
	s_waitcnt lgkmcnt(0)
	v_add_f32_e32 v3, v3, v4
	ds_bpermute_b32 v4, v5, v3
	v_xor_b32_e32 v5, 4, v2
	s_delay_alu instid0(VALU_DEP_1) | instskip(SKIP_1) | instid1(VALU_DEP_1)
	v_cmp_gt_i32_e32 vcc_lo, 32, v5
	v_cndmask_b32_e32 v5, v2, v5, vcc_lo
	v_lshlrev_b32_e32 v5, 2, v5
	s_waitcnt lgkmcnt(0)
	v_add_f32_e32 v3, v3, v4
	ds_bpermute_b32 v4, v5, v3
	v_xor_b32_e32 v5, 2, v2
	s_delay_alu instid0(VALU_DEP_1) | instskip(SKIP_1) | instid1(VALU_DEP_1)
	v_cmp_gt_i32_e32 vcc_lo, 32, v5
	v_cndmask_b32_e32 v5, v2, v5, vcc_lo
	v_lshlrev_b32_e32 v5, 2, v5
	s_waitcnt lgkmcnt(0)
	v_add_f32_e32 v3, v3, v4
	ds_bpermute_b32 v4, v5, v3
	v_xor_b32_e32 v5, 1, v2
	s_delay_alu instid0(VALU_DEP_1) | instskip(SKIP_3) | instid1(VALU_DEP_2)
	v_cmp_gt_i32_e32 vcc_lo, 32, v5
	v_cndmask_b32_e32 v5, v2, v5, vcc_lo
	v_cmp_eq_u32_e32 vcc_lo, 0, v0
	s_waitcnt lgkmcnt(0)
	v_dual_add_f32 v2, v3, v4 :: v_dual_lshlrev_b32 v3, 2, v5
	ds_bpermute_b32 v3, v3, v2
	s_and_b32 exec_lo, exec_lo, vcc_lo
	s_cbranch_execz .LBB256_7
; %bb.6:
	v_mad_u64_u32 v[4:5], null, s8, s6, v[1:2]
	s_waitcnt lgkmcnt(0)
	v_dual_mov_b32 v5, 0 :: v_dual_add_f32 v2, v2, v3
	s_delay_alu instid0(VALU_DEP_1) | instskip(NEXT) | instid1(VALU_DEP_2)
	v_cvt_f16_f32_e32 v2, v2
	v_lshlrev_b64 v[0:1], 1, v[4:5]
	s_delay_alu instid0(VALU_DEP_1) | instskip(NEXT) | instid1(VALU_DEP_2)
	v_add_co_u32 v0, vcc_lo, s10, v0
	v_add_co_ci_u32_e32 v1, vcc_lo, s11, v1, vcc_lo
	global_store_b16 v[0:1], v2, off
.LBB256_7:
	s_nop 0
	s_sendmsg sendmsg(MSG_DEALLOC_VGPRS)
	s_endpgm
	.section	.rodata,"a",@progbits
	.p2align	6, 0x0
	.amdhsa_kernel _ZL9moe_vec_qIN3c104HalfELi32ELi4E10block_q4_0Li2EXadL_ZL17vec_dot_q4_0_q8_1PKvPK10block_q8_1RKiEEEvS4_S4_PT_PS8_iiii
		.amdhsa_group_segment_fixed_size 0
		.amdhsa_private_segment_fixed_size 0
		.amdhsa_kernarg_size 304
		.amdhsa_user_sgpr_count 14
		.amdhsa_user_sgpr_dispatch_ptr 0
		.amdhsa_user_sgpr_queue_ptr 0
		.amdhsa_user_sgpr_kernarg_segment_ptr 1
		.amdhsa_user_sgpr_dispatch_id 0
		.amdhsa_user_sgpr_private_segment_size 0
		.amdhsa_wavefront_size32 1
		.amdhsa_uses_dynamic_stack 0
		.amdhsa_enable_private_segment 0
		.amdhsa_system_sgpr_workgroup_id_x 1
		.amdhsa_system_sgpr_workgroup_id_y 0
		.amdhsa_system_sgpr_workgroup_id_z 1
		.amdhsa_system_sgpr_workgroup_info 0
		.amdhsa_system_vgpr_workitem_id 1
		.amdhsa_next_free_vgpr 31
		.amdhsa_next_free_sgpr 20
		.amdhsa_reserve_vcc 1
		.amdhsa_float_round_mode_32 0
		.amdhsa_float_round_mode_16_64 0
		.amdhsa_float_denorm_mode_32 3
		.amdhsa_float_denorm_mode_16_64 3
		.amdhsa_dx10_clamp 1
		.amdhsa_ieee_mode 1
		.amdhsa_fp16_overflow 0
		.amdhsa_workgroup_processor_mode 1
		.amdhsa_memory_ordered 1
		.amdhsa_forward_progress 0
		.amdhsa_shared_vgpr_count 0
		.amdhsa_exception_fp_ieee_invalid_op 0
		.amdhsa_exception_fp_denorm_src 0
		.amdhsa_exception_fp_ieee_div_zero 0
		.amdhsa_exception_fp_ieee_overflow 0
		.amdhsa_exception_fp_ieee_underflow 0
		.amdhsa_exception_fp_ieee_inexact 0
		.amdhsa_exception_int_div_zero 0
	.end_amdhsa_kernel
	.section	.text._ZL9moe_vec_qIN3c104HalfELi32ELi4E10block_q4_0Li2EXadL_ZL17vec_dot_q4_0_q8_1PKvPK10block_q8_1RKiEEEvS4_S4_PT_PS8_iiii,"axG",@progbits,_ZL9moe_vec_qIN3c104HalfELi32ELi4E10block_q4_0Li2EXadL_ZL17vec_dot_q4_0_q8_1PKvPK10block_q8_1RKiEEEvS4_S4_PT_PS8_iiii,comdat
.Lfunc_end256:
	.size	_ZL9moe_vec_qIN3c104HalfELi32ELi4E10block_q4_0Li2EXadL_ZL17vec_dot_q4_0_q8_1PKvPK10block_q8_1RKiEEEvS4_S4_PT_PS8_iiii, .Lfunc_end256-_ZL9moe_vec_qIN3c104HalfELi32ELi4E10block_q4_0Li2EXadL_ZL17vec_dot_q4_0_q8_1PKvPK10block_q8_1RKiEEEvS4_S4_PT_PS8_iiii
                                        ; -- End function
	.section	.AMDGPU.csdata,"",@progbits
; Kernel info:
; codeLenInByte = 1152
; NumSgprs: 22
; NumVgprs: 31
; ScratchSize: 0
; MemoryBound: 0
; FloatMode: 240
; IeeeMode: 1
; LDSByteSize: 0 bytes/workgroup (compile time only)
; SGPRBlocks: 2
; VGPRBlocks: 3
; NumSGPRsForWavesPerEU: 22
; NumVGPRsForWavesPerEU: 31
; Occupancy: 16
; WaveLimiterHint : 1
; COMPUTE_PGM_RSRC2:SCRATCH_EN: 0
; COMPUTE_PGM_RSRC2:USER_SGPR: 14
; COMPUTE_PGM_RSRC2:TRAP_HANDLER: 0
; COMPUTE_PGM_RSRC2:TGID_X_EN: 1
; COMPUTE_PGM_RSRC2:TGID_Y_EN: 0
; COMPUTE_PGM_RSRC2:TGID_Z_EN: 1
; COMPUTE_PGM_RSRC2:TIDIG_COMP_CNT: 1
	.section	.text._ZL9moe_vec_qIN3c104HalfELi32ELi4E10block_q4_1Li2EXadL_ZL17vec_dot_q4_1_q8_1PKvPK10block_q8_1RKiEEEvS4_S4_PT_PS8_iiii,"axG",@progbits,_ZL9moe_vec_qIN3c104HalfELi32ELi4E10block_q4_1Li2EXadL_ZL17vec_dot_q4_1_q8_1PKvPK10block_q8_1RKiEEEvS4_S4_PT_PS8_iiii,comdat
	.globl	_ZL9moe_vec_qIN3c104HalfELi32ELi4E10block_q4_1Li2EXadL_ZL17vec_dot_q4_1_q8_1PKvPK10block_q8_1RKiEEEvS4_S4_PT_PS8_iiii ; -- Begin function _ZL9moe_vec_qIN3c104HalfELi32ELi4E10block_q4_1Li2EXadL_ZL17vec_dot_q4_1_q8_1PKvPK10block_q8_1RKiEEEvS4_S4_PT_PS8_iiii
	.p2align	8
	.type	_ZL9moe_vec_qIN3c104HalfELi32ELi4E10block_q4_1Li2EXadL_ZL17vec_dot_q4_1_q8_1PKvPK10block_q8_1RKiEEEvS4_S4_PT_PS8_iiii,@function
_ZL9moe_vec_qIN3c104HalfELi32ELi4E10block_q4_1Li2EXadL_ZL17vec_dot_q4_1_q8_1PKvPK10block_q8_1RKiEEEvS4_S4_PT_PS8_iiii: ; @_ZL9moe_vec_qIN3c104HalfELi32ELi4E10block_q4_1Li2EXadL_ZL17vec_dot_q4_1_q8_1PKvPK10block_q8_1RKiEEEvS4_S4_PT_PS8_iiii
; %bb.0:
	s_clause 0x1
	s_load_b32 s2, s[0:1], 0x3c
	s_load_b128 s[4:7], s[0:1], 0x20
	v_bfe_u32 v3, v0, 10, 10
	s_waitcnt lgkmcnt(0)
	s_lshr_b32 s2, s2, 16
	s_delay_alu instid0(VALU_DEP_1) | instid1(SALU_CYCLE_1)
	v_mad_u64_u32 v[1:2], null, s14, s2, v[3:4]
	s_mov_b32 s2, exec_lo
	s_delay_alu instid0(VALU_DEP_1)
	v_cmpx_gt_u32_e64 s6, v1
	s_cbranch_execz .LBB257_7
; %bb.1:
	v_cvt_f32_u32_e32 v2, s4
	s_load_b64 s[10:11], s[0:1], 0x10
	s_ashr_i32 s2, s5, 31
	v_and_b32_e32 v0, 0x3ff, v0
	s_lshr_b32 s2, s2, 27
	v_rcp_iflag_f32_e32 v2, v2
	s_add_i32 s2, s5, s2
	s_mov_b32 s8, s15
	s_ashr_i32 s12, s2, 5
	s_mov_b32 s5, exec_lo
	s_waitcnt_depctr 0xfff
	v_mul_f32_e32 v3, 0x4f7ffffe, v2
	s_delay_alu instid0(VALU_DEP_1) | instskip(NEXT) | instid1(VALU_DEP_1)
	v_cvt_u32_f32_e32 v3, v3
	v_readfirstlane_b32 s2, v3
	v_mov_b32_e32 v3, 0
	v_lshrrev_b32_e32 v2, 1, v0
	s_delay_alu instid0(VALU_DEP_1)
	v_cmpx_gt_u32_e64 s12, v2
	s_cbranch_execz .LBB257_5
; %bb.2:
	s_load_b64 s[14:15], s[0:1], 0x18
	s_sub_i32 s3, 0, s4
	s_mov_b32 s9, 0
	s_mul_i32 s3, s3, s2
	s_lshl_b64 s[16:17], s[8:9], 2
	s_mul_hi_u32 s3, s2, s3
	v_lshlrev_b32_e32 v5, 3, v0
	s_add_i32 s13, s2, s3
	v_mul_lo_u32 v4, v1, s12
	s_mul_hi_u32 s13, s8, s13
	v_mov_b32_e32 v3, 0
	v_and_b32_e32 v5, 8, v5
	s_waitcnt lgkmcnt(0)
	s_add_u32 s2, s14, s16
	s_addc_u32 s3, s15, s17
	s_mul_i32 s15, s13, s4
	s_load_b32 s14, s[2:3], 0x0
	s_load_b128 s[0:3], s[0:1], 0x0
	s_sub_i32 s15, s8, s15
	s_add_i32 s17, s13, 1
	s_sub_i32 s18, s15, s4
	s_cmp_ge_u32 s15, s4
	s_mul_i32 s16, s12, s6
	s_cselect_b32 s13, s17, s13
	s_cselect_b32 s15, s18, s15
	s_add_i32 s17, s13, 1
	s_cmp_ge_u32 s15, s4
	s_mov_b32 s15, s9
	s_cselect_b32 s4, s17, s13
	s_waitcnt lgkmcnt(0)
	s_mul_i32 s13, s16, s14
	s_mul_i32 s14, s4, s7
	;; [unrolled: 1-line block ×3, first 2 shown]
	s_mul_hi_i32 s7, s13, 20
	s_add_u32 s0, s0, s4
	s_addc_u32 s1, s1, s7
	s_lshl_b64 s[14:15], s[14:15], 2
	s_mov_b32 s4, 0.5
	s_add_u32 s2, s2, s14
	s_addc_u32 s3, s3, s15
.LBB257_3:                              ; =>This Inner Loop Header: Depth=1
	v_add_nc_u32_e32 v10, v4, v2
	v_mad_i64_i32 v[6:7], null, v2, 36, s[2:3]
	v_add_nc_u32_e32 v2, 16, v2
	s_delay_alu instid0(VALU_DEP_3) | instskip(NEXT) | instid1(VALU_DEP_3)
	v_mad_i64_i32 v[8:9], null, v10, 20, s[0:1]
	v_add_co_u32 v10, vcc_lo, v6, v5
	s_delay_alu instid0(VALU_DEP_4) | instskip(NEXT) | instid1(VALU_DEP_3)
	v_add_co_ci_u32_e32 v11, vcc_lo, 0, v7, vcc_lo
	v_add_co_u32 v12, vcc_lo, v8, v5
	s_delay_alu instid0(VALU_DEP_4)
	v_add_co_ci_u32_e32 v13, vcc_lo, 0, v9, vcc_lo
	v_cmp_le_u32_e32 vcc_lo, s12, v2
	global_load_b64 v[14:15], v[10:11], off offset:4
	global_load_b64 v[12:13], v[12:13], off offset:4
	s_clause 0x1
	global_load_b64 v[10:11], v[10:11], off offset:20
	global_load_b32 v6, v[6:7], off
	global_load_b32 v7, v[8:9], off
	s_or_b32 s9, vcc_lo, s9
	s_waitcnt vmcnt(4)
	v_bfe_i32 v8, v14, 0, 8
	s_waitcnt vmcnt(3)
	v_and_b32_e32 v26, 15, v12
	v_bfe_i32 v9, v14, 8, 8
	v_bfe_i32 v16, v14, 16, 8
	s_waitcnt vmcnt(2)
	v_bfe_i32 v17, v10, 0, 8
	v_bfe_u32 v27, v12, 8, 4
	v_bfe_u32 v28, v12, 16, 4
	;; [unrolled: 1-line block ×3, first 2 shown]
	v_mul_i32_i24_e32 v8, v8, v26
	v_ashrrev_i32_e32 v14, 24, v14
	v_bfe_i32 v18, v10, 8, 8
	v_bfe_u32 v26, v12, 24, 4
	v_bfe_u32 v30, v12, 12, 4
	v_mul_i32_i24_e32 v9, v9, v27
	v_mul_i32_i24_e32 v16, v16, v28
	v_mad_i32_i24 v8, v17, v29, v8
	v_bfe_i32 v19, v10, 16, 8
	v_ashrrev_i32_e32 v10, 24, v10
	v_bfe_u32 v17, v12, 20, 4
	v_lshrrev_b32_e32 v12, 28, v12
	v_mul_i32_i24_e32 v14, v14, v26
	v_mul_i32_i24_e32 v18, v30, v18
	v_add3_u32 v8, v8, v9, v16
	v_bfe_i32 v20, v15, 0, 8
	v_bfe_i32 v23, v11, 0, 8
	v_and_b32_e32 v9, 15, v13
	v_bfe_u32 v16, v13, 4, 4
	v_mul_i32_i24_e32 v17, v17, v19
	v_mul_i32_i24_e32 v10, v12, v10
	v_add3_u32 v8, v8, v14, v18
	v_bfe_i32 v21, v15, 8, 8
	v_bfe_i32 v22, v15, 16, 8
	v_bfe_u32 v12, v13, 8, 4
	v_bfe_u32 v14, v13, 16, 4
	v_mul_i32_i24_e32 v9, v20, v9
	v_mul_i32_i24_e32 v16, v23, v16
	v_add3_u32 v8, v8, v17, v10
	v_ashrrev_i32_e32 v15, 24, v15
	v_bfe_i32 v24, v11, 8, 8
	v_bfe_u32 v10, v13, 24, 4
	v_bfe_u32 v17, v13, 12, 4
	v_mul_i32_i24_e32 v12, v21, v12
	v_mul_i32_i24_e32 v14, v22, v14
	v_add3_u32 v8, v8, v9, v16
	v_bfe_i32 v25, v11, 16, 8
	v_ashrrev_i32_e32 v11, 24, v11
	v_bfe_u32 v9, v13, 20, 4
	v_lshrrev_b32_e32 v13, 28, v13
	v_mul_i32_i24_e32 v10, v15, v10
	v_mul_i32_i24_e32 v15, v17, v24
	v_add3_u32 v8, v8, v12, v14
	v_mul_i32_i24_e32 v9, v9, v25
	v_mul_i32_i24_e32 v11, v13, v11
	s_waitcnt vmcnt(0)
	v_pk_mul_f16 v6, v7, v6
	v_add3_u32 v8, v8, v10, v15
	s_delay_alu instid0(VALU_DEP_1) | instskip(NEXT) | instid1(VALU_DEP_3)
	v_add3_u32 v7, v8, v9, v11
	v_cvt_f32_f16_e32 v8, v6
	s_delay_alu instid0(VALU_DEP_2) | instskip(NEXT) | instid1(VALU_DEP_1)
	v_cvt_f32_i32_e32 v7, v7
	v_mul_f32_e32 v7, v8, v7
	s_delay_alu instid0(VALU_DEP_1) | instskip(NEXT) | instid1(VALU_DEP_1)
	v_fma_mix_f32 v6, v6, s4, v7 op_sel:[1,0,0] op_sel_hi:[1,0,0]
	v_add_f32_e32 v3, v3, v6
	s_and_not1_b32 exec_lo, exec_lo, s9
	s_cbranch_execnz .LBB257_3
; %bb.4:
	s_or_b32 exec_lo, exec_lo, s9
.LBB257_5:
	s_delay_alu instid0(SALU_CYCLE_1) | instskip(SKIP_1) | instid1(VALU_DEP_1)
	s_or_b32 exec_lo, exec_lo, s5
	v_mbcnt_lo_u32_b32 v2, -1, 0
	v_xor_b32_e32 v4, 16, v2
	v_xor_b32_e32 v5, 8, v2
	s_delay_alu instid0(VALU_DEP_2) | instskip(SKIP_1) | instid1(VALU_DEP_3)
	v_cmp_gt_i32_e32 vcc_lo, 32, v4
	v_cndmask_b32_e32 v4, v2, v4, vcc_lo
	v_cmp_gt_i32_e32 vcc_lo, 32, v5
	v_cndmask_b32_e32 v5, v2, v5, vcc_lo
	s_delay_alu instid0(VALU_DEP_1) | instskip(NEXT) | instid1(VALU_DEP_4)
	v_lshlrev_b32_e32 v5, 2, v5
	v_lshlrev_b32_e32 v4, 2, v4
	ds_bpermute_b32 v4, v4, v3
	s_waitcnt lgkmcnt(0)
	v_add_f32_e32 v3, v3, v4
	ds_bpermute_b32 v4, v5, v3
	v_xor_b32_e32 v5, 4, v2
	s_delay_alu instid0(VALU_DEP_1) | instskip(SKIP_1) | instid1(VALU_DEP_1)
	v_cmp_gt_i32_e32 vcc_lo, 32, v5
	v_cndmask_b32_e32 v5, v2, v5, vcc_lo
	v_lshlrev_b32_e32 v5, 2, v5
	s_waitcnt lgkmcnt(0)
	v_add_f32_e32 v3, v3, v4
	ds_bpermute_b32 v4, v5, v3
	v_xor_b32_e32 v5, 2, v2
	s_delay_alu instid0(VALU_DEP_1) | instskip(SKIP_1) | instid1(VALU_DEP_1)
	v_cmp_gt_i32_e32 vcc_lo, 32, v5
	v_cndmask_b32_e32 v5, v2, v5, vcc_lo
	v_lshlrev_b32_e32 v5, 2, v5
	s_waitcnt lgkmcnt(0)
	v_add_f32_e32 v3, v3, v4
	ds_bpermute_b32 v4, v5, v3
	v_xor_b32_e32 v5, 1, v2
	s_delay_alu instid0(VALU_DEP_1) | instskip(SKIP_3) | instid1(VALU_DEP_2)
	v_cmp_gt_i32_e32 vcc_lo, 32, v5
	v_cndmask_b32_e32 v5, v2, v5, vcc_lo
	v_cmp_eq_u32_e32 vcc_lo, 0, v0
	s_waitcnt lgkmcnt(0)
	v_dual_add_f32 v2, v3, v4 :: v_dual_lshlrev_b32 v3, 2, v5
	ds_bpermute_b32 v3, v3, v2
	s_and_b32 exec_lo, exec_lo, vcc_lo
	s_cbranch_execz .LBB257_7
; %bb.6:
	v_mad_u64_u32 v[4:5], null, s8, s6, v[1:2]
	s_waitcnt lgkmcnt(0)
	v_dual_mov_b32 v5, 0 :: v_dual_add_f32 v2, v2, v3
	s_delay_alu instid0(VALU_DEP_1) | instskip(NEXT) | instid1(VALU_DEP_2)
	v_cvt_f16_f32_e32 v2, v2
	v_lshlrev_b64 v[0:1], 1, v[4:5]
	s_delay_alu instid0(VALU_DEP_1) | instskip(NEXT) | instid1(VALU_DEP_2)
	v_add_co_u32 v0, vcc_lo, s10, v0
	v_add_co_ci_u32_e32 v1, vcc_lo, s11, v1, vcc_lo
	global_store_b16 v[0:1], v2, off
.LBB257_7:
	s_nop 0
	s_sendmsg sendmsg(MSG_DEALLOC_VGPRS)
	s_endpgm
	.section	.rodata,"a",@progbits
	.p2align	6, 0x0
	.amdhsa_kernel _ZL9moe_vec_qIN3c104HalfELi32ELi4E10block_q4_1Li2EXadL_ZL17vec_dot_q4_1_q8_1PKvPK10block_q8_1RKiEEEvS4_S4_PT_PS8_iiii
		.amdhsa_group_segment_fixed_size 0
		.amdhsa_private_segment_fixed_size 0
		.amdhsa_kernarg_size 304
		.amdhsa_user_sgpr_count 14
		.amdhsa_user_sgpr_dispatch_ptr 0
		.amdhsa_user_sgpr_queue_ptr 0
		.amdhsa_user_sgpr_kernarg_segment_ptr 1
		.amdhsa_user_sgpr_dispatch_id 0
		.amdhsa_user_sgpr_private_segment_size 0
		.amdhsa_wavefront_size32 1
		.amdhsa_uses_dynamic_stack 0
		.amdhsa_enable_private_segment 0
		.amdhsa_system_sgpr_workgroup_id_x 1
		.amdhsa_system_sgpr_workgroup_id_y 0
		.amdhsa_system_sgpr_workgroup_id_z 1
		.amdhsa_system_sgpr_workgroup_info 0
		.amdhsa_system_vgpr_workitem_id 1
		.amdhsa_next_free_vgpr 31
		.amdhsa_next_free_sgpr 19
		.amdhsa_reserve_vcc 1
		.amdhsa_float_round_mode_32 0
		.amdhsa_float_round_mode_16_64 0
		.amdhsa_float_denorm_mode_32 3
		.amdhsa_float_denorm_mode_16_64 3
		.amdhsa_dx10_clamp 1
		.amdhsa_ieee_mode 1
		.amdhsa_fp16_overflow 0
		.amdhsa_workgroup_processor_mode 1
		.amdhsa_memory_ordered 1
		.amdhsa_forward_progress 0
		.amdhsa_shared_vgpr_count 0
		.amdhsa_exception_fp_ieee_invalid_op 0
		.amdhsa_exception_fp_denorm_src 0
		.amdhsa_exception_fp_ieee_div_zero 0
		.amdhsa_exception_fp_ieee_overflow 0
		.amdhsa_exception_fp_ieee_underflow 0
		.amdhsa_exception_fp_ieee_inexact 0
		.amdhsa_exception_int_div_zero 0
	.end_amdhsa_kernel
	.section	.text._ZL9moe_vec_qIN3c104HalfELi32ELi4E10block_q4_1Li2EXadL_ZL17vec_dot_q4_1_q8_1PKvPK10block_q8_1RKiEEEvS4_S4_PT_PS8_iiii,"axG",@progbits,_ZL9moe_vec_qIN3c104HalfELi32ELi4E10block_q4_1Li2EXadL_ZL17vec_dot_q4_1_q8_1PKvPK10block_q8_1RKiEEEvS4_S4_PT_PS8_iiii,comdat
.Lfunc_end257:
	.size	_ZL9moe_vec_qIN3c104HalfELi32ELi4E10block_q4_1Li2EXadL_ZL17vec_dot_q4_1_q8_1PKvPK10block_q8_1RKiEEEvS4_S4_PT_PS8_iiii, .Lfunc_end257-_ZL9moe_vec_qIN3c104HalfELi32ELi4E10block_q4_1Li2EXadL_ZL17vec_dot_q4_1_q8_1PKvPK10block_q8_1RKiEEEvS4_S4_PT_PS8_iiii
                                        ; -- End function
	.section	.AMDGPU.csdata,"",@progbits
; Kernel info:
; codeLenInByte = 1144
; NumSgprs: 21
; NumVgprs: 31
; ScratchSize: 0
; MemoryBound: 0
; FloatMode: 240
; IeeeMode: 1
; LDSByteSize: 0 bytes/workgroup (compile time only)
; SGPRBlocks: 2
; VGPRBlocks: 3
; NumSGPRsForWavesPerEU: 21
; NumVGPRsForWavesPerEU: 31
; Occupancy: 16
; WaveLimiterHint : 1
; COMPUTE_PGM_RSRC2:SCRATCH_EN: 0
; COMPUTE_PGM_RSRC2:USER_SGPR: 14
; COMPUTE_PGM_RSRC2:TRAP_HANDLER: 0
; COMPUTE_PGM_RSRC2:TGID_X_EN: 1
; COMPUTE_PGM_RSRC2:TGID_Y_EN: 0
; COMPUTE_PGM_RSRC2:TGID_Z_EN: 1
; COMPUTE_PGM_RSRC2:TIDIG_COMP_CNT: 1
	.section	.text._ZL9moe_vec_qIN3c104HalfELi32ELi4E10block_q5_0Li2EXadL_ZL17vec_dot_q5_0_q8_1PKvPK10block_q8_1RKiEEEvS4_S4_PT_PS8_iiii,"axG",@progbits,_ZL9moe_vec_qIN3c104HalfELi32ELi4E10block_q5_0Li2EXadL_ZL17vec_dot_q5_0_q8_1PKvPK10block_q8_1RKiEEEvS4_S4_PT_PS8_iiii,comdat
	.globl	_ZL9moe_vec_qIN3c104HalfELi32ELi4E10block_q5_0Li2EXadL_ZL17vec_dot_q5_0_q8_1PKvPK10block_q8_1RKiEEEvS4_S4_PT_PS8_iiii ; -- Begin function _ZL9moe_vec_qIN3c104HalfELi32ELi4E10block_q5_0Li2EXadL_ZL17vec_dot_q5_0_q8_1PKvPK10block_q8_1RKiEEEvS4_S4_PT_PS8_iiii
	.p2align	8
	.type	_ZL9moe_vec_qIN3c104HalfELi32ELi4E10block_q5_0Li2EXadL_ZL17vec_dot_q5_0_q8_1PKvPK10block_q8_1RKiEEEvS4_S4_PT_PS8_iiii,@function
_ZL9moe_vec_qIN3c104HalfELi32ELi4E10block_q5_0Li2EXadL_ZL17vec_dot_q5_0_q8_1PKvPK10block_q8_1RKiEEEvS4_S4_PT_PS8_iiii: ; @_ZL9moe_vec_qIN3c104HalfELi32ELi4E10block_q5_0Li2EXadL_ZL17vec_dot_q5_0_q8_1PKvPK10block_q8_1RKiEEEvS4_S4_PT_PS8_iiii
; %bb.0:
	s_clause 0x1
	s_load_b32 s2, s[0:1], 0x3c
	s_load_b128 s[4:7], s[0:1], 0x20
	v_bfe_u32 v3, v0, 10, 10
	s_waitcnt lgkmcnt(0)
	s_lshr_b32 s2, s2, 16
	s_delay_alu instid0(VALU_DEP_1) | instid1(SALU_CYCLE_1)
	v_mad_u64_u32 v[1:2], null, s14, s2, v[3:4]
	s_mov_b32 s2, exec_lo
	s_delay_alu instid0(VALU_DEP_1)
	v_cmpx_gt_u32_e64 s6, v1
	s_cbranch_execz .LBB258_7
; %bb.1:
	v_cvt_f32_u32_e32 v2, s4
	s_load_b64 s[10:11], s[0:1], 0x10
	s_ashr_i32 s2, s5, 31
	v_and_b32_e32 v0, 0x3ff, v0
	s_lshr_b32 s2, s2, 27
	v_rcp_iflag_f32_e32 v2, v2
	s_add_i32 s2, s5, s2
	s_mov_b32 s8, s15
	s_ashr_i32 s12, s2, 5
	s_mov_b32 s5, exec_lo
	s_waitcnt_depctr 0xfff
	v_mul_f32_e32 v3, 0x4f7ffffe, v2
	s_delay_alu instid0(VALU_DEP_1) | instskip(NEXT) | instid1(VALU_DEP_1)
	v_cvt_u32_f32_e32 v3, v3
	v_readfirstlane_b32 s2, v3
	v_mov_b32_e32 v3, 0
	v_lshrrev_b32_e32 v2, 1, v0
	s_delay_alu instid0(VALU_DEP_1)
	v_cmpx_gt_u32_e64 s12, v2
	s_cbranch_execz .LBB258_5
; %bb.2:
	s_load_b64 s[14:15], s[0:1], 0x18
	s_sub_i32 s3, 0, s4
	s_mov_b32 s9, 0
	s_mul_i32 s3, s3, s2
	s_lshl_b64 s[16:17], s[8:9], 2
	s_mul_hi_u32 s3, s2, s3
	v_lshlrev_b32_e32 v5, 3, v0
	s_add_i32 s13, s2, s3
	v_mul_lo_u32 v4, v1, s12
	s_mul_hi_u32 s13, s8, s13
	v_mov_b32_e32 v3, 0
	v_and_b32_e32 v5, 8, v5
	s_delay_alu instid0(VALU_DEP_1)
	v_or_b32_e32 v6, 4, v5
	s_waitcnt lgkmcnt(0)
	s_add_u32 s2, s14, s16
	s_addc_u32 s3, s15, s17
	s_mul_i32 s15, s13, s4
	s_load_b32 s14, s[2:3], 0x0
	s_load_b128 s[0:3], s[0:1], 0x0
	s_sub_i32 s17, s8, s15
	s_add_i32 s18, s13, 1
	s_sub_i32 s19, s17, s4
	s_cmp_ge_u32 s17, s4
	s_mul_i32 s16, s12, s6
	s_cselect_b32 s13, s18, s13
	s_cselect_b32 s17, s19, s17
	s_add_i32 s18, s13, 1
	s_cmp_ge_u32 s17, s4
	s_mov_b32 s15, s9
	s_cselect_b32 s4, s18, s13
	s_waitcnt lgkmcnt(0)
	s_mul_i32 s13, s16, s14
	s_mul_i32 s14, s4, s7
	;; [unrolled: 1-line block ×3, first 2 shown]
	s_mul_hi_i32 s7, s13, 22
	s_add_u32 s0, s0, s4
	s_addc_u32 s1, s1, s7
	s_lshl_b64 s[14:15], s[14:15], 2
	s_delay_alu instid0(SALU_CYCLE_1)
	s_add_u32 s2, s2, s14
	s_addc_u32 s3, s3, s15
.LBB258_3:                              ; =>This Inner Loop Header: Depth=1
	v_add_nc_u32_e32 v11, v4, v2
	v_mad_i64_i32 v[7:8], null, v2, 36, s[2:3]
	v_add_nc_u32_e32 v2, 16, v2
	s_delay_alu instid0(VALU_DEP_3) | instskip(NEXT) | instid1(VALU_DEP_3)
	v_mad_i64_i32 v[9:10], null, v11, 22, s[0:1]
	v_add_co_u32 v11, vcc_lo, v7, v5
	s_delay_alu instid0(VALU_DEP_4) | instskip(NEXT) | instid1(VALU_DEP_3)
	v_add_co_ci_u32_e32 v12, vcc_lo, 0, v8, vcc_lo
	v_add_co_u32 v13, vcc_lo, v9, v5
	s_delay_alu instid0(VALU_DEP_4)
	v_add_co_ci_u32_e32 v14, vcc_lo, 0, v10, vcc_lo
	s_clause 0x1
	global_load_b32 v15, v[9:10], off
	global_load_u16 v16, v[9:10], off offset:4
	global_load_b64 v[9:10], v[11:12], off offset:4
	s_clause 0x1
	global_load_b32 v17, v[13:14], off offset:6
	global_load_b32 v13, v[13:14], off offset:10
	s_clause 0x1
	global_load_b64 v[11:12], v[11:12], off offset:20
	global_load_b32 v7, v[7:8], off
	v_cmp_le_u32_e32 vcc_lo, s12, v2
	s_or_b32 s9, vcc_lo, s9
	s_waitcnt vmcnt(5)
	v_perm_b32 v8, v15, v16, 0x1000706
	s_waitcnt vmcnt(4)
	v_bfe_i32 v14, v9, 0, 8
	s_waitcnt vmcnt(3)
	v_and_b32_e32 v29, 0xf0f0f0f, v17
	v_lshrrev_b32_e32 v17, 4, v17
	s_waitcnt vmcnt(2)
	v_and_b32_e32 v30, 0xf0f0f0f, v13
	v_ashrrev_i32_e32 v28, v5, v8
	v_ashrrev_i32_e32 v8, v6, v8
	v_bfe_i32 v16, v9, 8, 8
	v_and_b32_e32 v17, 0xf0f0f0f, v17
	s_waitcnt vmcnt(1)
	v_bfe_i32 v19, v11, 0, 8
	v_lshlrev_b32_e32 v34, 25, v28
	v_lshl_or_b32 v31, v28, 4, v29
	v_lshlrev_b32_e32 v32, 11, v28
	v_lshlrev_b32_e32 v33, 18, v28
	v_lshrrev_b32_e32 v35, 12, v28
	v_lshrrev_b32_e32 v36, 5, v28
	v_lshlrev_b32_e32 v37, 2, v28
	v_lshlrev_b32_e32 v28, 9, v28
	v_and_b32_e32 v34, 0x10000000, v34
	v_and_b32_e32 v32, 0x1000, v32
	v_lshl_or_b32 v38, v8, 4, v30
	v_and_b32_e32 v31, 31, v31
	v_and_b32_e32 v28, 0x10000000, v28
	v_and_or_b32 v33, 0x100000, v33, v34
	v_and_or_b32 v35, v35, 16, v17
	v_and_b32_e32 v36, 0x1000, v36
	v_bfe_i32 v22, v10, 0, 8
	v_and_or_b32 v28, 0x100000, v37, v28
	v_or3_b32 v29, v33, v32, v29
	v_lshrrev_b32_e32 v13, 4, v13
	v_lshlrev_b32_e32 v39, 11, v8
	v_lshlrev_b32_e32 v40, 18, v8
	;; [unrolled: 1-line block ×3, first 2 shown]
	v_lshrrev_b32_e32 v42, 12, v8
	v_lshrrev_b32_e32 v43, 5, v8
	v_lshlrev_b32_e32 v44, 2, v8
	v_lshlrev_b32_e32 v8, 9, v8
	v_and_b32_e32 v38, 31, v38
	v_mul_i32_i24_e32 v14, v31, v14
	v_and_b32_e32 v31, 31, v35
	v_or3_b32 v17, v28, v36, v17
	v_bfe_u32 v28, v29, 8, 5
	v_bfe_i32 v18, v9, 16, 8
	v_ashrrev_i32_e32 v9, 24, v9
	v_and_b32_e32 v13, 0xf0f0f0f, v13
	v_and_b32_e32 v41, 0x10000000, v41
	;; [unrolled: 1-line block ×3, first 2 shown]
	v_mul_i32_i24_e32 v22, v38, v22
	v_mad_i32_i24 v14, v31, v19, v14
	v_bfe_u32 v19, v29, 16, 5
	v_lshrrev_b32_e32 v29, 24, v29
	v_mul_i32_i24_e32 v16, v28, v16
	v_bfe_i32 v20, v11, 8, 8
	v_bfe_i32 v21, v11, 16, 8
	v_and_b32_e32 v39, 0x1000, v39
	v_and_or_b32 v42, v42, 16, v13
	v_and_b32_e32 v43, 0x1000, v43
	v_and_or_b32 v34, 0x100000, v40, v41
	v_and_or_b32 v8, 0x100000, v44, v8
	v_bfe_u32 v28, v17, 8, 5
	v_bfe_u32 v31, v17, 16, 5
	v_mul_i32_i24_e32 v18, v19, v18
	v_mul_i32_i24_e32 v9, v29, v9
	v_add3_u32 v14, v14, v22, v16
	v_ashrrev_i32_e32 v11, 24, v11
	v_bfe_i32 v25, v12, 0, 8
	v_and_b32_e32 v32, 31, v42
	v_or3_b32 v30, v34, v39, v30
	v_or3_b32 v8, v8, v43, v13
	v_lshrrev_b32_e32 v13, 24, v17
	v_mul_i32_i24_e32 v16, v28, v20
	v_mul_i32_i24_e32 v17, v31, v21
	v_add3_u32 v9, v14, v18, v9
	v_bfe_i32 v23, v10, 8, 8
	v_bfe_i32 v24, v10, 16, 8
	v_mul_i32_i24_e32 v14, v32, v25
	v_bfe_u32 v18, v30, 8, 5
	v_bfe_u32 v19, v30, 16, 5
	v_mul_i32_i24_e32 v11, v13, v11
	v_add3_u32 v9, v9, v16, v17
	v_ashrrev_i32_e32 v10, 24, v10
	v_bfe_i32 v26, v12, 8, 8
	v_lshrrev_b32_e32 v13, 24, v30
	v_bfe_u32 v16, v8, 8, 5
	v_mul_i32_i24_e32 v17, v18, v23
	v_mul_i32_i24_e32 v18, v19, v24
	v_add3_u32 v9, v9, v11, v14
	v_bfe_i32 v27, v12, 16, 8
	v_ashrrev_i32_e32 v12, 24, v12
	v_bfe_u32 v11, v8, 16, 5
	v_lshrrev_b32_e32 v8, 24, v8
	v_mul_i32_i24_e32 v10, v13, v10
	v_mul_i32_i24_e32 v13, v16, v26
	v_add3_u32 v9, v9, v17, v18
	s_waitcnt vmcnt(0)
	v_lshrrev_b32_e32 v14, 16, v7
	v_mul_i32_i24_e32 v11, v11, v27
	v_mul_i32_i24_e32 v8, v8, v12
	v_add3_u32 v9, v9, v10, v13
	s_delay_alu instid0(VALU_DEP_4) | instskip(NEXT) | instid1(VALU_DEP_2)
	v_cvt_f32_f16_e32 v10, v14
	v_add3_u32 v8, v9, v11, v8
	s_delay_alu instid0(VALU_DEP_2) | instskip(NEXT) | instid1(VALU_DEP_2)
	v_mul_f32_e32 v9, 0xc1000000, v10
	v_cvt_f32_i32_e32 v8, v8
	s_delay_alu instid0(VALU_DEP_1) | instskip(NEXT) | instid1(VALU_DEP_1)
	v_fma_mix_f32 v7, v7, v8, v9 op_sel_hi:[1,0,0]
	v_fma_mix_f32 v3, v7, v15, v3 op_sel_hi:[0,1,0]
	s_and_not1_b32 exec_lo, exec_lo, s9
	s_cbranch_execnz .LBB258_3
; %bb.4:
	s_or_b32 exec_lo, exec_lo, s9
.LBB258_5:
	s_delay_alu instid0(SALU_CYCLE_1) | instskip(SKIP_1) | instid1(VALU_DEP_1)
	s_or_b32 exec_lo, exec_lo, s5
	v_mbcnt_lo_u32_b32 v2, -1, 0
	v_xor_b32_e32 v4, 16, v2
	v_xor_b32_e32 v5, 8, v2
	s_delay_alu instid0(VALU_DEP_2) | instskip(SKIP_1) | instid1(VALU_DEP_3)
	v_cmp_gt_i32_e32 vcc_lo, 32, v4
	v_cndmask_b32_e32 v4, v2, v4, vcc_lo
	v_cmp_gt_i32_e32 vcc_lo, 32, v5
	v_cndmask_b32_e32 v5, v2, v5, vcc_lo
	s_delay_alu instid0(VALU_DEP_1) | instskip(NEXT) | instid1(VALU_DEP_4)
	v_lshlrev_b32_e32 v5, 2, v5
	v_lshlrev_b32_e32 v4, 2, v4
	ds_bpermute_b32 v4, v4, v3
	s_waitcnt lgkmcnt(0)
	v_add_f32_e32 v3, v3, v4
	ds_bpermute_b32 v4, v5, v3
	v_xor_b32_e32 v5, 4, v2
	s_delay_alu instid0(VALU_DEP_1) | instskip(SKIP_1) | instid1(VALU_DEP_1)
	v_cmp_gt_i32_e32 vcc_lo, 32, v5
	v_cndmask_b32_e32 v5, v2, v5, vcc_lo
	v_lshlrev_b32_e32 v5, 2, v5
	s_waitcnt lgkmcnt(0)
	v_add_f32_e32 v3, v3, v4
	ds_bpermute_b32 v4, v5, v3
	v_xor_b32_e32 v5, 2, v2
	s_delay_alu instid0(VALU_DEP_1) | instskip(SKIP_1) | instid1(VALU_DEP_1)
	v_cmp_gt_i32_e32 vcc_lo, 32, v5
	v_cndmask_b32_e32 v5, v2, v5, vcc_lo
	v_lshlrev_b32_e32 v5, 2, v5
	s_waitcnt lgkmcnt(0)
	v_add_f32_e32 v3, v3, v4
	ds_bpermute_b32 v4, v5, v3
	v_xor_b32_e32 v5, 1, v2
	s_delay_alu instid0(VALU_DEP_1) | instskip(SKIP_3) | instid1(VALU_DEP_2)
	v_cmp_gt_i32_e32 vcc_lo, 32, v5
	v_cndmask_b32_e32 v5, v2, v5, vcc_lo
	v_cmp_eq_u32_e32 vcc_lo, 0, v0
	s_waitcnt lgkmcnt(0)
	v_dual_add_f32 v2, v3, v4 :: v_dual_lshlrev_b32 v3, 2, v5
	ds_bpermute_b32 v3, v3, v2
	s_and_b32 exec_lo, exec_lo, vcc_lo
	s_cbranch_execz .LBB258_7
; %bb.6:
	v_mad_u64_u32 v[4:5], null, s8, s6, v[1:2]
	s_waitcnt lgkmcnt(0)
	v_dual_mov_b32 v5, 0 :: v_dual_add_f32 v2, v2, v3
	s_delay_alu instid0(VALU_DEP_1) | instskip(NEXT) | instid1(VALU_DEP_2)
	v_cvt_f16_f32_e32 v2, v2
	v_lshlrev_b64 v[0:1], 1, v[4:5]
	s_delay_alu instid0(VALU_DEP_1) | instskip(NEXT) | instid1(VALU_DEP_2)
	v_add_co_u32 v0, vcc_lo, s10, v0
	v_add_co_ci_u32_e32 v1, vcc_lo, s11, v1, vcc_lo
	global_store_b16 v[0:1], v2, off
.LBB258_7:
	s_nop 0
	s_sendmsg sendmsg(MSG_DEALLOC_VGPRS)
	s_endpgm
	.section	.rodata,"a",@progbits
	.p2align	6, 0x0
	.amdhsa_kernel _ZL9moe_vec_qIN3c104HalfELi32ELi4E10block_q5_0Li2EXadL_ZL17vec_dot_q5_0_q8_1PKvPK10block_q8_1RKiEEEvS4_S4_PT_PS8_iiii
		.amdhsa_group_segment_fixed_size 0
		.amdhsa_private_segment_fixed_size 0
		.amdhsa_kernarg_size 304
		.amdhsa_user_sgpr_count 14
		.amdhsa_user_sgpr_dispatch_ptr 0
		.amdhsa_user_sgpr_queue_ptr 0
		.amdhsa_user_sgpr_kernarg_segment_ptr 1
		.amdhsa_user_sgpr_dispatch_id 0
		.amdhsa_user_sgpr_private_segment_size 0
		.amdhsa_wavefront_size32 1
		.amdhsa_uses_dynamic_stack 0
		.amdhsa_enable_private_segment 0
		.amdhsa_system_sgpr_workgroup_id_x 1
		.amdhsa_system_sgpr_workgroup_id_y 0
		.amdhsa_system_sgpr_workgroup_id_z 1
		.amdhsa_system_sgpr_workgroup_info 0
		.amdhsa_system_vgpr_workitem_id 1
		.amdhsa_next_free_vgpr 45
		.amdhsa_next_free_sgpr 20
		.amdhsa_reserve_vcc 1
		.amdhsa_float_round_mode_32 0
		.amdhsa_float_round_mode_16_64 0
		.amdhsa_float_denorm_mode_32 3
		.amdhsa_float_denorm_mode_16_64 3
		.amdhsa_dx10_clamp 1
		.amdhsa_ieee_mode 1
		.amdhsa_fp16_overflow 0
		.amdhsa_workgroup_processor_mode 1
		.amdhsa_memory_ordered 1
		.amdhsa_forward_progress 0
		.amdhsa_shared_vgpr_count 0
		.amdhsa_exception_fp_ieee_invalid_op 0
		.amdhsa_exception_fp_denorm_src 0
		.amdhsa_exception_fp_ieee_div_zero 0
		.amdhsa_exception_fp_ieee_overflow 0
		.amdhsa_exception_fp_ieee_underflow 0
		.amdhsa_exception_fp_ieee_inexact 0
		.amdhsa_exception_int_div_zero 0
	.end_amdhsa_kernel
	.section	.text._ZL9moe_vec_qIN3c104HalfELi32ELi4E10block_q5_0Li2EXadL_ZL17vec_dot_q5_0_q8_1PKvPK10block_q8_1RKiEEEvS4_S4_PT_PS8_iiii,"axG",@progbits,_ZL9moe_vec_qIN3c104HalfELi32ELi4E10block_q5_0Li2EXadL_ZL17vec_dot_q5_0_q8_1PKvPK10block_q8_1RKiEEEvS4_S4_PT_PS8_iiii,comdat
.Lfunc_end258:
	.size	_ZL9moe_vec_qIN3c104HalfELi32ELi4E10block_q5_0Li2EXadL_ZL17vec_dot_q5_0_q8_1PKvPK10block_q8_1RKiEEEvS4_S4_PT_PS8_iiii, .Lfunc_end258-_ZL9moe_vec_qIN3c104HalfELi32ELi4E10block_q5_0Li2EXadL_ZL17vec_dot_q5_0_q8_1PKvPK10block_q8_1RKiEEEvS4_S4_PT_PS8_iiii
                                        ; -- End function
	.section	.AMDGPU.csdata,"",@progbits
; Kernel info:
; codeLenInByte = 1464
; NumSgprs: 22
; NumVgprs: 45
; ScratchSize: 0
; MemoryBound: 0
; FloatMode: 240
; IeeeMode: 1
; LDSByteSize: 0 bytes/workgroup (compile time only)
; SGPRBlocks: 2
; VGPRBlocks: 5
; NumSGPRsForWavesPerEU: 22
; NumVGPRsForWavesPerEU: 45
; Occupancy: 16
; WaveLimiterHint : 1
; COMPUTE_PGM_RSRC2:SCRATCH_EN: 0
; COMPUTE_PGM_RSRC2:USER_SGPR: 14
; COMPUTE_PGM_RSRC2:TRAP_HANDLER: 0
; COMPUTE_PGM_RSRC2:TGID_X_EN: 1
; COMPUTE_PGM_RSRC2:TGID_Y_EN: 0
; COMPUTE_PGM_RSRC2:TGID_Z_EN: 1
; COMPUTE_PGM_RSRC2:TIDIG_COMP_CNT: 1
	.section	.text._ZL9moe_vec_qIN3c104HalfELi32ELi4E10block_q5_1Li2EXadL_ZL17vec_dot_q5_1_q8_1PKvPK10block_q8_1RKiEEEvS4_S4_PT_PS8_iiii,"axG",@progbits,_ZL9moe_vec_qIN3c104HalfELi32ELi4E10block_q5_1Li2EXadL_ZL17vec_dot_q5_1_q8_1PKvPK10block_q8_1RKiEEEvS4_S4_PT_PS8_iiii,comdat
	.globl	_ZL9moe_vec_qIN3c104HalfELi32ELi4E10block_q5_1Li2EXadL_ZL17vec_dot_q5_1_q8_1PKvPK10block_q8_1RKiEEEvS4_S4_PT_PS8_iiii ; -- Begin function _ZL9moe_vec_qIN3c104HalfELi32ELi4E10block_q5_1Li2EXadL_ZL17vec_dot_q5_1_q8_1PKvPK10block_q8_1RKiEEEvS4_S4_PT_PS8_iiii
	.p2align	8
	.type	_ZL9moe_vec_qIN3c104HalfELi32ELi4E10block_q5_1Li2EXadL_ZL17vec_dot_q5_1_q8_1PKvPK10block_q8_1RKiEEEvS4_S4_PT_PS8_iiii,@function
_ZL9moe_vec_qIN3c104HalfELi32ELi4E10block_q5_1Li2EXadL_ZL17vec_dot_q5_1_q8_1PKvPK10block_q8_1RKiEEEvS4_S4_PT_PS8_iiii: ; @_ZL9moe_vec_qIN3c104HalfELi32ELi4E10block_q5_1Li2EXadL_ZL17vec_dot_q5_1_q8_1PKvPK10block_q8_1RKiEEEvS4_S4_PT_PS8_iiii
; %bb.0:
	s_clause 0x1
	s_load_b32 s2, s[0:1], 0x3c
	s_load_b128 s[4:7], s[0:1], 0x20
	v_bfe_u32 v3, v0, 10, 10
	s_waitcnt lgkmcnt(0)
	s_lshr_b32 s2, s2, 16
	s_delay_alu instid0(VALU_DEP_1) | instid1(SALU_CYCLE_1)
	v_mad_u64_u32 v[1:2], null, s14, s2, v[3:4]
	s_mov_b32 s2, exec_lo
	s_delay_alu instid0(VALU_DEP_1)
	v_cmpx_gt_u32_e64 s6, v1
	s_cbranch_execz .LBB259_7
; %bb.1:
	v_cvt_f32_u32_e32 v2, s4
	s_load_b64 s[10:11], s[0:1], 0x10
	s_ashr_i32 s2, s5, 31
	v_and_b32_e32 v0, 0x3ff, v0
	s_lshr_b32 s2, s2, 27
	v_rcp_iflag_f32_e32 v2, v2
	s_add_i32 s2, s5, s2
	s_mov_b32 s8, s15
	s_ashr_i32 s12, s2, 5
	s_mov_b32 s5, exec_lo
	s_waitcnt_depctr 0xfff
	v_mul_f32_e32 v3, 0x4f7ffffe, v2
	s_delay_alu instid0(VALU_DEP_1) | instskip(NEXT) | instid1(VALU_DEP_1)
	v_cvt_u32_f32_e32 v3, v3
	v_readfirstlane_b32 s2, v3
	v_mov_b32_e32 v3, 0
	v_lshrrev_b32_e32 v2, 1, v0
	s_delay_alu instid0(VALU_DEP_1)
	v_cmpx_gt_u32_e64 s12, v2
	s_cbranch_execz .LBB259_5
; %bb.2:
	s_load_b64 s[14:15], s[0:1], 0x18
	s_sub_i32 s3, 0, s4
	s_mov_b32 s9, 0
	s_mul_i32 s3, s3, s2
	s_lshl_b64 s[16:17], s[8:9], 2
	s_mul_hi_u32 s3, s2, s3
	v_lshlrev_b32_e32 v5, 3, v0
	s_add_i32 s13, s2, s3
	v_mul_lo_u32 v4, v1, s12
	s_mul_hi_u32 s13, s8, s13
	v_mov_b32_e32 v3, 0
	v_and_b32_e32 v5, 8, v5
	s_delay_alu instid0(VALU_DEP_1)
	v_or_b32_e32 v6, 4, v5
	s_waitcnt lgkmcnt(0)
	s_add_u32 s2, s14, s16
	s_addc_u32 s3, s15, s17
	s_mul_i32 s15, s13, s4
	s_load_b32 s14, s[2:3], 0x0
	s_load_b128 s[0:3], s[0:1], 0x0
	s_sub_i32 s17, s8, s15
	s_add_i32 s18, s13, 1
	s_sub_i32 s19, s17, s4
	s_cmp_ge_u32 s17, s4
	s_mul_i32 s16, s12, s6
	s_cselect_b32 s13, s18, s13
	s_cselect_b32 s17, s19, s17
	s_add_i32 s18, s13, 1
	s_cmp_ge_u32 s17, s4
	s_mov_b32 s15, s9
	s_cselect_b32 s4, s18, s13
	s_waitcnt lgkmcnt(0)
	s_mul_i32 s13, s16, s14
	s_mul_i32 s14, s4, s7
	;; [unrolled: 1-line block ×3, first 2 shown]
	s_mul_hi_i32 s7, s13, 24
	s_add_u32 s0, s0, s4
	s_addc_u32 s1, s1, s7
	s_lshl_b64 s[14:15], s[14:15], 2
	s_mov_b32 s4, 0.5
	s_add_u32 s2, s2, s14
	s_addc_u32 s3, s3, s15
.LBB259_3:                              ; =>This Inner Loop Header: Depth=1
	v_add_nc_u32_e32 v11, v4, v2
	v_mad_i64_i32 v[7:8], null, v2, 36, s[2:3]
	v_add_nc_u32_e32 v2, 16, v2
	s_delay_alu instid0(VALU_DEP_3) | instskip(NEXT) | instid1(VALU_DEP_3)
	v_mad_i64_i32 v[9:10], null, v11, 24, s[0:1]
	v_add_co_u32 v11, vcc_lo, v7, v5
	s_delay_alu instid0(VALU_DEP_4)
	v_add_co_ci_u32_e32 v12, vcc_lo, 0, v8, vcc_lo
	global_load_b64 v[13:14], v[9:10], off
	v_add_co_u32 v9, vcc_lo, v9, v5
	v_add_co_ci_u32_e32 v10, vcc_lo, 0, v10, vcc_lo
	v_cmp_le_u32_e32 vcc_lo, s12, v2
	global_load_b64 v[15:16], v[11:12], off offset:4
	global_load_b64 v[9:10], v[9:10], off offset:8
	s_clause 0x1
	global_load_b64 v[11:12], v[11:12], off offset:20
	global_load_b32 v7, v[7:8], off
	s_or_b32 s9, vcc_lo, s9
	s_waitcnt vmcnt(4)
	v_ashrrev_i32_e32 v8, v5, v14
	v_ashrrev_i32_e32 v14, v6, v14
	s_waitcnt vmcnt(3)
	v_bfe_i32 v17, v15, 0, 8
	s_waitcnt vmcnt(2)
	v_and_b32_e32 v29, 0xf0f0f0f, v9
	v_lshlrev_b32_e32 v32, 25, v8
	v_lshrrev_b32_e32 v9, 4, v9
	v_lshlrev_b32_e32 v36, 9, v8
	v_and_b32_e32 v37, 0xf0f0f0f, v10
	v_lshrrev_b32_e32 v10, 4, v10
	v_lshlrev_b32_e32 v30, 11, v8
	v_lshlrev_b32_e32 v31, 18, v8
	v_lshrrev_b32_e32 v33, 12, v8
	v_lshrrev_b32_e32 v34, 5, v8
	v_lshlrev_b32_e32 v35, 2, v8
	v_lshrrev_b32_e32 v41, 12, v14
	v_lshl_or_b32 v8, v8, 4, v29
	v_and_b32_e32 v32, 0x10000000, v32
	v_and_b32_e32 v9, 0xf0f0f0f, v9
	;; [unrolled: 1-line block ×4, first 2 shown]
	v_lshlrev_b32_e32 v38, 11, v14
	v_lshlrev_b32_e32 v39, 18, v14
	;; [unrolled: 1-line block ×3, first 2 shown]
	v_lshrrev_b32_e32 v42, 5, v14
	v_lshlrev_b32_e32 v43, 2, v14
	v_lshlrev_b32_e32 v44, 9, v14
	v_and_b32_e32 v30, 0x1000, v30
	v_lshl_or_b32 v14, v14, 4, v37
	v_and_or_b32 v31, 0x100000, v31, v32
	v_and_b32_e32 v8, 31, v8
	v_and_or_b32 v32, v33, 16, v9
	v_and_or_b32 v33, 0x100000, v35, v36
	;; [unrolled: 1-line block ×3, first 2 shown]
	s_waitcnt vmcnt(1)
	v_bfe_i32 v20, v11, 0, 8
	v_bfe_i32 v23, v16, 0, 8
	;; [unrolled: 1-line block ×3, first 2 shown]
	v_and_b32_e32 v34, 0x1000, v34
	v_and_b32_e32 v14, 31, v14
	v_or3_b32 v29, v31, v30, v29
	v_mul_i32_i24_e32 v8, v8, v17
	v_and_b32_e32 v17, 31, v32
	v_and_b32_e32 v31, 31, v36
	v_bfe_i32 v18, v15, 8, 8
	v_bfe_i32 v19, v15, 16, 8
	v_and_b32_e32 v40, 0x10000000, v40
	v_or3_b32 v9, v33, v34, v9
	v_mul_i32_i24_e32 v14, v14, v23
	v_bfe_u32 v23, v29, 8, 5
	v_bfe_u32 v32, v29, 16, 5
	v_mul_i32_i24_e32 v26, v31, v26
	v_mad_i32_i24 v8, v17, v20, v8
	v_ashrrev_i32_e32 v15, 24, v15
	v_bfe_i32 v21, v11, 8, 8
	v_and_b32_e32 v38, 0x1000, v38
	v_and_b32_e32 v44, 0x10000000, v44
	v_and_or_b32 v35, 0x100000, v39, v40
	v_lshrrev_b32_e32 v17, 24, v29
	v_bfe_u32 v20, v9, 8, 5
	v_mul_i32_i24_e32 v18, v23, v18
	v_mul_i32_i24_e32 v19, v32, v19
	v_add3_u32 v8, v8, v14, v26
	v_bfe_i32 v22, v11, 16, 8
	v_ashrrev_i32_e32 v11, 24, v11
	v_and_b32_e32 v42, 0x1000, v42
	v_and_or_b32 v39, 0x100000, v43, v44
	v_or3_b32 v30, v35, v38, v37
	v_bfe_u32 v14, v9, 16, 5
	v_lshrrev_b32_e32 v9, 24, v9
	v_mul_i32_i24_e32 v15, v17, v15
	v_mul_i32_i24_e32 v17, v20, v21
	v_add3_u32 v8, v8, v18, v19
	v_bfe_i32 v24, v16, 8, 8
	v_bfe_i32 v25, v16, 16, 8
	v_or3_b32 v10, v39, v42, v10
	v_bfe_u32 v18, v30, 8, 5
	v_bfe_u32 v19, v30, 16, 5
	v_mul_i32_i24_e32 v14, v14, v22
	v_mul_i32_i24_e32 v9, v9, v11
	v_add3_u32 v8, v8, v15, v17
	v_ashrrev_i32_e32 v16, 24, v16
	v_bfe_i32 v27, v12, 8, 8
	v_lshrrev_b32_e32 v11, 24, v30
	v_bfe_u32 v15, v10, 8, 5
	v_mul_i32_i24_e32 v17, v18, v24
	v_mul_i32_i24_e32 v18, v19, v25
	v_add3_u32 v8, v8, v14, v9
	v_bfe_i32 v28, v12, 16, 8
	v_ashrrev_i32_e32 v12, 24, v12
	v_bfe_u32 v9, v10, 16, 5
	v_lshrrev_b32_e32 v10, 24, v10
	v_mul_i32_i24_e32 v11, v11, v16
	v_mul_i32_i24_e32 v14, v15, v27
	v_add3_u32 v8, v8, v17, v18
	v_mul_i32_i24_e32 v9, v9, v28
	v_mul_i32_i24_e32 v10, v10, v12
	s_waitcnt vmcnt(0)
	v_pk_mul_f16 v7, v13, v7
	v_add3_u32 v8, v8, v11, v14
	s_delay_alu instid0(VALU_DEP_1) | instskip(NEXT) | instid1(VALU_DEP_3)
	v_add3_u32 v8, v8, v9, v10
	v_cvt_f32_f16_e32 v9, v7
	s_delay_alu instid0(VALU_DEP_2) | instskip(NEXT) | instid1(VALU_DEP_1)
	v_cvt_f32_i32_e32 v8, v8
	v_mul_f32_e32 v8, v9, v8
	s_delay_alu instid0(VALU_DEP_1) | instskip(NEXT) | instid1(VALU_DEP_1)
	v_fma_mix_f32 v7, v7, s4, v8 op_sel:[1,0,0] op_sel_hi:[1,0,0]
	v_add_f32_e32 v3, v3, v7
	s_and_not1_b32 exec_lo, exec_lo, s9
	s_cbranch_execnz .LBB259_3
; %bb.4:
	s_or_b32 exec_lo, exec_lo, s9
.LBB259_5:
	s_delay_alu instid0(SALU_CYCLE_1) | instskip(SKIP_1) | instid1(VALU_DEP_1)
	s_or_b32 exec_lo, exec_lo, s5
	v_mbcnt_lo_u32_b32 v2, -1, 0
	v_xor_b32_e32 v4, 16, v2
	v_xor_b32_e32 v5, 8, v2
	s_delay_alu instid0(VALU_DEP_2) | instskip(SKIP_1) | instid1(VALU_DEP_3)
	v_cmp_gt_i32_e32 vcc_lo, 32, v4
	v_cndmask_b32_e32 v4, v2, v4, vcc_lo
	v_cmp_gt_i32_e32 vcc_lo, 32, v5
	v_cndmask_b32_e32 v5, v2, v5, vcc_lo
	s_delay_alu instid0(VALU_DEP_1) | instskip(NEXT) | instid1(VALU_DEP_4)
	v_lshlrev_b32_e32 v5, 2, v5
	v_lshlrev_b32_e32 v4, 2, v4
	ds_bpermute_b32 v4, v4, v3
	s_waitcnt lgkmcnt(0)
	v_add_f32_e32 v3, v3, v4
	ds_bpermute_b32 v4, v5, v3
	v_xor_b32_e32 v5, 4, v2
	s_delay_alu instid0(VALU_DEP_1) | instskip(SKIP_1) | instid1(VALU_DEP_1)
	v_cmp_gt_i32_e32 vcc_lo, 32, v5
	v_cndmask_b32_e32 v5, v2, v5, vcc_lo
	v_lshlrev_b32_e32 v5, 2, v5
	s_waitcnt lgkmcnt(0)
	v_add_f32_e32 v3, v3, v4
	ds_bpermute_b32 v4, v5, v3
	v_xor_b32_e32 v5, 2, v2
	s_delay_alu instid0(VALU_DEP_1) | instskip(SKIP_1) | instid1(VALU_DEP_1)
	v_cmp_gt_i32_e32 vcc_lo, 32, v5
	v_cndmask_b32_e32 v5, v2, v5, vcc_lo
	v_lshlrev_b32_e32 v5, 2, v5
	s_waitcnt lgkmcnt(0)
	v_add_f32_e32 v3, v3, v4
	ds_bpermute_b32 v4, v5, v3
	v_xor_b32_e32 v5, 1, v2
	s_delay_alu instid0(VALU_DEP_1) | instskip(SKIP_3) | instid1(VALU_DEP_2)
	v_cmp_gt_i32_e32 vcc_lo, 32, v5
	v_cndmask_b32_e32 v5, v2, v5, vcc_lo
	v_cmp_eq_u32_e32 vcc_lo, 0, v0
	s_waitcnt lgkmcnt(0)
	v_dual_add_f32 v2, v3, v4 :: v_dual_lshlrev_b32 v3, 2, v5
	ds_bpermute_b32 v3, v3, v2
	s_and_b32 exec_lo, exec_lo, vcc_lo
	s_cbranch_execz .LBB259_7
; %bb.6:
	v_mad_u64_u32 v[4:5], null, s8, s6, v[1:2]
	s_waitcnt lgkmcnt(0)
	v_dual_mov_b32 v5, 0 :: v_dual_add_f32 v2, v2, v3
	s_delay_alu instid0(VALU_DEP_1) | instskip(NEXT) | instid1(VALU_DEP_2)
	v_cvt_f16_f32_e32 v2, v2
	v_lshlrev_b64 v[0:1], 1, v[4:5]
	s_delay_alu instid0(VALU_DEP_1) | instskip(NEXT) | instid1(VALU_DEP_2)
	v_add_co_u32 v0, vcc_lo, s10, v0
	v_add_co_ci_u32_e32 v1, vcc_lo, s11, v1, vcc_lo
	global_store_b16 v[0:1], v2, off
.LBB259_7:
	s_nop 0
	s_sendmsg sendmsg(MSG_DEALLOC_VGPRS)
	s_endpgm
	.section	.rodata,"a",@progbits
	.p2align	6, 0x0
	.amdhsa_kernel _ZL9moe_vec_qIN3c104HalfELi32ELi4E10block_q5_1Li2EXadL_ZL17vec_dot_q5_1_q8_1PKvPK10block_q8_1RKiEEEvS4_S4_PT_PS8_iiii
		.amdhsa_group_segment_fixed_size 0
		.amdhsa_private_segment_fixed_size 0
		.amdhsa_kernarg_size 304
		.amdhsa_user_sgpr_count 14
		.amdhsa_user_sgpr_dispatch_ptr 0
		.amdhsa_user_sgpr_queue_ptr 0
		.amdhsa_user_sgpr_kernarg_segment_ptr 1
		.amdhsa_user_sgpr_dispatch_id 0
		.amdhsa_user_sgpr_private_segment_size 0
		.amdhsa_wavefront_size32 1
		.amdhsa_uses_dynamic_stack 0
		.amdhsa_enable_private_segment 0
		.amdhsa_system_sgpr_workgroup_id_x 1
		.amdhsa_system_sgpr_workgroup_id_y 0
		.amdhsa_system_sgpr_workgroup_id_z 1
		.amdhsa_system_sgpr_workgroup_info 0
		.amdhsa_system_vgpr_workitem_id 1
		.amdhsa_next_free_vgpr 45
		.amdhsa_next_free_sgpr 20
		.amdhsa_reserve_vcc 1
		.amdhsa_float_round_mode_32 0
		.amdhsa_float_round_mode_16_64 0
		.amdhsa_float_denorm_mode_32 3
		.amdhsa_float_denorm_mode_16_64 3
		.amdhsa_dx10_clamp 1
		.amdhsa_ieee_mode 1
		.amdhsa_fp16_overflow 0
		.amdhsa_workgroup_processor_mode 1
		.amdhsa_memory_ordered 1
		.amdhsa_forward_progress 0
		.amdhsa_shared_vgpr_count 0
		.amdhsa_exception_fp_ieee_invalid_op 0
		.amdhsa_exception_fp_denorm_src 0
		.amdhsa_exception_fp_ieee_div_zero 0
		.amdhsa_exception_fp_ieee_overflow 0
		.amdhsa_exception_fp_ieee_underflow 0
		.amdhsa_exception_fp_ieee_inexact 0
		.amdhsa_exception_int_div_zero 0
	.end_amdhsa_kernel
	.section	.text._ZL9moe_vec_qIN3c104HalfELi32ELi4E10block_q5_1Li2EXadL_ZL17vec_dot_q5_1_q8_1PKvPK10block_q8_1RKiEEEvS4_S4_PT_PS8_iiii,"axG",@progbits,_ZL9moe_vec_qIN3c104HalfELi32ELi4E10block_q5_1Li2EXadL_ZL17vec_dot_q5_1_q8_1PKvPK10block_q8_1RKiEEEvS4_S4_PT_PS8_iiii,comdat
.Lfunc_end259:
	.size	_ZL9moe_vec_qIN3c104HalfELi32ELi4E10block_q5_1Li2EXadL_ZL17vec_dot_q5_1_q8_1PKvPK10block_q8_1RKiEEEvS4_S4_PT_PS8_iiii, .Lfunc_end259-_ZL9moe_vec_qIN3c104HalfELi32ELi4E10block_q5_1Li2EXadL_ZL17vec_dot_q5_1_q8_1PKvPK10block_q8_1RKiEEEvS4_S4_PT_PS8_iiii
                                        ; -- End function
	.section	.AMDGPU.csdata,"",@progbits
; Kernel info:
; codeLenInByte = 1416
; NumSgprs: 22
; NumVgprs: 45
; ScratchSize: 0
; MemoryBound: 0
; FloatMode: 240
; IeeeMode: 1
; LDSByteSize: 0 bytes/workgroup (compile time only)
; SGPRBlocks: 2
; VGPRBlocks: 5
; NumSGPRsForWavesPerEU: 22
; NumVGPRsForWavesPerEU: 45
; Occupancy: 16
; WaveLimiterHint : 1
; COMPUTE_PGM_RSRC2:SCRATCH_EN: 0
; COMPUTE_PGM_RSRC2:USER_SGPR: 14
; COMPUTE_PGM_RSRC2:TRAP_HANDLER: 0
; COMPUTE_PGM_RSRC2:TGID_X_EN: 1
; COMPUTE_PGM_RSRC2:TGID_Y_EN: 0
; COMPUTE_PGM_RSRC2:TGID_Z_EN: 1
; COMPUTE_PGM_RSRC2:TIDIG_COMP_CNT: 1
	.section	.text._ZL9moe_vec_qIN3c104HalfELi32ELi8E10block_q8_0Li2EXadL_ZL17vec_dot_q8_0_q8_1PKvPK10block_q8_1RKiEEEvS4_S4_PT_PS8_iiii,"axG",@progbits,_ZL9moe_vec_qIN3c104HalfELi32ELi8E10block_q8_0Li2EXadL_ZL17vec_dot_q8_0_q8_1PKvPK10block_q8_1RKiEEEvS4_S4_PT_PS8_iiii,comdat
	.globl	_ZL9moe_vec_qIN3c104HalfELi32ELi8E10block_q8_0Li2EXadL_ZL17vec_dot_q8_0_q8_1PKvPK10block_q8_1RKiEEEvS4_S4_PT_PS8_iiii ; -- Begin function _ZL9moe_vec_qIN3c104HalfELi32ELi8E10block_q8_0Li2EXadL_ZL17vec_dot_q8_0_q8_1PKvPK10block_q8_1RKiEEEvS4_S4_PT_PS8_iiii
	.p2align	8
	.type	_ZL9moe_vec_qIN3c104HalfELi32ELi8E10block_q8_0Li2EXadL_ZL17vec_dot_q8_0_q8_1PKvPK10block_q8_1RKiEEEvS4_S4_PT_PS8_iiii,@function
_ZL9moe_vec_qIN3c104HalfELi32ELi8E10block_q8_0Li2EXadL_ZL17vec_dot_q8_0_q8_1PKvPK10block_q8_1RKiEEEvS4_S4_PT_PS8_iiii: ; @_ZL9moe_vec_qIN3c104HalfELi32ELi8E10block_q8_0Li2EXadL_ZL17vec_dot_q8_0_q8_1PKvPK10block_q8_1RKiEEEvS4_S4_PT_PS8_iiii
; %bb.0:
	s_clause 0x1
	s_load_b32 s2, s[0:1], 0x3c
	s_load_b128 s[4:7], s[0:1], 0x20
	v_bfe_u32 v3, v0, 10, 10
	s_waitcnt lgkmcnt(0)
	s_lshr_b32 s2, s2, 16
	s_delay_alu instid0(VALU_DEP_1) | instid1(SALU_CYCLE_1)
	v_mad_u64_u32 v[1:2], null, s14, s2, v[3:4]
	s_mov_b32 s2, exec_lo
	s_delay_alu instid0(VALU_DEP_1)
	v_cmpx_gt_u32_e64 s6, v1
	s_cbranch_execz .LBB260_7
; %bb.1:
	v_cvt_f32_u32_e32 v2, s4
	s_load_b64 s[10:11], s[0:1], 0x10
	s_ashr_i32 s2, s5, 31
	v_and_b32_e32 v0, 0x3ff, v0
	s_lshr_b32 s2, s2, 27
	v_rcp_iflag_f32_e32 v2, v2
	s_add_i32 s2, s5, s2
	s_mov_b32 s8, s15
	s_ashr_i32 s12, s2, 5
	s_mov_b32 s5, exec_lo
	s_waitcnt_depctr 0xfff
	v_mul_f32_e32 v3, 0x4f7ffffe, v2
	s_delay_alu instid0(VALU_DEP_1) | instskip(NEXT) | instid1(VALU_DEP_1)
	v_cvt_u32_f32_e32 v3, v3
	v_readfirstlane_b32 s2, v3
	v_mov_b32_e32 v3, 0
	v_lshrrev_b32_e32 v2, 2, v0
	s_delay_alu instid0(VALU_DEP_1)
	v_cmpx_gt_u32_e64 s12, v2
	s_cbranch_execz .LBB260_5
; %bb.2:
	s_load_b64 s[14:15], s[0:1], 0x18
	s_sub_i32 s3, 0, s4
	s_mov_b32 s9, 0
	s_mul_i32 s3, s3, s2
	s_lshl_b64 s[16:17], s[8:9], 2
	s_mul_hi_u32 s3, s2, s3
	v_lshlrev_b32_e32 v3, 3, v0
	s_add_i32 s13, s2, s3
	v_mul_lo_u32 v4, v1, s12
	s_mul_hi_u32 s13, s8, s13
	s_delay_alu instid0(VALU_DEP_2)
	v_and_b32_e32 v5, 24, v3
	v_mov_b32_e32 v3, 0
	s_waitcnt lgkmcnt(0)
	s_add_u32 s2, s14, s16
	s_addc_u32 s3, s15, s17
	s_mul_i32 s15, s13, s4
	s_load_b32 s14, s[2:3], 0x0
	s_load_b128 s[0:3], s[0:1], 0x0
	s_sub_i32 s17, s8, s15
	s_add_i32 s18, s13, 1
	s_sub_i32 s19, s17, s4
	s_cmp_ge_u32 s17, s4
	s_mul_i32 s16, s12, s6
	s_cselect_b32 s13, s18, s13
	s_cselect_b32 s17, s19, s17
	s_add_i32 s18, s13, 1
	s_cmp_ge_u32 s17, s4
	s_mov_b32 s15, s9
	s_cselect_b32 s4, s18, s13
	s_waitcnt lgkmcnt(0)
	s_mul_i32 s13, s16, s14
	s_mul_i32 s14, s4, s7
	;; [unrolled: 1-line block ×3, first 2 shown]
	s_mul_hi_i32 s7, s13, 34
	s_add_u32 s0, s0, s4
	s_addc_u32 s1, s1, s7
	s_lshl_b64 s[14:15], s[14:15], 2
	s_delay_alu instid0(SALU_CYCLE_1)
	s_add_u32 s2, s2, s14
	s_addc_u32 s3, s3, s15
	s_set_inst_prefetch_distance 0x1
	.p2align	6
.LBB260_3:                              ; =>This Inner Loop Header: Depth=1
	v_add_nc_u32_e32 v10, v4, v2
	v_mad_i64_i32 v[6:7], null, v2, 36, s[2:3]
	v_add_nc_u32_e32 v2, 8, v2
	s_delay_alu instid0(VALU_DEP_3) | instskip(NEXT) | instid1(VALU_DEP_3)
	v_mad_i64_i32 v[8:9], null, v10, 34, s[0:1]
	v_add_co_u32 v10, vcc_lo, v6, v5
	s_delay_alu instid0(VALU_DEP_4) | instskip(NEXT) | instid1(VALU_DEP_3)
	v_add_co_ci_u32_e32 v11, vcc_lo, 0, v7, vcc_lo
	v_add_co_u32 v12, vcc_lo, v8, v5
	s_delay_alu instid0(VALU_DEP_4)
	v_add_co_ci_u32_e32 v13, vcc_lo, 0, v9, vcc_lo
	v_cmp_le_u32_e32 vcc_lo, s12, v2
	global_load_b64 v[10:11], v[10:11], off offset:4
	global_load_b64 v[12:13], v[12:13], off offset:2
	global_load_b32 v6, v[6:7], off
	global_load_u16 v7, v[8:9], off
	s_or_b32 s9, vcc_lo, s9
	s_waitcnt vmcnt(2)
	v_perm_b32 v8, v10, v13, 0x6050004
	v_perm_b32 v9, v12, v11, 0x6050004
	;; [unrolled: 1-line block ×4, first 2 shown]
	s_waitcnt vmcnt(1)
	v_cvt_f32_f16_e32 v6, v6
	s_waitcnt vmcnt(0)
	v_cvt_f32_f16_e32 v7, v7
	v_dot4_i32_iu8 v8, v9, v8, 0 neg_lo:[1,1,0]
	s_delay_alu instid0(VALU_DEP_2) | instskip(NEXT) | instid1(VALU_DEP_2)
	v_mul_f32_e32 v6, v7, v6
	v_dot4_i32_iu8 v8, v11, v10, v8 neg_lo:[1,1,0]
	s_delay_alu instid0(VALU_DEP_1) | instskip(NEXT) | instid1(VALU_DEP_1)
	v_cvt_f32_i32_e32 v7, v8
	v_fmac_f32_e32 v3, v6, v7
	s_and_not1_b32 exec_lo, exec_lo, s9
	s_cbranch_execnz .LBB260_3
; %bb.4:
	s_set_inst_prefetch_distance 0x2
	s_or_b32 exec_lo, exec_lo, s9
.LBB260_5:
	s_delay_alu instid0(SALU_CYCLE_1) | instskip(SKIP_1) | instid1(VALU_DEP_1)
	s_or_b32 exec_lo, exec_lo, s5
	v_mbcnt_lo_u32_b32 v2, -1, 0
	v_xor_b32_e32 v4, 16, v2
	v_xor_b32_e32 v5, 8, v2
	s_delay_alu instid0(VALU_DEP_2) | instskip(SKIP_1) | instid1(VALU_DEP_3)
	v_cmp_gt_i32_e32 vcc_lo, 32, v4
	v_cndmask_b32_e32 v4, v2, v4, vcc_lo
	v_cmp_gt_i32_e32 vcc_lo, 32, v5
	v_cndmask_b32_e32 v5, v2, v5, vcc_lo
	s_delay_alu instid0(VALU_DEP_1) | instskip(NEXT) | instid1(VALU_DEP_4)
	v_lshlrev_b32_e32 v5, 2, v5
	v_lshlrev_b32_e32 v4, 2, v4
	ds_bpermute_b32 v4, v4, v3
	s_waitcnt lgkmcnt(0)
	v_add_f32_e32 v3, v3, v4
	ds_bpermute_b32 v4, v5, v3
	v_xor_b32_e32 v5, 4, v2
	s_delay_alu instid0(VALU_DEP_1) | instskip(SKIP_1) | instid1(VALU_DEP_1)
	v_cmp_gt_i32_e32 vcc_lo, 32, v5
	v_cndmask_b32_e32 v5, v2, v5, vcc_lo
	v_lshlrev_b32_e32 v5, 2, v5
	s_waitcnt lgkmcnt(0)
	v_add_f32_e32 v3, v3, v4
	ds_bpermute_b32 v4, v5, v3
	v_xor_b32_e32 v5, 2, v2
	s_delay_alu instid0(VALU_DEP_1) | instskip(SKIP_1) | instid1(VALU_DEP_1)
	v_cmp_gt_i32_e32 vcc_lo, 32, v5
	v_cndmask_b32_e32 v5, v2, v5, vcc_lo
	v_lshlrev_b32_e32 v5, 2, v5
	s_waitcnt lgkmcnt(0)
	v_add_f32_e32 v3, v3, v4
	ds_bpermute_b32 v4, v5, v3
	v_xor_b32_e32 v5, 1, v2
	s_delay_alu instid0(VALU_DEP_1) | instskip(SKIP_3) | instid1(VALU_DEP_2)
	v_cmp_gt_i32_e32 vcc_lo, 32, v5
	v_cndmask_b32_e32 v5, v2, v5, vcc_lo
	v_cmp_eq_u32_e32 vcc_lo, 0, v0
	s_waitcnt lgkmcnt(0)
	v_dual_add_f32 v2, v3, v4 :: v_dual_lshlrev_b32 v3, 2, v5
	ds_bpermute_b32 v3, v3, v2
	s_and_b32 exec_lo, exec_lo, vcc_lo
	s_cbranch_execz .LBB260_7
; %bb.6:
	v_mad_u64_u32 v[4:5], null, s8, s6, v[1:2]
	s_waitcnt lgkmcnt(0)
	v_dual_mov_b32 v5, 0 :: v_dual_add_f32 v2, v2, v3
	s_delay_alu instid0(VALU_DEP_1) | instskip(NEXT) | instid1(VALU_DEP_2)
	v_cvt_f16_f32_e32 v2, v2
	v_lshlrev_b64 v[0:1], 1, v[4:5]
	s_delay_alu instid0(VALU_DEP_1) | instskip(NEXT) | instid1(VALU_DEP_2)
	v_add_co_u32 v0, vcc_lo, s10, v0
	v_add_co_ci_u32_e32 v1, vcc_lo, s11, v1, vcc_lo
	global_store_b16 v[0:1], v2, off
.LBB260_7:
	s_nop 0
	s_sendmsg sendmsg(MSG_DEALLOC_VGPRS)
	s_endpgm
	.section	.rodata,"a",@progbits
	.p2align	6, 0x0
	.amdhsa_kernel _ZL9moe_vec_qIN3c104HalfELi32ELi8E10block_q8_0Li2EXadL_ZL17vec_dot_q8_0_q8_1PKvPK10block_q8_1RKiEEEvS4_S4_PT_PS8_iiii
		.amdhsa_group_segment_fixed_size 0
		.amdhsa_private_segment_fixed_size 0
		.amdhsa_kernarg_size 304
		.amdhsa_user_sgpr_count 14
		.amdhsa_user_sgpr_dispatch_ptr 0
		.amdhsa_user_sgpr_queue_ptr 0
		.amdhsa_user_sgpr_kernarg_segment_ptr 1
		.amdhsa_user_sgpr_dispatch_id 0
		.amdhsa_user_sgpr_private_segment_size 0
		.amdhsa_wavefront_size32 1
		.amdhsa_uses_dynamic_stack 0
		.amdhsa_enable_private_segment 0
		.amdhsa_system_sgpr_workgroup_id_x 1
		.amdhsa_system_sgpr_workgroup_id_y 0
		.amdhsa_system_sgpr_workgroup_id_z 1
		.amdhsa_system_sgpr_workgroup_info 0
		.amdhsa_system_vgpr_workitem_id 1
		.amdhsa_next_free_vgpr 14
		.amdhsa_next_free_sgpr 20
		.amdhsa_reserve_vcc 1
		.amdhsa_float_round_mode_32 0
		.amdhsa_float_round_mode_16_64 0
		.amdhsa_float_denorm_mode_32 3
		.amdhsa_float_denorm_mode_16_64 3
		.amdhsa_dx10_clamp 1
		.amdhsa_ieee_mode 1
		.amdhsa_fp16_overflow 0
		.amdhsa_workgroup_processor_mode 1
		.amdhsa_memory_ordered 1
		.amdhsa_forward_progress 0
		.amdhsa_shared_vgpr_count 0
		.amdhsa_exception_fp_ieee_invalid_op 0
		.amdhsa_exception_fp_denorm_src 0
		.amdhsa_exception_fp_ieee_div_zero 0
		.amdhsa_exception_fp_ieee_overflow 0
		.amdhsa_exception_fp_ieee_underflow 0
		.amdhsa_exception_fp_ieee_inexact 0
		.amdhsa_exception_int_div_zero 0
	.end_amdhsa_kernel
	.section	.text._ZL9moe_vec_qIN3c104HalfELi32ELi8E10block_q8_0Li2EXadL_ZL17vec_dot_q8_0_q8_1PKvPK10block_q8_1RKiEEEvS4_S4_PT_PS8_iiii,"axG",@progbits,_ZL9moe_vec_qIN3c104HalfELi32ELi8E10block_q8_0Li2EXadL_ZL17vec_dot_q8_0_q8_1PKvPK10block_q8_1RKiEEEvS4_S4_PT_PS8_iiii,comdat
.Lfunc_end260:
	.size	_ZL9moe_vec_qIN3c104HalfELi32ELi8E10block_q8_0Li2EXadL_ZL17vec_dot_q8_0_q8_1PKvPK10block_q8_1RKiEEEvS4_S4_PT_PS8_iiii, .Lfunc_end260-_ZL9moe_vec_qIN3c104HalfELi32ELi8E10block_q8_0Li2EXadL_ZL17vec_dot_q8_0_q8_1PKvPK10block_q8_1RKiEEEvS4_S4_PT_PS8_iiii
                                        ; -- End function
	.section	.AMDGPU.csdata,"",@progbits
; Kernel info:
; codeLenInByte = 840
; NumSgprs: 22
; NumVgprs: 14
; ScratchSize: 0
; MemoryBound: 0
; FloatMode: 240
; IeeeMode: 1
; LDSByteSize: 0 bytes/workgroup (compile time only)
; SGPRBlocks: 2
; VGPRBlocks: 1
; NumSGPRsForWavesPerEU: 22
; NumVGPRsForWavesPerEU: 14
; Occupancy: 16
; WaveLimiterHint : 1
; COMPUTE_PGM_RSRC2:SCRATCH_EN: 0
; COMPUTE_PGM_RSRC2:USER_SGPR: 14
; COMPUTE_PGM_RSRC2:TRAP_HANDLER: 0
; COMPUTE_PGM_RSRC2:TGID_X_EN: 1
; COMPUTE_PGM_RSRC2:TGID_Y_EN: 0
; COMPUTE_PGM_RSRC2:TGID_Z_EN: 1
; COMPUTE_PGM_RSRC2:TIDIG_COMP_CNT: 1
	.section	.text._ZL9moe_vec_qIN3c104HalfELi256ELi16E10block_q2_KLi1EXadL_ZL17vec_dot_q2_K_q8_1PKvPK10block_q8_1RKiEEEvS4_S4_PT_PS8_iiii,"axG",@progbits,_ZL9moe_vec_qIN3c104HalfELi256ELi16E10block_q2_KLi1EXadL_ZL17vec_dot_q2_K_q8_1PKvPK10block_q8_1RKiEEEvS4_S4_PT_PS8_iiii,comdat
	.globl	_ZL9moe_vec_qIN3c104HalfELi256ELi16E10block_q2_KLi1EXadL_ZL17vec_dot_q2_K_q8_1PKvPK10block_q8_1RKiEEEvS4_S4_PT_PS8_iiii ; -- Begin function _ZL9moe_vec_qIN3c104HalfELi256ELi16E10block_q2_KLi1EXadL_ZL17vec_dot_q2_K_q8_1PKvPK10block_q8_1RKiEEEvS4_S4_PT_PS8_iiii
	.p2align	8
	.type	_ZL9moe_vec_qIN3c104HalfELi256ELi16E10block_q2_KLi1EXadL_ZL17vec_dot_q2_K_q8_1PKvPK10block_q8_1RKiEEEvS4_S4_PT_PS8_iiii,@function
_ZL9moe_vec_qIN3c104HalfELi256ELi16E10block_q2_KLi1EXadL_ZL17vec_dot_q2_K_q8_1PKvPK10block_q8_1RKiEEEvS4_S4_PT_PS8_iiii: ; @_ZL9moe_vec_qIN3c104HalfELi256ELi16E10block_q2_KLi1EXadL_ZL17vec_dot_q2_K_q8_1PKvPK10block_q8_1RKiEEEvS4_S4_PT_PS8_iiii
; %bb.0:
	s_clause 0x1
	s_load_b32 s2, s[0:1], 0x3c
	s_load_b128 s[4:7], s[0:1], 0x20
	v_bfe_u32 v3, v0, 10, 10
	s_waitcnt lgkmcnt(0)
	s_lshr_b32 s2, s2, 16
	s_delay_alu instid0(VALU_DEP_1) | instid1(SALU_CYCLE_1)
	v_mad_u64_u32 v[1:2], null, s14, s2, v[3:4]
	s_mov_b32 s2, exec_lo
	s_delay_alu instid0(VALU_DEP_1)
	v_cmpx_gt_u32_e64 s6, v1
	s_cbranch_execz .LBB261_7
; %bb.1:
	v_cvt_f32_u32_e32 v2, s4
	s_load_b64 s[10:11], s[0:1], 0x10
	v_dual_mov_b32 v3, 0 :: v_dual_and_b32 v0, 0x3ff, v0
	s_ashr_i32 s2, s5, 31
	s_delay_alu instid0(VALU_DEP_2) | instskip(SKIP_1) | instid1(VALU_DEP_1)
	v_rcp_iflag_f32_e32 v2, v2
	s_lshr_b32 s2, s2, 24
	v_lshrrev_b32_e32 v8, 4, v0
	s_add_i32 s2, s5, s2
	s_mov_b32 s8, s15
	s_ashr_i32 s12, s2, 8
	s_mov_b32 s5, exec_lo
	s_waitcnt_depctr 0xfff
	v_mul_f32_e32 v2, 0x4f7ffffe, v2
	s_delay_alu instid0(VALU_DEP_1) | instskip(NEXT) | instid1(VALU_DEP_1)
	v_cvt_u32_f32_e32 v2, v2
	v_readfirstlane_b32 s13, v2
	v_cmpx_gt_u32_e64 s12, v8
	s_cbranch_execz .LBB261_5
; %bb.2:
	s_clause 0x1
	s_load_b64 s[14:15], s[0:1], 0x18
	s_load_b128 s[0:3], s[0:1], 0x0
	s_sub_i32 s16, 0, s4
	s_mov_b32 s9, 0
	s_mul_i32 s16, s16, s13
	v_dual_mov_b32 v3, 0 :: v_dual_and_b32 v4, 15, v0
	s_mul_hi_u32 s19, s13, s16
	s_lshl_b64 s[16:17], s[8:9], 2
	s_add_i32 s13, s13, s19
	s_delay_alu instid0(VALU_DEP_1)
	v_cmp_lt_u32_e32 vcc_lo, 7, v4
	s_mul_hi_u32 s13, s8, s13
	v_add_nc_u32_e32 v5, -8, v4
	s_mul_i32 s18, s12, s6
	v_mul_lo_u32 v9, v1, s12
	v_cndmask_b32_e64 v2, 0, 1, vcc_lo
	v_cmp_gt_u32_e32 vcc_lo, 8, v4
	v_lshlrev_b32_e32 v11, 2, v4
	v_lshlrev_b32_e32 v12, 3, v8
	s_delay_alu instid0(VALU_DEP_4)
	v_lshlrev_b32_e32 v6, 2, v2
	s_waitcnt lgkmcnt(0)
	s_add_u32 s14, s14, s16
	s_addc_u32 s15, s15, s17
	s_mul_i32 s16, s13, s4
	s_load_b32 s14, s[14:15], 0x0
	s_sub_i32 s16, s8, s16
	s_add_i32 s17, s13, 1
	s_sub_i32 s19, s16, s4
	s_cmp_ge_u32 s16, s4
	v_cndmask_b32_e32 v2, v5, v4, vcc_lo
	s_cselect_b32 s13, s17, s13
	s_cselect_b32 s16, s19, s16
	s_add_i32 s17, s13, 1
	s_cmp_ge_u32 s16, s4
	s_mov_b32 s15, s9
	s_cselect_b32 s4, s17, s13
	v_sub_nc_u32_e32 v5, v4, v2
	v_cmp_lt_u32_e32 vcc_lo, 3, v2
	s_delay_alu instid0(VALU_DEP_2)
	v_add_co_ci_u32_e32 v10, vcc_lo, 0, v5, vcc_lo
	s_waitcnt lgkmcnt(0)
	s_mul_i32 s13, s18, s14
	s_mul_i32 s14, s4, s7
	;; [unrolled: 1-line block ×3, first 2 shown]
	s_mul_hi_i32 s7, s13, 0x54
	s_add_u32 s0, s0, s4
	s_addc_u32 s1, s1, s7
	s_lshl_b64 s[14:15], s[14:15], 2
	s_delay_alu instid0(SALU_CYCLE_1) | instskip(SKIP_1) | instid1(SALU_CYCLE_1)
	s_add_u32 s2, s2, s14
	s_addc_u32 s3, s3, s15
	v_mad_u64_u32 v[4:5], null, v6, 36, s[2:3]
	v_lshlrev_b64 v[6:7], 2, v[2:3]
	v_ashrrev_i32_e32 v2, 31, v10
.LBB261_3:                              ; =>This Inner Loop Header: Depth=1
	s_delay_alu instid0(VALU_DEP_3)
	v_mad_i64_i32 v[13:14], null, v12, 36, v[4:5]
	v_add_nc_u32_e32 v17, v9, v8
	v_add_nc_u32_e32 v8, 2, v8
	;; [unrolled: 1-line block ×3, first 2 shown]
	s_clause 0x2
	global_load_b32 v27, v[13:14], off
	global_load_b32 v28, v[13:14], off offset:36
	global_load_b32 v29, v[13:14], off offset:72
	v_mad_i64_i32 v[15:16], null, 0x54, v17, s[0:1]
	v_add_co_u32 v17, vcc_lo, v13, v6
	v_add_co_ci_u32_e32 v18, vcc_lo, v14, v7, vcc_lo
	v_add_co_u32 v21, vcc_lo, v13, 36
	v_add_co_ci_u32_e32 v22, vcc_lo, 0, v14, vcc_lo
	;; [unrolled: 2-line block ×5, first 2 shown]
	global_load_b32 v30, v[17:18], off offset:4
	v_add_co_u32 v17, vcc_lo, v21, v6
	v_add_co_ci_u32_e32 v18, vcc_lo, v22, v7, vcc_lo
	v_add_co_u32 v21, vcc_lo, v23, v6
	v_add_co_ci_u32_e32 v22, vcc_lo, v24, v7, vcc_lo
	;; [unrolled: 2-line block ×4, first 2 shown]
	s_clause 0x1
	global_load_b32 v19, v[19:20], off offset:16
	global_load_u8 v20, v[25:26], off
	global_load_b32 v17, v[17:18], off offset:4
	global_load_u8 v18, v[25:26], off offset:2
	global_load_b32 v21, v[21:22], off offset:4
	global_load_u8 v22, v[25:26], off offset:4
	global_load_b32 v23, v[23:24], off offset:4
	s_clause 0x1
	global_load_u8 v24, v[25:26], off offset:6
	global_load_b32 v15, v[15:16], off offset:80
	global_load_b32 v13, v[13:14], off offset:108
	v_cmp_le_u32_e32 vcc_lo, s12, v8
	s_or_b32 s9, vcc_lo, s9
	s_waitcnt vmcnt(10)
	v_bfe_i32 v25, v30, 16, 8
	v_ashrrev_i32_e32 v26, 24, v30
	v_bfe_i32 v14, v30, 0, 8
	v_bfe_i32 v16, v30, 8, 8
	v_perm_b32 v30, v30, v30, 0xc0c0201
	s_waitcnt vmcnt(9)
	v_bfe_u32 v33, v19, 16, 2
	v_bfe_u32 v34, v19, 24, 2
	s_waitcnt vmcnt(8)
	v_and_b32_e32 v35, 15, v20
	v_lshrrev_b32_e32 v20, 4, v20
	v_and_b32_e32 v31, 3, v19
	v_ashrrev_i32_e32 v36, 2, v19
	v_ashrrev_i32_e32 v42, 4, v19
	s_waitcnt vmcnt(6)
	v_and_b32_e32 v41, 15, v18
	v_lshrrev_b32_e32 v18, 4, v18
	v_mul_i32_i24_e32 v25, v25, v33
	v_mul_i32_i24_e32 v33, v26, v34
	v_mul_lo_u32 v34, 0x1010101, v20
	v_bfe_u32 v32, v19, 8, 2
	v_bfe_i32 v37, v17, 0, 8
	s_waitcnt vmcnt(5)
	v_bfe_i32 v45, v21, 16, 8
	v_ashrrev_i32_e32 v19, 6, v19
	v_mul_i32_i24_e32 v31, v14, v31
	v_mul_i32_i24_e32 v14, v20, v14
	v_and_b32_e32 v20, 3, v36
	v_bfe_u32 v59, v42, 16, 2
	s_waitcnt vmcnt(4)
	v_and_b32_e32 v47, 15, v22
	v_lshrrev_b32_e32 v22, 4, v22
	v_mul_lo_u32 v56, 0x1010101, v18
	v_ashrrev_i32_e32 v40, 24, v17
	v_bfe_i32 v43, v21, 0, 8
	s_waitcnt vmcnt(3)
	v_bfe_i32 v50, v23, 16, 8
	v_bfe_u32 v54, v36, 8, 2
	v_bfe_u32 v55, v36, 16, 2
	;; [unrolled: 1-line block ×3, first 2 shown]
	v_mul_i32_i24_e32 v18, v18, v37
	v_and_b32_e32 v57, 3, v42
	v_bfe_u32 v63, v19, 16, 2
	v_mul_i32_i24_e32 v20, v37, v20
	v_mul_i32_i24_e32 v37, v45, v59
	v_lshrrev_b32_e32 v45, 24, v34
	v_perm_b32 v34, v34, v34, 0xc0c0201
	v_bfe_i32 v38, v17, 8, 8
	v_bfe_i32 v39, v17, 16, 8
	s_waitcnt vmcnt(2)
	v_and_b32_e32 v52, 15, v24
	v_lshrrev_b32_e32 v24, 4, v24
	v_mul_lo_u32 v60, 0x1010101, v22
	v_mad_i32_i24 v16, v16, v32, v31
	v_perm_b32 v17, v17, v17, 0xc0c0201
	v_ashrrev_i32_e32 v46, 24, v21
	v_bfe_i32 v48, v23, 0, 8
	v_bfe_u32 v58, v42, 8, 2
	v_bfe_u32 v42, v42, 24, 2
	v_mul_i32_i24_e32 v22, v22, v43
	v_and_b32_e32 v61, 3, v19
	v_mul_i32_i24_e32 v32, v40, v36
	v_mul_i32_i24_e32 v36, v43, v57
	;; [unrolled: 1-line block ×3, first 2 shown]
	v_perm_b32 v50, v56, v56, 0xc0c0201
	v_dot4_i32_iu8 v14, v34, v30, v14 neg_lo:[1,1,0]
	v_bfe_i32 v44, v21, 8, 8
	v_mul_lo_u32 v64, 0x1010101, v24
	v_mul_i32_i24_e32 v31, v39, v55
	v_add3_u32 v16, v16, v25, v33
	v_mad_i32_i24 v20, v38, v54, v20
	v_perm_b32 v21, v21, v21, 0xc0c0201
	v_mul_i32_i24_e32 v24, v24, v48
	v_mul_i32_i24_e32 v39, v46, v42
	;; [unrolled: 1-line block ×3, first 2 shown]
	v_lshrrev_b32_e32 v48, 24, v56
	v_perm_b32 v56, v60, v60, 0xc0c0201
	v_dot4_i32_iu8 v17, v50, v17, v18 neg_lo:[1,1,0]
	v_mad_i32_i24 v14, v45, v26, v14
	v_bfe_i32 v49, v23, 8, 8
	v_ashrrev_i32_e32 v51, 24, v23
	v_bfe_u32 v62, v19, 8, 2
	v_bfe_u32 v19, v19, 24, 2
	v_mad_i32_i24 v25, v44, v58, v36
	v_mul_lo_u32 v16, v35, v16
	v_add3_u32 v20, v20, v31, v32
	v_perm_b32 v23, v23, v23, 0xc0c0201
	v_lshrrev_b32_e32 v55, 24, v60
	v_perm_b32 v59, v64, v64, 0xc0c0201
	v_dot4_i32_iu8 v18, v56, v21, v22 neg_lo:[1,1,0]
	v_mad_i32_i24 v17, v48, v40, v17
	v_cvt_f32_i32_e32 v14, v14
	v_mul_i32_i24_e32 v19, v51, v19
	v_mad_i32_i24 v33, v49, v62, v42
	v_add3_u32 v22, v25, v37, v39
	v_mul_lo_u32 v20, v41, v20
	v_lshrrev_b32_e32 v57, 24, v64
	v_dot4_i32_iu8 v21, v59, v23, v24 neg_lo:[1,1,0]
	v_mad_i32_i24 v18, v55, v46, v18
	v_cvt_f32_i32_e32 v16, v16
	v_cvt_f32_i32_e32 v17, v17
	v_fma_mix_f32 v14, v27, v14, 0 op_sel_hi:[1,0,0]
	v_add3_u32 v19, v33, v43, v19
	v_mul_lo_u32 v22, v47, v22
	v_mad_i32_i24 v21, v57, v51, v21
	v_cvt_f32_i32_e32 v18, v18
	v_fma_mix_f32 v16, v27, v16, 0 op_sel_hi:[1,0,0]
	v_cvt_f32_i32_e32 v20, v20
	v_fma_mix_f32 v14, v28, v17, v14 op_sel_hi:[1,0,0]
	v_mul_lo_u32 v17, v52, v19
	s_waitcnt vmcnt(1)
	v_lshrrev_b32_e32 v53, 16, v15
	v_cvt_f32_i32_e32 v19, v21
	v_cvt_f32_i32_e32 v21, v22
	v_fma_mix_f32 v16, v28, v20, v16 op_sel_hi:[1,0,0]
	v_fma_mix_f32 v14, v29, v18, v14 op_sel_hi:[1,0,0]
	v_cvt_f32_f16_e32 v18, v53
	v_cvt_f32_i32_e32 v17, v17
	s_delay_alu instid0(VALU_DEP_4) | instskip(SKIP_2) | instid1(VALU_DEP_2)
	v_fma_mix_f32 v16, v29, v21, v16 op_sel_hi:[1,0,0]
	s_waitcnt vmcnt(0)
	v_fma_mix_f32 v14, v13, v19, v14 op_sel_hi:[1,0,0]
	v_fma_mix_f32 v13, v13, v17, v16 op_sel_hi:[1,0,0]
	s_delay_alu instid0(VALU_DEP_2) | instskip(NEXT) | instid1(VALU_DEP_1)
	v_mul_f32_e32 v14, v14, v18
	v_fma_mix_f32 v13, v13, v15, -v14 op_sel_hi:[0,1,0]
	s_delay_alu instid0(VALU_DEP_1)
	v_add_f32_e32 v3, v3, v13
	s_and_not1_b32 exec_lo, exec_lo, s9
	s_cbranch_execnz .LBB261_3
; %bb.4:
	s_or_b32 exec_lo, exec_lo, s9
.LBB261_5:
	s_delay_alu instid0(SALU_CYCLE_1) | instskip(SKIP_1) | instid1(VALU_DEP_1)
	s_or_b32 exec_lo, exec_lo, s5
	v_mbcnt_lo_u32_b32 v2, -1, 0
	v_xor_b32_e32 v4, 16, v2
	v_xor_b32_e32 v5, 8, v2
	s_delay_alu instid0(VALU_DEP_2) | instskip(SKIP_1) | instid1(VALU_DEP_3)
	v_cmp_gt_i32_e32 vcc_lo, 32, v4
	v_cndmask_b32_e32 v4, v2, v4, vcc_lo
	v_cmp_gt_i32_e32 vcc_lo, 32, v5
	v_cndmask_b32_e32 v5, v2, v5, vcc_lo
	s_delay_alu instid0(VALU_DEP_1) | instskip(NEXT) | instid1(VALU_DEP_4)
	v_lshlrev_b32_e32 v5, 2, v5
	v_lshlrev_b32_e32 v4, 2, v4
	ds_bpermute_b32 v4, v4, v3
	s_waitcnt lgkmcnt(0)
	v_add_f32_e32 v3, v3, v4
	ds_bpermute_b32 v4, v5, v3
	v_xor_b32_e32 v5, 4, v2
	s_delay_alu instid0(VALU_DEP_1) | instskip(SKIP_1) | instid1(VALU_DEP_1)
	v_cmp_gt_i32_e32 vcc_lo, 32, v5
	v_cndmask_b32_e32 v5, v2, v5, vcc_lo
	v_lshlrev_b32_e32 v5, 2, v5
	s_waitcnt lgkmcnt(0)
	v_add_f32_e32 v3, v3, v4
	ds_bpermute_b32 v4, v5, v3
	v_xor_b32_e32 v5, 2, v2
	s_delay_alu instid0(VALU_DEP_1) | instskip(SKIP_1) | instid1(VALU_DEP_1)
	v_cmp_gt_i32_e32 vcc_lo, 32, v5
	v_cndmask_b32_e32 v5, v2, v5, vcc_lo
	v_lshlrev_b32_e32 v5, 2, v5
	s_waitcnt lgkmcnt(0)
	v_add_f32_e32 v3, v3, v4
	ds_bpermute_b32 v4, v5, v3
	v_xor_b32_e32 v5, 1, v2
	s_delay_alu instid0(VALU_DEP_1) | instskip(SKIP_3) | instid1(VALU_DEP_2)
	v_cmp_gt_i32_e32 vcc_lo, 32, v5
	v_cndmask_b32_e32 v5, v2, v5, vcc_lo
	v_cmp_eq_u32_e32 vcc_lo, 0, v0
	s_waitcnt lgkmcnt(0)
	v_dual_add_f32 v2, v3, v4 :: v_dual_lshlrev_b32 v3, 2, v5
	ds_bpermute_b32 v3, v3, v2
	s_and_b32 exec_lo, exec_lo, vcc_lo
	s_cbranch_execz .LBB261_7
; %bb.6:
	v_mad_u64_u32 v[4:5], null, s8, s6, v[1:2]
	s_waitcnt lgkmcnt(0)
	v_dual_mov_b32 v5, 0 :: v_dual_add_f32 v2, v2, v3
	s_delay_alu instid0(VALU_DEP_1) | instskip(NEXT) | instid1(VALU_DEP_2)
	v_cvt_f16_f32_e32 v2, v2
	v_lshlrev_b64 v[0:1], 1, v[4:5]
	s_delay_alu instid0(VALU_DEP_1) | instskip(NEXT) | instid1(VALU_DEP_2)
	v_add_co_u32 v0, vcc_lo, s10, v0
	v_add_co_ci_u32_e32 v1, vcc_lo, s11, v1, vcc_lo
	global_store_b16 v[0:1], v2, off
.LBB261_7:
	s_nop 0
	s_sendmsg sendmsg(MSG_DEALLOC_VGPRS)
	s_endpgm
	.section	.rodata,"a",@progbits
	.p2align	6, 0x0
	.amdhsa_kernel _ZL9moe_vec_qIN3c104HalfELi256ELi16E10block_q2_KLi1EXadL_ZL17vec_dot_q2_K_q8_1PKvPK10block_q8_1RKiEEEvS4_S4_PT_PS8_iiii
		.amdhsa_group_segment_fixed_size 0
		.amdhsa_private_segment_fixed_size 0
		.amdhsa_kernarg_size 304
		.amdhsa_user_sgpr_count 14
		.amdhsa_user_sgpr_dispatch_ptr 0
		.amdhsa_user_sgpr_queue_ptr 0
		.amdhsa_user_sgpr_kernarg_segment_ptr 1
		.amdhsa_user_sgpr_dispatch_id 0
		.amdhsa_user_sgpr_private_segment_size 0
		.amdhsa_wavefront_size32 1
		.amdhsa_uses_dynamic_stack 0
		.amdhsa_enable_private_segment 0
		.amdhsa_system_sgpr_workgroup_id_x 1
		.amdhsa_system_sgpr_workgroup_id_y 0
		.amdhsa_system_sgpr_workgroup_id_z 1
		.amdhsa_system_sgpr_workgroup_info 0
		.amdhsa_system_vgpr_workitem_id 1
		.amdhsa_next_free_vgpr 65
		.amdhsa_next_free_sgpr 20
		.amdhsa_reserve_vcc 1
		.amdhsa_float_round_mode_32 0
		.amdhsa_float_round_mode_16_64 0
		.amdhsa_float_denorm_mode_32 3
		.amdhsa_float_denorm_mode_16_64 3
		.amdhsa_dx10_clamp 1
		.amdhsa_ieee_mode 1
		.amdhsa_fp16_overflow 0
		.amdhsa_workgroup_processor_mode 1
		.amdhsa_memory_ordered 1
		.amdhsa_forward_progress 0
		.amdhsa_shared_vgpr_count 0
		.amdhsa_exception_fp_ieee_invalid_op 0
		.amdhsa_exception_fp_denorm_src 0
		.amdhsa_exception_fp_ieee_div_zero 0
		.amdhsa_exception_fp_ieee_overflow 0
		.amdhsa_exception_fp_ieee_underflow 0
		.amdhsa_exception_fp_ieee_inexact 0
		.amdhsa_exception_int_div_zero 0
	.end_amdhsa_kernel
	.section	.text._ZL9moe_vec_qIN3c104HalfELi256ELi16E10block_q2_KLi1EXadL_ZL17vec_dot_q2_K_q8_1PKvPK10block_q8_1RKiEEEvS4_S4_PT_PS8_iiii,"axG",@progbits,_ZL9moe_vec_qIN3c104HalfELi256ELi16E10block_q2_KLi1EXadL_ZL17vec_dot_q2_K_q8_1PKvPK10block_q8_1RKiEEEvS4_S4_PT_PS8_iiii,comdat
.Lfunc_end261:
	.size	_ZL9moe_vec_qIN3c104HalfELi256ELi16E10block_q2_KLi1EXadL_ZL17vec_dot_q2_K_q8_1PKvPK10block_q8_1RKiEEEvS4_S4_PT_PS8_iiii, .Lfunc_end261-_ZL9moe_vec_qIN3c104HalfELi256ELi16E10block_q2_KLi1EXadL_ZL17vec_dot_q2_K_q8_1PKvPK10block_q8_1RKiEEEvS4_S4_PT_PS8_iiii
                                        ; -- End function
	.section	.AMDGPU.csdata,"",@progbits
; Kernel info:
; codeLenInByte = 1820
; NumSgprs: 22
; NumVgprs: 65
; ScratchSize: 0
; MemoryBound: 0
; FloatMode: 240
; IeeeMode: 1
; LDSByteSize: 0 bytes/workgroup (compile time only)
; SGPRBlocks: 2
; VGPRBlocks: 8
; NumSGPRsForWavesPerEU: 22
; NumVGPRsForWavesPerEU: 65
; Occupancy: 16
; WaveLimiterHint : 1
; COMPUTE_PGM_RSRC2:SCRATCH_EN: 0
; COMPUTE_PGM_RSRC2:USER_SGPR: 14
; COMPUTE_PGM_RSRC2:TRAP_HANDLER: 0
; COMPUTE_PGM_RSRC2:TGID_X_EN: 1
; COMPUTE_PGM_RSRC2:TGID_Y_EN: 0
; COMPUTE_PGM_RSRC2:TGID_Z_EN: 1
; COMPUTE_PGM_RSRC2:TIDIG_COMP_CNT: 1
	.section	.text._ZL9moe_vec_qIN3c104HalfELi256ELi16E10block_q3_KLi1EXadL_ZL17vec_dot_q3_K_q8_1PKvPK10block_q8_1RKiEEEvS4_S4_PT_PS8_iiii,"axG",@progbits,_ZL9moe_vec_qIN3c104HalfELi256ELi16E10block_q3_KLi1EXadL_ZL17vec_dot_q3_K_q8_1PKvPK10block_q8_1RKiEEEvS4_S4_PT_PS8_iiii,comdat
	.globl	_ZL9moe_vec_qIN3c104HalfELi256ELi16E10block_q3_KLi1EXadL_ZL17vec_dot_q3_K_q8_1PKvPK10block_q8_1RKiEEEvS4_S4_PT_PS8_iiii ; -- Begin function _ZL9moe_vec_qIN3c104HalfELi256ELi16E10block_q3_KLi1EXadL_ZL17vec_dot_q3_K_q8_1PKvPK10block_q8_1RKiEEEvS4_S4_PT_PS8_iiii
	.p2align	8
	.type	_ZL9moe_vec_qIN3c104HalfELi256ELi16E10block_q3_KLi1EXadL_ZL17vec_dot_q3_K_q8_1PKvPK10block_q8_1RKiEEEvS4_S4_PT_PS8_iiii,@function
_ZL9moe_vec_qIN3c104HalfELi256ELi16E10block_q3_KLi1EXadL_ZL17vec_dot_q3_K_q8_1PKvPK10block_q8_1RKiEEEvS4_S4_PT_PS8_iiii: ; @_ZL9moe_vec_qIN3c104HalfELi256ELi16E10block_q3_KLi1EXadL_ZL17vec_dot_q3_K_q8_1PKvPK10block_q8_1RKiEEEvS4_S4_PT_PS8_iiii
; %bb.0:
	s_clause 0x1
	s_load_b32 s2, s[0:1], 0x3c
	s_load_b128 s[4:7], s[0:1], 0x20
	v_bfe_u32 v3, v0, 10, 10
	s_waitcnt lgkmcnt(0)
	s_lshr_b32 s2, s2, 16
	s_delay_alu instid0(VALU_DEP_1) | instid1(SALU_CYCLE_1)
	v_mad_u64_u32 v[1:2], null, s14, s2, v[3:4]
	s_mov_b32 s2, exec_lo
	s_delay_alu instid0(VALU_DEP_1)
	v_cmpx_gt_u32_e64 s6, v1
	s_cbranch_execz .LBB262_7
; %bb.1:
	v_cvt_f32_u32_e32 v2, s4
	s_load_b64 s[10:11], s[0:1], 0x10
	v_dual_mov_b32 v3, 0 :: v_dual_and_b32 v0, 0x3ff, v0
	s_ashr_i32 s2, s5, 31
	s_delay_alu instid0(VALU_DEP_2) | instskip(SKIP_1) | instid1(VALU_DEP_1)
	v_rcp_iflag_f32_e32 v2, v2
	s_lshr_b32 s2, s2, 24
	v_lshrrev_b32_e32 v8, 4, v0
	s_add_i32 s2, s5, s2
	s_mov_b32 s8, s15
	s_ashr_i32 s12, s2, 8
	s_mov_b32 s5, exec_lo
	s_waitcnt_depctr 0xfff
	v_mul_f32_e32 v2, 0x4f7ffffe, v2
	s_delay_alu instid0(VALU_DEP_1) | instskip(NEXT) | instid1(VALU_DEP_1)
	v_cvt_u32_f32_e32 v2, v2
	v_readfirstlane_b32 s13, v2
	v_cmpx_gt_u32_e64 s12, v8
	s_cbranch_execz .LBB262_5
; %bb.2:
	v_and_b32_e32 v3, 15, v0
	s_load_b64 s[14:15], s[0:1], 0x18
	s_sub_i32 s16, 0, s4
	s_mov_b32 s9, 0
	s_mul_i32 s16, s16, s13
	v_add_nc_u32_e32 v2, -8, v3
	v_cmp_gt_u32_e32 vcc_lo, 8, v3
	v_lshlrev_b32_e32 v11, 2, v3
	s_mul_hi_u32 s19, s13, s16
	s_lshl_b64 s[16:17], s[8:9], 2
	s_add_i32 s13, s13, s19
	v_cndmask_b32_e32 v2, v2, v3, vcc_lo
	s_load_b128 s[0:3], s[0:1], 0x0
	s_mul_hi_u32 s13, s8, s13
	s_mul_i32 s18, s12, s6
	v_mul_lo_u32 v9, v1, s12
	v_sub_nc_u32_e32 v4, v3, v2
	v_cmp_lt_u32_e32 vcc_lo, 3, v2
	v_lshlrev_b32_e32 v35, 3, v8
	s_waitcnt lgkmcnt(0)
	s_add_u32 s14, s14, s16
	v_add_co_ci_u32_e32 v6, vcc_lo, 0, v4, vcc_lo
	v_cmp_lt_u32_e32 vcc_lo, 7, v3
	v_mov_b32_e32 v3, 0
	s_addc_u32 s15, s15, s17
	s_delay_alu instid0(VALU_DEP_3)
	v_bfe_i32 v4, v6, 0, 8
	v_add_nc_u16 v7, v6, 2
	v_cndmask_b32_e64 v5, 0, 1, vcc_lo
	v_add_nc_u16 v26, v6, 4
	s_load_b32 s14, s[14:15], 0x0
	v_lshrrev_b16 v4, 7, v4
	v_bfe_i32 v13, v7, 0, 8
	s_mul_i32 s16, s13, s4
	v_bfe_i32 v18, v26, 0, 8
	s_sub_i32 s16, s8, s16
	v_and_b32_e32 v4, 0xff, v4
	s_add_i32 s17, s13, 1
	s_sub_i32 s19, s16, s4
	v_lshrrev_b16 v18, 7, v18
	s_cmp_ge_u32 s16, s4
	v_lshrrev_b16 v10, 5, v4
	v_lshrrev_b16 v4, 6, v4
	s_cselect_b32 s13, s17, s13
	v_and_b32_e32 v21, 0xff, v18
	s_cselect_b32 s16, s19, s16
	v_add_nc_u16 v12, v6, v10
	v_lshlrev_b32_e32 v10, 2, v5
	v_lshrrev_b16 v5, 7, v13
	v_lshrrev_b16 v22, 5, v21
	;; [unrolled: 1-line block ×3, first 2 shown]
	v_bfe_i32 v14, v12, 0, 8
	s_add_i32 s17, s13, 1
	v_and_b32_e32 v15, 0xff, v5
	v_add_nc_u16 v22, v26, v22
	s_cmp_ge_u32 s16, s4
	v_lshrrev_b16 v13, 3, v14
	v_add_nc_u16 v14, v6, v4
	v_and_b32_e32 v4, 0xf8, v12
	v_lshrrev_b16 v17, 5, v15
	v_bfe_i32 v25, v22, 0, 8
	v_and_b32_e32 v12, 0xff, v13
	v_bfe_i32 v13, v14, 0, 8
	v_sub_nc_u16 v16, v6, v4
	v_lshlrev_b64 v[4:5], 2, v[2:3]
	v_and_b32_e32 v14, 0xfc, v14
	v_lshlrev_b32_e32 v2, 2, v12
	v_ashrrev_i16 v13, 2, v13
	v_bfe_i32 v12, v16, 0, 8
	v_add_nc_u16 v16, v7, v17
	v_sub_nc_u16 v20, v6, v14
	v_add_nc_u16 v6, v6, 6
	v_bfe_i32 v17, v13, 0, 16
	v_and_b32_e32 v22, 0xf8, v22
	v_bfe_i32 v19, v16, 0, 8
	v_and_b32_e32 v16, 0xf8, v16
	v_bfe_i32 v24, v6, 0, 8
	v_lshlrev_b32_e32 v14, 1, v17
	v_lshrrev_b16 v17, 6, v15
	v_lshrrev_b16 v19, 3, v19
	v_bfe_i32 v15, v20, 0, 8
	v_lshrrev_b16 v24, 7, v24
	v_sub_nc_u16 v18, v7, v16
	v_add_nc_u16 v20, v7, v17
	v_and_b32_e32 v17, 0xff, v19
	s_cselect_b32 s4, s17, s13
	v_and_b32_e32 v27, 0xff, v24
	v_sub_nc_u16 v24, v26, v22
	v_bfe_i32 v19, v20, 0, 8
	v_and_b32_e32 v20, 0xfc, v20
	s_waitcnt lgkmcnt(0)
	s_mul_i32 s13, s18, s14
	v_lshrrev_b16 v29, 5, v27
	v_lshrrev_b16 v27, 6, v27
	v_ashrrev_i16 v23, 2, v19
	v_sub_nc_u16 v7, v7, v20
	s_mul_i32 s14, s4, s7
	s_mul_hi_i32 s4, s13, 0x6e
	v_add_nc_u16 v27, v6, v27
	v_bfe_i32 v23, v23, 0, 16
	s_mulk_i32 s13, 0x6e
	s_mov_b32 s15, s9
	s_add_u32 s0, s0, s13
	v_and_b32_e32 v31, 0xfc, v27
	v_lshlrev_b32_e32 v20, 1, v23
	v_lshrrev_b16 v23, 3, v25
	v_add_nc_u16 v25, v26, v21
	v_bfe_i32 v21, v7, 0, 8
	s_addc_u32 s1, s1, s4
	s_lshl_b64 s[14:15], s[14:15], 2
	v_and_b32_e32 v7, 0xff, v23
	v_bfe_i32 v28, v25, 0, 8
	s_add_u32 s2, s2, s14
	s_addc_u32 s3, s3, s15
	v_bfe_i32 v18, v18, 0, 8
	v_lshlrev_b32_e32 v23, 2, v7
	v_lshrrev_b16 v7, 2, v28
	v_add_nc_u16 v28, v6, v29
	v_and_b32_e32 v29, 0xfc, v25
	v_bfe_i32 v24, v24, 0, 8
	v_ashrrev_i32_e32 v13, 31, v12
	v_and_b32_e32 v7, 0xff, v7
	v_bfe_i32 v30, v28, 0, 8
	v_sub_nc_u16 v29, v26, v29
	v_and_b32_e32 v28, 0xf8, v28
	v_ashrrev_i32_e32 v16, 31, v15
	v_lshlrev_b32_e32 v26, 1, v7
	v_lshrrev_b16 v7, 3, v30
	v_bfe_i32 v30, v27, 0, 8
	v_sub_nc_u16 v28, v6, v28
	v_sub_nc_u16 v6, v6, v31
	v_bfe_i32 v27, v29, 0, 8
	v_and_b32_e32 v7, 0xff, v7
	v_lshrrev_b16 v32, 2, v30
	v_bfe_i32 v28, v28, 0, 8
	v_bfe_i32 v31, v6, 0, 8
	v_lshlrev_b32_e32 v17, 2, v17
	v_lshlrev_b32_e32 v30, 2, v7
	v_and_b32_e32 v33, 0xff, v32
	v_mad_u64_u32 v[6:7], null, v10, 36, s[2:3]
	v_ashrrev_i32_e32 v19, 31, v18
	v_ashrrev_i32_e32 v22, 31, v21
	;; [unrolled: 1-line block ×5, first 2 shown]
	v_lshlrev_b32_e32 v33, 1, v33
	v_ashrrev_i32_e32 v34, 31, v31
.LBB262_3:                              ; =>This Inner Loop Header: Depth=1
	v_mad_i64_i32 v[36:37], null, v35, 36, v[6:7]
	v_add_nc_u32_e32 v40, v9, v8
	v_add_nc_u32_e32 v8, 2, v8
	v_add_nc_u32_e32 v35, 16, v35
	s_delay_alu instid0(VALU_DEP_3)
	v_mad_i64_i32 v[38:39], null, 0x6e, v40, s[0:1]
	v_add_co_u32 v40, vcc_lo, v36, v4
	v_add_co_ci_u32_e32 v41, vcc_lo, v37, v5, vcc_lo
	v_add_co_u32 v46, vcc_lo, v36, 36
	v_add_co_ci_u32_e32 v47, vcc_lo, 0, v37, vcc_lo
	;; [unrolled: 2-line block ×6, first 2 shown]
	global_load_b32 v65, v[40:41], off offset:4
	v_add_co_u32 v40, vcc_lo, v46, v4
	v_add_co_ci_u32_e32 v41, vcc_lo, v47, v5, vcc_lo
	v_add_co_u32 v46, vcc_lo, v48, v4
	v_add_co_ci_u32_e32 v47, vcc_lo, v49, v5, vcc_lo
	;; [unrolled: 2-line block ×9, first 2 shown]
	global_load_u16 v64, v[38:39], off offset:108
	v_add_co_u32 v38, vcc_lo, v38, v31
	v_add_co_ci_u32_e32 v39, vcc_lo, v39, v34, vcc_lo
	s_clause 0x5
	global_load_b32 v44, v[44:45], off
	global_load_u8 v45, v[48:49], off offset:96
	global_load_u8 v48, v[50:51], off offset:104
	global_load_b32 v42, v[42:43], off offset:32
	global_load_u8 v43, v[52:53], off offset:96
	global_load_u8 v49, v[54:55], off offset:104
	global_load_b32 v40, v[40:41], off offset:4
	s_clause 0x3
	global_load_u8 v41, v[56:57], off offset:96
	global_load_u8 v50, v[58:59], off offset:104
	;; [unrolled: 1-line block ×4, first 2 shown]
	global_load_b32 v46, v[46:47], off offset:4
	v_add_co_u32 v38, vcc_lo, v62, v4
	v_add_co_ci_u32_e32 v39, vcc_lo, v63, v5, vcc_lo
	s_clause 0x4
	global_load_b32 v38, v[38:39], off offset:4
	global_load_b32 v39, v[36:37], off
	global_load_b32 v47, v[36:37], off offset:36
	global_load_b32 v53, v[36:37], off offset:72
	;; [unrolled: 1-line block ×3, first 2 shown]
	v_cmp_le_u32_e32 vcc_lo, s12, v8
	s_or_b32 s9, vcc_lo, s9
	s_waitcnt vmcnt(18)
	v_perm_b32 v37, v65, v65, 0x30201
	s_waitcnt vmcnt(16)
	v_ashrrev_i32_e32 v44, v10, v44
	s_waitcnt vmcnt(15)
	v_bfe_u32 v45, v45, v2, 4
	s_waitcnt vmcnt(14)
	v_lshrrev_b32_e32 v48, v14, v48
	s_waitcnt vmcnt(13)
	v_lshrrev_b32_e32 v57, 4, v42
	v_and_b32_e32 v54, 0x3030303, v42
	v_not_b32_e32 v44, v44
	s_waitcnt vmcnt(11)
	v_lshrrev_b32_e32 v49, v20, v49
	v_lshlrev_b32_e32 v48, 4, v48
	s_waitcnt vmcnt(8)
	v_lshrrev_b32_e32 v50, v26, v50
	v_lshrrev_b32_e32 v56, 2, v42
	v_bfe_u32 v41, v41, v23, 4
	s_waitcnt vmcnt(6)
	v_lshrrev_b32_e32 v52, v33, v52
	v_and_or_b32 v45, v48, 48, v45
	v_lshlrev_b32_e32 v48, 2, v44
	v_lshrrev_b32_e32 v58, 6, v42
	v_lshlrev_b32_e32 v50, 4, v50
	v_and_b32_e32 v62, 0x3030303, v57
	v_lshlrev_b32_e32 v65, 1, v44
	v_and_b32_e32 v67, 0x4040404, v44
	v_lshrrev_b32_e32 v44, 1, v44
	v_and_b32_e32 v48, 0x4040404, v48
	v_bfe_u32 v55, v42, 24, 2
	v_bfe_u32 v43, v43, v17, 4
	;; [unrolled: 1-line block ×3, first 2 shown]
	v_lshrrev_b16 v59, 8, v54
	v_lshrrev_b32_e32 v60, 16, v54
	v_lshlrev_b32_e32 v49, 4, v49
	v_and_b32_e32 v61, 0x3030303, v56
	v_bfe_u32 v57, v57, 24, 2
	v_lshlrev_b32_e32 v52, 4, v52
	v_and_b32_e32 v58, 0x3030303, v58
	v_and_or_b32 v41, v50, 48, v41
	v_lshrrev_b16 v50, 8, v62
	v_lshrrev_b32_e32 v66, 16, v62
	v_and_b32_e32 v65, 0x4040404, v65
	v_lshrrev_b16 v69, 8, v67
	v_lshrrev_b32_e32 v70, 16, v67
	v_lshrrev_b32_e32 v71, 24, v67
	v_sub_nc_u16 v62, v62, v67
	v_and_b32_e32 v44, 0x4040404, v44
	v_lshrrev_b16 v67, 8, v48
	v_lshrrev_b32_e32 v72, 16, v48
	v_lshrrev_b32_e32 v73, 24, v48
	v_bfe_u32 v56, v56, 24, 2
	v_and_or_b32 v43, v49, 48, v43
	v_lshrrev_b16 v49, 8, v61
	v_lshrrev_b32_e32 v63, 16, v61
	v_and_or_b32 v51, v52, 48, v51
	v_lshrrev_b16 v52, 8, v58
	v_lshrrev_b32_e32 v68, 16, v58
	v_sub_nc_u16 v48, v54, v48
	v_lshrrev_b16 v54, 8, v65
	v_lshrrev_b32_e32 v74, 16, v65
	v_lshrrev_b32_e32 v75, 24, v65
	v_sub_nc_u16 v61, v61, v65
	v_sub_nc_u16 v57, v57, v71
	;; [unrolled: 1-line block ×4, first 2 shown]
	v_lshrrev_b16 v69, 8, v44
	v_lshrrev_b32_e32 v70, 16, v44
	v_lshrrev_b32_e32 v71, 24, v44
	v_sub_nc_u16 v44, v58, v44
	v_sub_nc_u16 v55, v55, v73
	;; [unrolled: 1-line block ×4, first 2 shown]
	v_lshrrev_b32_e32 v42, 30, v42
	v_and_b32_e32 v60, 0xff, v48
	v_sub_nc_u16 v56, v56, v75
	v_sub_nc_u16 v63, v63, v74
	;; [unrolled: 1-line block ×3, first 2 shown]
	v_lshlrev_b16 v54, 8, v57
	v_and_b32_e32 v57, 0xff, v65
	v_sub_nc_u16 v52, v52, v69
	v_lshlrev_b16 v55, 8, v55
	v_and_b32_e32 v69, 0xff, v58
	v_lshlrev_b16 v59, 8, v59
	v_and_b32_e32 v67, 0xff, v61
	v_sub_nc_u16 v42, v42, v71
	v_lshlrev_b16 v56, 8, v56
	v_and_b32_e32 v71, 0xff, v63
	v_lshlrev_b16 v49, 8, v49
	v_or_b32_e32 v54, v57, v54
	v_or_b32_e32 v57, v60, v59
	;; [unrolled: 1-line block ×3, first 2 shown]
	v_and_b32_e32 v66, 0xff, v62
	v_lshlrev_b16 v50, 8, v50
	v_sub_nc_u16 v68, v68, v70
	v_or_b32_e32 v56, v71, v56
	v_or_b32_e32 v49, v67, v49
	v_perm_b32 v57, v58, v57, 0xc0c0401
	v_perm_b32 v48, v48, v55, 0x4010c0c
	v_and_b32_e32 v70, 0xff, v44
	v_or_b32_e32 v50, v66, v50
	v_lshlrev_b16 v42, 8, v42
	v_and_b32_e32 v59, 0xff, v68
	v_lshlrev_b16 v52, 8, v52
	v_perm_b32 v49, v63, v49, 0xc0c0401
	v_perm_b32 v55, v61, v56, 0x4010c0c
	v_or_b32_e32 v48, v48, v57
	v_perm_b32 v40, v40, v40, 0x30201
	v_subrev_nc_u32_e32 v45, 32, v45
	v_perm_b32 v50, v65, v50, 0xc0c0401
	v_perm_b32 v54, v62, v54, 0x4010c0c
	v_or_b32_e32 v52, v70, v52
	v_or_b32_e32 v42, v59, v42
	;; [unrolled: 1-line block ×3, first 2 shown]
	v_dot4_i32_iu8 v37, v48, v37, 0 neg_lo:[1,1,0]
	s_waitcnt vmcnt(5)
	v_perm_b32 v46, v46, v46, 0x30201
	v_subrev_nc_u32_e32 v43, 32, v43
	v_or_b32_e32 v48, v54, v50
	v_perm_b32 v44, v52, v44, 0xc0c0500
	v_perm_b32 v42, v42, v68, 0x5000c0c
	v_dot4_i32_iu8 v40, v49, v40, 0 neg_lo:[1,1,0]
	v_mul_lo_u32 v37, v45, v37
	v_subrev_nc_u32_e32 v41, 32, v41
	v_dot4_i32_iu8 v45, v48, v46, 0 neg_lo:[1,1,0]
	v_or_b32_e32 v42, v42, v44
	v_mul_lo_u32 v40, v43, v40
	v_subrev_nc_u32_e32 v43, 32, v51
	s_delay_alu instid0(VALU_DEP_4)
	v_mul_lo_u32 v41, v41, v45
	v_cvt_f32_i32_e32 v37, v37
	s_waitcnt vmcnt(4)
	v_dot4_i32_iu8 v38, v38, v42, 0 neg_lo:[1,1,0]
	v_cvt_f32_i32_e32 v40, v40
	s_waitcnt vmcnt(3)
	v_fma_mix_f32 v37, v39, v37, 0 op_sel_hi:[1,0,0]
	s_delay_alu instid0(VALU_DEP_3) | instskip(SKIP_2) | instid1(VALU_DEP_3)
	v_mul_lo_u32 v38, v43, v38
	v_cvt_f32_i32_e32 v39, v41
	s_waitcnt vmcnt(2)
	v_fma_mix_f32 v37, v47, v40, v37 op_sel_hi:[1,0,0]
	s_delay_alu instid0(VALU_DEP_3) | instskip(SKIP_1) | instid1(VALU_DEP_2)
	v_cvt_f32_i32_e32 v38, v38
	s_waitcnt vmcnt(1)
	v_fma_mix_f32 v37, v53, v39, v37 op_sel_hi:[1,0,0]
	s_waitcnt vmcnt(0)
	s_delay_alu instid0(VALU_DEP_1) | instskip(NEXT) | instid1(VALU_DEP_1)
	v_fma_mix_f32 v36, v36, v38, v37 op_sel_hi:[1,0,0]
	v_fma_mix_f32 v3, v36, v64, v3 op_sel_hi:[0,1,0]
	s_and_not1_b32 exec_lo, exec_lo, s9
	s_cbranch_execnz .LBB262_3
; %bb.4:
	s_or_b32 exec_lo, exec_lo, s9
.LBB262_5:
	s_delay_alu instid0(SALU_CYCLE_1) | instskip(SKIP_1) | instid1(VALU_DEP_1)
	s_or_b32 exec_lo, exec_lo, s5
	v_mbcnt_lo_u32_b32 v2, -1, 0
	v_xor_b32_e32 v4, 16, v2
	v_xor_b32_e32 v5, 8, v2
	s_delay_alu instid0(VALU_DEP_2) | instskip(SKIP_1) | instid1(VALU_DEP_3)
	v_cmp_gt_i32_e32 vcc_lo, 32, v4
	v_cndmask_b32_e32 v4, v2, v4, vcc_lo
	v_cmp_gt_i32_e32 vcc_lo, 32, v5
	v_cndmask_b32_e32 v5, v2, v5, vcc_lo
	s_delay_alu instid0(VALU_DEP_1) | instskip(NEXT) | instid1(VALU_DEP_4)
	v_lshlrev_b32_e32 v5, 2, v5
	v_lshlrev_b32_e32 v4, 2, v4
	ds_bpermute_b32 v4, v4, v3
	s_waitcnt lgkmcnt(0)
	v_add_f32_e32 v3, v3, v4
	ds_bpermute_b32 v4, v5, v3
	v_xor_b32_e32 v5, 4, v2
	s_delay_alu instid0(VALU_DEP_1) | instskip(SKIP_1) | instid1(VALU_DEP_1)
	v_cmp_gt_i32_e32 vcc_lo, 32, v5
	v_cndmask_b32_e32 v5, v2, v5, vcc_lo
	v_lshlrev_b32_e32 v5, 2, v5
	s_waitcnt lgkmcnt(0)
	v_add_f32_e32 v3, v3, v4
	ds_bpermute_b32 v4, v5, v3
	v_xor_b32_e32 v5, 2, v2
	s_delay_alu instid0(VALU_DEP_1) | instskip(SKIP_1) | instid1(VALU_DEP_1)
	v_cmp_gt_i32_e32 vcc_lo, 32, v5
	v_cndmask_b32_e32 v5, v2, v5, vcc_lo
	v_lshlrev_b32_e32 v5, 2, v5
	s_waitcnt lgkmcnt(0)
	v_add_f32_e32 v3, v3, v4
	ds_bpermute_b32 v4, v5, v3
	v_xor_b32_e32 v5, 1, v2
	s_delay_alu instid0(VALU_DEP_1) | instskip(SKIP_3) | instid1(VALU_DEP_2)
	v_cmp_gt_i32_e32 vcc_lo, 32, v5
	v_cndmask_b32_e32 v5, v2, v5, vcc_lo
	v_cmp_eq_u32_e32 vcc_lo, 0, v0
	s_waitcnt lgkmcnt(0)
	v_dual_add_f32 v2, v3, v4 :: v_dual_lshlrev_b32 v3, 2, v5
	ds_bpermute_b32 v3, v3, v2
	s_and_b32 exec_lo, exec_lo, vcc_lo
	s_cbranch_execz .LBB262_7
; %bb.6:
	v_mad_u64_u32 v[4:5], null, s8, s6, v[1:2]
	s_waitcnt lgkmcnt(0)
	v_dual_mov_b32 v5, 0 :: v_dual_add_f32 v2, v2, v3
	s_delay_alu instid0(VALU_DEP_1) | instskip(NEXT) | instid1(VALU_DEP_2)
	v_cvt_f16_f32_e32 v2, v2
	v_lshlrev_b64 v[0:1], 1, v[4:5]
	s_delay_alu instid0(VALU_DEP_1) | instskip(NEXT) | instid1(VALU_DEP_2)
	v_add_co_u32 v0, vcc_lo, s10, v0
	v_add_co_ci_u32_e32 v1, vcc_lo, s11, v1, vcc_lo
	global_store_b16 v[0:1], v2, off
.LBB262_7:
	s_nop 0
	s_sendmsg sendmsg(MSG_DEALLOC_VGPRS)
	s_endpgm
	.section	.rodata,"a",@progbits
	.p2align	6, 0x0
	.amdhsa_kernel _ZL9moe_vec_qIN3c104HalfELi256ELi16E10block_q3_KLi1EXadL_ZL17vec_dot_q3_K_q8_1PKvPK10block_q8_1RKiEEEvS4_S4_PT_PS8_iiii
		.amdhsa_group_segment_fixed_size 0
		.amdhsa_private_segment_fixed_size 0
		.amdhsa_kernarg_size 304
		.amdhsa_user_sgpr_count 14
		.amdhsa_user_sgpr_dispatch_ptr 0
		.amdhsa_user_sgpr_queue_ptr 0
		.amdhsa_user_sgpr_kernarg_segment_ptr 1
		.amdhsa_user_sgpr_dispatch_id 0
		.amdhsa_user_sgpr_private_segment_size 0
		.amdhsa_wavefront_size32 1
		.amdhsa_uses_dynamic_stack 0
		.amdhsa_enable_private_segment 0
		.amdhsa_system_sgpr_workgroup_id_x 1
		.amdhsa_system_sgpr_workgroup_id_y 0
		.amdhsa_system_sgpr_workgroup_id_z 1
		.amdhsa_system_sgpr_workgroup_info 0
		.amdhsa_system_vgpr_workitem_id 1
		.amdhsa_next_free_vgpr 76
		.amdhsa_next_free_sgpr 20
		.amdhsa_reserve_vcc 1
		.amdhsa_float_round_mode_32 0
		.amdhsa_float_round_mode_16_64 0
		.amdhsa_float_denorm_mode_32 3
		.amdhsa_float_denorm_mode_16_64 3
		.amdhsa_dx10_clamp 1
		.amdhsa_ieee_mode 1
		.amdhsa_fp16_overflow 0
		.amdhsa_workgroup_processor_mode 1
		.amdhsa_memory_ordered 1
		.amdhsa_forward_progress 0
		.amdhsa_shared_vgpr_count 0
		.amdhsa_exception_fp_ieee_invalid_op 0
		.amdhsa_exception_fp_denorm_src 0
		.amdhsa_exception_fp_ieee_div_zero 0
		.amdhsa_exception_fp_ieee_overflow 0
		.amdhsa_exception_fp_ieee_underflow 0
		.amdhsa_exception_fp_ieee_inexact 0
		.amdhsa_exception_int_div_zero 0
	.end_amdhsa_kernel
	.section	.text._ZL9moe_vec_qIN3c104HalfELi256ELi16E10block_q3_KLi1EXadL_ZL17vec_dot_q3_K_q8_1PKvPK10block_q8_1RKiEEEvS4_S4_PT_PS8_iiii,"axG",@progbits,_ZL9moe_vec_qIN3c104HalfELi256ELi16E10block_q3_KLi1EXadL_ZL17vec_dot_q3_K_q8_1PKvPK10block_q8_1RKiEEEvS4_S4_PT_PS8_iiii,comdat
.Lfunc_end262:
	.size	_ZL9moe_vec_qIN3c104HalfELi256ELi16E10block_q3_KLi1EXadL_ZL17vec_dot_q3_K_q8_1PKvPK10block_q8_1RKiEEEvS4_S4_PT_PS8_iiii, .Lfunc_end262-_ZL9moe_vec_qIN3c104HalfELi256ELi16E10block_q3_KLi1EXadL_ZL17vec_dot_q3_K_q8_1PKvPK10block_q8_1RKiEEEvS4_S4_PT_PS8_iiii
                                        ; -- End function
	.section	.AMDGPU.csdata,"",@progbits
; Kernel info:
; codeLenInByte = 2780
; NumSgprs: 22
; NumVgprs: 76
; ScratchSize: 0
; MemoryBound: 0
; FloatMode: 240
; IeeeMode: 1
; LDSByteSize: 0 bytes/workgroup (compile time only)
; SGPRBlocks: 2
; VGPRBlocks: 9
; NumSGPRsForWavesPerEU: 22
; NumVGPRsForWavesPerEU: 76
; Occupancy: 16
; WaveLimiterHint : 1
; COMPUTE_PGM_RSRC2:SCRATCH_EN: 0
; COMPUTE_PGM_RSRC2:USER_SGPR: 14
; COMPUTE_PGM_RSRC2:TRAP_HANDLER: 0
; COMPUTE_PGM_RSRC2:TGID_X_EN: 1
; COMPUTE_PGM_RSRC2:TGID_Y_EN: 0
; COMPUTE_PGM_RSRC2:TGID_Z_EN: 1
; COMPUTE_PGM_RSRC2:TIDIG_COMP_CNT: 1
	.section	.text._ZL9moe_vec_qIN3c104HalfELi256ELi32E10block_q4_KLi2EXadL_ZL17vec_dot_q4_K_q8_1PKvPK10block_q8_1RKiEEEvS4_S4_PT_PS8_iiii,"axG",@progbits,_ZL9moe_vec_qIN3c104HalfELi256ELi32E10block_q4_KLi2EXadL_ZL17vec_dot_q4_K_q8_1PKvPK10block_q8_1RKiEEEvS4_S4_PT_PS8_iiii,comdat
	.globl	_ZL9moe_vec_qIN3c104HalfELi256ELi32E10block_q4_KLi2EXadL_ZL17vec_dot_q4_K_q8_1PKvPK10block_q8_1RKiEEEvS4_S4_PT_PS8_iiii ; -- Begin function _ZL9moe_vec_qIN3c104HalfELi256ELi32E10block_q4_KLi2EXadL_ZL17vec_dot_q4_K_q8_1PKvPK10block_q8_1RKiEEEvS4_S4_PT_PS8_iiii
	.p2align	8
	.type	_ZL9moe_vec_qIN3c104HalfELi256ELi32E10block_q4_KLi2EXadL_ZL17vec_dot_q4_K_q8_1PKvPK10block_q8_1RKiEEEvS4_S4_PT_PS8_iiii,@function
_ZL9moe_vec_qIN3c104HalfELi256ELi32E10block_q4_KLi2EXadL_ZL17vec_dot_q4_K_q8_1PKvPK10block_q8_1RKiEEEvS4_S4_PT_PS8_iiii: ; @_ZL9moe_vec_qIN3c104HalfELi256ELi32E10block_q4_KLi2EXadL_ZL17vec_dot_q4_K_q8_1PKvPK10block_q8_1RKiEEEvS4_S4_PT_PS8_iiii
; %bb.0:
	s_clause 0x1
	s_load_b32 s2, s[0:1], 0x3c
	s_load_b128 s[4:7], s[0:1], 0x20
	v_bfe_u32 v3, v0, 10, 10
	s_waitcnt lgkmcnt(0)
	s_lshr_b32 s2, s2, 16
	s_delay_alu instid0(VALU_DEP_1) | instid1(SALU_CYCLE_1)
	v_mad_u64_u32 v[1:2], null, s14, s2, v[3:4]
	s_mov_b32 s2, exec_lo
	s_delay_alu instid0(VALU_DEP_1)
	v_cmpx_gt_u32_e64 s6, v1
	s_cbranch_execz .LBB263_11
; %bb.1:
	s_load_b64 s[10:11], s[0:1], 0x10
	v_dual_mov_b32 v9, 0 :: v_dual_and_b32 v0, 0x3ff, v0
	s_ashr_i32 s2, s5, 31
	s_mov_b32 s8, s15
	s_lshr_b32 s2, s2, 24
	s_delay_alu instid0(VALU_DEP_1)
	v_lshrrev_b32_e32 v8, 4, v0
	s_add_i32 s2, s5, s2
	s_mov_b32 s5, exec_lo
	s_ashr_i32 s14, s2, 8
	s_delay_alu instid0(VALU_DEP_1) | instid1(SALU_CYCLE_1)
	v_cmpx_gt_u32_e64 s14, v8
	s_cbranch_execz .LBB263_9
; %bb.2:
	s_load_b64 s[2:3], s[0:1], 0x18
	s_mov_b32 s9, 0
	v_cvt_f32_u32_e32 v2, s4
	s_lshl_b64 s[12:13], s[8:9], 2
	v_and_b32_e32 v4, 3, v0
	v_mul_lo_u32 v10, v1, s14
	v_lshlrev_b32_e32 v13, 3, v8
	v_rcp_iflag_f32_e32 v2, v2
	v_mov_b32_e32 v9, 0
	v_lshlrev_b32_e32 v11, 2, v4
	s_waitcnt_depctr 0xfff
	v_dual_mul_f32 v2, 0x4f7ffffe, v2 :: v_dual_lshlrev_b32 v15, 2, v4
	s_waitcnt lgkmcnt(0)
	s_add_u32 s2, s2, s12
	s_addc_u32 s3, s3, s13
	s_delay_alu instid0(VALU_DEP_1) | instskip(SKIP_3) | instid1(VALU_DEP_1)
	v_cvt_u32_f32_e32 v2, v2
	s_load_b32 s12, s[2:3], 0x0
	s_load_b128 s[0:3], s[0:1], 0x0
	s_mul_i32 s13, s14, s6
	v_readfirstlane_b32 s15, v2
	v_lshlrev_b32_e32 v2, 1, v0
	s_delay_alu instid0(VALU_DEP_1) | instskip(SKIP_1) | instid1(VALU_DEP_2)
	v_bfe_u32 v5, v2, 3, 2
	v_and_b32_e32 v2, 30, v2
	v_lshlrev_b32_e32 v6, 1, v5
	s_delay_alu instid0(VALU_DEP_2) | instskip(SKIP_4) | instid1(SALU_CYCLE_1)
	v_cmp_lt_u32_e32 vcc_lo, 15, v2
	v_lshlrev_b32_e32 v12, 5, v5
	v_lshlrev_b32_e32 v14, 1, v5
	s_waitcnt lgkmcnt(0)
	s_mul_i32 s12, s13, s12
	s_mul_i32 s13, s12, 0x90
	s_mul_hi_i32 s16, s12, 0x90
	s_add_u32 s12, s0, s13
	s_addc_u32 s13, s1, s16
	s_sub_i32 s0, 0, s4
	s_mov_b32 s1, s9
	s_mul_i32 s0, s0, s15
	s_delay_alu instid0(SALU_CYCLE_1) | instskip(NEXT) | instid1(SALU_CYCLE_1)
	s_mul_hi_u32 s0, s15, s0
	s_add_i32 s15, s15, s0
	s_delay_alu instid0(SALU_CYCLE_1) | instskip(NEXT) | instid1(SALU_CYCLE_1)
	s_mul_hi_u32 s0, s8, s15
	s_mul_i32 s15, s0, s4
	s_add_i32 s16, s0, 1
	s_sub_i32 s15, s8, s15
	s_delay_alu instid0(SALU_CYCLE_1)
	s_sub_i32 s17, s15, s4
	s_cmp_ge_u32 s15, s4
	s_cselect_b32 s0, s16, s0
	s_cselect_b32 s15, s17, s15
	s_add_i32 s16, s0, 1
	s_cmp_ge_u32 s15, s4
	s_cselect_b32 s0, s16, s0
	s_delay_alu instid0(SALU_CYCLE_1) | instskip(NEXT) | instid1(SALU_CYCLE_1)
	s_mul_i32 s0, s0, s7
	s_lshl_b64 s[0:1], s[0:1], 2
	s_delay_alu instid0(SALU_CYCLE_1) | instskip(SKIP_1) | instid1(SALU_CYCLE_1)
	s_add_u32 s0, s2, s0
	s_addc_u32 s1, s3, s1
	v_mad_u64_u32 v[2:3], null, v6, 36, s[0:1]
	s_branch .LBB263_4
.LBB263_3:                              ;   in Loop: Header=BB263_4 Depth=1
	s_or_b32 exec_lo, exec_lo, s0
	v_mad_i64_i32 v[6:7], null, v13, 36, v[2:3]
	s_waitcnt vmcnt(1)
	v_and_b32_e32 v25, 15, v16
	v_bfe_u32 v26, v16, 8, 4
	v_bfe_u32 v27, v16, 16, 4
	;; [unrolled: 1-line block ×3, first 2 shown]
	v_ashrrev_i32_e32 v16, 4, v16
	s_waitcnt vmcnt(0)
	v_and_b32_e32 v29, 15, v17
	v_add_co_u32 v20, s0, v6, v15
	s_delay_alu instid0(VALU_DEP_1)
	v_add_co_ci_u32_e64 v21, s0, 0, v7, s0
	v_bfe_u32 v30, v17, 8, 4
	v_bfe_u32 v31, v17, 16, 4
	;; [unrolled: 1-line block ×3, first 2 shown]
	s_clause 0x3
	global_load_b32 v22, v[20:21], off offset:4
	global_load_b32 v23, v[20:21], off offset:20
	;; [unrolled: 1-line block ×4, first 2 shown]
	global_load_b32 v4, v[4:5], off
	s_clause 0x1
	global_load_b32 v5, v[6:7], off
	global_load_b32 v6, v[6:7], off offset:36
	v_ashrrev_i32_e32 v17, 4, v17
	v_and_b32_e32 v33, 15, v16
	v_bfe_u32 v34, v16, 8, 4
	v_bfe_u32 v35, v16, 16, 4
	v_lshrrev_b16 v7, 8, v18
	v_and_b32_e32 v36, 15, v17
	v_and_b32_e32 v18, 0xff, v18
	v_bfe_u32 v16, v16, 24, 4
	v_bfe_u32 v37, v17, 8, 4
	v_lshrrev_b16 v21, 8, v19
	v_and_b32_e32 v19, 0xff, v19
	v_and_b32_e32 v18, 0xffff, v18
	v_bfe_u32 v38, v17, 16, 4
	v_bfe_u32 v17, v17, 24, 4
	v_and_b32_e32 v7, 0xffff, v7
	v_and_b32_e32 v19, 0xffff, v19
	;; [unrolled: 1-line block ×3, first 2 shown]
	v_add_nc_u32_e32 v8, 2, v8
	v_add_nc_u32_e32 v13, 16, v13
	s_delay_alu instid0(VALU_DEP_2) | instskip(NEXT) | instid1(VALU_DEP_1)
	v_cmp_le_u32_e64 s0, s14, v8
	s_or_b32 s9, s0, s9
	s_waitcnt vmcnt(6)
	v_bfe_i32 v39, v22, 0, 8
	s_waitcnt vmcnt(5)
	v_bfe_i32 v42, v23, 0, 8
	v_bfe_i32 v40, v22, 8, 8
	;; [unrolled: 1-line block ×3, first 2 shown]
	s_waitcnt vmcnt(4)
	v_bfe_i32 v45, v24, 0, 8
	s_waitcnt vmcnt(3)
	v_bfe_i32 v48, v20, 0, 8
	v_mul_i32_i24_e32 v25, v39, v25
	v_add_nc_u32_e32 v39, v42, v39
	v_ashrrev_i32_e32 v22, 24, v22
	v_bfe_i32 v43, v23, 8, 8
	v_bfe_i32 v46, v24, 8, 8
	v_bfe_i32 v47, v24, 16, 8
	v_mul_i32_i24_e32 v26, v40, v26
	v_mul_i32_i24_e32 v27, v41, v27
	;; [unrolled: 1-line block ×3, first 2 shown]
	v_add_nc_u32_e32 v45, v48, v45
	v_mad_i32_i24 v25, v42, v29, v25
	v_add3_u32 v29, v39, v40, v41
	v_bfe_i32 v44, v23, 16, 8
	v_ashrrev_i32_e32 v23, 24, v23
	v_ashrrev_i32_e32 v24, 24, v24
	v_bfe_i32 v49, v20, 8, 8
	v_mul_i32_i24_e32 v28, v22, v28
	v_mul_i32_i24_e32 v30, v43, v30
	;; [unrolled: 1-line block ×4, first 2 shown]
	v_mad_i32_i24 v33, v48, v36, v33
	v_add3_u32 v36, v45, v46, v47
	v_add3_u32 v25, v25, v26, v27
	;; [unrolled: 1-line block ×3, first 2 shown]
	v_bfe_i32 v50, v20, 16, 8
	v_ashrrev_i32_e32 v20, 24, v20
	v_mul_i32_i24_e32 v31, v44, v31
	v_mul_i32_i24_e32 v32, v23, v32
	;; [unrolled: 1-line block ×4, first 2 shown]
	v_add3_u32 v27, v33, v34, v35
	v_add3_u32 v24, v36, v24, v49
	;; [unrolled: 1-line block ×4, first 2 shown]
	v_mul_i32_i24_e32 v26, v50, v38
	v_mul_i32_i24_e32 v17, v20, v17
	v_add3_u32 v16, v27, v16, v37
	v_add3_u32 v20, v24, v50, v20
	;; [unrolled: 1-line block ×3, first 2 shown]
	v_mul_lo_u32 v18, v22, v18
	s_delay_alu instid0(VALU_DEP_4) | instskip(NEXT) | instid1(VALU_DEP_4)
	v_add3_u32 v16, v16, v26, v17
	v_mul_lo_u32 v7, v20, v7
	s_delay_alu instid0(VALU_DEP_4) | instskip(SKIP_4) | instid1(VALU_DEP_3)
	v_mul_lo_u32 v17, v23, v19
	s_waitcnt vmcnt(2)
	v_lshrrev_b32_e32 v19, 16, v4
	v_mul_lo_u32 v16, v16, v21
	v_cvt_f32_i32_e32 v18, v18
	v_cvt_f32_f16_e32 v19, v19
	v_cvt_f32_i32_e32 v7, v7
	v_cvt_f32_i32_e32 v17, v17
	s_waitcnt vmcnt(1)
	v_fma_mix_f32 v18, v5, v18, 0 op_sel_hi:[1,0,0]
	v_cvt_f32_i32_e32 v16, v16
	s_delay_alu instid0(VALU_DEP_3) | instskip(SKIP_1) | instid1(VALU_DEP_3)
	v_fma_mix_f32 v5, v5, v17, 0 op_sel_hi:[1,0,0]
	s_waitcnt vmcnt(0)
	v_fma_mix_f32 v7, v6, v7, v18 op_sel_hi:[1,0,0]
	s_delay_alu instid0(VALU_DEP_2) | instskip(NEXT) | instid1(VALU_DEP_2)
	v_fma_mix_f32 v5, v6, v16, v5 op_sel_hi:[1,0,0]
	v_mul_f32_e32 v6, v7, v19
	s_delay_alu instid0(VALU_DEP_1) | instskip(NEXT) | instid1(VALU_DEP_1)
	v_fma_mix_f32 v4, v5, v4, -v6 op_sel_hi:[0,1,0]
	v_add_f32_e32 v9, v9, v4
	s_and_not1_b32 exec_lo, exec_lo, s9
	s_cbranch_execz .LBB263_8
.LBB263_4:                              ; =>This Inner Loop Header: Depth=1
	v_add_nc_u32_e32 v6, v10, v8
                                        ; implicit-def: $vgpr19
                                        ; implicit-def: $vgpr18
	s_delay_alu instid0(VALU_DEP_1) | instskip(NEXT) | instid1(VALU_DEP_1)
	v_mad_i64_i32 v[4:5], null, 0x90, v6, s[12:13]
	v_add_co_u32 v6, s0, v4, v12
	s_delay_alu instid0(VALU_DEP_1) | instskip(NEXT) | instid1(VALU_DEP_2)
	v_add_co_ci_u32_e64 v7, s0, 0, v5, s0
	v_add_co_u32 v6, s0, v6, v11
	s_delay_alu instid0(VALU_DEP_1) | instskip(SKIP_4) | instid1(VALU_DEP_1)
	v_add_co_ci_u32_e64 v7, s0, 0, v7, s0
	s_clause 0x1
	global_load_b32 v16, v[6:7], off offset:16
	global_load_b32 v17, v[6:7], off offset:32
	v_add_co_u32 v6, s0, v4, v14
	v_add_co_ci_u32_e64 v7, s0, 0, v5, s0
	s_and_saveexec_b32 s0, vcc_lo
	s_delay_alu instid0(SALU_CYCLE_1)
	s_xor_b32 s0, exec_lo, s0
	s_cbranch_execz .LBB263_6
; %bb.5:                                ;   in Loop: Header=BB263_4 Depth=1
	s_clause 0x2
	global_load_u16 v18, v[6:7], off
	global_load_u16 v19, v[6:7], off offset:8
	global_load_u16 v6, v[6:7], off offset:4
	s_waitcnt vmcnt(2)
	v_lshrrev_b16 v7, 2, v18
	s_waitcnt vmcnt(1)
	v_lshrrev_b16 v18, 4, v19
	;; [unrolled: 2-line block ×3, first 2 shown]
	v_and_b32_e32 v19, 0xf0f, v19
	v_and_b32_e32 v7, 0x3030, v7
	;; [unrolled: 1-line block ×3, first 2 shown]
	s_delay_alu instid0(VALU_DEP_4) | instskip(NEXT) | instid1(VALU_DEP_3)
	v_and_b32_e32 v6, 0x3030, v6
	v_or_b32_e32 v19, v7, v19
	s_delay_alu instid0(VALU_DEP_2)
	v_or_b32_e32 v18, v6, v18
                                        ; implicit-def: $vgpr6_vgpr7
.LBB263_6:                              ;   in Loop: Header=BB263_4 Depth=1
	s_and_not1_saveexec_b32 s0, s0
	s_cbranch_execz .LBB263_3
; %bb.7:                                ;   in Loop: Header=BB263_4 Depth=1
	s_clause 0x1
	global_load_u16 v18, v[6:7], off offset:4
	global_load_u16 v6, v[6:7], off offset:8
	s_waitcnt vmcnt(1)
	v_and_b32_e32 v19, 0x3f3f, v18
	s_waitcnt vmcnt(0)
	v_and_b32_e32 v18, 0x3f3f, v6
	s_branch .LBB263_3
.LBB263_8:
	s_or_b32 exec_lo, exec_lo, s9
.LBB263_9:
	s_delay_alu instid0(SALU_CYCLE_1) | instskip(SKIP_1) | instid1(VALU_DEP_1)
	s_or_b32 exec_lo, exec_lo, s5
	v_mbcnt_lo_u32_b32 v2, -1, 0
	v_xor_b32_e32 v3, 16, v2
	v_xor_b32_e32 v4, 8, v2
	;; [unrolled: 1-line block ×3, first 2 shown]
	s_delay_alu instid0(VALU_DEP_3) | instskip(SKIP_1) | instid1(VALU_DEP_4)
	v_cmp_gt_i32_e32 vcc_lo, 32, v3
	v_cndmask_b32_e32 v3, v2, v3, vcc_lo
	v_cmp_gt_i32_e32 vcc_lo, 32, v4
	v_cndmask_b32_e32 v4, v2, v4, vcc_lo
	v_cmp_gt_i32_e32 vcc_lo, 32, v5
	s_delay_alu instid0(VALU_DEP_2)
	v_lshlrev_b32_e32 v4, 2, v4
	v_lshlrev_b32_e32 v3, 2, v3
	v_cndmask_b32_e32 v5, v2, v5, vcc_lo
	ds_bpermute_b32 v3, v3, v9
	v_lshlrev_b32_e32 v5, 2, v5
	s_waitcnt lgkmcnt(0)
	v_add_f32_e32 v3, v9, v3
	ds_bpermute_b32 v4, v4, v3
	s_waitcnt lgkmcnt(0)
	v_add_f32_e32 v3, v3, v4
	ds_bpermute_b32 v4, v5, v3
	v_xor_b32_e32 v5, 2, v2
	s_delay_alu instid0(VALU_DEP_1) | instskip(SKIP_1) | instid1(VALU_DEP_1)
	v_cmp_gt_i32_e32 vcc_lo, 32, v5
	v_cndmask_b32_e32 v5, v2, v5, vcc_lo
	v_lshlrev_b32_e32 v5, 2, v5
	s_waitcnt lgkmcnt(0)
	v_add_f32_e32 v3, v3, v4
	ds_bpermute_b32 v4, v5, v3
	v_xor_b32_e32 v5, 1, v2
	s_delay_alu instid0(VALU_DEP_1) | instskip(SKIP_3) | instid1(VALU_DEP_2)
	v_cmp_gt_i32_e32 vcc_lo, 32, v5
	v_cndmask_b32_e32 v5, v2, v5, vcc_lo
	v_cmp_eq_u32_e32 vcc_lo, 0, v0
	s_waitcnt lgkmcnt(0)
	v_dual_add_f32 v2, v3, v4 :: v_dual_lshlrev_b32 v3, 2, v5
	ds_bpermute_b32 v3, v3, v2
	s_and_b32 exec_lo, exec_lo, vcc_lo
	s_cbranch_execz .LBB263_11
; %bb.10:
	v_mad_u64_u32 v[4:5], null, s8, s6, v[1:2]
	s_waitcnt lgkmcnt(0)
	v_dual_mov_b32 v5, 0 :: v_dual_add_f32 v2, v2, v3
	s_delay_alu instid0(VALU_DEP_1) | instskip(NEXT) | instid1(VALU_DEP_2)
	v_cvt_f16_f32_e32 v2, v2
	v_lshlrev_b64 v[0:1], 1, v[4:5]
	s_delay_alu instid0(VALU_DEP_1) | instskip(NEXT) | instid1(VALU_DEP_2)
	v_add_co_u32 v0, vcc_lo, s10, v0
	v_add_co_ci_u32_e32 v1, vcc_lo, s11, v1, vcc_lo
	global_store_b16 v[0:1], v2, off
.LBB263_11:
	s_nop 0
	s_sendmsg sendmsg(MSG_DEALLOC_VGPRS)
	s_endpgm
	.section	.rodata,"a",@progbits
	.p2align	6, 0x0
	.amdhsa_kernel _ZL9moe_vec_qIN3c104HalfELi256ELi32E10block_q4_KLi2EXadL_ZL17vec_dot_q4_K_q8_1PKvPK10block_q8_1RKiEEEvS4_S4_PT_PS8_iiii
		.amdhsa_group_segment_fixed_size 0
		.amdhsa_private_segment_fixed_size 0
		.amdhsa_kernarg_size 304
		.amdhsa_user_sgpr_count 14
		.amdhsa_user_sgpr_dispatch_ptr 0
		.amdhsa_user_sgpr_queue_ptr 0
		.amdhsa_user_sgpr_kernarg_segment_ptr 1
		.amdhsa_user_sgpr_dispatch_id 0
		.amdhsa_user_sgpr_private_segment_size 0
		.amdhsa_wavefront_size32 1
		.amdhsa_uses_dynamic_stack 0
		.amdhsa_enable_private_segment 0
		.amdhsa_system_sgpr_workgroup_id_x 1
		.amdhsa_system_sgpr_workgroup_id_y 0
		.amdhsa_system_sgpr_workgroup_id_z 1
		.amdhsa_system_sgpr_workgroup_info 0
		.amdhsa_system_vgpr_workitem_id 1
		.amdhsa_next_free_vgpr 51
		.amdhsa_next_free_sgpr 18
		.amdhsa_reserve_vcc 1
		.amdhsa_float_round_mode_32 0
		.amdhsa_float_round_mode_16_64 0
		.amdhsa_float_denorm_mode_32 3
		.amdhsa_float_denorm_mode_16_64 3
		.amdhsa_dx10_clamp 1
		.amdhsa_ieee_mode 1
		.amdhsa_fp16_overflow 0
		.amdhsa_workgroup_processor_mode 1
		.amdhsa_memory_ordered 1
		.amdhsa_forward_progress 0
		.amdhsa_shared_vgpr_count 0
		.amdhsa_exception_fp_ieee_invalid_op 0
		.amdhsa_exception_fp_denorm_src 0
		.amdhsa_exception_fp_ieee_div_zero 0
		.amdhsa_exception_fp_ieee_overflow 0
		.amdhsa_exception_fp_ieee_underflow 0
		.amdhsa_exception_fp_ieee_inexact 0
		.amdhsa_exception_int_div_zero 0
	.end_amdhsa_kernel
	.section	.text._ZL9moe_vec_qIN3c104HalfELi256ELi32E10block_q4_KLi2EXadL_ZL17vec_dot_q4_K_q8_1PKvPK10block_q8_1RKiEEEvS4_S4_PT_PS8_iiii,"axG",@progbits,_ZL9moe_vec_qIN3c104HalfELi256ELi32E10block_q4_KLi2EXadL_ZL17vec_dot_q4_K_q8_1PKvPK10block_q8_1RKiEEEvS4_S4_PT_PS8_iiii,comdat
.Lfunc_end263:
	.size	_ZL9moe_vec_qIN3c104HalfELi256ELi32E10block_q4_KLi2EXadL_ZL17vec_dot_q4_K_q8_1PKvPK10block_q8_1RKiEEEvS4_S4_PT_PS8_iiii, .Lfunc_end263-_ZL9moe_vec_qIN3c104HalfELi256ELi32E10block_q4_KLi2EXadL_ZL17vec_dot_q4_K_q8_1PKvPK10block_q8_1RKiEEEvS4_S4_PT_PS8_iiii
                                        ; -- End function
	.section	.AMDGPU.csdata,"",@progbits
; Kernel info:
; codeLenInByte = 1740
; NumSgprs: 20
; NumVgprs: 51
; ScratchSize: 0
; MemoryBound: 0
; FloatMode: 240
; IeeeMode: 1
; LDSByteSize: 0 bytes/workgroup (compile time only)
; SGPRBlocks: 2
; VGPRBlocks: 6
; NumSGPRsForWavesPerEU: 20
; NumVGPRsForWavesPerEU: 51
; Occupancy: 16
; WaveLimiterHint : 1
; COMPUTE_PGM_RSRC2:SCRATCH_EN: 0
; COMPUTE_PGM_RSRC2:USER_SGPR: 14
; COMPUTE_PGM_RSRC2:TRAP_HANDLER: 0
; COMPUTE_PGM_RSRC2:TGID_X_EN: 1
; COMPUTE_PGM_RSRC2:TGID_Y_EN: 0
; COMPUTE_PGM_RSRC2:TGID_Z_EN: 1
; COMPUTE_PGM_RSRC2:TIDIG_COMP_CNT: 1
	.section	.text._ZL9moe_vec_qIN3c104HalfELi256ELi32E10block_q5_KLi2EXadL_ZL17vec_dot_q5_K_q8_1PKvPK10block_q8_1RKiEEEvS4_S4_PT_PS8_iiii,"axG",@progbits,_ZL9moe_vec_qIN3c104HalfELi256ELi32E10block_q5_KLi2EXadL_ZL17vec_dot_q5_K_q8_1PKvPK10block_q8_1RKiEEEvS4_S4_PT_PS8_iiii,comdat
	.globl	_ZL9moe_vec_qIN3c104HalfELi256ELi32E10block_q5_KLi2EXadL_ZL17vec_dot_q5_K_q8_1PKvPK10block_q8_1RKiEEEvS4_S4_PT_PS8_iiii ; -- Begin function _ZL9moe_vec_qIN3c104HalfELi256ELi32E10block_q5_KLi2EXadL_ZL17vec_dot_q5_K_q8_1PKvPK10block_q8_1RKiEEEvS4_S4_PT_PS8_iiii
	.p2align	8
	.type	_ZL9moe_vec_qIN3c104HalfELi256ELi32E10block_q5_KLi2EXadL_ZL17vec_dot_q5_K_q8_1PKvPK10block_q8_1RKiEEEvS4_S4_PT_PS8_iiii,@function
_ZL9moe_vec_qIN3c104HalfELi256ELi32E10block_q5_KLi2EXadL_ZL17vec_dot_q5_K_q8_1PKvPK10block_q8_1RKiEEEvS4_S4_PT_PS8_iiii: ; @_ZL9moe_vec_qIN3c104HalfELi256ELi32E10block_q5_KLi2EXadL_ZL17vec_dot_q5_K_q8_1PKvPK10block_q8_1RKiEEEvS4_S4_PT_PS8_iiii
; %bb.0:
	s_clause 0x1
	s_load_b32 s2, s[0:1], 0x3c
	s_load_b128 s[4:7], s[0:1], 0x20
	v_bfe_u32 v3, v0, 10, 10
	s_waitcnt lgkmcnt(0)
	s_lshr_b32 s2, s2, 16
	s_delay_alu instid0(VALU_DEP_1) | instid1(SALU_CYCLE_1)
	v_mad_u64_u32 v[1:2], null, s14, s2, v[3:4]
	s_mov_b32 s2, exec_lo
	s_delay_alu instid0(VALU_DEP_1)
	v_cmpx_gt_u32_e64 s6, v1
	s_cbranch_execz .LBB264_11
; %bb.1:
	s_load_b64 s[10:11], s[0:1], 0x10
	v_dual_mov_b32 v9, 0 :: v_dual_and_b32 v0, 0x3ff, v0
	s_ashr_i32 s2, s5, 31
	s_mov_b32 s8, s15
	s_lshr_b32 s2, s2, 24
	s_delay_alu instid0(VALU_DEP_1)
	v_lshrrev_b32_e32 v8, 4, v0
	s_add_i32 s2, s5, s2
	s_mov_b32 s5, exec_lo
	s_ashr_i32 s14, s2, 8
	s_delay_alu instid0(VALU_DEP_1) | instid1(SALU_CYCLE_1)
	v_cmpx_gt_u32_e64 s14, v8
	s_cbranch_execz .LBB264_9
; %bb.2:
	s_load_b64 s[2:3], s[0:1], 0x18
	s_mov_b32 s9, 0
	v_cvt_f32_u32_e32 v2, s4
	s_lshl_b64 s[12:13], s[8:9], 2
	v_and_b32_e32 v4, 3, v0
	v_mul_lo_u32 v10, v1, s14
	v_lshlrev_b32_e32 v14, 3, v8
	v_rcp_iflag_f32_e32 v2, v2
	v_mov_b32_e32 v9, 0
	v_lshlrev_b32_e32 v11, 2, v4
	v_lshlrev_b32_e32 v16, 2, v4
	s_waitcnt_depctr 0xfff
	v_mul_f32_e32 v2, 0x4f7ffffe, v2
	s_waitcnt lgkmcnt(0)
	s_add_u32 s2, s2, s12
	s_addc_u32 s3, s3, s13
	s_delay_alu instid0(VALU_DEP_1) | instskip(SKIP_3) | instid1(VALU_DEP_1)
	v_cvt_u32_f32_e32 v2, v2
	s_load_b32 s12, s[2:3], 0x0
	s_load_b128 s[0:3], s[0:1], 0x0
	s_mul_i32 s13, s14, s6
	v_readfirstlane_b32 s15, v2
	v_lshlrev_b32_e32 v2, 1, v0
	s_delay_alu instid0(VALU_DEP_1) | instskip(SKIP_1) | instid1(VALU_DEP_2)
	v_bfe_u32 v5, v2, 3, 2
	v_and_b32_e32 v2, 30, v2
	v_lshlrev_b32_e32 v13, 1, v5
	s_delay_alu instid0(VALU_DEP_2) | instskip(SKIP_4) | instid1(SALU_CYCLE_1)
	v_cmp_lt_u32_e32 vcc_lo, 15, v2
	v_lshlrev_b32_e32 v12, 5, v5
	v_lshlrev_b32_e32 v15, 1, v5
	s_waitcnt lgkmcnt(0)
	s_mul_i32 s12, s13, s12
	s_mul_i32 s13, s12, 0xb0
	s_mul_hi_i32 s16, s12, 0xb0
	s_add_u32 s12, s0, s13
	s_addc_u32 s13, s1, s16
	s_sub_i32 s0, 0, s4
	s_mov_b32 s1, s9
	s_mul_i32 s0, s0, s15
	s_delay_alu instid0(SALU_CYCLE_1) | instskip(NEXT) | instid1(SALU_CYCLE_1)
	s_mul_hi_u32 s0, s15, s0
	s_add_i32 s15, s15, s0
	s_delay_alu instid0(SALU_CYCLE_1) | instskip(NEXT) | instid1(SALU_CYCLE_1)
	s_mul_hi_u32 s0, s8, s15
	s_mul_i32 s15, s0, s4
	s_add_i32 s16, s0, 1
	s_sub_i32 s15, s8, s15
	s_delay_alu instid0(SALU_CYCLE_1)
	s_sub_i32 s17, s15, s4
	s_cmp_ge_u32 s15, s4
	s_cselect_b32 s0, s16, s0
	s_cselect_b32 s15, s17, s15
	s_add_i32 s16, s0, 1
	s_cmp_ge_u32 s15, s4
	s_cselect_b32 s0, s16, s0
	s_delay_alu instid0(SALU_CYCLE_1) | instskip(NEXT) | instid1(SALU_CYCLE_1)
	s_mul_i32 s0, s0, s7
	s_lshl_b64 s[0:1], s[0:1], 2
	s_delay_alu instid0(SALU_CYCLE_1) | instskip(SKIP_1) | instid1(SALU_CYCLE_1)
	s_add_u32 s0, s2, s0
	s_addc_u32 s1, s3, s1
	v_mad_u64_u32 v[2:3], null, v13, 36, s[0:1]
	s_branch .LBB264_4
.LBB264_3:                              ;   in Loop: Header=BB264_4 Depth=1
	s_or_b32 exec_lo, exec_lo, s0
	v_mad_i64_i32 v[6:7], null, v14, 36, v[2:3]
	s_waitcnt vmcnt(3)
	v_ashrrev_i32_e32 v21, v13, v21
	s_waitcnt vmcnt(0)
	v_ashrrev_i32_e32 v22, v13, v22
	v_and_b32_e32 v28, 0xf0f0f0f, v18
	v_lshrrev_b32_e32 v18, 4, v18
	v_and_b32_e32 v29, 0xf0f0f0f, v17
	v_lshlrev_b32_e32 v30, 4, v21
	v_add_co_u32 v23, s0, v6, v16
	s_delay_alu instid0(VALU_DEP_1)
	v_add_co_ci_u32_e64 v24, s0, 0, v7, s0
	v_lshrrev_b32_e32 v17, 4, v17
	v_lshlrev_b32_e32 v31, 4, v22
	v_and_b32_e32 v18, 0xf0f0f0f, v18
	s_clause 0x3
	global_load_b32 v25, v[23:24], off offset:20
	global_load_b32 v26, v[23:24], off offset:4
	;; [unrolled: 1-line block ×4, first 2 shown]
	global_load_b32 v4, v[4:5], off
	s_clause 0x1
	global_load_b32 v5, v[6:7], off
	global_load_b32 v6, v[6:7], off offset:36
	v_lshlrev_b32_e32 v21, 3, v21
	v_and_or_b32 v28, 0x10101010, v30, v28
	v_and_b32_e32 v17, 0xf0f0f0f, v17
	v_lshlrev_b32_e32 v22, 3, v22
	v_and_or_b32 v29, 0x10101010, v31, v29
	v_and_or_b32 v18, 0x10101010, v21, v18
	v_and_b32_e32 v31, 31, v28
	v_bfe_u32 v32, v28, 8, 5
	v_and_or_b32 v17, 0x10101010, v22, v17
	v_and_b32_e32 v21, 31, v29
	v_bfe_u32 v33, v28, 16, 5
	v_and_b32_e32 v37, 31, v18
	v_bfe_u32 v22, v29, 8, 5
	v_lshrrev_b32_e32 v28, 24, v28
	v_and_b32_e32 v34, 31, v17
	v_bfe_u32 v38, v18, 8, 5
	v_bfe_u32 v39, v18, 16, 5
	v_lshrrev_b16 v7, 8, v19
	v_and_b32_e32 v19, 0xff, v19
	v_bfe_u32 v30, v29, 16, 5
	v_lshrrev_b32_e32 v29, 24, v29
	v_bfe_u32 v35, v17, 8, 5
	v_lshrrev_b32_e32 v18, 24, v18
	v_lshrrev_b16 v24, 8, v20
	v_and_b32_e32 v20, 0xff, v20
	v_and_b32_e32 v19, 0xffff, v19
	v_bfe_u32 v36, v17, 16, 5
	v_lshrrev_b32_e32 v17, 24, v17
	v_and_b32_e32 v7, 0xffff, v7
	v_and_b32_e32 v20, 0xffff, v20
	v_add_nc_u32_e32 v8, 2, v8
	v_add_nc_u32_e32 v14, 16, v14
	s_delay_alu instid0(VALU_DEP_2) | instskip(NEXT) | instid1(VALU_DEP_1)
	v_cmp_le_u32_e64 s0, s14, v8
	s_or_b32 s9, s0, s9
	s_waitcnt vmcnt(6)
	v_bfe_i32 v40, v25, 0, 8
	s_waitcnt vmcnt(5)
	v_bfe_i32 v43, v26, 0, 8
	v_bfe_i32 v44, v26, 8, 8
	;; [unrolled: 1-line block ×3, first 2 shown]
	s_waitcnt vmcnt(4)
	v_bfe_i32 v46, v27, 0, 8
	s_waitcnt vmcnt(3)
	v_bfe_i32 v49, v23, 0, 8
	v_mul_i32_i24_e32 v31, v43, v31
	v_add_nc_u32_e32 v43, v40, v43
	v_bfe_i32 v41, v25, 8, 8
	v_ashrrev_i32_e32 v26, 24, v26
	v_bfe_i32 v50, v23, 8, 8
	v_bfe_i32 v51, v23, 16, 8
	v_mul_i32_i24_e32 v32, v44, v32
	v_mul_i32_i24_e32 v33, v45, v33
	;; [unrolled: 1-line block ×3, first 2 shown]
	v_add_nc_u32_e32 v49, v46, v49
	v_mad_i32_i24 v21, v40, v21, v31
	v_add3_u32 v31, v43, v44, v45
	v_bfe_i32 v42, v25, 16, 8
	v_ashrrev_i32_e32 v25, 24, v25
	v_bfe_i32 v47, v27, 8, 8
	v_ashrrev_i32_e32 v23, 24, v23
	v_mul_i32_i24_e32 v22, v41, v22
	v_mul_i32_i24_e32 v28, v26, v28
	;; [unrolled: 1-line block ×4, first 2 shown]
	v_mad_i32_i24 v34, v46, v34, v37
	v_add3_u32 v37, v49, v50, v51
	v_add3_u32 v21, v21, v32, v33
	;; [unrolled: 1-line block ×3, first 2 shown]
	v_bfe_i32 v48, v27, 16, 8
	v_ashrrev_i32_e32 v27, 24, v27
	v_mul_i32_i24_e32 v30, v42, v30
	v_mul_i32_i24_e32 v29, v25, v29
	;; [unrolled: 1-line block ×4, first 2 shown]
	v_add3_u32 v31, v34, v38, v39
	v_add3_u32 v23, v37, v23, v47
	;; [unrolled: 1-line block ×4, first 2 shown]
	v_mul_i32_i24_e32 v36, v48, v36
	v_mul_i32_i24_e32 v17, v27, v17
	v_add3_u32 v18, v31, v18, v35
	v_add3_u32 v23, v23, v48, v27
	;; [unrolled: 1-line block ×3, first 2 shown]
	v_mul_lo_u32 v19, v22, v19
	v_and_b32_e32 v22, 0xffff, v24
	v_add3_u32 v17, v18, v36, v17
	v_mul_lo_u32 v7, v23, v7
	v_mul_lo_u32 v18, v21, v20
	s_waitcnt vmcnt(2)
	v_lshrrev_b32_e32 v20, 16, v4
	v_mul_lo_u32 v17, v17, v22
	v_cvt_f32_i32_e32 v19, v19
	s_delay_alu instid0(VALU_DEP_3)
	v_cvt_f32_f16_e32 v20, v20
	v_cvt_f32_i32_e32 v7, v7
	v_cvt_f32_i32_e32 v18, v18
	s_waitcnt vmcnt(1)
	v_fma_mix_f32 v19, v5, v19, 0 op_sel_hi:[1,0,0]
	v_cvt_f32_i32_e32 v17, v17
	s_delay_alu instid0(VALU_DEP_3) | instskip(SKIP_1) | instid1(VALU_DEP_3)
	v_fma_mix_f32 v5, v5, v18, 0 op_sel_hi:[1,0,0]
	s_waitcnt vmcnt(0)
	v_fma_mix_f32 v7, v6, v7, v19 op_sel_hi:[1,0,0]
	s_delay_alu instid0(VALU_DEP_2) | instskip(NEXT) | instid1(VALU_DEP_2)
	v_fma_mix_f32 v5, v6, v17, v5 op_sel_hi:[1,0,0]
	v_mul_f32_e32 v6, v7, v20
	s_delay_alu instid0(VALU_DEP_1) | instskip(NEXT) | instid1(VALU_DEP_1)
	v_fma_mix_f32 v4, v5, v4, -v6 op_sel_hi:[0,1,0]
	v_add_f32_e32 v9, v9, v4
	s_and_not1_b32 exec_lo, exec_lo, s9
	s_cbranch_execz .LBB264_8
.LBB264_4:                              ; =>This Inner Loop Header: Depth=1
	v_add_nc_u32_e32 v6, v10, v8
                                        ; implicit-def: $vgpr20
	s_delay_alu instid0(VALU_DEP_1) | instskip(NEXT) | instid1(VALU_DEP_1)
	v_mad_i64_i32 v[4:5], null, 0xb0, v6, s[12:13]
	v_add_co_u32 v6, s0, v4, v11
	s_delay_alu instid0(VALU_DEP_1) | instskip(NEXT) | instid1(VALU_DEP_2)
	v_add_co_ci_u32_e64 v7, s0, 0, v5, s0
	v_add_co_u32 v18, s0, v6, v12
	s_delay_alu instid0(VALU_DEP_1)
	v_add_co_ci_u32_e64 v19, s0, 0, v7, s0
	s_clause 0x3
	global_load_b32 v21, v[6:7], off offset:16
	global_load_b32 v17, v[18:19], off offset:64
	;; [unrolled: 1-line block ×4, first 2 shown]
	v_add_co_u32 v6, s0, v4, v15
	s_delay_alu instid0(VALU_DEP_1) | instskip(SKIP_1) | instid1(SALU_CYCLE_1)
	v_add_co_ci_u32_e64 v7, s0, 0, v5, s0
                                        ; implicit-def: $vgpr19
	s_and_saveexec_b32 s0, vcc_lo
	s_xor_b32 s0, exec_lo, s0
	s_cbranch_execz .LBB264_6
; %bb.5:                                ;   in Loop: Header=BB264_4 Depth=1
	s_clause 0x2
	global_load_u16 v19, v[6:7], off
	global_load_u16 v20, v[6:7], off offset:8
	global_load_u16 v6, v[6:7], off offset:4
	s_waitcnt vmcnt(2)
	v_lshrrev_b16 v7, 2, v19
	s_waitcnt vmcnt(1)
	v_lshrrev_b16 v19, 4, v20
	;; [unrolled: 2-line block ×3, first 2 shown]
	v_and_b32_e32 v20, 0xf0f, v20
	v_and_b32_e32 v7, 0x3030, v7
	;; [unrolled: 1-line block ×3, first 2 shown]
	s_delay_alu instid0(VALU_DEP_4) | instskip(NEXT) | instid1(VALU_DEP_3)
	v_and_b32_e32 v6, 0x3030, v6
	v_or_b32_e32 v20, v7, v20
	s_delay_alu instid0(VALU_DEP_2)
	v_or_b32_e32 v19, v6, v19
                                        ; implicit-def: $vgpr6_vgpr7
.LBB264_6:                              ;   in Loop: Header=BB264_4 Depth=1
	s_and_not1_saveexec_b32 s0, s0
	s_cbranch_execz .LBB264_3
; %bb.7:                                ;   in Loop: Header=BB264_4 Depth=1
	s_clause 0x1
	global_load_u16 v19, v[6:7], off offset:4
	global_load_u16 v6, v[6:7], off offset:8
	s_waitcnt vmcnt(1)
	v_and_b32_e32 v20, 0x3f3f, v19
	s_waitcnt vmcnt(0)
	v_and_b32_e32 v19, 0x3f3f, v6
	s_branch .LBB264_3
.LBB264_8:
	s_or_b32 exec_lo, exec_lo, s9
.LBB264_9:
	s_delay_alu instid0(SALU_CYCLE_1) | instskip(SKIP_1) | instid1(VALU_DEP_1)
	s_or_b32 exec_lo, exec_lo, s5
	v_mbcnt_lo_u32_b32 v2, -1, 0
	v_xor_b32_e32 v3, 16, v2
	v_xor_b32_e32 v4, 8, v2
	;; [unrolled: 1-line block ×3, first 2 shown]
	s_delay_alu instid0(VALU_DEP_3) | instskip(SKIP_1) | instid1(VALU_DEP_4)
	v_cmp_gt_i32_e32 vcc_lo, 32, v3
	v_cndmask_b32_e32 v3, v2, v3, vcc_lo
	v_cmp_gt_i32_e32 vcc_lo, 32, v4
	v_cndmask_b32_e32 v4, v2, v4, vcc_lo
	v_cmp_gt_i32_e32 vcc_lo, 32, v5
	s_delay_alu instid0(VALU_DEP_2)
	v_lshlrev_b32_e32 v4, 2, v4
	v_lshlrev_b32_e32 v3, 2, v3
	v_cndmask_b32_e32 v5, v2, v5, vcc_lo
	ds_bpermute_b32 v3, v3, v9
	v_lshlrev_b32_e32 v5, 2, v5
	s_waitcnt lgkmcnt(0)
	v_add_f32_e32 v3, v9, v3
	ds_bpermute_b32 v4, v4, v3
	s_waitcnt lgkmcnt(0)
	v_add_f32_e32 v3, v3, v4
	ds_bpermute_b32 v4, v5, v3
	v_xor_b32_e32 v5, 2, v2
	s_delay_alu instid0(VALU_DEP_1) | instskip(SKIP_1) | instid1(VALU_DEP_1)
	v_cmp_gt_i32_e32 vcc_lo, 32, v5
	v_cndmask_b32_e32 v5, v2, v5, vcc_lo
	v_lshlrev_b32_e32 v5, 2, v5
	s_waitcnt lgkmcnt(0)
	v_add_f32_e32 v3, v3, v4
	ds_bpermute_b32 v4, v5, v3
	v_xor_b32_e32 v5, 1, v2
	s_delay_alu instid0(VALU_DEP_1) | instskip(SKIP_3) | instid1(VALU_DEP_2)
	v_cmp_gt_i32_e32 vcc_lo, 32, v5
	v_cndmask_b32_e32 v5, v2, v5, vcc_lo
	v_cmp_eq_u32_e32 vcc_lo, 0, v0
	s_waitcnt lgkmcnt(0)
	v_dual_add_f32 v2, v3, v4 :: v_dual_lshlrev_b32 v3, 2, v5
	ds_bpermute_b32 v3, v3, v2
	s_and_b32 exec_lo, exec_lo, vcc_lo
	s_cbranch_execz .LBB264_11
; %bb.10:
	v_mad_u64_u32 v[4:5], null, s8, s6, v[1:2]
	s_waitcnt lgkmcnt(0)
	v_dual_mov_b32 v5, 0 :: v_dual_add_f32 v2, v2, v3
	s_delay_alu instid0(VALU_DEP_1) | instskip(NEXT) | instid1(VALU_DEP_2)
	v_cvt_f16_f32_e32 v2, v2
	v_lshlrev_b64 v[0:1], 1, v[4:5]
	s_delay_alu instid0(VALU_DEP_1) | instskip(NEXT) | instid1(VALU_DEP_2)
	v_add_co_u32 v0, vcc_lo, s10, v0
	v_add_co_ci_u32_e32 v1, vcc_lo, s11, v1, vcc_lo
	global_store_b16 v[0:1], v2, off
.LBB264_11:
	s_nop 0
	s_sendmsg sendmsg(MSG_DEALLOC_VGPRS)
	s_endpgm
	.section	.rodata,"a",@progbits
	.p2align	6, 0x0
	.amdhsa_kernel _ZL9moe_vec_qIN3c104HalfELi256ELi32E10block_q5_KLi2EXadL_ZL17vec_dot_q5_K_q8_1PKvPK10block_q8_1RKiEEEvS4_S4_PT_PS8_iiii
		.amdhsa_group_segment_fixed_size 0
		.amdhsa_private_segment_fixed_size 0
		.amdhsa_kernarg_size 304
		.amdhsa_user_sgpr_count 14
		.amdhsa_user_sgpr_dispatch_ptr 0
		.amdhsa_user_sgpr_queue_ptr 0
		.amdhsa_user_sgpr_kernarg_segment_ptr 1
		.amdhsa_user_sgpr_dispatch_id 0
		.amdhsa_user_sgpr_private_segment_size 0
		.amdhsa_wavefront_size32 1
		.amdhsa_uses_dynamic_stack 0
		.amdhsa_enable_private_segment 0
		.amdhsa_system_sgpr_workgroup_id_x 1
		.amdhsa_system_sgpr_workgroup_id_y 0
		.amdhsa_system_sgpr_workgroup_id_z 1
		.amdhsa_system_sgpr_workgroup_info 0
		.amdhsa_system_vgpr_workitem_id 1
		.amdhsa_next_free_vgpr 52
		.amdhsa_next_free_sgpr 18
		.amdhsa_reserve_vcc 1
		.amdhsa_float_round_mode_32 0
		.amdhsa_float_round_mode_16_64 0
		.amdhsa_float_denorm_mode_32 3
		.amdhsa_float_denorm_mode_16_64 3
		.amdhsa_dx10_clamp 1
		.amdhsa_ieee_mode 1
		.amdhsa_fp16_overflow 0
		.amdhsa_workgroup_processor_mode 1
		.amdhsa_memory_ordered 1
		.amdhsa_forward_progress 0
		.amdhsa_shared_vgpr_count 0
		.amdhsa_exception_fp_ieee_invalid_op 0
		.amdhsa_exception_fp_denorm_src 0
		.amdhsa_exception_fp_ieee_div_zero 0
		.amdhsa_exception_fp_ieee_overflow 0
		.amdhsa_exception_fp_ieee_underflow 0
		.amdhsa_exception_fp_ieee_inexact 0
		.amdhsa_exception_int_div_zero 0
	.end_amdhsa_kernel
	.section	.text._ZL9moe_vec_qIN3c104HalfELi256ELi32E10block_q5_KLi2EXadL_ZL17vec_dot_q5_K_q8_1PKvPK10block_q8_1RKiEEEvS4_S4_PT_PS8_iiii,"axG",@progbits,_ZL9moe_vec_qIN3c104HalfELi256ELi32E10block_q5_KLi2EXadL_ZL17vec_dot_q5_K_q8_1PKvPK10block_q8_1RKiEEEvS4_S4_PT_PS8_iiii,comdat
.Lfunc_end264:
	.size	_ZL9moe_vec_qIN3c104HalfELi256ELi32E10block_q5_KLi2EXadL_ZL17vec_dot_q5_K_q8_1PKvPK10block_q8_1RKiEEEvS4_S4_PT_PS8_iiii, .Lfunc_end264-_ZL9moe_vec_qIN3c104HalfELi256ELi32E10block_q5_KLi2EXadL_ZL17vec_dot_q5_K_q8_1PKvPK10block_q8_1RKiEEEvS4_S4_PT_PS8_iiii
                                        ; -- End function
	.section	.AMDGPU.csdata,"",@progbits
; Kernel info:
; codeLenInByte = 1840
; NumSgprs: 20
; NumVgprs: 52
; ScratchSize: 0
; MemoryBound: 0
; FloatMode: 240
; IeeeMode: 1
; LDSByteSize: 0 bytes/workgroup (compile time only)
; SGPRBlocks: 2
; VGPRBlocks: 6
; NumSGPRsForWavesPerEU: 20
; NumVGPRsForWavesPerEU: 52
; Occupancy: 16
; WaveLimiterHint : 1
; COMPUTE_PGM_RSRC2:SCRATCH_EN: 0
; COMPUTE_PGM_RSRC2:USER_SGPR: 14
; COMPUTE_PGM_RSRC2:TRAP_HANDLER: 0
; COMPUTE_PGM_RSRC2:TGID_X_EN: 1
; COMPUTE_PGM_RSRC2:TGID_Y_EN: 0
; COMPUTE_PGM_RSRC2:TGID_Z_EN: 1
; COMPUTE_PGM_RSRC2:TIDIG_COMP_CNT: 1
	.section	.text._ZL9moe_vec_qIN3c104HalfELi256ELi32E10block_q6_KLi1EXadL_ZL17vec_dot_q6_K_q8_1PKvPK10block_q8_1RKiEEEvS4_S4_PT_PS8_iiii,"axG",@progbits,_ZL9moe_vec_qIN3c104HalfELi256ELi32E10block_q6_KLi1EXadL_ZL17vec_dot_q6_K_q8_1PKvPK10block_q8_1RKiEEEvS4_S4_PT_PS8_iiii,comdat
	.globl	_ZL9moe_vec_qIN3c104HalfELi256ELi32E10block_q6_KLi1EXadL_ZL17vec_dot_q6_K_q8_1PKvPK10block_q8_1RKiEEEvS4_S4_PT_PS8_iiii ; -- Begin function _ZL9moe_vec_qIN3c104HalfELi256ELi32E10block_q6_KLi1EXadL_ZL17vec_dot_q6_K_q8_1PKvPK10block_q8_1RKiEEEvS4_S4_PT_PS8_iiii
	.p2align	8
	.type	_ZL9moe_vec_qIN3c104HalfELi256ELi32E10block_q6_KLi1EXadL_ZL17vec_dot_q6_K_q8_1PKvPK10block_q8_1RKiEEEvS4_S4_PT_PS8_iiii,@function
_ZL9moe_vec_qIN3c104HalfELi256ELi32E10block_q6_KLi1EXadL_ZL17vec_dot_q6_K_q8_1PKvPK10block_q8_1RKiEEEvS4_S4_PT_PS8_iiii: ; @_ZL9moe_vec_qIN3c104HalfELi256ELi32E10block_q6_KLi1EXadL_ZL17vec_dot_q6_K_q8_1PKvPK10block_q8_1RKiEEEvS4_S4_PT_PS8_iiii
; %bb.0:
	s_clause 0x1
	s_load_b32 s2, s[0:1], 0x3c
	s_load_b128 s[4:7], s[0:1], 0x20
	v_bfe_u32 v3, v0, 10, 10
	s_waitcnt lgkmcnt(0)
	s_lshr_b32 s2, s2, 16
	s_delay_alu instid0(VALU_DEP_1) | instid1(SALU_CYCLE_1)
	v_mad_u64_u32 v[1:2], null, s14, s2, v[3:4]
	s_mov_b32 s2, exec_lo
	s_delay_alu instid0(VALU_DEP_1)
	v_cmpx_gt_u32_e64 s6, v1
	s_cbranch_execz .LBB265_7
; %bb.1:
	s_load_b64 s[10:11], s[0:1], 0x10
	v_dual_mov_b32 v5, 0 :: v_dual_and_b32 v0, 0x3ff, v0
	s_ashr_i32 s2, s5, 31
	s_mov_b32 s8, s15
	s_lshr_b32 s2, s2, 24
	s_delay_alu instid0(VALU_DEP_1)
	v_lshrrev_b32_e32 v4, 5, v0
	s_add_i32 s2, s5, s2
	s_mov_b32 s5, exec_lo
	s_ashr_i32 s12, s2, 8
	s_delay_alu instid0(VALU_DEP_1) | instid1(SALU_CYCLE_1)
	v_cmpx_gt_u32_e64 s12, v4
	s_cbranch_execz .LBB265_5
; %bb.2:
	s_load_b64 s[2:3], s[0:1], 0x18
	s_mov_b32 s9, 0
	v_cvt_f32_u32_e32 v2, s4
	s_lshl_b64 s[14:15], s[8:9], 2
	v_mul_lo_u32 v6, v1, s12
	v_and_b32_e32 v3, 31, v0
	v_mov_b32_e32 v5, 0
	v_rcp_iflag_f32_e32 v2, v2
	s_delay_alu instid0(VALU_DEP_2)
	v_cmp_lt_u32_e32 vcc_lo, 15, v3
	v_lshlrev_b32_e32 v7, 2, v3
	v_cndmask_b32_e64 v10, 0, 1, vcc_lo
	v_cmp_gt_u32_e32 vcc_lo, 16, v3
	s_waitcnt_depctr 0xfff
	v_mul_f32_e32 v2, 0x4f7ffffe, v2
	s_waitcnt lgkmcnt(0)
	s_add_u32 s2, s2, s14
	s_addc_u32 s3, s3, s15
	s_delay_alu instid0(VALU_DEP_1)
	v_cvt_u32_f32_e32 v2, v2
	s_load_b32 s13, s[2:3], 0x0
	s_load_b128 s[0:3], s[0:1], 0x0
	s_mul_i32 s14, s12, s6
	s_mov_b32 s15, s9
	v_lshlrev_b32_e32 v11, 3, v10
	s_waitcnt lgkmcnt(0)
	s_mul_i32 s13, s14, s13
	v_readfirstlane_b32 s14, v2
	s_mul_i32 s16, s13, 0xd2
	s_mul_hi_i32 s13, s13, 0xd2
	s_add_u32 s0, s0, s16
	s_addc_u32 s1, s1, s13
	s_sub_i32 s13, 0, s4
	v_add_nc_u32_e32 v2, 0xf0, v3
	s_mul_i32 s13, s13, s14
	v_and_b32_e32 v9, 7, v0
	s_mul_hi_u32 s13, s14, s13
	s_delay_alu instid0(VALU_DEP_2) | instskip(SKIP_1) | instid1(VALU_DEP_2)
	v_cndmask_b32_e32 v2, v2, v3, vcc_lo
	s_add_i32 s14, s14, s13
	v_or_b32_e32 v8, v11, v9
	s_mul_hi_u32 s13, s8, s14
	v_lshlrev_b32_e32 v9, 2, v9
	s_mul_i32 s14, s13, s4
	v_and_b32_e32 v3, 0xf8, v2
	s_sub_i32 s14, s8, s14
	s_add_i32 s16, s13, 1
	s_sub_i32 s17, s14, s4
	s_cmp_ge_u32 s14, s4
	v_cmp_ne_u32_e32 vcc_lo, 0, v3
	s_cselect_b32 s13, s16, s13
	s_cselect_b32 s14, s17, s14
	s_add_i32 s16, s13, 1
	s_cmp_ge_u32 s14, s4
	v_cndmask_b32_e64 v12, 0, 1, vcc_lo
	s_cselect_b32 s4, s16, s13
	v_bfe_u32 v13, v2, 2, 6
	s_mul_i32 s14, s4, s7
	v_lshlrev_b32_e32 v8, 2, v8
	s_lshl_b64 s[14:15], s[14:15], 2
	v_lshl_or_b32 v10, v10, 2, v12
	s_add_u32 s2, s2, s14
	s_addc_u32 s3, s3, s15
	v_add_nc_u32_e32 v11, v13, v11
	s_delay_alu instid0(VALU_DEP_2)
	v_mad_u64_u32 v[2:3], null, v10, 36, s[2:3]
	v_lshlrev_b32_e32 v10, 1, v12
	v_lshlrev_b32_e32 v12, 3, v4
.LBB265_3:                              ; =>This Inner Loop Header: Depth=1
	v_add_nc_u32_e32 v17, v6, v4
	s_delay_alu instid0(VALU_DEP_2) | instskip(SKIP_2) | instid1(VALU_DEP_4)
	v_mad_i64_i32 v[13:14], null, v12, 36, v[2:3]
	v_add_nc_u32_e32 v4, 1, v4
	v_add_nc_u32_e32 v12, 8, v12
	v_mad_i64_i32 v[15:16], null, 0xd2, v17, s[0:1]
	s_delay_alu instid0(VALU_DEP_4) | instskip(SKIP_1) | instid1(VALU_DEP_3)
	v_add_co_u32 v17, vcc_lo, v13, v9
	v_add_co_ci_u32_e32 v18, vcc_lo, 0, v14, vcc_lo
	v_add_co_u32 v19, vcc_lo, v15, v8
	s_delay_alu instid0(VALU_DEP_4)
	v_add_co_ci_u32_e32 v20, vcc_lo, 0, v16, vcc_lo
	v_add_co_u32 v21, vcc_lo, v15, v7
	v_add_co_ci_u32_e32 v22, vcc_lo, 0, v16, vcc_lo
	global_load_b32 v23, v[17:18], off offset:4
	s_clause 0x1
	global_load_b32 v19, v[19:20], off offset:128
	global_load_b32 v20, v[21:22], off
	global_load_b32 v21, v[17:18], off offset:76
	v_add_co_u32 v17, vcc_lo, v15, v11
	v_add_co_ci_u32_e32 v18, vcc_lo, 0, v16, vcc_lo
	v_cmp_le_u32_e32 vcc_lo, s12, v4
	s_clause 0x1
	global_load_i8 v22, v[17:18], off offset:192
	global_load_i8 v17, v[17:18], off offset:196
	s_clause 0x1
	global_load_b32 v18, v[13:14], off
	global_load_b32 v13, v[13:14], off offset:72
	global_load_u16 v14, v[15:16], off offset:208
	s_or_b32 s9, vcc_lo, s9
	s_waitcnt vmcnt(8)
	v_bfe_i32 v16, v23, 8, 8
	s_waitcnt vmcnt(7)
	v_ashrrev_i32_e32 v19, v10, v19
	s_waitcnt vmcnt(6)
	v_and_b32_e32 v28, 0xf0f0f0f, v20
	v_lshrrev_b32_e32 v20, 4, v20
	v_bfe_i32 v15, v23, 0, 8
	v_bfe_i32 v24, v23, 16, 8
	v_lshlrev_b32_e32 v29, 4, v19
	v_and_b32_e32 v19, 0x30303030, v19
	v_ashrrev_i32_e32 v23, 24, v23
	s_waitcnt vmcnt(5)
	v_bfe_i32 v26, v21, 8, 8
	v_bfe_i32 v25, v21, 0, 8
	v_and_or_b32 v28, 0x30303030, v29, v28
	v_and_or_b32 v19, 0xf0f0f0f, v20, v19
	v_bfe_i32 v27, v21, 16, 8
	v_ashrrev_i32_e32 v21, 24, v21
	s_delay_alu instid0(VALU_DEP_4)
	v_lshrrev_b32_e32 v20, 16, v28
	v_and_b32_e32 v29, 0x3f00, v28
	v_lshlrev_b16 v28, 8, v28
	v_lshrrev_b32_e32 v30, 16, v19
	v_and_b32_e32 v31, 0x3f00, v19
	v_lshlrev_b16 v19, 8, v19
	v_and_b32_e32 v32, 0x3f00, v20
	v_add_nc_u16 v28, v28, 0xe000
	v_lshlrev_b16 v20, 8, v20
	v_and_b32_e32 v33, 0x3f00, v30
	v_add_nc_u16 v19, v19, 0xe000
	v_lshlrev_b16 v30, 8, v30
	v_lshrrev_b16 v28, 8, v28
	v_add_nc_u16 v20, v20, 0xe000
	s_delay_alu instid0(VALU_DEP_4) | instskip(NEXT) | instid1(VALU_DEP_4)
	v_lshrrev_b16 v19, 8, v19
	v_add_nc_u16 v30, v30, 0xe000
	s_delay_alu instid0(VALU_DEP_4) | instskip(NEXT) | instid1(VALU_DEP_4)
	v_or_b32_e32 v28, v29, v28
	v_lshrrev_b16 v20, 8, v20
	s_delay_alu instid0(VALU_DEP_4) | instskip(NEXT) | instid1(VALU_DEP_4)
	v_or_b32_e32 v19, v31, v19
	v_lshrrev_b16 v29, 8, v30
	s_delay_alu instid0(VALU_DEP_4) | instskip(NEXT) | instid1(VALU_DEP_4)
	v_add_nc_u16 v28, v28, 0xe000
	v_or_b32_e32 v20, v32, v20
	s_delay_alu instid0(VALU_DEP_4) | instskip(NEXT) | instid1(VALU_DEP_4)
	v_add_nc_u16 v19, v19, 0xe000
	v_or_b32_e32 v29, v33, v29
	s_delay_alu instid0(VALU_DEP_4) | instskip(NEXT) | instid1(VALU_DEP_4)
	v_and_b32_e32 v28, 0xffff, v28
	v_add_nc_u16 v20, v20, 0xe000
	s_delay_alu instid0(VALU_DEP_4) | instskip(NEXT) | instid1(VALU_DEP_4)
	v_and_b32_e32 v19, 0xffff, v19
	v_add_nc_u16 v29, v29, 0xe000
	s_delay_alu instid0(VALU_DEP_4)
	v_bfe_i32 v30, v28, 0, 8
	v_bfe_i32 v28, v28, 8, 8
	;; [unrolled: 1-line block ×6, first 2 shown]
	v_mul_i32_i24_e32 v16, v28, v16
	v_bfe_i32 v33, v29, 0, 8
	v_bfe_i32 v28, v29, 8, 8
	v_mul_i32_i24_e32 v15, v30, v15
	v_mul_i32_i24_e32 v20, v20, v23
	;; [unrolled: 1-line block ×3, first 2 shown]
	v_mad_i32_i24 v16, v31, v24, v16
	v_mul_i32_i24_e32 v23, v32, v25
	v_mul_i32_i24_e32 v21, v28, v21
	s_delay_alu instid0(VALU_DEP_4) | instskip(NEXT) | instid1(VALU_DEP_4)
	v_mad_i32_i24 v19, v33, v27, v19
	v_add3_u32 v15, v16, v20, v15
	s_delay_alu instid0(VALU_DEP_2) | instskip(SKIP_1) | instid1(VALU_DEP_2)
	v_add3_u32 v16, v19, v21, v23
	s_waitcnt vmcnt(4)
	v_mul_lo_u32 v15, v15, v22
	s_waitcnt vmcnt(3)
	s_delay_alu instid0(VALU_DEP_2) | instskip(NEXT) | instid1(VALU_DEP_2)
	v_mul_lo_u32 v16, v16, v17
	v_cvt_f32_i32_e32 v15, v15
	s_delay_alu instid0(VALU_DEP_2) | instskip(SKIP_1) | instid1(VALU_DEP_2)
	v_cvt_f32_i32_e32 v16, v16
	s_waitcnt vmcnt(2)
	v_fma_mix_f32 v15, v18, v15, 0 op_sel_hi:[1,0,0]
	s_waitcnt vmcnt(1)
	s_delay_alu instid0(VALU_DEP_1) | instskip(SKIP_1) | instid1(VALU_DEP_1)
	v_fma_mix_f32 v13, v13, v16, v15 op_sel_hi:[1,0,0]
	s_waitcnt vmcnt(0)
	v_fma_mix_f32 v5, v13, v14, v5 op_sel_hi:[0,1,0]
	s_and_not1_b32 exec_lo, exec_lo, s9
	s_cbranch_execnz .LBB265_3
; %bb.4:
	s_or_b32 exec_lo, exec_lo, s9
.LBB265_5:
	s_delay_alu instid0(SALU_CYCLE_1) | instskip(SKIP_1) | instid1(VALU_DEP_1)
	s_or_b32 exec_lo, exec_lo, s5
	v_mbcnt_lo_u32_b32 v2, -1, 0
	v_xor_b32_e32 v3, 16, v2
	v_xor_b32_e32 v4, 8, v2
	s_delay_alu instid0(VALU_DEP_2) | instskip(SKIP_1) | instid1(VALU_DEP_3)
	v_cmp_gt_i32_e32 vcc_lo, 32, v3
	v_cndmask_b32_e32 v3, v2, v3, vcc_lo
	v_cmp_gt_i32_e32 vcc_lo, 32, v4
	v_cndmask_b32_e32 v4, v2, v4, vcc_lo
	s_delay_alu instid0(VALU_DEP_1) | instskip(NEXT) | instid1(VALU_DEP_4)
	v_lshlrev_b32_e32 v4, 2, v4
	v_lshlrev_b32_e32 v3, 2, v3
	ds_bpermute_b32 v3, v3, v5
	s_waitcnt lgkmcnt(0)
	v_add_f32_e32 v3, v5, v3
	v_xor_b32_e32 v5, 4, v2
	ds_bpermute_b32 v4, v4, v3
	v_cmp_gt_i32_e32 vcc_lo, 32, v5
	v_cndmask_b32_e32 v5, v2, v5, vcc_lo
	s_delay_alu instid0(VALU_DEP_1) | instskip(SKIP_4) | instid1(VALU_DEP_1)
	v_lshlrev_b32_e32 v5, 2, v5
	s_waitcnt lgkmcnt(0)
	v_add_f32_e32 v3, v3, v4
	ds_bpermute_b32 v4, v5, v3
	v_xor_b32_e32 v5, 2, v2
	v_cmp_gt_i32_e32 vcc_lo, 32, v5
	v_cndmask_b32_e32 v5, v2, v5, vcc_lo
	s_delay_alu instid0(VALU_DEP_1) | instskip(SKIP_4) | instid1(VALU_DEP_1)
	v_lshlrev_b32_e32 v5, 2, v5
	s_waitcnt lgkmcnt(0)
	v_add_f32_e32 v3, v3, v4
	ds_bpermute_b32 v4, v5, v3
	v_xor_b32_e32 v5, 1, v2
	v_cmp_gt_i32_e32 vcc_lo, 32, v5
	v_cndmask_b32_e32 v5, v2, v5, vcc_lo
	v_cmp_eq_u32_e32 vcc_lo, 0, v0
	s_waitcnt lgkmcnt(0)
	s_delay_alu instid0(VALU_DEP_2)
	v_dual_add_f32 v2, v3, v4 :: v_dual_lshlrev_b32 v3, 2, v5
	ds_bpermute_b32 v3, v3, v2
	s_and_b32 exec_lo, exec_lo, vcc_lo
	s_cbranch_execz .LBB265_7
; %bb.6:
	v_mad_u64_u32 v[4:5], null, s8, s6, v[1:2]
	s_waitcnt lgkmcnt(0)
	v_dual_mov_b32 v5, 0 :: v_dual_add_f32 v2, v2, v3
	s_delay_alu instid0(VALU_DEP_1) | instskip(NEXT) | instid1(VALU_DEP_2)
	v_cvt_f16_f32_e32 v2, v2
	v_lshlrev_b64 v[0:1], 1, v[4:5]
	s_delay_alu instid0(VALU_DEP_1) | instskip(NEXT) | instid1(VALU_DEP_2)
	v_add_co_u32 v0, vcc_lo, s10, v0
	v_add_co_ci_u32_e32 v1, vcc_lo, s11, v1, vcc_lo
	global_store_b16 v[0:1], v2, off
.LBB265_7:
	s_nop 0
	s_sendmsg sendmsg(MSG_DEALLOC_VGPRS)
	s_endpgm
	.section	.rodata,"a",@progbits
	.p2align	6, 0x0
	.amdhsa_kernel _ZL9moe_vec_qIN3c104HalfELi256ELi32E10block_q6_KLi1EXadL_ZL17vec_dot_q6_K_q8_1PKvPK10block_q8_1RKiEEEvS4_S4_PT_PS8_iiii
		.amdhsa_group_segment_fixed_size 0
		.amdhsa_private_segment_fixed_size 0
		.amdhsa_kernarg_size 304
		.amdhsa_user_sgpr_count 14
		.amdhsa_user_sgpr_dispatch_ptr 0
		.amdhsa_user_sgpr_queue_ptr 0
		.amdhsa_user_sgpr_kernarg_segment_ptr 1
		.amdhsa_user_sgpr_dispatch_id 0
		.amdhsa_user_sgpr_private_segment_size 0
		.amdhsa_wavefront_size32 1
		.amdhsa_uses_dynamic_stack 0
		.amdhsa_enable_private_segment 0
		.amdhsa_system_sgpr_workgroup_id_x 1
		.amdhsa_system_sgpr_workgroup_id_y 0
		.amdhsa_system_sgpr_workgroup_id_z 1
		.amdhsa_system_sgpr_workgroup_info 0
		.amdhsa_system_vgpr_workitem_id 1
		.amdhsa_next_free_vgpr 34
		.amdhsa_next_free_sgpr 18
		.amdhsa_reserve_vcc 1
		.amdhsa_float_round_mode_32 0
		.amdhsa_float_round_mode_16_64 0
		.amdhsa_float_denorm_mode_32 3
		.amdhsa_float_denorm_mode_16_64 3
		.amdhsa_dx10_clamp 1
		.amdhsa_ieee_mode 1
		.amdhsa_fp16_overflow 0
		.amdhsa_workgroup_processor_mode 1
		.amdhsa_memory_ordered 1
		.amdhsa_forward_progress 0
		.amdhsa_shared_vgpr_count 0
		.amdhsa_exception_fp_ieee_invalid_op 0
		.amdhsa_exception_fp_denorm_src 0
		.amdhsa_exception_fp_ieee_div_zero 0
		.amdhsa_exception_fp_ieee_overflow 0
		.amdhsa_exception_fp_ieee_underflow 0
		.amdhsa_exception_fp_ieee_inexact 0
		.amdhsa_exception_int_div_zero 0
	.end_amdhsa_kernel
	.section	.text._ZL9moe_vec_qIN3c104HalfELi256ELi32E10block_q6_KLi1EXadL_ZL17vec_dot_q6_K_q8_1PKvPK10block_q8_1RKiEEEvS4_S4_PT_PS8_iiii,"axG",@progbits,_ZL9moe_vec_qIN3c104HalfELi256ELi32E10block_q6_KLi1EXadL_ZL17vec_dot_q6_K_q8_1PKvPK10block_q8_1RKiEEEvS4_S4_PT_PS8_iiii,comdat
.Lfunc_end265:
	.size	_ZL9moe_vec_qIN3c104HalfELi256ELi32E10block_q6_KLi1EXadL_ZL17vec_dot_q6_K_q8_1PKvPK10block_q8_1RKiEEEvS4_S4_PT_PS8_iiii, .Lfunc_end265-_ZL9moe_vec_qIN3c104HalfELi256ELi32E10block_q6_KLi1EXadL_ZL17vec_dot_q6_K_q8_1PKvPK10block_q8_1RKiEEEvS4_S4_PT_PS8_iiii
                                        ; -- End function
	.section	.AMDGPU.csdata,"",@progbits
; Kernel info:
; codeLenInByte = 1532
; NumSgprs: 20
; NumVgprs: 34
; ScratchSize: 0
; MemoryBound: 0
; FloatMode: 240
; IeeeMode: 1
; LDSByteSize: 0 bytes/workgroup (compile time only)
; SGPRBlocks: 2
; VGPRBlocks: 4
; NumSGPRsForWavesPerEU: 20
; NumVGPRsForWavesPerEU: 34
; Occupancy: 16
; WaveLimiterHint : 1
; COMPUTE_PGM_RSRC2:SCRATCH_EN: 0
; COMPUTE_PGM_RSRC2:USER_SGPR: 14
; COMPUTE_PGM_RSRC2:TRAP_HANDLER: 0
; COMPUTE_PGM_RSRC2:TGID_X_EN: 1
; COMPUTE_PGM_RSRC2:TGID_Y_EN: 0
; COMPUTE_PGM_RSRC2:TGID_Z_EN: 1
; COMPUTE_PGM_RSRC2:TIDIG_COMP_CNT: 1
	.section	.text._ZL9moe_vec_qIN3c104HalfELi256ELi8E13block_iq2_xxsLi1EXadL_ZL20vec_dot_iq2_xxs_q8_1PKvPK10block_q8_1RKiEEEvS4_S4_PT_PS8_iiii,"axG",@progbits,_ZL9moe_vec_qIN3c104HalfELi256ELi8E13block_iq2_xxsLi1EXadL_ZL20vec_dot_iq2_xxs_q8_1PKvPK10block_q8_1RKiEEEvS4_S4_PT_PS8_iiii,comdat
	.globl	_ZL9moe_vec_qIN3c104HalfELi256ELi8E13block_iq2_xxsLi1EXadL_ZL20vec_dot_iq2_xxs_q8_1PKvPK10block_q8_1RKiEEEvS4_S4_PT_PS8_iiii ; -- Begin function _ZL9moe_vec_qIN3c104HalfELi256ELi8E13block_iq2_xxsLi1EXadL_ZL20vec_dot_iq2_xxs_q8_1PKvPK10block_q8_1RKiEEEvS4_S4_PT_PS8_iiii
	.p2align	8
	.type	_ZL9moe_vec_qIN3c104HalfELi256ELi8E13block_iq2_xxsLi1EXadL_ZL20vec_dot_iq2_xxs_q8_1PKvPK10block_q8_1RKiEEEvS4_S4_PT_PS8_iiii,@function
_ZL9moe_vec_qIN3c104HalfELi256ELi8E13block_iq2_xxsLi1EXadL_ZL20vec_dot_iq2_xxs_q8_1PKvPK10block_q8_1RKiEEEvS4_S4_PT_PS8_iiii: ; @_ZL9moe_vec_qIN3c104HalfELi256ELi8E13block_iq2_xxsLi1EXadL_ZL20vec_dot_iq2_xxs_q8_1PKvPK10block_q8_1RKiEEEvS4_S4_PT_PS8_iiii
; %bb.0:
	s_clause 0x1
	s_load_b32 s2, s[0:1], 0x3c
	s_load_b128 s[16:19], s[0:1], 0x20
	v_bfe_u32 v3, v0, 10, 10
	s_waitcnt lgkmcnt(0)
	s_lshr_b32 s2, s2, 16
	s_delay_alu instid0(VALU_DEP_1) | instid1(SALU_CYCLE_1)
	v_mad_u64_u32 v[1:2], null, s14, s2, v[3:4]
	s_mov_b32 s2, exec_lo
	s_delay_alu instid0(VALU_DEP_1)
	v_cmpx_gt_u32_e64 s18, v1
	s_cbranch_execz .LBB266_7
; %bb.1:
	s_mov_b32 s12, s15
	s_load_b64 s[14:15], s[0:1], 0x10
	v_dual_mov_b32 v5, 0 :: v_dual_and_b32 v0, 0x3ff, v0
	s_ashr_i32 s2, s17, 31
	s_mov_b32 s11, exec_lo
	s_lshr_b32 s2, s2, 24
	s_delay_alu instid0(VALU_DEP_1) | instskip(SKIP_1) | instid1(SALU_CYCLE_1)
	v_lshrrev_b32_e32 v4, 3, v0
	s_add_i32 s2, s17, s2
	s_ashr_i32 s17, s2, 8
	s_delay_alu instid0(VALU_DEP_1) | instid1(SALU_CYCLE_1)
	v_cmpx_gt_u32_e64 s17, v4
	s_cbranch_execz .LBB266_5
; %bb.2:
	s_load_b64 s[2:3], s[0:1], 0x18
	s_mov_b32 s13, 0
	v_cvt_f32_u32_e32 v2, s16
	s_lshl_b64 s[4:5], s[12:13], 2
	v_mul_lo_u32 v6, v1, s17
	v_lshlrev_b32_e32 v7, 3, v4
	v_and_b32_e32 v5, 7, v0
	v_rcp_iflag_f32_e32 v2, v2
	s_delay_alu instid0(VALU_DEP_1)
	v_lshlrev_b32_e32 v8, 2, v5
	s_waitcnt_depctr 0xfff
	v_mul_f32_e32 v2, 0x4f7ffffe, v2
	s_waitcnt lgkmcnt(0)
	s_add_u32 s2, s2, s4
	s_addc_u32 s3, s3, s5
	s_delay_alu instid0(VALU_DEP_1)
	v_cvt_u32_f32_e32 v2, v2
	s_load_b32 s4, s[2:3], 0x0
	s_load_b128 s[0:3], s[0:1], 0x0
	s_mul_i32 s5, s17, s18
	s_waitcnt lgkmcnt(0)
	s_mul_i32 s4, s5, s4
	v_readfirstlane_b32 s5, v2
	s_mul_i32 s6, s4, 0x42
	s_mul_hi_i32 s4, s4, 0x42
	s_add_u32 s20, s0, s6
	s_addc_u32 s21, s1, s4
	s_sub_i32 s0, 0, s16
	s_delay_alu instid0(SALU_CYCLE_1) | instskip(NEXT) | instid1(SALU_CYCLE_1)
	s_mul_i32 s0, s0, s5
	s_mul_hi_u32 s0, s5, s0
	s_delay_alu instid0(SALU_CYCLE_1) | instskip(NEXT) | instid1(SALU_CYCLE_1)
	s_add_i32 s5, s5, s0
	s_mul_hi_u32 s0, s12, s5
	s_delay_alu instid0(SALU_CYCLE_1) | instskip(SKIP_2) | instid1(SALU_CYCLE_1)
	s_mul_i32 s1, s0, s16
	s_add_i32 s4, s0, 1
	s_sub_i32 s1, s12, s1
	s_sub_i32 s5, s1, s16
	s_cmp_ge_u32 s1, s16
	s_cselect_b32 s0, s4, s0
	s_cselect_b32 s1, s5, s1
	s_add_i32 s4, s0, 1
	s_cmp_ge_u32 s1, s16
	s_mov_b32 s1, s13
	s_cselect_b32 s0, s4, s0
	s_delay_alu instid0(SALU_CYCLE_1) | instskip(NEXT) | instid1(SALU_CYCLE_1)
	s_mul_i32 s0, s0, s19
	s_lshl_b64 s[0:1], s[0:1], 2
	s_delay_alu instid0(SALU_CYCLE_1) | instskip(SKIP_1) | instid1(SALU_CYCLE_1)
	s_add_u32 s0, s2, s0
	s_addc_u32 s1, s3, s1
	v_mad_u64_u32 v[2:3], null, v5, 36, s[0:1]
	v_dual_mov_b32 v5, 0 :: v_dual_lshlrev_b32 v8, 1, v8
.LBB266_3:                              ; =>This Inner Loop Header: Depth=1
	v_add_nc_u32_e32 v9, v6, v4
	s_delay_alu instid0(VALU_DEP_3)
	v_mad_i64_i32 v[19:20], null, v7, 36, v[2:3]
	s_getpc_b64 s[0:1]
	s_add_u32 s0, s0, _ZL11iq2xxs_grid@rel32@lo+4
	s_addc_u32 s1, s1, _ZL11iq2xxs_grid@rel32@hi+12
	s_getpc_b64 s[2:3]
	s_add_u32 s2, s2, _ZL12ksigns_iq2xs@rel32@lo+4
	s_addc_u32 s3, s3, _ZL12ksigns_iq2xs@rel32@hi+12
	v_mad_i64_i32 v[17:18], null, 0x42, v9, s[20:21]
	v_add_nc_u32_e32 v4, 4, v4
	v_add_nc_u32_e32 v7, 32, v7
	s_delay_alu instid0(VALU_DEP_3) | instskip(NEXT) | instid1(VALU_DEP_4)
	v_add_co_u32 v9, vcc_lo, v17, v8
	v_add_co_ci_u32_e32 v10, vcc_lo, 0, v18, vcc_lo
	s_clause 0x1
	global_load_b32 v27, v[9:10], off offset:6
	global_load_b32 v21, v[9:10], off offset:2
	s_clause 0x1
	global_load_b128 v[9:12], v[19:20], off offset:4
	global_load_b128 v[13:16], v[19:20], off offset:20
	global_load_u16 v28, v[17:18], off
	s_waitcnt vmcnt(2)
	v_bfe_i32 v37, v9, 8, 8
	v_and_b32_e32 v29, 0x7f, v27
	v_bfe_u32 v30, v27, 7, 7
	v_bfe_u32 v31, v27, 21, 7
	v_lshrrev_b32_e32 v22, 5, v21
	v_lshrrev_b32_e32 v23, 13, v21
	s_clause 0x2
	global_load_i8 v32, v29, s[2:3]
	global_load_i8 v33, v30, s[2:3]
	;; [unrolled: 1-line block ×3, first 2 shown]
	s_waitcnt vmcnt(3)
	v_cvt_f32_f16_e32 v28, v28
	v_and_b32_e32 v22, 0x7f8, v22
	v_and_b32_e32 v23, 0x7f8, v23
	v_bfe_i32 v39, v10, 0, 8
	v_bfe_i32 v38, v9, 16, 8
	;; [unrolled: 1-line block ×12, first 2 shown]
	v_ashrrev_i32_e32 v14, 24, v14
	v_bfe_i32 v41, v10, 16, 8
	v_ashrrev_i32_e32 v10, 24, v10
	v_bfe_i32 v42, v11, 0, 8
	v_bfe_i32 v43, v11, 8, 8
	v_bfe_i32 v44, v11, 16, 8
	v_ashrrev_i32_e32 v11, 24, v11
	v_bfe_i32 v45, v12, 0, 8
	v_bfe_i32 v46, v12, 8, 8
	;; [unrolled: 4-line block ×3, first 2 shown]
	v_bfe_i32 v50, v13, 16, 8
	v_ashrrev_i32_e32 v13, 24, v13
	v_ashrrev_i32_e32 v15, 24, v15
	;; [unrolled: 1-line block ×3, first 2 shown]
	s_waitcnt vmcnt(2)
	v_and_b32_e32 v60, 2, v32
	v_and_b32_e32 v62, 8, v32
	;; [unrolled: 1-line block ×5, first 2 shown]
	v_cmp_eq_u16_e32 vcc_lo, 0, v60
	v_and_b32_e32 v17, 0xffff0000, v27
	s_waitcnt vmcnt(1)
	v_and_b32_e32 v65, 1, v33
	v_and_b32_e32 v66, 2, v33
	;; [unrolled: 1-line block ×4, first 2 shown]
	v_and_or_b32 v17, 0xffff, v27, v17
	v_lshrrev_b32_e32 v27, 28, v27
	v_and_b32_e32 v93, 16, v33
	v_cmp_gt_i16_e64 s6, 0, v33
	v_cmp_eq_u16_e64 s4, 0, v68
	v_bfe_u32 v35, v17, 14, 7
	v_cvt_f32_ubyte0_e32 v27, v27
	v_and_b32_e32 v18, 0xff, v21
	v_lshrrev_b32_e32 v21, 21, v21
	s_delay_alu instid0(VALU_DEP_2) | instskip(NEXT) | instid1(VALU_DEP_1)
	v_dual_add_f32 v27, 0.5, v27 :: v_dual_lshlrev_b32 v18, 3, v18
	v_mul_f32_e32 v27, v27, v28
	s_delay_alu instid0(VALU_DEP_3)
	v_and_b32_e32 v25, 0x7f8, v21
	s_clause 0x3
	global_load_b64 v[17:18], v18, s[0:1]
	global_load_b64 v[21:22], v22, s[0:1]
	;; [unrolled: 1-line block ×4, first 2 shown]
	global_load_i8 v36, v35, s[2:3]
	global_load_u16 v19, v[19:20], off
	v_bfe_i32 v20, v9, 0, 8
	v_ashrrev_i32_e32 v9, 24, v9
	v_cmp_eq_u16_e64 s0, 0, v62
	v_cmp_eq_u16_e64 s1, 0, v64
	v_cmp_gt_i16_e64 s2, 0, v32
	v_cmp_eq_u16_e64 s3, 0, v66
	s_waitcnt vmcnt(5)
	v_bfe_u32 v72, v17, 8, 8
	v_and_b32_e32 v73, 0xff, v18
	v_lshrrev_b32_e32 v69, 24, v17
	v_and_b32_e32 v71, 0xff, v17
	v_bfe_u32 v17, v17, 16, 8
	s_waitcnt vmcnt(2)
	v_lshrrev_b32_e32 v87, 24, v25
	v_and_b32_e32 v89, 0xff, v25
	v_bfe_u32 v90, v25, 8, 8
	v_bfe_u32 v25, v25, 16, 8
	;; [unrolled: 1-line block ×3, first 2 shown]
	v_mul_i32_i24_e32 v37, v72, v37
	v_mul_i32_i24_e32 v39, v73, v39
	v_lshrrev_b32_e32 v82, 24, v24
	v_and_b32_e32 v85, 0xff, v24
	v_bfe_u32 v86, v24, 8, 8
	v_bfe_u32 v24, v24, 16, 8
	v_lshrrev_b32_e32 v88, 24, v26
	v_and_b32_e32 v91, 0xff, v26
	v_bfe_u32 v26, v26, 16, 8
	v_mul_i32_i24_e32 v20, v71, v20
	v_mul_i32_i24_e32 v17, v17, v38
	;; [unrolled: 1-line block ×4, first 2 shown]
	v_sub_nc_u32_e32 v58, 0, v37
	v_sub_nc_u32_e32 v62, 0, v39
	v_and_b32_e32 v28, 1, v32
	v_bfe_u32 v74, v18, 8, 8
	v_mul_i32_i24_e32 v9, v69, v9
	v_mul_i32_i24_e32 v24, v24, v53
	;; [unrolled: 1-line block ×6, first 2 shown]
	v_sub_nc_u32_e32 v57, 0, v20
	v_sub_nc_u32_e32 v59, 0, v17
	v_cmp_eq_u16_e64 s10, 0, v28
	v_cndmask_b32_e32 v28, v58, v37, vcc_lo
	v_cmp_eq_u16_e32 vcc_lo, 0, v61
	v_lshrrev_b32_e32 v70, 24, v18
	v_bfe_u32 v18, v18, 16, 8
	v_and_b32_e32 v77, 0xff, v21
	v_mul_i32_i24_e32 v40, v74, v40
	v_mul_i32_i24_e32 v14, v82, v14
	v_sub_nc_u32_e32 v60, 0, v9
	v_cndmask_b32_e64 v20, v57, v20, s10
	v_cndmask_b32_e32 v17, v59, v17, vcc_lo
	v_cmp_eq_u16_e32 vcc_lo, 0, v63
	v_bfe_u32 v78, v21, 8, 8
	v_mul_i32_i24_e32 v18, v18, v41
	v_mul_i32_i24_e32 v10, v70, v10
	;; [unrolled: 1-line block ×3, first 2 shown]
	v_cndmask_b32_e32 v39, v62, v39, vcc_lo
	v_sub_nc_u32_e32 v77, 0, v40
	v_cndmask_b32_e64 v9, v60, v9, s0
	v_add_nc_u32_e32 v20, v28, v20
	v_sub_nc_u32_e32 v28, 0, v14
	s_waitcnt vmcnt(1)
	v_cmp_gt_i16_e32 vcc_lo, 0, v36
	v_lshrrev_b32_e32 v75, 24, v21
	v_bfe_u32 v21, v21, 16, 8
	v_and_b32_e32 v79, 0xff, v22
	v_mul_i32_i24_e32 v43, v78, v43
	v_sub_nc_u32_e32 v64, 0, v18
	v_sub_nc_u32_e32 v78, 0, v10
	v_cndmask_b32_e64 v40, v77, v40, s1
	v_add3_u32 v9, v20, v17, v9
	v_cndmask_b32_e32 v14, v14, v28, vcc_lo
	v_cmp_gt_u32_e64 s0, 64, v29
	v_bfe_u32 v80, v22, 8, 8
	v_mul_i32_i24_e32 v21, v21, v44
	v_mul_i32_i24_e32 v11, v75, v11
	;; [unrolled: 1-line block ×3, first 2 shown]
	v_sub_nc_u32_e32 v32, 0, v42
	v_sub_nc_u32_e32 v79, 0, v43
	v_cndmask_b32_e64 v17, v64, v18, s0
	v_cndmask_b32_e64 v10, v10, v78, s2
	v_add3_u32 v9, v9, v39, v40
	v_cmp_eq_u16_e64 s0, 0, v65
	v_lshrrev_b32_e32 v76, 24, v22
	v_bfe_u32 v22, v22, 16, 8
	v_lshrrev_b32_e32 v81, 24, v23
	v_and_b32_e32 v71, 32, v33
	v_mul_i32_i24_e32 v45, v80, v46
	v_sub_nc_u32_e32 v66, 0, v21
	v_sub_nc_u32_e32 v80, 0, v11
	v_cndmask_b32_e64 v20, v32, v42, s0
	v_cndmask_b32_e64 v29, v79, v43, s3
	v_add3_u32 v9, v9, v17, v10
	v_cmp_eq_u16_e64 s0, 0, v67
	v_and_b32_e32 v83, 0xff, v23
	v_bfe_u32 v84, v23, 8, 8
	v_mul_i32_i24_e32 v22, v22, v47
	v_mul_i32_i24_e32 v12, v76, v12
	;; [unrolled: 1-line block ×3, first 2 shown]
	v_sub_nc_u32_e32 v68, 0, v44
	v_sub_nc_u32_e32 v81, 0, v45
	v_cmp_eq_u16_e64 s5, 0, v71
	v_cndmask_b32_e64 v17, v66, v21, s0
	v_cndmask_b32_e64 v11, v80, v11, s4
	v_add3_u32 v9, v9, v20, v29
	v_cmp_eq_u16_e64 s1, 0, v93
	v_bfe_u32 v23, v23, 16, 8
	v_mul_i32_i24_e32 v46, v83, v48
	v_and_b32_e32 v47, 1, v36
	v_mul_i32_i24_e32 v48, v84, v49
	v_and_b32_e32 v49, 2, v36
	v_sub_nc_u32_e32 v71, 0, v22
	v_sub_nc_u32_e32 v82, 0, v12
	v_cndmask_b32_e64 v20, v68, v44, s1
	v_cndmask_b32_e64 v21, v81, v45, s5
	v_add3_u32 v9, v9, v17, v11
	v_cmp_gt_u32_e64 s1, 64, v30
	v_mul_i32_i24_e32 v23, v23, v50
	v_and_b32_e32 v50, 4, v36
	v_and_b32_e32 v70, 8, v36
	v_sub_nc_u32_e32 v33, 0, v46
	v_sub_nc_u32_e32 v83, 0, v48
	v_cmp_eq_u16_e64 s7, 0, v49
	v_cndmask_b32_e64 v17, v71, v22, s1
	v_cndmask_b32_e64 v12, v12, v82, s6
	v_add3_u32 v9, v9, v20, v21
	v_cmp_eq_u16_e64 s1, 0, v47
	v_mul_i32_i24_e32 v51, v85, v51
	v_and_b32_e32 v75, 16, v36
	v_mul_i32_i24_e32 v52, v86, v52
	v_and_b32_e32 v76, 32, v36
	v_sub_nc_u32_e32 v49, 0, v23
	v_sub_nc_u32_e32 v84, 0, v13
	v_cmp_eq_u16_e64 s8, 0, v70
	v_cndmask_b32_e64 v21, v33, v46, s1
	v_cndmask_b32_e64 v22, v83, v48, s7
	v_add3_u32 v9, v9, v17, v12
	v_cmp_eq_u16_e64 s2, 0, v50
	v_sub_nc_u32_e32 v70, 0, v51
	v_sub_nc_u32_e32 v85, 0, v52
	v_cmp_eq_u16_e64 s9, 0, v76
	v_cndmask_b32_e64 v13, v84, v13, s8
	v_cndmask_b32_e64 v12, v49, v23, s2
	v_add3_u32 v9, v9, v21, v22
	v_cmp_eq_u16_e64 s2, 0, v75
	v_and_b32_e32 v72, 1, v34
	v_and_b32_e32 v38, 2, v34
	v_sub_nc_u32_e32 v37, 0, v24
	v_cndmask_b32_e64 v22, v85, v52, s9
	v_cndmask_b32_e64 v21, v70, v51, s2
	v_add3_u32 v9, v9, v12, v13
	v_cmp_gt_u32_e64 s2, 64, v35
	v_and_b32_e32 v69, 4, v34
	v_and_b32_e32 v73, 8, v34
	v_mul_i32_i24_e32 v15, v87, v15
	v_sub_nc_u32_e32 v18, 0, v53
	v_sub_nc_u32_e32 v10, 0, v54
	v_cmp_eq_u16_e64 s0, 0, v38
	v_cndmask_b32_e64 v13, v37, v24, s2
	v_add3_u32 v9, v9, v21, v22
	v_cmp_eq_u16_e64 s2, 0, v72
	v_and_b32_e32 v74, 16, v34
	v_and_b32_e32 v41, 32, v34
	v_sub_nc_u32_e32 v11, 0, v25
	v_sub_nc_u32_e32 v20, 0, v15
	v_cmp_eq_u16_e64 s1, 0, v73
	v_cndmask_b32_e64 v18, v18, v53, s2
	v_cndmask_b32_e64 v10, v10, v54, s0
	v_add3_u32 v9, v9, v13, v14
	v_cmp_eq_u16_e64 s0, 0, v69
	v_mul_i32_i24_e32 v16, v88, v16
	v_sub_nc_u32_e32 v17, 0, v55
	v_sub_nc_u32_e32 v12, 0, v56
	v_cmp_eq_u16_e32 vcc_lo, 0, v41
	v_cndmask_b32_e64 v11, v11, v25, s0
	v_cndmask_b32_e64 v14, v20, v15, s1
	v_add3_u32 v9, v9, v18, v10
	v_cmp_eq_u16_e64 s0, 0, v74
	v_sub_nc_u32_e32 v13, 0, v26
	v_sub_nc_u32_e32 v10, 0, v16
	v_cndmask_b32_e32 v12, v12, v56, vcc_lo
	v_add3_u32 v9, v9, v11, v14
	v_cndmask_b32_e64 v15, v17, v55, s0
	v_cmp_gt_i16_e32 vcc_lo, 0, v34
	v_cmp_gt_u32_e64 s0, 64, v31
	s_waitcnt vmcnt(0)
	v_cvt_f32_f16_e32 v19, v19
	v_add3_u32 v9, v9, v15, v12
	v_cndmask_b32_e32 v10, v16, v10, vcc_lo
	v_cndmask_b32_e64 v11, v13, v26, s0
	s_delay_alu instid0(VALU_DEP_4) | instskip(SKIP_1) | instid1(VALU_DEP_3)
	v_mul_f32_e32 v12, v27, v19
	v_cmp_le_u32_e32 vcc_lo, s17, v4
	v_add3_u32 v9, v9, v11, v10
	s_delay_alu instid0(VALU_DEP_3) | instskip(SKIP_1) | instid1(VALU_DEP_2)
	v_mul_f32_e32 v10, 0x3e800000, v12
	s_or_b32 s13, vcc_lo, s13
	v_cvt_f32_i32_e32 v9, v9
	s_delay_alu instid0(VALU_DEP_1)
	v_fmac_f32_e32 v5, v10, v9
	s_and_not1_b32 exec_lo, exec_lo, s13
	s_cbranch_execnz .LBB266_3
; %bb.4:
	s_or_b32 exec_lo, exec_lo, s13
.LBB266_5:
	s_delay_alu instid0(SALU_CYCLE_1) | instskip(SKIP_1) | instid1(VALU_DEP_1)
	s_or_b32 exec_lo, exec_lo, s11
	v_mbcnt_lo_u32_b32 v2, -1, 0
	v_xor_b32_e32 v3, 16, v2
	v_xor_b32_e32 v4, 8, v2
	s_delay_alu instid0(VALU_DEP_2) | instskip(SKIP_1) | instid1(VALU_DEP_3)
	v_cmp_gt_i32_e32 vcc_lo, 32, v3
	v_cndmask_b32_e32 v3, v2, v3, vcc_lo
	v_cmp_gt_i32_e32 vcc_lo, 32, v4
	v_cndmask_b32_e32 v4, v2, v4, vcc_lo
	s_delay_alu instid0(VALU_DEP_1) | instskip(NEXT) | instid1(VALU_DEP_4)
	v_lshlrev_b32_e32 v4, 2, v4
	v_lshlrev_b32_e32 v3, 2, v3
	ds_bpermute_b32 v3, v3, v5
	s_waitcnt lgkmcnt(0)
	v_add_f32_e32 v3, v5, v3
	v_xor_b32_e32 v5, 4, v2
	ds_bpermute_b32 v4, v4, v3
	v_cmp_gt_i32_e32 vcc_lo, 32, v5
	v_cndmask_b32_e32 v5, v2, v5, vcc_lo
	s_delay_alu instid0(VALU_DEP_1) | instskip(SKIP_4) | instid1(VALU_DEP_1)
	v_lshlrev_b32_e32 v5, 2, v5
	s_waitcnt lgkmcnt(0)
	v_add_f32_e32 v3, v3, v4
	ds_bpermute_b32 v4, v5, v3
	v_xor_b32_e32 v5, 2, v2
	v_cmp_gt_i32_e32 vcc_lo, 32, v5
	v_cndmask_b32_e32 v5, v2, v5, vcc_lo
	s_delay_alu instid0(VALU_DEP_1) | instskip(SKIP_4) | instid1(VALU_DEP_1)
	v_lshlrev_b32_e32 v5, 2, v5
	s_waitcnt lgkmcnt(0)
	v_add_f32_e32 v3, v3, v4
	ds_bpermute_b32 v4, v5, v3
	v_xor_b32_e32 v5, 1, v2
	v_cmp_gt_i32_e32 vcc_lo, 32, v5
	v_cndmask_b32_e32 v5, v2, v5, vcc_lo
	v_cmp_eq_u32_e32 vcc_lo, 0, v0
	s_waitcnt lgkmcnt(0)
	s_delay_alu instid0(VALU_DEP_2)
	v_dual_add_f32 v2, v3, v4 :: v_dual_lshlrev_b32 v3, 2, v5
	ds_bpermute_b32 v3, v3, v2
	s_and_b32 exec_lo, exec_lo, vcc_lo
	s_cbranch_execz .LBB266_7
; %bb.6:
	v_mad_u64_u32 v[4:5], null, s12, s18, v[1:2]
	s_waitcnt lgkmcnt(0)
	v_dual_mov_b32 v5, 0 :: v_dual_add_f32 v2, v2, v3
	s_delay_alu instid0(VALU_DEP_1) | instskip(NEXT) | instid1(VALU_DEP_2)
	v_cvt_f16_f32_e32 v2, v2
	v_lshlrev_b64 v[0:1], 1, v[4:5]
	s_delay_alu instid0(VALU_DEP_1) | instskip(NEXT) | instid1(VALU_DEP_2)
	v_add_co_u32 v0, vcc_lo, s14, v0
	v_add_co_ci_u32_e32 v1, vcc_lo, s15, v1, vcc_lo
	global_store_b16 v[0:1], v2, off
.LBB266_7:
	s_nop 0
	s_sendmsg sendmsg(MSG_DEALLOC_VGPRS)
	s_endpgm
	.section	.rodata,"a",@progbits
	.p2align	6, 0x0
	.amdhsa_kernel _ZL9moe_vec_qIN3c104HalfELi256ELi8E13block_iq2_xxsLi1EXadL_ZL20vec_dot_iq2_xxs_q8_1PKvPK10block_q8_1RKiEEEvS4_S4_PT_PS8_iiii
		.amdhsa_group_segment_fixed_size 0
		.amdhsa_private_segment_fixed_size 0
		.amdhsa_kernarg_size 304
		.amdhsa_user_sgpr_count 14
		.amdhsa_user_sgpr_dispatch_ptr 0
		.amdhsa_user_sgpr_queue_ptr 0
		.amdhsa_user_sgpr_kernarg_segment_ptr 1
		.amdhsa_user_sgpr_dispatch_id 0
		.amdhsa_user_sgpr_private_segment_size 0
		.amdhsa_wavefront_size32 1
		.amdhsa_uses_dynamic_stack 0
		.amdhsa_enable_private_segment 0
		.amdhsa_system_sgpr_workgroup_id_x 1
		.amdhsa_system_sgpr_workgroup_id_y 0
		.amdhsa_system_sgpr_workgroup_id_z 1
		.amdhsa_system_sgpr_workgroup_info 0
		.amdhsa_system_vgpr_workitem_id 1
		.amdhsa_next_free_vgpr 94
		.amdhsa_next_free_sgpr 22
		.amdhsa_reserve_vcc 1
		.amdhsa_float_round_mode_32 0
		.amdhsa_float_round_mode_16_64 0
		.amdhsa_float_denorm_mode_32 3
		.amdhsa_float_denorm_mode_16_64 3
		.amdhsa_dx10_clamp 1
		.amdhsa_ieee_mode 1
		.amdhsa_fp16_overflow 0
		.amdhsa_workgroup_processor_mode 1
		.amdhsa_memory_ordered 1
		.amdhsa_forward_progress 0
		.amdhsa_shared_vgpr_count 0
		.amdhsa_exception_fp_ieee_invalid_op 0
		.amdhsa_exception_fp_denorm_src 0
		.amdhsa_exception_fp_ieee_div_zero 0
		.amdhsa_exception_fp_ieee_overflow 0
		.amdhsa_exception_fp_ieee_underflow 0
		.amdhsa_exception_fp_ieee_inexact 0
		.amdhsa_exception_int_div_zero 0
	.end_amdhsa_kernel
	.section	.text._ZL9moe_vec_qIN3c104HalfELi256ELi8E13block_iq2_xxsLi1EXadL_ZL20vec_dot_iq2_xxs_q8_1PKvPK10block_q8_1RKiEEEvS4_S4_PT_PS8_iiii,"axG",@progbits,_ZL9moe_vec_qIN3c104HalfELi256ELi8E13block_iq2_xxsLi1EXadL_ZL20vec_dot_iq2_xxs_q8_1PKvPK10block_q8_1RKiEEEvS4_S4_PT_PS8_iiii,comdat
.Lfunc_end266:
	.size	_ZL9moe_vec_qIN3c104HalfELi256ELi8E13block_iq2_xxsLi1EXadL_ZL20vec_dot_iq2_xxs_q8_1PKvPK10block_q8_1RKiEEEvS4_S4_PT_PS8_iiii, .Lfunc_end266-_ZL9moe_vec_qIN3c104HalfELi256ELi8E13block_iq2_xxsLi1EXadL_ZL20vec_dot_iq2_xxs_q8_1PKvPK10block_q8_1RKiEEEvS4_S4_PT_PS8_iiii
                                        ; -- End function
	.section	.AMDGPU.csdata,"",@progbits
; Kernel info:
; codeLenInByte = 2484
; NumSgprs: 24
; NumVgprs: 94
; ScratchSize: 0
; MemoryBound: 0
; FloatMode: 240
; IeeeMode: 1
; LDSByteSize: 0 bytes/workgroup (compile time only)
; SGPRBlocks: 2
; VGPRBlocks: 11
; NumSGPRsForWavesPerEU: 24
; NumVGPRsForWavesPerEU: 94
; Occupancy: 16
; WaveLimiterHint : 1
; COMPUTE_PGM_RSRC2:SCRATCH_EN: 0
; COMPUTE_PGM_RSRC2:USER_SGPR: 14
; COMPUTE_PGM_RSRC2:TRAP_HANDLER: 0
; COMPUTE_PGM_RSRC2:TGID_X_EN: 1
; COMPUTE_PGM_RSRC2:TGID_Y_EN: 0
; COMPUTE_PGM_RSRC2:TGID_Z_EN: 1
; COMPUTE_PGM_RSRC2:TIDIG_COMP_CNT: 1
	.section	.text._ZL9moe_vec_qIN3c104HalfELi256ELi8E12block_iq2_xsLi1EXadL_ZL19vec_dot_iq2_xs_q8_1PKvPK10block_q8_1RKiEEEvS4_S4_PT_PS8_iiii,"axG",@progbits,_ZL9moe_vec_qIN3c104HalfELi256ELi8E12block_iq2_xsLi1EXadL_ZL19vec_dot_iq2_xs_q8_1PKvPK10block_q8_1RKiEEEvS4_S4_PT_PS8_iiii,comdat
	.globl	_ZL9moe_vec_qIN3c104HalfELi256ELi8E12block_iq2_xsLi1EXadL_ZL19vec_dot_iq2_xs_q8_1PKvPK10block_q8_1RKiEEEvS4_S4_PT_PS8_iiii ; -- Begin function _ZL9moe_vec_qIN3c104HalfELi256ELi8E12block_iq2_xsLi1EXadL_ZL19vec_dot_iq2_xs_q8_1PKvPK10block_q8_1RKiEEEvS4_S4_PT_PS8_iiii
	.p2align	8
	.type	_ZL9moe_vec_qIN3c104HalfELi256ELi8E12block_iq2_xsLi1EXadL_ZL19vec_dot_iq2_xs_q8_1PKvPK10block_q8_1RKiEEEvS4_S4_PT_PS8_iiii,@function
_ZL9moe_vec_qIN3c104HalfELi256ELi8E12block_iq2_xsLi1EXadL_ZL19vec_dot_iq2_xs_q8_1PKvPK10block_q8_1RKiEEEvS4_S4_PT_PS8_iiii: ; @_ZL9moe_vec_qIN3c104HalfELi256ELi8E12block_iq2_xsLi1EXadL_ZL19vec_dot_iq2_xs_q8_1PKvPK10block_q8_1RKiEEEvS4_S4_PT_PS8_iiii
; %bb.0:
	s_clause 0x1
	s_load_b32 s2, s[0:1], 0x3c
	s_load_b128 s[28:31], s[0:1], 0x20
	v_bfe_u32 v3, v0, 10, 10
	s_waitcnt lgkmcnt(0)
	s_lshr_b32 s2, s2, 16
	s_delay_alu instid0(VALU_DEP_1) | instid1(SALU_CYCLE_1)
	v_mad_u64_u32 v[1:2], null, s14, s2, v[3:4]
	s_mov_b32 s2, exec_lo
	s_delay_alu instid0(VALU_DEP_1)
	v_cmpx_gt_u32_e64 s30, v1
	s_cbranch_execz .LBB267_7
; %bb.1:
	s_load_b64 s[36:37], s[0:1], 0x10
	v_dual_mov_b32 v7, 0 :: v_dual_and_b32 v0, 0x3ff, v0
	s_ashr_i32 s2, s29, 31
	s_mov_b32 s34, s15
	s_lshr_b32 s2, s2, 24
	s_delay_alu instid0(VALU_DEP_1)
	v_lshrrev_b32_e32 v6, 3, v0
	s_add_i32 s2, s29, s2
	s_mov_b32 s33, exec_lo
	s_ashr_i32 s40, s2, 8
	s_delay_alu instid0(VALU_DEP_1) | instid1(SALU_CYCLE_1)
	v_cmpx_gt_u32_e64 s40, v6
	s_cbranch_execz .LBB267_5
; %bb.2:
	s_load_b64 s[2:3], s[0:1], 0x18
	s_mov_b32 s35, 0
	v_cvt_f32_u32_e32 v2, s28
	s_lshl_b64 s[4:5], s[34:35], 2
	v_and_b32_e32 v8, 7, v0
	v_mul_lo_u32 v9, v1, s40
	v_lshlrev_b32_e32 v10, 3, v6
	v_rcp_iflag_f32_e32 v2, v2
	s_delay_alu instid0(VALU_DEP_3)
	v_dual_mov_b32 v7, 0 :: v_dual_lshlrev_b32 v4, 2, v8
	s_waitcnt_depctr 0xfff
	v_dual_mul_f32 v2, 0x4f7ffffe, v2 :: v_dual_lshlrev_b32 v11, 1, v4
	s_waitcnt lgkmcnt(0)
	s_add_u32 s2, s2, s4
	s_addc_u32 s3, s3, s5
	s_delay_alu instid0(VALU_DEP_1)
	v_cvt_u32_f32_e32 v2, v2
	s_load_b32 s4, s[2:3], 0x0
	s_load_b128 s[0:3], s[0:1], 0x0
	s_mul_i32 s5, s40, s30
	s_waitcnt lgkmcnt(0)
	s_mul_i32 s4, s5, s4
	v_readfirstlane_b32 s5, v2
	s_mul_i32 s6, s4, 0x4a
	s_mul_hi_i32 s4, s4, 0x4a
	s_add_u32 s38, s0, s6
	s_addc_u32 s39, s1, s4
	s_sub_i32 s0, 0, s28
	s_delay_alu instid0(SALU_CYCLE_1) | instskip(NEXT) | instid1(SALU_CYCLE_1)
	s_mul_i32 s0, s0, s5
	s_mul_hi_u32 s0, s5, s0
	s_delay_alu instid0(SALU_CYCLE_1) | instskip(NEXT) | instid1(SALU_CYCLE_1)
	s_add_i32 s5, s5, s0
	s_mul_hi_u32 s0, s34, s5
	s_delay_alu instid0(SALU_CYCLE_1) | instskip(SKIP_2) | instid1(SALU_CYCLE_1)
	s_mul_i32 s1, s0, s28
	s_add_i32 s4, s0, 1
	s_sub_i32 s1, s34, s1
	s_sub_i32 s5, s1, s28
	s_cmp_ge_u32 s1, s28
	s_cselect_b32 s0, s4, s0
	s_cselect_b32 s1, s5, s1
	s_add_i32 s4, s0, 1
	s_cmp_ge_u32 s1, s28
	s_mov_b32 s1, s35
	s_cselect_b32 s0, s4, s0
	s_delay_alu instid0(SALU_CYCLE_1) | instskip(NEXT) | instid1(SALU_CYCLE_1)
	s_mul_i32 s0, s0, s31
	s_lshl_b64 s[0:1], s[0:1], 2
	s_delay_alu instid0(SALU_CYCLE_1) | instskip(SKIP_1) | instid1(SALU_CYCLE_1)
	s_add_u32 s0, s2, s0
	s_addc_u32 s1, s3, s1
	v_mad_u64_u32 v[2:3], null, v8, 36, s[0:1]
.LBB267_3:                              ; =>This Inner Loop Header: Depth=1
	v_add_nc_u32_e32 v4, v9, v6
	s_delay_alu instid0(VALU_DEP_2)
	v_mad_i64_i32 v[22:23], null, v10, 36, v[2:3]
	s_getpc_b64 s[0:1]
	s_add_u32 s0, s0, _ZL10iq2xs_grid@rel32@lo+4
	s_addc_u32 s1, s1, _ZL10iq2xs_grid@rel32@hi+12
	s_getpc_b64 s[2:3]
	s_add_u32 s2, s2, _ZL12ksigns_iq2xs@rel32@lo+4
	s_addc_u32 s3, s3, _ZL12ksigns_iq2xs@rel32@hi+12
	v_mad_i64_i32 v[20:21], null, 0x4a, v4, s[38:39]
	v_add_nc_u32_e32 v6, 4, v6
	v_add_nc_u32_e32 v10, 32, v10
	s_delay_alu instid0(VALU_DEP_3) | instskip(NEXT) | instid1(VALU_DEP_4)
	v_add_co_u32 v4, vcc_lo, v20, v11
	v_add_co_ci_u32_e32 v5, vcc_lo, 0, v21, vcc_lo
	v_add_co_u32 v24, vcc_lo, v20, v8
	v_add_co_ci_u32_e32 v25, vcc_lo, 0, v21, vcc_lo
	global_load_b64 v[4:5], v[4:5], off offset:2
	s_clause 0x1
	global_load_b128 v[12:15], v[22:23], off offset:4
	global_load_b128 v[16:19], v[22:23], off offset:20
	s_clause 0x1
	global_load_u8 v30, v[24:25], off offset:66
	global_load_u16 v31, v[20:21], off
	s_waitcnt vmcnt(3)
	v_bfe_i32 v36, v12, 8, 8
	v_and_b32_e32 v20, 0x1ff, v4
	v_lshrrev_b32_e32 v24, 13, v4
	v_and_b32_e32 v26, 0x1ff, v5
	v_lshrrev_b32_e32 v28, 13, v5
	v_bfe_u32 v21, v4, 9, 7
	v_lshrrev_b32_e32 v25, 25, v4
	v_bfe_u32 v27, v5, 9, 7
	v_lshrrev_b32_e32 v29, 25, v5
	v_lshlrev_b32_e32 v20, 3, v20
	v_and_b32_e32 v24, 0xff8, v24
	v_lshlrev_b32_e32 v26, 3, v26
	v_and_b32_e32 v28, 0xff8, v28
	s_clause 0x3
	global_load_i8 v32, v21, s[2:3]
	global_load_i8 v33, v25, s[2:3]
	;; [unrolled: 1-line block ×4, first 2 shown]
	s_clause 0x3
	global_load_b64 v[20:21], v20, s[0:1]
	global_load_b64 v[24:25], v24, s[0:1]
	;; [unrolled: 1-line block ×4, first 2 shown]
	global_load_u16 v22, v[22:23], off
	v_bfe_i32 v38, v13, 0, 8
	v_bfe_i32 v39, v13, 8, 8
	s_waitcnt vmcnt(11)
	v_bfe_i32 v47, v16, 0, 8
	v_bfe_i32 v48, v16, 8, 8
	s_waitcnt vmcnt(10)
	v_lshrrev_b16 v59, 4, v30
	v_bfe_i32 v23, v12, 0, 8
	v_bfe_i32 v37, v12, 16, 8
	v_ashrrev_i32_e32 v12, 24, v12
	v_bfe_i32 v40, v13, 16, 8
	v_ashrrev_i32_e32 v13, 24, v13
	;; [unrolled: 2-line block ×3, first 2 shown]
	v_bfe_i32 v50, v17, 0, 8
	v_bfe_i32 v51, v17, 8, 8
	;; [unrolled: 1-line block ×4, first 2 shown]
	v_cvt_f32_ubyte0_e32 v59, v59
	v_bfe_i32 v41, v14, 0, 8
	v_bfe_i32 v42, v14, 8, 8
	;; [unrolled: 1-line block ×3, first 2 shown]
	v_ashrrev_i32_e32 v14, 24, v14
	v_bfe_i32 v44, v15, 0, 8
	v_bfe_i32 v45, v15, 8, 8
	;; [unrolled: 1-line block ×3, first 2 shown]
	v_ashrrev_i32_e32 v15, 24, v15
	v_bfe_i32 v55, v18, 16, 8
	v_bfe_i32 v52, v17, 16, 8
	v_ashrrev_i32_e32 v17, 24, v17
	v_bfe_i32 v54, v18, 8, 8
	v_bfe_i32 v57, v19, 8, 8
	v_bfe_i32 v58, v19, 16, 8
	v_lshrrev_b32_e32 v60, 16, v4
	v_cmp_gt_i16_e64 s4, 0, v4
	v_ashrrev_i32_e32 v18, 24, v18
	v_lshrrev_b32_e32 v61, 16, v5
	v_cmp_gt_i16_e64 s19, 0, v5
	v_ashrrev_i32_e32 v19, 24, v19
	v_and_b32_e32 v30, 15, v30
	s_delay_alu instid0(VALU_DEP_4)
	v_cmp_gt_i16_e64 s27, 0, v61
	s_waitcnt vmcnt(5)
	v_cmp_gt_i16_e64 s28, 0, v35
	s_waitcnt vmcnt(4)
	v_bfe_u32 v72, v20, 8, 8
	v_and_b32_e32 v73, 0xff, v21
	v_bfe_u32 v74, v21, 8, 8
	s_waitcnt vmcnt(2)
	v_and_b32_e32 v83, 0xff, v26
	v_bfe_u32 v84, v26, 8, 8
	v_and_b32_e32 v63, 2, v32
	v_and_b32_e32 v64, 4, v32
	;; [unrolled: 1-line block ×4, first 2 shown]
	v_lshrrev_b32_e32 v69, 24, v20
	v_lshrrev_b32_e32 v70, 24, v21
	v_and_b32_e32 v71, 0xff, v20
	v_bfe_u32 v20, v20, 16, 8
	v_bfe_u32 v21, v21, 16, 8
	v_lshrrev_b32_e32 v81, 24, v26
	v_bfe_u32 v26, v26, 16, 8
	v_and_b32_e32 v85, 0xff, v27
	v_bfe_u32 v86, v27, 8, 8
	s_waitcnt vmcnt(1)
	v_and_b32_e32 v89, 0xff, v28
	v_and_b32_e32 v91, 0xff, v29
	v_mul_i32_i24_e32 v36, v72, v36
	v_mul_i32_i24_e32 v38, v73, v38
	v_and_b32_e32 v73, 1, v34
	v_mul_i32_i24_e32 v39, v74, v39
	v_and_b32_e32 v74, 2, v34
	v_mul_i32_i24_e32 v47, v83, v47
	v_mul_i32_i24_e32 v48, v84, v48
	v_and_b32_e32 v62, 1, v32
	v_and_b32_e32 v68, 1, v33
	v_lshrrev_b32_e32 v75, 24, v24
	v_lshrrev_b32_e32 v76, 24, v25
	v_and_b32_e32 v77, 0xff, v24
	v_bfe_u32 v78, v24, 8, 8
	v_bfe_u32 v24, v24, 16, 8
	v_and_b32_e32 v79, 0xff, v25
	v_bfe_u32 v80, v25, 8, 8
	v_bfe_u32 v25, v25, 16, 8
	v_lshrrev_b32_e32 v87, 24, v28
	v_bfe_u32 v90, v28, 8, 8
	v_bfe_u32 v28, v28, 16, 8
	v_and_b32_e32 v93, 2, v33
	v_mul_i32_i24_e32 v23, v71, v23
	v_and_b32_e32 v71, 4, v33
	v_and_b32_e32 v72, 8, v33
	v_mul_i32_i24_e32 v20, v20, v37
	v_and_b32_e32 v37, 16, v33
	v_mul_i32_i24_e32 v12, v69, v12
	;; [unrolled: 2-line block ×5, first 2 shown]
	v_mul_i32_i24_e32 v16, v81, v16
	v_mul_i32_i24_e32 v49, v85, v50
	v_mul_i32_i24_e32 v50, v86, v51
	v_mul_i32_i24_e32 v51, v89, v53
	v_mul_i32_i24_e32 v53, v91, v56
	v_sub_nc_u32_e32 v56, 0, v36
	v_cmp_eq_u16_e32 vcc_lo, 0, v63
	v_cmp_eq_u16_e64 s0, 0, v64
	v_sub_nc_u32_e32 v63, 0, v38
	v_cmp_eq_u16_e64 s2, 0, v66
	v_sub_nc_u32_e32 v64, 0, v39
	v_cmp_eq_u16_e64 s3, 0, v67
	v_cmp_gt_i16_e64 s12, 0, v33
	v_sub_nc_u32_e32 v33, 0, v47
	v_cmp_eq_u16_e64 s13, 0, v73
	v_sub_nc_u32_e32 v73, 0, v48
	v_cmp_eq_u16_e64 s14, 0, v74
	s_waitcnt vmcnt(0)
	v_cvt_f32_f16_e32 v22, v22
	v_and_b32_e32 v65, 8, v32
	v_lshrrev_b32_e32 v82, 24, v27
	v_bfe_u32 v27, v27, 16, 8
	v_lshrrev_b32_e32 v88, 24, v29
	v_bfe_u32 v92, v29, 8, 8
	v_bfe_u32 v29, v29, 16, 8
	v_mul_i32_i24_e32 v41, v77, v41
	v_and_b32_e32 v77, 16, v34
	v_mul_i32_i24_e32 v42, v78, v42
	v_and_b32_e32 v78, 32, v34
	;; [unrolled: 2-line block ×8, first 2 shown]
	v_mul_i32_i24_e32 v28, v28, v55
	v_sub_nc_u32_e32 v55, 0, v23
	v_sub_nc_u32_e32 v4, 0, v13
	v_cmp_gt_i16_e64 s5, 0, v32
	v_sub_nc_u32_e32 v74, 0, v26
	v_cmp_eq_u16_e64 s15, 0, v40
	v_sub_nc_u32_e32 v40, 0, v16
	v_cmp_eq_u16_e64 s16, 0, v70
	v_cmp_eq_u16_e64 s29, 0, v62
	v_cndmask_b32_e32 v35, v56, v36, vcc_lo
	v_cndmask_b32_e64 v36, v63, v38, s2
	v_cndmask_b32_e64 v38, v64, v39, s3
	;; [unrolled: 1-line block ×4, first 2 shown]
	v_mul_i32_i24_e32 v27, v27, v52
	v_mul_i32_i24_e32 v17, v82, v17
	v_mul_i32_i24_e32 v52, v90, v54
	v_mul_i32_i24_e32 v54, v92, v57
	v_mul_i32_i24_e32 v29, v29, v58
	v_sub_nc_u32_e32 v57, 0, v20
	v_sub_nc_u32_e32 v58, 0, v12
	v_cmp_eq_u16_e64 s1, 0, v65
	v_sub_nc_u32_e32 v70, 0, v49
	v_cmp_eq_u16_e64 s17, 0, v77
	;; [unrolled: 2-line block ×3, first 2 shown]
	v_cndmask_b32_e64 v23, v55, v23, s29
	v_cndmask_b32_e64 v4, v13, v4, s5
	;; [unrolled: 1-line block ×4, first 2 shown]
	v_add_nc_u32_e32 v26, v39, v33
	v_sub_nc_u32_e32 v78, 0, v27
	v_sub_nc_u32_e32 v5, 0, v17
	v_cmp_gt_i16_e64 s20, 0, v34
	v_cndmask_b32_e64 v20, v57, v20, s0
	v_cndmask_b32_e64 v12, v58, v12, s1
	;; [unrolled: 1-line block ×4, first 2 shown]
	v_add_nc_u32_e32 v23, v35, v23
	v_add3_u32 v13, v26, v13, v16
	v_mul_i32_i24_e32 v18, v87, v18
	v_sub_nc_u32_e32 v65, 0, v21
	v_sub_nc_u32_e32 v34, 0, v51
	v_cmp_eq_u16_e64 s21, 0, v43
	v_sub_nc_u32_e32 v43, 0, v52
	v_cmp_eq_u16_e64 s22, 0, v75
	v_cndmask_b32_e64 v26, v27, v78, s19
	v_cndmask_b32_e64 v5, v17, v5, s20
	v_add3_u32 v12, v23, v20, v12
	v_add3_u32 v13, v13, v33, v39
	v_sub_nc_u32_e32 v32, 0, v41
	v_cmp_eq_u16_e64 s6, 0, v68
	v_sub_nc_u32_e32 v66, 0, v42
	v_cmp_eq_u16_e64 s7, 0, v93
	;; [unrolled: 2-line block ×5, first 2 shown]
	v_cndmask_b32_e64 v21, v21, v65, s4
	v_cndmask_b32_e64 v20, v34, v51, s21
	;; [unrolled: 1-line block ×3, first 2 shown]
	v_add3_u32 v12, v12, v36, v38
	v_add3_u32 v5, v13, v26, v5
	v_mul_i32_i24_e32 v19, v88, v19
	v_sub_nc_u32_e32 v67, 0, v24
	v_cmp_eq_u16_e64 s8, 0, v71
	v_sub_nc_u32_e32 v80, 0, v53
	v_cmp_eq_u16_e64 s25, 0, v46
	;; [unrolled: 2-line block ×3, first 2 shown]
	v_cndmask_b32_e64 v32, v32, v41, s6
	v_cndmask_b32_e64 v16, v66, v42, s7
	v_cndmask_b32_e64 v13, v68, v14, s9
	v_cndmask_b32_e64 v14, v75, v28, s23
	v_cndmask_b32_e64 v18, v79, v18, s24
	v_add3_u32 v4, v12, v21, v4
	v_add3_u32 v5, v5, v20, v23
	v_sub_nc_u32_e32 v71, 0, v44
	v_cmp_eq_u16_e64 s10, 0, v37
	v_sub_nc_u32_e32 v37, 0, v45
	v_cmp_eq_u16_e64 s11, 0, v69
	v_sub_nc_u32_e32 v76, 0, v29
	v_sub_nc_u32_e32 v61, 0, v19
	v_cndmask_b32_e64 v17, v67, v24, s8
	v_cndmask_b32_e64 v20, v80, v53, s25
	v_cndmask_b32_e64 v21, v46, v54, s26
	v_add3_u32 v4, v4, v32, v16
	v_add3_u32 v5, v5, v14, v18
	v_sub_nc_u32_e32 v69, 0, v25
	v_sub_nc_u32_e32 v72, 0, v15
	v_cndmask_b32_e64 v12, v71, v44, s10
	v_cndmask_b32_e64 v14, v37, v45, s11
	;; [unrolled: 1-line block ×4, first 2 shown]
	v_add3_u32 v4, v4, v17, v13
	v_add3_u32 v5, v5, v20, v21
	v_cmp_gt_i16_e32 vcc_lo, 0, v60
	v_cndmask_b32_e64 v15, v15, v72, s12
	s_delay_alu instid0(VALU_DEP_4) | instskip(NEXT) | instid1(VALU_DEP_4)
	v_add3_u32 v4, v4, v12, v14
	v_add3_u32 v5, v5, v16, v18
	v_cndmask_b32_e32 v13, v25, v69, vcc_lo
	v_cvt_f32_f16_e32 v12, v31
	v_cvt_f32_ubyte0_e32 v14, v30
	v_add_f32_e32 v16, 0.5, v59
	v_cvt_f32_i32_e32 v5, v5
	v_add3_u32 v4, v4, v13, v15
	v_mul_f32_e32 v12, v12, v22
	v_add_f32_e32 v13, 0.5, v14
	v_cmp_le_u32_e32 vcc_lo, s40, v6
	v_mul_f32_e32 v5, v16, v5
	v_cvt_f32_i32_e32 v4, v4
	v_mul_f32_e32 v12, 0x3e800000, v12
	s_or_b32 s35, vcc_lo, s35
	s_delay_alu instid0(VALU_DEP_2) | instskip(NEXT) | instid1(VALU_DEP_1)
	v_fmac_f32_e32 v5, v13, v4
	v_fmac_f32_e32 v7, v12, v5
	s_and_not1_b32 exec_lo, exec_lo, s35
	s_cbranch_execnz .LBB267_3
; %bb.4:
	s_or_b32 exec_lo, exec_lo, s35
.LBB267_5:
	s_delay_alu instid0(SALU_CYCLE_1) | instskip(SKIP_1) | instid1(VALU_DEP_1)
	s_or_b32 exec_lo, exec_lo, s33
	v_mbcnt_lo_u32_b32 v2, -1, 0
	v_xor_b32_e32 v3, 16, v2
	v_xor_b32_e32 v4, 8, v2
	;; [unrolled: 1-line block ×3, first 2 shown]
	s_delay_alu instid0(VALU_DEP_3) | instskip(SKIP_1) | instid1(VALU_DEP_4)
	v_cmp_gt_i32_e32 vcc_lo, 32, v3
	v_cndmask_b32_e32 v3, v2, v3, vcc_lo
	v_cmp_gt_i32_e32 vcc_lo, 32, v4
	v_cndmask_b32_e32 v4, v2, v4, vcc_lo
	v_cmp_gt_i32_e32 vcc_lo, 32, v5
	s_delay_alu instid0(VALU_DEP_2)
	v_lshlrev_b32_e32 v4, 2, v4
	v_lshlrev_b32_e32 v3, 2, v3
	v_cndmask_b32_e32 v5, v2, v5, vcc_lo
	ds_bpermute_b32 v3, v3, v7
	v_lshlrev_b32_e32 v5, 2, v5
	s_waitcnt lgkmcnt(0)
	v_add_f32_e32 v3, v7, v3
	ds_bpermute_b32 v4, v4, v3
	s_waitcnt lgkmcnt(0)
	v_add_f32_e32 v3, v3, v4
	ds_bpermute_b32 v4, v5, v3
	v_xor_b32_e32 v5, 2, v2
	s_delay_alu instid0(VALU_DEP_1) | instskip(SKIP_1) | instid1(VALU_DEP_1)
	v_cmp_gt_i32_e32 vcc_lo, 32, v5
	v_cndmask_b32_e32 v5, v2, v5, vcc_lo
	v_lshlrev_b32_e32 v5, 2, v5
	s_waitcnt lgkmcnt(0)
	v_add_f32_e32 v3, v3, v4
	ds_bpermute_b32 v4, v5, v3
	v_xor_b32_e32 v5, 1, v2
	s_delay_alu instid0(VALU_DEP_1) | instskip(SKIP_3) | instid1(VALU_DEP_2)
	v_cmp_gt_i32_e32 vcc_lo, 32, v5
	v_cndmask_b32_e32 v5, v2, v5, vcc_lo
	v_cmp_eq_u32_e32 vcc_lo, 0, v0
	s_waitcnt lgkmcnt(0)
	v_dual_add_f32 v2, v3, v4 :: v_dual_lshlrev_b32 v3, 2, v5
	ds_bpermute_b32 v3, v3, v2
	s_and_b32 exec_lo, exec_lo, vcc_lo
	s_cbranch_execz .LBB267_7
; %bb.6:
	v_mad_u64_u32 v[4:5], null, s34, s30, v[1:2]
	s_waitcnt lgkmcnt(0)
	v_dual_mov_b32 v5, 0 :: v_dual_add_f32 v2, v2, v3
	s_delay_alu instid0(VALU_DEP_1) | instskip(NEXT) | instid1(VALU_DEP_2)
	v_cvt_f16_f32_e32 v2, v2
	v_lshlrev_b64 v[0:1], 1, v[4:5]
	s_delay_alu instid0(VALU_DEP_1) | instskip(NEXT) | instid1(VALU_DEP_2)
	v_add_co_u32 v0, vcc_lo, s36, v0
	v_add_co_ci_u32_e32 v1, vcc_lo, s37, v1, vcc_lo
	global_store_b16 v[0:1], v2, off
.LBB267_7:
	s_nop 0
	s_sendmsg sendmsg(MSG_DEALLOC_VGPRS)
	s_endpgm
	.section	.rodata,"a",@progbits
	.p2align	6, 0x0
	.amdhsa_kernel _ZL9moe_vec_qIN3c104HalfELi256ELi8E12block_iq2_xsLi1EXadL_ZL19vec_dot_iq2_xs_q8_1PKvPK10block_q8_1RKiEEEvS4_S4_PT_PS8_iiii
		.amdhsa_group_segment_fixed_size 0
		.amdhsa_private_segment_fixed_size 0
		.amdhsa_kernarg_size 304
		.amdhsa_user_sgpr_count 14
		.amdhsa_user_sgpr_dispatch_ptr 0
		.amdhsa_user_sgpr_queue_ptr 0
		.amdhsa_user_sgpr_kernarg_segment_ptr 1
		.amdhsa_user_sgpr_dispatch_id 0
		.amdhsa_user_sgpr_private_segment_size 0
		.amdhsa_wavefront_size32 1
		.amdhsa_uses_dynamic_stack 0
		.amdhsa_enable_private_segment 0
		.amdhsa_system_sgpr_workgroup_id_x 1
		.amdhsa_system_sgpr_workgroup_id_y 0
		.amdhsa_system_sgpr_workgroup_id_z 1
		.amdhsa_system_sgpr_workgroup_info 0
		.amdhsa_system_vgpr_workitem_id 1
		.amdhsa_next_free_vgpr 94
		.amdhsa_next_free_sgpr 41
		.amdhsa_reserve_vcc 1
		.amdhsa_float_round_mode_32 0
		.amdhsa_float_round_mode_16_64 0
		.amdhsa_float_denorm_mode_32 3
		.amdhsa_float_denorm_mode_16_64 3
		.amdhsa_dx10_clamp 1
		.amdhsa_ieee_mode 1
		.amdhsa_fp16_overflow 0
		.amdhsa_workgroup_processor_mode 1
		.amdhsa_memory_ordered 1
		.amdhsa_forward_progress 0
		.amdhsa_shared_vgpr_count 0
		.amdhsa_exception_fp_ieee_invalid_op 0
		.amdhsa_exception_fp_denorm_src 0
		.amdhsa_exception_fp_ieee_div_zero 0
		.amdhsa_exception_fp_ieee_overflow 0
		.amdhsa_exception_fp_ieee_underflow 0
		.amdhsa_exception_fp_ieee_inexact 0
		.amdhsa_exception_int_div_zero 0
	.end_amdhsa_kernel
	.section	.text._ZL9moe_vec_qIN3c104HalfELi256ELi8E12block_iq2_xsLi1EXadL_ZL19vec_dot_iq2_xs_q8_1PKvPK10block_q8_1RKiEEEvS4_S4_PT_PS8_iiii,"axG",@progbits,_ZL9moe_vec_qIN3c104HalfELi256ELi8E12block_iq2_xsLi1EXadL_ZL19vec_dot_iq2_xs_q8_1PKvPK10block_q8_1RKiEEEvS4_S4_PT_PS8_iiii,comdat
.Lfunc_end267:
	.size	_ZL9moe_vec_qIN3c104HalfELi256ELi8E12block_iq2_xsLi1EXadL_ZL19vec_dot_iq2_xs_q8_1PKvPK10block_q8_1RKiEEEvS4_S4_PT_PS8_iiii, .Lfunc_end267-_ZL9moe_vec_qIN3c104HalfELi256ELi8E12block_iq2_xsLi1EXadL_ZL19vec_dot_iq2_xs_q8_1PKvPK10block_q8_1RKiEEEvS4_S4_PT_PS8_iiii
                                        ; -- End function
	.section	.AMDGPU.csdata,"",@progbits
; Kernel info:
; codeLenInByte = 2516
; NumSgprs: 43
; NumVgprs: 94
; ScratchSize: 0
; MemoryBound: 0
; FloatMode: 240
; IeeeMode: 1
; LDSByteSize: 0 bytes/workgroup (compile time only)
; SGPRBlocks: 5
; VGPRBlocks: 11
; NumSGPRsForWavesPerEU: 43
; NumVGPRsForWavesPerEU: 94
; Occupancy: 16
; WaveLimiterHint : 1
; COMPUTE_PGM_RSRC2:SCRATCH_EN: 0
; COMPUTE_PGM_RSRC2:USER_SGPR: 14
; COMPUTE_PGM_RSRC2:TRAP_HANDLER: 0
; COMPUTE_PGM_RSRC2:TGID_X_EN: 1
; COMPUTE_PGM_RSRC2:TGID_Y_EN: 0
; COMPUTE_PGM_RSRC2:TGID_Z_EN: 1
; COMPUTE_PGM_RSRC2:TIDIG_COMP_CNT: 1
	.section	.text._ZL9moe_vec_qIN3c104HalfELi256ELi8E13block_iq3_xxsLi1EXadL_ZL20vec_dot_iq3_xxs_q8_1PKvPK10block_q8_1RKiEEEvS4_S4_PT_PS8_iiii,"axG",@progbits,_ZL9moe_vec_qIN3c104HalfELi256ELi8E13block_iq3_xxsLi1EXadL_ZL20vec_dot_iq3_xxs_q8_1PKvPK10block_q8_1RKiEEEvS4_S4_PT_PS8_iiii,comdat
	.globl	_ZL9moe_vec_qIN3c104HalfELi256ELi8E13block_iq3_xxsLi1EXadL_ZL20vec_dot_iq3_xxs_q8_1PKvPK10block_q8_1RKiEEEvS4_S4_PT_PS8_iiii ; -- Begin function _ZL9moe_vec_qIN3c104HalfELi256ELi8E13block_iq3_xxsLi1EXadL_ZL20vec_dot_iq3_xxs_q8_1PKvPK10block_q8_1RKiEEEvS4_S4_PT_PS8_iiii
	.p2align	8
	.type	_ZL9moe_vec_qIN3c104HalfELi256ELi8E13block_iq3_xxsLi1EXadL_ZL20vec_dot_iq3_xxs_q8_1PKvPK10block_q8_1RKiEEEvS4_S4_PT_PS8_iiii,@function
_ZL9moe_vec_qIN3c104HalfELi256ELi8E13block_iq3_xxsLi1EXadL_ZL20vec_dot_iq3_xxs_q8_1PKvPK10block_q8_1RKiEEEvS4_S4_PT_PS8_iiii: ; @_ZL9moe_vec_qIN3c104HalfELi256ELi8E13block_iq3_xxsLi1EXadL_ZL20vec_dot_iq3_xxs_q8_1PKvPK10block_q8_1RKiEEEvS4_S4_PT_PS8_iiii
; %bb.0:
	s_clause 0x1
	s_load_b32 s2, s[0:1], 0x3c
	s_load_b128 s[4:7], s[0:1], 0x20
	v_bfe_u32 v3, v0, 10, 10
	s_waitcnt lgkmcnt(0)
	s_lshr_b32 s2, s2, 16
	s_delay_alu instid0(VALU_DEP_1) | instid1(SALU_CYCLE_1)
	v_mad_u64_u32 v[1:2], null, s14, s2, v[3:4]
	s_mov_b32 s2, exec_lo
	s_delay_alu instid0(VALU_DEP_1)
	v_cmpx_gt_u32_e64 s6, v1
	s_cbranch_execz .LBB268_9
; %bb.1:
	s_load_b64 s[10:11], s[0:1], 0x10
	v_dual_mov_b32 v15, 0 :: v_dual_and_b32 v0, 0x3ff, v0
	s_ashr_i32 s2, s5, 31
	s_mov_b32 s8, s15
	s_lshr_b32 s2, s2, 24
	s_delay_alu instid0(VALU_DEP_1)
	v_lshrrev_b32_e32 v14, 3, v0
	s_add_i32 s2, s5, s2
	s_mov_b32 s5, exec_lo
	s_ashr_i32 s12, s2, 8
	s_delay_alu instid0(VALU_DEP_1) | instid1(SALU_CYCLE_1)
	v_cmpx_gt_u32_e64 s12, v14
	s_cbranch_execz .LBB268_7
; %bb.2:
	s_load_b64 s[2:3], s[0:1], 0x18
	s_mov_b32 s9, 0
	v_cvt_f32_u32_e32 v2, s4
	s_lshl_b64 s[14:15], s[8:9], 2
	v_and_b32_e32 v4, 7, v0
	v_mul_lo_u32 v16, v1, s12
	v_lshlrev_b32_e32 v17, 3, v14
	v_rcp_iflag_f32_e32 v2, v2
	v_mov_b32_e32 v15, 0
	v_lshlrev_b32_e32 v5, 3, v4
	v_lshlrev_b32_e32 v8, 1, v4
	v_add_nc_u32_e32 v18, v14, v16
	s_waitcnt_depctr 0xfff
	v_dual_mul_f32 v2, 0x4f7ffffe, v2 :: v_dual_lshlrev_b32 v19, 1, v8
	s_waitcnt lgkmcnt(0)
	s_add_u32 s2, s2, s14
	s_addc_u32 s3, s3, s15
	s_delay_alu instid0(VALU_DEP_1)
	v_cvt_u32_f32_e32 v2, v2
	s_load_b32 s13, s[2:3], 0x0
	s_load_b128 s[0:3], s[0:1], 0x0
	s_mul_i32 s14, s12, s6
	s_waitcnt lgkmcnt(0)
	s_mul_i32 s13, s14, s13
	v_readfirstlane_b32 s14, v2
	s_mul_i32 s15, s13, 0x62
	s_mul_hi_i32 s13, s13, 0x62
	s_add_u32 s0, s0, s15
	s_addc_u32 s1, s1, s13
	s_sub_i32 s13, 0, s4
	s_delay_alu instid0(SALU_CYCLE_1) | instskip(NEXT) | instid1(SALU_CYCLE_1)
	s_mul_i32 s13, s13, s14
	s_mul_hi_u32 s13, s14, s13
	s_delay_alu instid0(SALU_CYCLE_1) | instskip(NEXT) | instid1(SALU_CYCLE_1)
	s_add_i32 s14, s14, s13
	s_mul_hi_u32 s13, s8, s14
	s_delay_alu instid0(SALU_CYCLE_1) | instskip(SKIP_2) | instid1(SALU_CYCLE_1)
	s_mul_i32 s14, s13, s4
	s_add_i32 s15, s13, 1
	s_sub_i32 s14, s8, s14
	s_sub_i32 s16, s14, s4
	s_cmp_ge_u32 s14, s4
	s_cselect_b32 s13, s15, s13
	s_cselect_b32 s14, s16, s14
	s_add_i32 s15, s13, 1
	s_cmp_ge_u32 s14, s4
	s_cselect_b32 s4, s15, s13
	s_mov_b32 s15, s9
	s_mul_i32 s14, s4, s7
	s_delay_alu instid0(SALU_CYCLE_1) | instskip(NEXT) | instid1(SALU_CYCLE_1)
	s_lshl_b64 s[14:15], s[14:15], 2
	s_add_u32 s2, s2, s14
	s_addc_u32 s3, s3, s15
	s_getpc_b64 s[14:15]
	s_add_u32 s14, s14, _ZL11iq3xxs_grid@rel32@lo+4
	s_addc_u32 s15, s15, _ZL11iq3xxs_grid@rel32@hi+12
	v_mad_u64_u32 v[2:3], null, v4, 36, s[2:3]
	v_add_co_u32 v4, s2, s0, v5
	s_delay_alu instid0(VALU_DEP_1)
	v_add_co_ci_u32_e64 v5, null, s1, 0, s2
	s_getpc_b64 s[16:17]
	s_add_u32 s16, s16, _ZL8ksigns64@rel32@lo+4
	s_addc_u32 s17, s17, _ZL8ksigns64@rel32@hi+12
	v_add_co_u32 v4, vcc_lo, v4, 2
	v_add_co_ci_u32_e32 v5, vcc_lo, 0, v5, vcc_lo
	v_add_co_u32 v6, vcc_lo, v2, 4
	v_add_co_ci_u32_e32 v7, vcc_lo, 0, v3, vcc_lo
.LBB268_3:                              ; =>This Loop Header: Depth=1
                                        ;     Child Loop BB268_4 Depth 2
	v_dual_mov_b32 v21, 0 :: v_dual_add_nc_u32 v10, v14, v16
	s_delay_alu instid0(VALU_DEP_4) | instskip(SKIP_1) | instid1(VALU_DEP_2)
	v_mad_i64_i32 v[12:13], null, 0x62, v18, v[4:5]
	s_mov_b64 s[2:3], 0
	v_mad_i64_i32 v[8:9], null, 0x62, v10, s[0:1]
	s_delay_alu instid0(VALU_DEP_1) | instskip(NEXT) | instid1(VALU_DEP_2)
	v_add_co_u32 v10, vcc_lo, v8, v19
	v_add_co_ci_u32_e32 v11, vcc_lo, 0, v9, vcc_lo
	global_load_b32 v20, v[10:11], off offset:66
	v_mad_i64_i32 v[10:11], null, v17, 36, v[6:7]
.LBB268_4:                              ;   Parent Loop BB268_3 Depth=1
                                        ; =>  This Inner Loop Header: Depth=2
	global_load_u16 v26, v[12:13], off
	s_waitcnt vmcnt(1)
	v_and_b32_e32 v24, 0x7f, v20
	v_add_co_u32 v22, vcc_lo, v10, s2
	v_add_co_ci_u32_e32 v23, vcc_lo, s3, v11, vcc_lo
	s_delay_alu instid0(VALU_DEP_3)
	v_lshlrev_b32_e32 v24, 3, v24
	v_add_co_u32 v12, vcc_lo, v12, 2
	v_lshrrev_b32_e32 v20, 7, v20
	v_add_co_ci_u32_e32 v13, vcc_lo, 0, v13, vcc_lo
	global_load_b64 v[24:25], v24, s[16:17]
	s_add_u32 s2, s2, 8
	s_addc_u32 s3, s3, 0
	s_cmp_lg_u32 s2, 32
	s_waitcnt vmcnt(1)
	v_lshrrev_b16 v27, 8, v26
	v_and_b32_e32 v26, 0xff, v26
	s_delay_alu instid0(VALU_DEP_2) | instskip(NEXT) | instid1(VALU_DEP_2)
	v_and_b32_e32 v27, 0xffff, v27
	v_lshlrev_b32_e32 v26, 2, v26
	s_delay_alu instid0(VALU_DEP_2)
	v_lshlrev_b32_e32 v27, 2, v27
	s_clause 0x1
	global_load_b32 v26, v26, s[14:15]
	global_load_b32 v27, v27, s[14:15]
	global_load_b64 v[22:23], v[22:23], off
	s_waitcnt vmcnt(3)
	v_and_b32_e32 v32, 0xff0000, v24
	v_and_b32_e32 v33, 0xff00, v24
	;; [unrolled: 1-line block ×6, first 2 shown]
	s_waitcnt vmcnt(2)
	v_xor_b32_e32 v26, v24, v26
	s_waitcnt vmcnt(1)
	v_xor_b32_e32 v27, v25, v27
	s_waitcnt vmcnt(0)
	v_bfe_i32 v28, v22, 0, 8
	v_bfe_i32 v29, v23, 0, 8
	v_perm_b32 v30, v22, v22, 0xc0c0201
	v_sub_nc_u32_e32 v32, v26, v32
	v_sub_nc_u32_e32 v33, v26, v33
	v_sub_nc_u32_e32 v24, v26, v24
	v_sub_nc_u32_e32 v25, v27, v25
	v_sub_nc_u32_e32 v31, v26, v31
	v_perm_b32 v22, v23, v22, 0x7060503
	v_perm_b32 v26, v32, v33, 0xc06010c
	v_sub_nc_u32_e32 v32, v27, v35
	v_sub_nc_u32_e32 v35, v27, v36
	v_bfe_i32 v24, v24, 0, 8
	v_bfe_i32 v25, v25, 0, 8
	v_sub_nc_u32_e32 v27, v27, v34
	v_perm_b32 v26, v26, v33, 0xc0c0601
	v_perm_b32 v32, v32, v35, 0xc06010c
	v_mul_i32_i24_e32 v24, v28, v24
	v_mul_i32_i24_e32 v25, v29, v25
	v_perm_b32 v28, v35, v31, 0xc0c0503
	s_delay_alu instid0(VALU_DEP_4) | instskip(NEXT) | instid1(VALU_DEP_3)
	v_perm_b32 v27, v27, v32, 0x7020c0c
	v_add3_u32 v21, v24, v21, v25
	s_delay_alu instid0(VALU_DEP_2) | instskip(NEXT) | instid1(VALU_DEP_2)
	v_or_b32_e32 v23, v27, v28
	v_dot4_i32_iu8 v21, v26, v30, v21 neg_lo:[1,1,0]
	s_delay_alu instid0(VALU_DEP_1)
	v_dot4_i32_iu8 v21, v23, v22, v21 neg_lo:[1,1,0]
	s_cbranch_scc1 .LBB268_4
; %bb.5:                                ;   in Loop: Header=BB268_3 Depth=1
	v_lshlrev_b32_e32 v12, 3, v14
	v_add_nc_u32_e32 v14, 4, v14
	v_add_nc_u32_e32 v18, 4, v18
	;; [unrolled: 1-line block ×3, first 2 shown]
	s_delay_alu instid0(VALU_DEP_4) | instskip(SKIP_4) | instid1(VALU_DEP_2)
	v_mad_i64_i32 v[10:11], null, v12, 36, v[2:3]
	global_load_u16 v8, v[8:9], off
	global_load_b32 v9, v[10:11], off
	v_cvt_f32_u32_e32 v10, v20
	v_cmp_le_u32_e32 vcc_lo, s12, v14
	v_add_f32_e32 v10, 0.5, v10
	s_or_b32 s9, vcc_lo, s9
	s_waitcnt vmcnt(1)
	v_cvt_f32_f16_e32 v8, v8
	s_waitcnt vmcnt(0)
	v_cvt_f32_f16_e32 v9, v9
	s_delay_alu instid0(VALU_DEP_2) | instskip(NEXT) | instid1(VALU_DEP_1)
	v_mul_f32_e32 v8, v10, v8
	v_mul_f32_e32 v8, v8, v9
	v_cvt_f32_i32_e32 v9, v21
	s_delay_alu instid0(VALU_DEP_2) | instskip(NEXT) | instid1(VALU_DEP_1)
	v_mul_f32_e32 v8, 0.5, v8
	v_fmac_f32_e32 v15, v8, v9
	s_and_not1_b32 exec_lo, exec_lo, s9
	s_cbranch_execnz .LBB268_3
; %bb.6:
	s_or_b32 exec_lo, exec_lo, s9
.LBB268_7:
	s_delay_alu instid0(SALU_CYCLE_1) | instskip(SKIP_1) | instid1(VALU_DEP_1)
	s_or_b32 exec_lo, exec_lo, s5
	v_mbcnt_lo_u32_b32 v2, -1, 0
	v_xor_b32_e32 v3, 16, v2
	v_xor_b32_e32 v4, 8, v2
	;; [unrolled: 1-line block ×3, first 2 shown]
	s_delay_alu instid0(VALU_DEP_3) | instskip(SKIP_1) | instid1(VALU_DEP_4)
	v_cmp_gt_i32_e32 vcc_lo, 32, v3
	v_cndmask_b32_e32 v3, v2, v3, vcc_lo
	v_cmp_gt_i32_e32 vcc_lo, 32, v4
	v_cndmask_b32_e32 v4, v2, v4, vcc_lo
	v_cmp_gt_i32_e32 vcc_lo, 32, v5
	s_delay_alu instid0(VALU_DEP_2)
	v_lshlrev_b32_e32 v4, 2, v4
	v_lshlrev_b32_e32 v3, 2, v3
	v_cndmask_b32_e32 v5, v2, v5, vcc_lo
	ds_bpermute_b32 v3, v3, v15
	v_lshlrev_b32_e32 v5, 2, v5
	s_waitcnt lgkmcnt(0)
	v_add_f32_e32 v3, v15, v3
	ds_bpermute_b32 v4, v4, v3
	s_waitcnt lgkmcnt(0)
	v_add_f32_e32 v3, v3, v4
	ds_bpermute_b32 v4, v5, v3
	v_xor_b32_e32 v5, 2, v2
	s_delay_alu instid0(VALU_DEP_1) | instskip(SKIP_1) | instid1(VALU_DEP_1)
	v_cmp_gt_i32_e32 vcc_lo, 32, v5
	v_cndmask_b32_e32 v5, v2, v5, vcc_lo
	v_lshlrev_b32_e32 v5, 2, v5
	s_waitcnt lgkmcnt(0)
	v_add_f32_e32 v3, v3, v4
	ds_bpermute_b32 v4, v5, v3
	v_xor_b32_e32 v5, 1, v2
	s_delay_alu instid0(VALU_DEP_1) | instskip(SKIP_3) | instid1(VALU_DEP_2)
	v_cmp_gt_i32_e32 vcc_lo, 32, v5
	v_cndmask_b32_e32 v5, v2, v5, vcc_lo
	v_cmp_eq_u32_e32 vcc_lo, 0, v0
	s_waitcnt lgkmcnt(0)
	v_dual_add_f32 v2, v3, v4 :: v_dual_lshlrev_b32 v3, 2, v5
	ds_bpermute_b32 v3, v3, v2
	s_and_b32 exec_lo, exec_lo, vcc_lo
	s_cbranch_execz .LBB268_9
; %bb.8:
	v_mad_u64_u32 v[4:5], null, s8, s6, v[1:2]
	s_waitcnt lgkmcnt(0)
	v_dual_mov_b32 v5, 0 :: v_dual_add_f32 v2, v2, v3
	s_delay_alu instid0(VALU_DEP_1) | instskip(NEXT) | instid1(VALU_DEP_2)
	v_cvt_f16_f32_e32 v2, v2
	v_lshlrev_b64 v[0:1], 1, v[4:5]
	s_delay_alu instid0(VALU_DEP_1) | instskip(NEXT) | instid1(VALU_DEP_2)
	v_add_co_u32 v0, vcc_lo, s10, v0
	v_add_co_ci_u32_e32 v1, vcc_lo, s11, v1, vcc_lo
	global_store_b16 v[0:1], v2, off
.LBB268_9:
	s_nop 0
	s_sendmsg sendmsg(MSG_DEALLOC_VGPRS)
	s_endpgm
	.section	.rodata,"a",@progbits
	.p2align	6, 0x0
	.amdhsa_kernel _ZL9moe_vec_qIN3c104HalfELi256ELi8E13block_iq3_xxsLi1EXadL_ZL20vec_dot_iq3_xxs_q8_1PKvPK10block_q8_1RKiEEEvS4_S4_PT_PS8_iiii
		.amdhsa_group_segment_fixed_size 0
		.amdhsa_private_segment_fixed_size 0
		.amdhsa_kernarg_size 304
		.amdhsa_user_sgpr_count 14
		.amdhsa_user_sgpr_dispatch_ptr 0
		.amdhsa_user_sgpr_queue_ptr 0
		.amdhsa_user_sgpr_kernarg_segment_ptr 1
		.amdhsa_user_sgpr_dispatch_id 0
		.amdhsa_user_sgpr_private_segment_size 0
		.amdhsa_wavefront_size32 1
		.amdhsa_uses_dynamic_stack 0
		.amdhsa_enable_private_segment 0
		.amdhsa_system_sgpr_workgroup_id_x 1
		.amdhsa_system_sgpr_workgroup_id_y 0
		.amdhsa_system_sgpr_workgroup_id_z 1
		.amdhsa_system_sgpr_workgroup_info 0
		.amdhsa_system_vgpr_workitem_id 1
		.amdhsa_next_free_vgpr 37
		.amdhsa_next_free_sgpr 18
		.amdhsa_reserve_vcc 1
		.amdhsa_float_round_mode_32 0
		.amdhsa_float_round_mode_16_64 0
		.amdhsa_float_denorm_mode_32 3
		.amdhsa_float_denorm_mode_16_64 3
		.amdhsa_dx10_clamp 1
		.amdhsa_ieee_mode 1
		.amdhsa_fp16_overflow 0
		.amdhsa_workgroup_processor_mode 1
		.amdhsa_memory_ordered 1
		.amdhsa_forward_progress 0
		.amdhsa_shared_vgpr_count 0
		.amdhsa_exception_fp_ieee_invalid_op 0
		.amdhsa_exception_fp_denorm_src 0
		.amdhsa_exception_fp_ieee_div_zero 0
		.amdhsa_exception_fp_ieee_overflow 0
		.amdhsa_exception_fp_ieee_underflow 0
		.amdhsa_exception_fp_ieee_inexact 0
		.amdhsa_exception_int_div_zero 0
	.end_amdhsa_kernel
	.section	.text._ZL9moe_vec_qIN3c104HalfELi256ELi8E13block_iq3_xxsLi1EXadL_ZL20vec_dot_iq3_xxs_q8_1PKvPK10block_q8_1RKiEEEvS4_S4_PT_PS8_iiii,"axG",@progbits,_ZL9moe_vec_qIN3c104HalfELi256ELi8E13block_iq3_xxsLi1EXadL_ZL20vec_dot_iq3_xxs_q8_1PKvPK10block_q8_1RKiEEEvS4_S4_PT_PS8_iiii,comdat
.Lfunc_end268:
	.size	_ZL9moe_vec_qIN3c104HalfELi256ELi8E13block_iq3_xxsLi1EXadL_ZL20vec_dot_iq3_xxs_q8_1PKvPK10block_q8_1RKiEEEvS4_S4_PT_PS8_iiii, .Lfunc_end268-_ZL9moe_vec_qIN3c104HalfELi256ELi8E13block_iq3_xxsLi1EXadL_ZL20vec_dot_iq3_xxs_q8_1PKvPK10block_q8_1RKiEEEvS4_S4_PT_PS8_iiii
                                        ; -- End function
	.section	.AMDGPU.csdata,"",@progbits
; Kernel info:
; codeLenInByte = 1348
; NumSgprs: 20
; NumVgprs: 37
; ScratchSize: 0
; MemoryBound: 0
; FloatMode: 240
; IeeeMode: 1
; LDSByteSize: 0 bytes/workgroup (compile time only)
; SGPRBlocks: 2
; VGPRBlocks: 4
; NumSGPRsForWavesPerEU: 20
; NumVGPRsForWavesPerEU: 37
; Occupancy: 16
; WaveLimiterHint : 1
; COMPUTE_PGM_RSRC2:SCRATCH_EN: 0
; COMPUTE_PGM_RSRC2:USER_SGPR: 14
; COMPUTE_PGM_RSRC2:TRAP_HANDLER: 0
; COMPUTE_PGM_RSRC2:TGID_X_EN: 1
; COMPUTE_PGM_RSRC2:TGID_Y_EN: 0
; COMPUTE_PGM_RSRC2:TGID_Z_EN: 1
; COMPUTE_PGM_RSRC2:TIDIG_COMP_CNT: 1
	.section	.text._ZL9moe_vec_qIN3c104HalfELi256ELi8E11block_iq1_sLi1EXadL_ZL18vec_dot_iq1_s_q8_1PKvPK10block_q8_1RKiEEEvS4_S4_PT_PS8_iiii,"axG",@progbits,_ZL9moe_vec_qIN3c104HalfELi256ELi8E11block_iq1_sLi1EXadL_ZL18vec_dot_iq1_s_q8_1PKvPK10block_q8_1RKiEEEvS4_S4_PT_PS8_iiii,comdat
	.globl	_ZL9moe_vec_qIN3c104HalfELi256ELi8E11block_iq1_sLi1EXadL_ZL18vec_dot_iq1_s_q8_1PKvPK10block_q8_1RKiEEEvS4_S4_PT_PS8_iiii ; -- Begin function _ZL9moe_vec_qIN3c104HalfELi256ELi8E11block_iq1_sLi1EXadL_ZL18vec_dot_iq1_s_q8_1PKvPK10block_q8_1RKiEEEvS4_S4_PT_PS8_iiii
	.p2align	8
	.type	_ZL9moe_vec_qIN3c104HalfELi256ELi8E11block_iq1_sLi1EXadL_ZL18vec_dot_iq1_s_q8_1PKvPK10block_q8_1RKiEEEvS4_S4_PT_PS8_iiii,@function
_ZL9moe_vec_qIN3c104HalfELi256ELi8E11block_iq1_sLi1EXadL_ZL18vec_dot_iq1_s_q8_1PKvPK10block_q8_1RKiEEEvS4_S4_PT_PS8_iiii: ; @_ZL9moe_vec_qIN3c104HalfELi256ELi8E11block_iq1_sLi1EXadL_ZL18vec_dot_iq1_s_q8_1PKvPK10block_q8_1RKiEEEvS4_S4_PT_PS8_iiii
; %bb.0:
	s_clause 0x1
	s_load_b32 s2, s[0:1], 0x3c
	s_load_b128 s[4:7], s[0:1], 0x20
	v_bfe_u32 v3, v0, 10, 10
	s_waitcnt lgkmcnt(0)
	s_lshr_b32 s2, s2, 16
	s_delay_alu instid0(VALU_DEP_1) | instid1(SALU_CYCLE_1)
	v_mad_u64_u32 v[1:2], null, s14, s2, v[3:4]
	s_mov_b32 s2, exec_lo
	s_delay_alu instid0(VALU_DEP_1)
	v_cmpx_gt_u32_e64 s6, v1
	s_cbranch_execz .LBB269_7
; %bb.1:
	v_cvt_f32_u32_e32 v2, s4
	s_load_b64 s[10:11], s[0:1], 0x10
	s_ashr_i32 s2, s5, 31
	v_and_b32_e32 v0, 0x3ff, v0
	s_lshr_b32 s2, s2, 24
	v_rcp_iflag_f32_e32 v2, v2
	s_add_i32 s2, s5, s2
	s_mov_b32 s8, s15
	s_ashr_i32 s13, s2, 8
	s_mov_b32 s12, exec_lo
	s_waitcnt_depctr 0xfff
	v_mul_f32_e32 v3, 0x4f7ffffe, v2
	s_delay_alu instid0(VALU_DEP_1) | instskip(NEXT) | instid1(VALU_DEP_1)
	v_cvt_u32_f32_e32 v3, v3
	v_readfirstlane_b32 s2, v3
	v_mov_b32_e32 v3, 0
	v_lshrrev_b32_e32 v2, 3, v0
	s_delay_alu instid0(VALU_DEP_1)
	v_cmpx_gt_u32_e64 s13, v2
	s_cbranch_execz .LBB269_5
; %bb.2:
	s_load_b64 s[14:15], s[0:1], 0x18
	s_sub_i32 s3, 0, s4
	s_mov_b32 s9, 0
	s_mul_i32 s3, s3, s2
	s_lshl_b64 s[16:17], s[8:9], 2
	s_mul_hi_u32 s3, s2, s3
	v_and_b32_e32 v5, 7, v0
	s_add_i32 s5, s2, s3
	v_mul_lo_u32 v4, v1, s13
	v_dual_mov_b32 v3, 0 :: v_dual_lshlrev_b32 v6, 3, v2
	s_delay_alu instid0(VALU_DEP_3) | instskip(SKIP_1) | instid1(VALU_DEP_2)
	v_lshlrev_b32_e32 v8, 1, v5
	v_lshlrev_b32_e32 v7, 1, v5
	;; [unrolled: 1-line block ×3, first 2 shown]
	s_waitcnt lgkmcnt(0)
	s_add_u32 s14, s14, s16
	s_addc_u32 s15, s15, s17
	s_load_b128 s[0:3], s[0:1], 0x0
	s_load_b32 s14, s[14:15], 0x0
	s_mul_hi_u32 s16, s8, s5
	s_mul_i32 s15, s13, s6
	s_mul_i32 s17, s16, s4
	s_add_i32 s18, s16, 1
	s_sub_i32 s17, s8, s17
	s_mov_b32 s5, s9
	s_sub_i32 s19, s17, s4
	s_cmp_ge_u32 s17, s4
	s_cselect_b32 s16, s18, s16
	s_cselect_b32 s17, s19, s17
	s_add_i32 s18, s16, 1
	s_cmp_ge_u32 s17, s4
	s_cselect_b32 s4, s18, s16
	s_delay_alu instid0(SALU_CYCLE_1) | instskip(SKIP_2) | instid1(SALU_CYCLE_1)
	s_mul_i32 s4, s4, s7
	s_waitcnt lgkmcnt(0)
	s_mul_i32 s14, s15, s14
	s_mul_i32 s7, s14, 50
	s_mul_hi_i32 s14, s14, 50
	s_add_u32 s0, s0, s7
	s_addc_u32 s1, s1, s14
	s_lshl_b64 s[4:5], s[4:5], 2
	s_mov_b32 s7, 0xb7000000
	s_add_u32 s2, s2, s4
	s_addc_u32 s3, s3, s5
.LBB269_3:                              ; =>This Inner Loop Header: Depth=1
	v_add_nc_u32_e32 v9, v4, v2
	s_getpc_b64 s[4:5]
	s_add_u32 s4, s4, _ZL13iq1s_grid_gpu@rel32@lo+4
	s_addc_u32 s5, s5, _ZL13iq1s_grid_gpu@rel32@hi+12
	v_add_nc_u32_e32 v2, 4, v2
	v_mad_i64_i32 v[17:18], null, v9, 50, s[0:1]
	s_delay_alu instid0(VALU_DEP_1) | instskip(NEXT) | instid1(VALU_DEP_2)
	v_add_co_u32 v9, vcc_lo, v17, v8
	v_add_co_ci_u32_e32 v10, vcc_lo, 0, v18, vcc_lo
	v_add_co_u32 v11, vcc_lo, v17, v7
	v_add_co_ci_u32_e32 v12, vcc_lo, 0, v18, vcc_lo
	v_cmp_le_u32_e32 vcc_lo, s13, v2
	s_clause 0x1
	global_load_b32 v21, v[9:10], off offset:2
	global_load_u16 v22, v[11:12], off offset:34
	v_mad_i64_i32 v[9:10], null, v6, 36, s[2:3]
	v_add_nc_u32_e32 v6, 32, v6
	s_or_b32 s9, vcc_lo, s9
	s_delay_alu instid0(VALU_DEP_2)
	v_mad_u64_u32 v[19:20], null, v5, 36, v[9:10]
	s_clause 0x1
	global_load_b128 v[9:12], v[19:20], off
	global_load_b128 v[13:16], v[19:20], off offset:16
	global_load_u16 v17, v[17:18], off
	global_load_b32 v19, v[19:20], off offset:32
	s_waitcnt vmcnt(5)
	v_and_b32_e32 v18, 0xff, v21
	s_waitcnt vmcnt(4)
	v_lshlrev_b32_e32 v23, 8, v22
	v_lshrrev_b16 v24, 8, v21
	v_lshlrev_b32_e32 v25, 5, v22
	v_bfe_u32 v20, v21, 16, 8
	v_lshrrev_b32_e32 v21, 24, v21
	v_and_or_b32 v18, 0x700, v23, v18
	v_and_b32_e32 v23, 0xffff, v24
	v_lshlrev_b32_e32 v24, 2, v22
	s_delay_alu instid0(VALU_DEP_3) | instskip(NEXT) | instid1(VALU_DEP_3)
	v_lshlrev_b32_e32 v18, 3, v18
	v_and_or_b32 v23, 0x700, v25, v23
	s_delay_alu instid0(VALU_DEP_3)
	v_and_or_b32 v20, 0x700, v24, v20
	v_lshrrev_b32_e32 v24, 1, v22
	global_load_b32 v18, v18, s[4:5]
	v_lshlrev_b32_e32 v23, 3, v23
	v_lshlrev_b32_e32 v20, 3, v20
	v_and_or_b32 v21, 0x700, v24, v21
	s_waitcnt vmcnt(4)
	v_bfe_i32 v24, v10, 0, 8
	v_bfe_i32 v25, v10, 8, 8
	s_clause 0x1
	global_load_b32 v23, v23, s[4:5]
	global_load_b32 v20, v20, s[4:5]
	v_lshlrev_b32_e32 v21, 3, v21
	v_bfe_i32 v26, v10, 16, 8
	v_bfe_i32 v27, v11, 0, 8
	v_ashrrev_i32_e32 v10, 24, v10
	v_bfe_i32 v28, v11, 8, 8
	global_load_b32 v21, v21, s[4:5]
	v_bfe_i32 v29, v11, 16, 8
	v_ashrrev_i32_e32 v11, 24, v11
	v_bfe_i32 v30, v12, 0, 8
	s_waitcnt vmcnt(6)
	v_bfe_i32 v33, v13, 0, 8
	v_bfe_i32 v31, v12, 8, 8
	;; [unrolled: 1-line block ×3, first 2 shown]
	v_ashrrev_i32_e32 v12, 24, v12
	v_bfe_i32 v34, v13, 8, 8
	v_bfe_i32 v35, v13, 16, 8
	v_ashrrev_i32_e32 v13, 24, v13
	v_bfe_i32 v36, v14, 0, 8
	v_bfe_i32 v39, v15, 0, 8
	;; [unrolled: 1-line block ×4, first 2 shown]
	v_ashrrev_i32_e32 v14, 24, v14
	v_bfe_i32 v40, v15, 8, 8
	v_bfe_i32 v41, v15, 16, 8
	v_ashrrev_i32_e32 v15, 24, v15
	v_bfe_i32 v42, v16, 0, 8
	s_waitcnt vmcnt(4)
	v_bfe_i32 v45, v19, 0, 8
	v_bfe_i32 v43, v16, 8, 8
	;; [unrolled: 1-line block ×3, first 2 shown]
	v_ashrrev_i32_e32 v16, 24, v16
	v_bfe_i32 v46, v19, 8, 8
	v_bfe_i32 v47, v19, 16, 8
	v_ashrrev_i32_e32 v19, 24, v19
	s_waitcnt vmcnt(3)
	v_and_b32_e32 v48, 15, v18
	v_bfe_u32 v49, v18, 8, 4
	v_bfe_u32 v50, v18, 16, 4
	;; [unrolled: 1-line block ×4, first 2 shown]
	v_mul_i32_i24_e32 v24, v24, v48
	v_bfe_u32 v48, v18, 24, 4
	v_mul_i32_i24_e32 v25, v49, v25
	v_mul_i32_i24_e32 v26, v50, v26
	v_mul_i32_i24_e32 v28, v52, v28
	v_mad_i32_i24 v24, v27, v51, v24
	v_bfe_u32 v27, v18, 20, 4
	v_lshrrev_b32_e32 v18, 28, v18
	v_mul_i32_i24_e32 v10, v48, v10
	s_delay_alu instid0(VALU_DEP_4) | instskip(NEXT) | instid1(VALU_DEP_4)
	v_add3_u32 v24, v24, v25, v26
	v_mul_i32_i24_e32 v25, v27, v29
	s_delay_alu instid0(VALU_DEP_4)
	v_mul_i32_i24_e32 v11, v18, v11
	s_waitcnt vmcnt(2)
	v_and_b32_e32 v18, 15, v23
	v_bfe_u32 v26, v23, 4, 4
	v_add3_u32 v10, v24, v10, v28
	v_bfe_u32 v24, v23, 8, 4
	v_bfe_u32 v27, v23, 16, 4
	v_mul_i32_i24_e32 v18, v30, v18
	v_mul_i32_i24_e32 v26, v33, v26
	v_add3_u32 v10, v10, v25, v11
	v_bfe_u32 v11, v23, 24, 4
	v_bfe_u32 v25, v23, 12, 4
	v_mul_i32_i24_e32 v24, v24, v31
	v_mul_i32_i24_e32 v27, v27, v32
	v_add3_u32 v10, v10, v18, v26
	v_bfe_u32 v18, v23, 20, 4
	v_lshrrev_b32_e32 v23, 28, v23
	v_mul_i32_i24_e32 v11, v11, v12
	v_mul_i32_i24_e32 v12, v25, v34
	v_add3_u32 v10, v10, v24, v27
	s_waitcnt vmcnt(1)
	v_and_b32_e32 v24, 15, v20
	v_bfe_u32 v25, v20, 4, 4
	v_mul_i32_i24_e32 v18, v18, v35
	v_mul_i32_i24_e32 v13, v23, v13
	v_add3_u32 v10, v10, v11, v12
	v_bfe_u32 v11, v20, 8, 4
	v_bfe_u32 v12, v20, 16, 4
	v_mul_i32_i24_e32 v23, v36, v24
	v_mul_i32_i24_e32 v24, v39, v25
	v_add3_u32 v10, v10, v18, v13
	v_bfe_u32 v13, v20, 24, 4
	;; [unrolled: 5-line block ×3, first 2 shown]
	v_lshrrev_b32_e32 v20, 28, v20
	v_mul_i32_i24_e32 v13, v13, v14
	v_mul_i32_i24_e32 v14, v18, v40
	v_add3_u32 v10, v10, v11, v12
	s_waitcnt vmcnt(0)
	v_and_b32_e32 v11, 15, v21
	v_bfe_u32 v12, v21, 4, 4
	v_mul_i32_i24_e32 v18, v23, v41
	v_mul_i32_i24_e32 v15, v20, v15
	v_add3_u32 v10, v10, v13, v14
	v_bfe_u32 v13, v21, 8, 4
	v_bfe_u32 v14, v21, 16, 4
	v_mul_i32_i24_e32 v11, v42, v11
	v_mul_i32_i24_e32 v12, v45, v12
	v_add3_u32 v10, v10, v18, v15
	v_bfe_u32 v15, v21, 24, 4
	;; [unrolled: 5-line block ×3, first 2 shown]
	v_lshrrev_b32_e32 v12, 28, v21
	v_mul_i32_i24_e32 v15, v15, v16
	v_mul_i32_i24_e32 v16, v18, v46
	v_add3_u32 v10, v10, v13, v14
	v_mul_i32_i24_e32 v11, v11, v47
	v_mul_i32_i24_e32 v12, v12, v19
	v_lshrrev_b32_e32 v13, 11, v22
	v_and_b32_e32 v14, 0x8000, v22
	v_add3_u32 v10, v10, v15, v16
	s_delay_alu instid0(VALU_DEP_1)
	v_add3_u32 v10, v10, v11, v12
	v_cvt_f32_f16_e32 v11, v9
	v_and_or_b32 v12, v13, 14, 1
	v_cvt_f32_u32_e32 v13, v14
	v_cvt_f32_f16_e32 v14, v17
	v_cvt_f32_i32_e32 v10, v10
	s_delay_alu instid0(VALU_DEP_4) | instskip(NEXT) | instid1(VALU_DEP_2)
	v_cvt_f32_ubyte0_e32 v12, v12
	v_dual_fmaak_f32 v13, s7, v13, 0xbf600000 :: v_dual_mul_f32 v10, v11, v10
	s_delay_alu instid0(VALU_DEP_2) | instskip(NEXT) | instid1(VALU_DEP_2)
	v_mul_f32_e32 v11, v12, v14
	v_fma_mix_f32 v9, v13, v9, v10 op_sel:[0,1,0] op_sel_hi:[0,1,0]
	s_delay_alu instid0(VALU_DEP_1)
	v_fmac_f32_e32 v3, v11, v9
	s_and_not1_b32 exec_lo, exec_lo, s9
	s_cbranch_execnz .LBB269_3
; %bb.4:
	s_or_b32 exec_lo, exec_lo, s9
.LBB269_5:
	s_delay_alu instid0(SALU_CYCLE_1) | instskip(SKIP_1) | instid1(VALU_DEP_1)
	s_or_b32 exec_lo, exec_lo, s12
	v_mbcnt_lo_u32_b32 v2, -1, 0
	v_xor_b32_e32 v4, 16, v2
	v_xor_b32_e32 v5, 8, v2
	s_delay_alu instid0(VALU_DEP_2) | instskip(SKIP_1) | instid1(VALU_DEP_3)
	v_cmp_gt_i32_e32 vcc_lo, 32, v4
	v_cndmask_b32_e32 v4, v2, v4, vcc_lo
	v_cmp_gt_i32_e32 vcc_lo, 32, v5
	v_cndmask_b32_e32 v5, v2, v5, vcc_lo
	s_delay_alu instid0(VALU_DEP_1) | instskip(NEXT) | instid1(VALU_DEP_4)
	v_lshlrev_b32_e32 v5, 2, v5
	v_lshlrev_b32_e32 v4, 2, v4
	ds_bpermute_b32 v4, v4, v3
	s_waitcnt lgkmcnt(0)
	v_add_f32_e32 v3, v3, v4
	ds_bpermute_b32 v4, v5, v3
	v_xor_b32_e32 v5, 4, v2
	s_delay_alu instid0(VALU_DEP_1) | instskip(SKIP_1) | instid1(VALU_DEP_1)
	v_cmp_gt_i32_e32 vcc_lo, 32, v5
	v_cndmask_b32_e32 v5, v2, v5, vcc_lo
	v_lshlrev_b32_e32 v5, 2, v5
	s_waitcnt lgkmcnt(0)
	v_add_f32_e32 v3, v3, v4
	ds_bpermute_b32 v4, v5, v3
	v_xor_b32_e32 v5, 2, v2
	s_delay_alu instid0(VALU_DEP_1) | instskip(SKIP_1) | instid1(VALU_DEP_1)
	v_cmp_gt_i32_e32 vcc_lo, 32, v5
	v_cndmask_b32_e32 v5, v2, v5, vcc_lo
	v_lshlrev_b32_e32 v5, 2, v5
	s_waitcnt lgkmcnt(0)
	v_add_f32_e32 v3, v3, v4
	ds_bpermute_b32 v4, v5, v3
	v_xor_b32_e32 v5, 1, v2
	s_delay_alu instid0(VALU_DEP_1) | instskip(SKIP_3) | instid1(VALU_DEP_2)
	v_cmp_gt_i32_e32 vcc_lo, 32, v5
	v_cndmask_b32_e32 v5, v2, v5, vcc_lo
	v_cmp_eq_u32_e32 vcc_lo, 0, v0
	s_waitcnt lgkmcnt(0)
	v_dual_add_f32 v2, v3, v4 :: v_dual_lshlrev_b32 v3, 2, v5
	ds_bpermute_b32 v3, v3, v2
	s_and_b32 exec_lo, exec_lo, vcc_lo
	s_cbranch_execz .LBB269_7
; %bb.6:
	v_mad_u64_u32 v[4:5], null, s8, s6, v[1:2]
	s_waitcnt lgkmcnt(0)
	v_dual_mov_b32 v5, 0 :: v_dual_add_f32 v2, v2, v3
	s_delay_alu instid0(VALU_DEP_1) | instskip(NEXT) | instid1(VALU_DEP_2)
	v_cvt_f16_f32_e32 v2, v2
	v_lshlrev_b64 v[0:1], 1, v[4:5]
	s_delay_alu instid0(VALU_DEP_1) | instskip(NEXT) | instid1(VALU_DEP_2)
	v_add_co_u32 v0, vcc_lo, s10, v0
	v_add_co_ci_u32_e32 v1, vcc_lo, s11, v1, vcc_lo
	global_store_b16 v[0:1], v2, off
.LBB269_7:
	s_nop 0
	s_sendmsg sendmsg(MSG_DEALLOC_VGPRS)
	s_endpgm
	.section	.rodata,"a",@progbits
	.p2align	6, 0x0
	.amdhsa_kernel _ZL9moe_vec_qIN3c104HalfELi256ELi8E11block_iq1_sLi1EXadL_ZL18vec_dot_iq1_s_q8_1PKvPK10block_q8_1RKiEEEvS4_S4_PT_PS8_iiii
		.amdhsa_group_segment_fixed_size 0
		.amdhsa_private_segment_fixed_size 0
		.amdhsa_kernarg_size 304
		.amdhsa_user_sgpr_count 14
		.amdhsa_user_sgpr_dispatch_ptr 0
		.amdhsa_user_sgpr_queue_ptr 0
		.amdhsa_user_sgpr_kernarg_segment_ptr 1
		.amdhsa_user_sgpr_dispatch_id 0
		.amdhsa_user_sgpr_private_segment_size 0
		.amdhsa_wavefront_size32 1
		.amdhsa_uses_dynamic_stack 0
		.amdhsa_enable_private_segment 0
		.amdhsa_system_sgpr_workgroup_id_x 1
		.amdhsa_system_sgpr_workgroup_id_y 0
		.amdhsa_system_sgpr_workgroup_id_z 1
		.amdhsa_system_sgpr_workgroup_info 0
		.amdhsa_system_vgpr_workitem_id 1
		.amdhsa_next_free_vgpr 53
		.amdhsa_next_free_sgpr 20
		.amdhsa_reserve_vcc 1
		.amdhsa_float_round_mode_32 0
		.amdhsa_float_round_mode_16_64 0
		.amdhsa_float_denorm_mode_32 3
		.amdhsa_float_denorm_mode_16_64 3
		.amdhsa_dx10_clamp 1
		.amdhsa_ieee_mode 1
		.amdhsa_fp16_overflow 0
		.amdhsa_workgroup_processor_mode 1
		.amdhsa_memory_ordered 1
		.amdhsa_forward_progress 0
		.amdhsa_shared_vgpr_count 0
		.amdhsa_exception_fp_ieee_invalid_op 0
		.amdhsa_exception_fp_denorm_src 0
		.amdhsa_exception_fp_ieee_div_zero 0
		.amdhsa_exception_fp_ieee_overflow 0
		.amdhsa_exception_fp_ieee_underflow 0
		.amdhsa_exception_fp_ieee_inexact 0
		.amdhsa_exception_int_div_zero 0
	.end_amdhsa_kernel
	.section	.text._ZL9moe_vec_qIN3c104HalfELi256ELi8E11block_iq1_sLi1EXadL_ZL18vec_dot_iq1_s_q8_1PKvPK10block_q8_1RKiEEEvS4_S4_PT_PS8_iiii,"axG",@progbits,_ZL9moe_vec_qIN3c104HalfELi256ELi8E11block_iq1_sLi1EXadL_ZL18vec_dot_iq1_s_q8_1PKvPK10block_q8_1RKiEEEvS4_S4_PT_PS8_iiii,comdat
.Lfunc_end269:
	.size	_ZL9moe_vec_qIN3c104HalfELi256ELi8E11block_iq1_sLi1EXadL_ZL18vec_dot_iq1_s_q8_1PKvPK10block_q8_1RKiEEEvS4_S4_PT_PS8_iiii, .Lfunc_end269-_ZL9moe_vec_qIN3c104HalfELi256ELi8E11block_iq1_sLi1EXadL_ZL18vec_dot_iq1_s_q8_1PKvPK10block_q8_1RKiEEEvS4_S4_PT_PS8_iiii
                                        ; -- End function
	.section	.AMDGPU.csdata,"",@progbits
; Kernel info:
; codeLenInByte = 1788
; NumSgprs: 22
; NumVgprs: 53
; ScratchSize: 0
; MemoryBound: 0
; FloatMode: 240
; IeeeMode: 1
; LDSByteSize: 0 bytes/workgroup (compile time only)
; SGPRBlocks: 2
; VGPRBlocks: 6
; NumSGPRsForWavesPerEU: 22
; NumVGPRsForWavesPerEU: 53
; Occupancy: 16
; WaveLimiterHint : 1
; COMPUTE_PGM_RSRC2:SCRATCH_EN: 0
; COMPUTE_PGM_RSRC2:USER_SGPR: 14
; COMPUTE_PGM_RSRC2:TRAP_HANDLER: 0
; COMPUTE_PGM_RSRC2:TGID_X_EN: 1
; COMPUTE_PGM_RSRC2:TGID_Y_EN: 0
; COMPUTE_PGM_RSRC2:TGID_Z_EN: 1
; COMPUTE_PGM_RSRC2:TIDIG_COMP_CNT: 1
	.section	.text._ZL9moe_vec_qIN3c104HalfELi32ELi4E12block_iq4_nlLi2EXadL_ZL19vec_dot_iq4_nl_q8_1PKvPK10block_q8_1RKiEEEvS4_S4_PT_PS8_iiii,"axG",@progbits,_ZL9moe_vec_qIN3c104HalfELi32ELi4E12block_iq4_nlLi2EXadL_ZL19vec_dot_iq4_nl_q8_1PKvPK10block_q8_1RKiEEEvS4_S4_PT_PS8_iiii,comdat
	.globl	_ZL9moe_vec_qIN3c104HalfELi32ELi4E12block_iq4_nlLi2EXadL_ZL19vec_dot_iq4_nl_q8_1PKvPK10block_q8_1RKiEEEvS4_S4_PT_PS8_iiii ; -- Begin function _ZL9moe_vec_qIN3c104HalfELi32ELi4E12block_iq4_nlLi2EXadL_ZL19vec_dot_iq4_nl_q8_1PKvPK10block_q8_1RKiEEEvS4_S4_PT_PS8_iiii
	.p2align	8
	.type	_ZL9moe_vec_qIN3c104HalfELi32ELi4E12block_iq4_nlLi2EXadL_ZL19vec_dot_iq4_nl_q8_1PKvPK10block_q8_1RKiEEEvS4_S4_PT_PS8_iiii,@function
_ZL9moe_vec_qIN3c104HalfELi32ELi4E12block_iq4_nlLi2EXadL_ZL19vec_dot_iq4_nl_q8_1PKvPK10block_q8_1RKiEEEvS4_S4_PT_PS8_iiii: ; @_ZL9moe_vec_qIN3c104HalfELi32ELi4E12block_iq4_nlLi2EXadL_ZL19vec_dot_iq4_nl_q8_1PKvPK10block_q8_1RKiEEEvS4_S4_PT_PS8_iiii
; %bb.0:
	s_clause 0x1
	s_load_b32 s2, s[0:1], 0x3c
	s_load_b128 s[4:7], s[0:1], 0x20
	v_bfe_u32 v3, v0, 10, 10
	s_waitcnt lgkmcnt(0)
	s_lshr_b32 s2, s2, 16
	s_delay_alu instid0(VALU_DEP_1) | instid1(SALU_CYCLE_1)
	v_mad_u64_u32 v[1:2], null, s14, s2, v[3:4]
	s_mov_b32 s2, exec_lo
	s_delay_alu instid0(VALU_DEP_1)
	v_cmpx_gt_u32_e64 s6, v1
	s_cbranch_execz .LBB270_7
; %bb.1:
	v_cvt_f32_u32_e32 v2, s4
	s_load_b64 s[10:11], s[0:1], 0x10
	s_ashr_i32 s2, s5, 31
	v_and_b32_e32 v0, 0x3ff, v0
	s_lshr_b32 s2, s2, 27
	v_rcp_iflag_f32_e32 v2, v2
	s_add_i32 s2, s5, s2
	s_mov_b32 s8, s15
	s_ashr_i32 s12, s2, 5
	s_mov_b32 s5, exec_lo
	s_waitcnt_depctr 0xfff
	v_mul_f32_e32 v3, 0x4f7ffffe, v2
	s_delay_alu instid0(VALU_DEP_1) | instskip(NEXT) | instid1(VALU_DEP_1)
	v_cvt_u32_f32_e32 v3, v3
	v_readfirstlane_b32 s2, v3
	v_mov_b32_e32 v3, 0
	v_lshrrev_b32_e32 v2, 1, v0
	s_delay_alu instid0(VALU_DEP_1)
	v_cmpx_gt_u32_e64 s12, v2
	s_cbranch_execz .LBB270_5
; %bb.2:
	s_load_b64 s[14:15], s[0:1], 0x18
	s_sub_i32 s3, 0, s4
	s_mov_b32 s9, 0
	s_mul_i32 s3, s3, s2
	s_lshl_b64 s[16:17], s[8:9], 2
	s_mul_hi_u32 s3, s2, s3
	v_lshlrev_b32_e32 v5, 1, v0
	s_add_i32 s13, s2, s3
	v_mov_b32_e32 v3, 0
	s_mul_hi_u32 s13, s8, s13
	v_mul_lo_u32 v4, v1, s12
	v_and_b32_e32 v6, 2, v5
	s_delay_alu instid0(VALU_DEP_1)
	v_lshlrev_b32_e32 v5, 1, v6
	v_lshlrev_b32_e32 v6, 2, v6
	s_waitcnt lgkmcnt(0)
	s_add_u32 s14, s14, s16
	s_addc_u32 s15, s15, s17
	s_load_b128 s[0:3], s[0:1], 0x0
	s_load_b32 s14, s[14:15], 0x0
	s_mul_i32 s17, s13, s4
	s_add_i32 s18, s13, 1
	s_sub_i32 s17, s8, s17
	s_mul_i32 s16, s12, s6
	s_sub_i32 s19, s17, s4
	s_cmp_ge_u32 s17, s4
	s_mov_b32 s15, s9
	s_cselect_b32 s13, s18, s13
	s_cselect_b32 s17, s19, s17
	s_add_i32 s18, s13, 1
	s_cmp_ge_u32 s17, s4
	v_lshlrev_b32_e32 v5, 1, v5
	s_cselect_b32 s4, s18, s13
	s_waitcnt lgkmcnt(0)
	s_mul_i32 s13, s16, s14
	s_mul_i32 s14, s4, s7
	;; [unrolled: 1-line block ×3, first 2 shown]
	s_mul_hi_i32 s7, s13, 18
	s_add_u32 s0, s0, s4
	s_addc_u32 s1, s1, s7
	s_lshl_b64 s[14:15], s[14:15], 2
	s_delay_alu instid0(SALU_CYCLE_1)
	s_add_u32 s2, s2, s14
	s_addc_u32 s3, s3, s15
	s_getpc_b64 s[14:15]
	s_add_u32 s14, s14, _ZL13kvalues_iq4nl@rel32@lo+4
	s_addc_u32 s15, s15, _ZL13kvalues_iq4nl@rel32@hi+12
.LBB270_3:                              ; =>This Inner Loop Header: Depth=1
	v_add_nc_u32_e32 v9, v4, v2
	v_mad_i64_i32 v[11:12], null, v2, 36, s[2:3]
	s_delay_alu instid0(VALU_DEP_2) | instskip(NEXT) | instid1(VALU_DEP_1)
	v_mad_i64_i32 v[7:8], null, v9, 18, s[0:1]
	v_add_co_u32 v9, vcc_lo, v7, v5
	s_delay_alu instid0(VALU_DEP_2) | instskip(NEXT) | instid1(VALU_DEP_4)
	v_add_co_ci_u32_e32 v10, vcc_lo, 0, v8, vcc_lo
	v_add_co_u32 v13, vcc_lo, v11, v6
	v_add_co_ci_u32_e32 v14, vcc_lo, 0, v12, vcc_lo
	global_load_b64 v[9:10], v[9:10], off offset:2
	global_load_b64 v[15:16], v[13:14], off offset:4
	s_waitcnt vmcnt(1)
	v_bfe_u32 v19, v9, 8, 4
	v_bfe_u32 v20, v9, 16, 4
	v_bfe_u32 v21, v9, 12, 4
	v_bfe_u32 v22, v9, 20, 4
	v_bfe_u32 v17, v9, 24, 4
	v_and_b32_e32 v18, 15, v9
	v_lshrrev_b32_e32 v23, 28, v9
	v_bfe_u32 v9, v9, 4, 4
	s_clause 0x7
	global_load_i8 v19, v19, s[14:15]
	global_load_i8 v20, v20, s[14:15]
	;; [unrolled: 1-line block ×8, first 2 shown]
	v_bfe_u32 v26, v10, 8, 4
	v_bfe_u32 v27, v10, 16, 4
	;; [unrolled: 1-line block ×5, first 2 shown]
	v_and_b32_e32 v25, 15, v10
	v_lshrrev_b32_e32 v30, 28, v10
	v_bfe_u32 v9, v10, 4, 4
	s_clause 0x7
	global_load_i8 v26, v26, s[14:15]
	global_load_i8 v27, v27, s[14:15]
	;; [unrolled: 1-line block ×8, first 2 shown]
	s_clause 0x1
	global_load_b64 v[9:10], v[13:14], off offset:20
	global_load_b32 v11, v[11:12], off
	global_load_u16 v7, v[7:8], off
	s_waitcnt vmcnt(14)
	v_perm_b32 v13, v21, v31, 0xc0c0400
	s_waitcnt vmcnt(13)
	v_perm_b32 v14, v23, v22, 0x4000c0c
	;; [unrolled: 2-line block ×4, first 2 shown]
	v_or_b32_e32 v13, v14, v13
	s_delay_alu instid0(VALU_DEP_2)
	v_or_b32_e32 v8, v12, v8
	s_waitcnt vmcnt(5)
	v_perm_b32 v12, v26, v25, 0xc0c0400
	s_waitcnt vmcnt(4)
	v_perm_b32 v17, v24, v27, 0x4000c0c
	;; [unrolled: 2-line block ×3, first 2 shown]
	s_waitcnt vmcnt(1)
	v_cvt_f32_f16_e32 v11, v11
	v_dot4_i32_iu8 v8, v15, v8, 0 neg_lo:[1,1,0]
	v_perm_b32 v15, v30, v29, 0x4000c0c
	v_or_b32_e32 v12, v17, v12
	s_waitcnt vmcnt(0)
	v_cvt_f32_f16_e32 v7, v7
	v_dot4_i32_iu8 v8, v9, v13, v8 neg_lo:[1,1,0]
	v_or_b32_e32 v9, v15, v14
	s_delay_alu instid0(VALU_DEP_3) | instskip(NEXT) | instid1(VALU_DEP_3)
	v_mul_f32_e32 v7, v7, v11
	v_dot4_i32_iu8 v8, v16, v12, v8 neg_lo:[1,1,0]
	s_delay_alu instid0(VALU_DEP_1) | instskip(NEXT) | instid1(VALU_DEP_1)
	v_dot4_i32_iu8 v8, v10, v9, v8 neg_lo:[1,1,0]
	v_cvt_f32_i32_e32 v8, v8
	s_delay_alu instid0(VALU_DEP_1) | instskip(NEXT) | instid1(VALU_DEP_1)
	v_dual_fmac_f32 v3, v7, v8 :: v_dual_add_nc_u32 v2, 16, v2
	v_cmp_le_u32_e32 vcc_lo, s12, v2
	s_or_b32 s9, vcc_lo, s9
	s_delay_alu instid0(SALU_CYCLE_1)
	s_and_not1_b32 exec_lo, exec_lo, s9
	s_cbranch_execnz .LBB270_3
; %bb.4:
	s_or_b32 exec_lo, exec_lo, s9
.LBB270_5:
	s_delay_alu instid0(SALU_CYCLE_1) | instskip(SKIP_1) | instid1(VALU_DEP_1)
	s_or_b32 exec_lo, exec_lo, s5
	v_mbcnt_lo_u32_b32 v2, -1, 0
	v_xor_b32_e32 v4, 16, v2
	v_xor_b32_e32 v5, 8, v2
	s_delay_alu instid0(VALU_DEP_2) | instskip(SKIP_1) | instid1(VALU_DEP_3)
	v_cmp_gt_i32_e32 vcc_lo, 32, v4
	v_cndmask_b32_e32 v4, v2, v4, vcc_lo
	v_cmp_gt_i32_e32 vcc_lo, 32, v5
	v_cndmask_b32_e32 v5, v2, v5, vcc_lo
	s_delay_alu instid0(VALU_DEP_1) | instskip(NEXT) | instid1(VALU_DEP_4)
	v_lshlrev_b32_e32 v5, 2, v5
	v_lshlrev_b32_e32 v4, 2, v4
	ds_bpermute_b32 v4, v4, v3
	s_waitcnt lgkmcnt(0)
	v_add_f32_e32 v3, v3, v4
	ds_bpermute_b32 v4, v5, v3
	v_xor_b32_e32 v5, 4, v2
	s_delay_alu instid0(VALU_DEP_1) | instskip(SKIP_1) | instid1(VALU_DEP_1)
	v_cmp_gt_i32_e32 vcc_lo, 32, v5
	v_cndmask_b32_e32 v5, v2, v5, vcc_lo
	v_lshlrev_b32_e32 v5, 2, v5
	s_waitcnt lgkmcnt(0)
	v_add_f32_e32 v3, v3, v4
	ds_bpermute_b32 v4, v5, v3
	v_xor_b32_e32 v5, 2, v2
	s_delay_alu instid0(VALU_DEP_1) | instskip(SKIP_1) | instid1(VALU_DEP_1)
	v_cmp_gt_i32_e32 vcc_lo, 32, v5
	v_cndmask_b32_e32 v5, v2, v5, vcc_lo
	v_lshlrev_b32_e32 v5, 2, v5
	s_waitcnt lgkmcnt(0)
	v_add_f32_e32 v3, v3, v4
	ds_bpermute_b32 v4, v5, v3
	v_xor_b32_e32 v5, 1, v2
	s_delay_alu instid0(VALU_DEP_1) | instskip(SKIP_3) | instid1(VALU_DEP_2)
	v_cmp_gt_i32_e32 vcc_lo, 32, v5
	v_cndmask_b32_e32 v5, v2, v5, vcc_lo
	v_cmp_eq_u32_e32 vcc_lo, 0, v0
	s_waitcnt lgkmcnt(0)
	v_dual_add_f32 v2, v3, v4 :: v_dual_lshlrev_b32 v3, 2, v5
	ds_bpermute_b32 v3, v3, v2
	s_and_b32 exec_lo, exec_lo, vcc_lo
	s_cbranch_execz .LBB270_7
; %bb.6:
	v_mad_u64_u32 v[4:5], null, s8, s6, v[1:2]
	s_waitcnt lgkmcnt(0)
	v_dual_mov_b32 v5, 0 :: v_dual_add_f32 v2, v2, v3
	s_delay_alu instid0(VALU_DEP_1) | instskip(NEXT) | instid1(VALU_DEP_2)
	v_cvt_f16_f32_e32 v2, v2
	v_lshlrev_b64 v[0:1], 1, v[4:5]
	s_delay_alu instid0(VALU_DEP_1) | instskip(NEXT) | instid1(VALU_DEP_2)
	v_add_co_u32 v0, vcc_lo, s10, v0
	v_add_co_ci_u32_e32 v1, vcc_lo, s11, v1, vcc_lo
	global_store_b16 v[0:1], v2, off
.LBB270_7:
	s_nop 0
	s_sendmsg sendmsg(MSG_DEALLOC_VGPRS)
	s_endpgm
	.section	.rodata,"a",@progbits
	.p2align	6, 0x0
	.amdhsa_kernel _ZL9moe_vec_qIN3c104HalfELi32ELi4E12block_iq4_nlLi2EXadL_ZL19vec_dot_iq4_nl_q8_1PKvPK10block_q8_1RKiEEEvS4_S4_PT_PS8_iiii
		.amdhsa_group_segment_fixed_size 0
		.amdhsa_private_segment_fixed_size 0
		.amdhsa_kernarg_size 304
		.amdhsa_user_sgpr_count 14
		.amdhsa_user_sgpr_dispatch_ptr 0
		.amdhsa_user_sgpr_queue_ptr 0
		.amdhsa_user_sgpr_kernarg_segment_ptr 1
		.amdhsa_user_sgpr_dispatch_id 0
		.amdhsa_user_sgpr_private_segment_size 0
		.amdhsa_wavefront_size32 1
		.amdhsa_uses_dynamic_stack 0
		.amdhsa_enable_private_segment 0
		.amdhsa_system_sgpr_workgroup_id_x 1
		.amdhsa_system_sgpr_workgroup_id_y 0
		.amdhsa_system_sgpr_workgroup_id_z 1
		.amdhsa_system_sgpr_workgroup_info 0
		.amdhsa_system_vgpr_workitem_id 1
		.amdhsa_next_free_vgpr 33
		.amdhsa_next_free_sgpr 20
		.amdhsa_reserve_vcc 1
		.amdhsa_float_round_mode_32 0
		.amdhsa_float_round_mode_16_64 0
		.amdhsa_float_denorm_mode_32 3
		.amdhsa_float_denorm_mode_16_64 3
		.amdhsa_dx10_clamp 1
		.amdhsa_ieee_mode 1
		.amdhsa_fp16_overflow 0
		.amdhsa_workgroup_processor_mode 1
		.amdhsa_memory_ordered 1
		.amdhsa_forward_progress 0
		.amdhsa_shared_vgpr_count 0
		.amdhsa_exception_fp_ieee_invalid_op 0
		.amdhsa_exception_fp_denorm_src 0
		.amdhsa_exception_fp_ieee_div_zero 0
		.amdhsa_exception_fp_ieee_overflow 0
		.amdhsa_exception_fp_ieee_underflow 0
		.amdhsa_exception_fp_ieee_inexact 0
		.amdhsa_exception_int_div_zero 0
	.end_amdhsa_kernel
	.section	.text._ZL9moe_vec_qIN3c104HalfELi32ELi4E12block_iq4_nlLi2EXadL_ZL19vec_dot_iq4_nl_q8_1PKvPK10block_q8_1RKiEEEvS4_S4_PT_PS8_iiii,"axG",@progbits,_ZL9moe_vec_qIN3c104HalfELi32ELi4E12block_iq4_nlLi2EXadL_ZL19vec_dot_iq4_nl_q8_1PKvPK10block_q8_1RKiEEEvS4_S4_PT_PS8_iiii,comdat
.Lfunc_end270:
	.size	_ZL9moe_vec_qIN3c104HalfELi32ELi4E12block_iq4_nlLi2EXadL_ZL19vec_dot_iq4_nl_q8_1PKvPK10block_q8_1RKiEEEvS4_S4_PT_PS8_iiii, .Lfunc_end270-_ZL9moe_vec_qIN3c104HalfELi32ELi4E12block_iq4_nlLi2EXadL_ZL19vec_dot_iq4_nl_q8_1PKvPK10block_q8_1RKiEEEvS4_S4_PT_PS8_iiii
                                        ; -- End function
	.section	.AMDGPU.csdata,"",@progbits
; Kernel info:
; codeLenInByte = 1240
; NumSgprs: 22
; NumVgprs: 33
; ScratchSize: 0
; MemoryBound: 0
; FloatMode: 240
; IeeeMode: 1
; LDSByteSize: 0 bytes/workgroup (compile time only)
; SGPRBlocks: 2
; VGPRBlocks: 4
; NumSGPRsForWavesPerEU: 22
; NumVGPRsForWavesPerEU: 33
; Occupancy: 16
; WaveLimiterHint : 1
; COMPUTE_PGM_RSRC2:SCRATCH_EN: 0
; COMPUTE_PGM_RSRC2:USER_SGPR: 14
; COMPUTE_PGM_RSRC2:TRAP_HANDLER: 0
; COMPUTE_PGM_RSRC2:TGID_X_EN: 1
; COMPUTE_PGM_RSRC2:TGID_Y_EN: 0
; COMPUTE_PGM_RSRC2:TGID_Z_EN: 1
; COMPUTE_PGM_RSRC2:TIDIG_COMP_CNT: 1
	.section	.text._ZL9moe_vec_qIN3c104HalfELi256ELi8E11block_iq3_sLi1EXadL_ZL18vec_dot_iq3_s_q8_1PKvPK10block_q8_1RKiEEEvS4_S4_PT_PS8_iiii,"axG",@progbits,_ZL9moe_vec_qIN3c104HalfELi256ELi8E11block_iq3_sLi1EXadL_ZL18vec_dot_iq3_s_q8_1PKvPK10block_q8_1RKiEEEvS4_S4_PT_PS8_iiii,comdat
	.globl	_ZL9moe_vec_qIN3c104HalfELi256ELi8E11block_iq3_sLi1EXadL_ZL18vec_dot_iq3_s_q8_1PKvPK10block_q8_1RKiEEEvS4_S4_PT_PS8_iiii ; -- Begin function _ZL9moe_vec_qIN3c104HalfELi256ELi8E11block_iq3_sLi1EXadL_ZL18vec_dot_iq3_s_q8_1PKvPK10block_q8_1RKiEEEvS4_S4_PT_PS8_iiii
	.p2align	8
	.type	_ZL9moe_vec_qIN3c104HalfELi256ELi8E11block_iq3_sLi1EXadL_ZL18vec_dot_iq3_s_q8_1PKvPK10block_q8_1RKiEEEvS4_S4_PT_PS8_iiii,@function
_ZL9moe_vec_qIN3c104HalfELi256ELi8E11block_iq3_sLi1EXadL_ZL18vec_dot_iq3_s_q8_1PKvPK10block_q8_1RKiEEEvS4_S4_PT_PS8_iiii: ; @_ZL9moe_vec_qIN3c104HalfELi256ELi8E11block_iq3_sLi1EXadL_ZL18vec_dot_iq3_s_q8_1PKvPK10block_q8_1RKiEEEvS4_S4_PT_PS8_iiii
; %bb.0:
	s_clause 0x1
	s_load_b32 s2, s[0:1], 0x3c
	s_load_b128 s[4:7], s[0:1], 0x20
	v_bfe_u32 v3, v0, 10, 10
	s_waitcnt lgkmcnt(0)
	s_lshr_b32 s2, s2, 16
	s_delay_alu instid0(VALU_DEP_1) | instid1(SALU_CYCLE_1)
	v_mad_u64_u32 v[1:2], null, s14, s2, v[3:4]
	s_mov_b32 s2, exec_lo
	s_delay_alu instid0(VALU_DEP_1)
	v_cmpx_gt_u32_e64 s6, v1
	s_cbranch_execz .LBB271_9
; %bb.1:
	s_load_b64 s[10:11], s[0:1], 0x10
	v_dual_mov_b32 v19, 0 :: v_dual_and_b32 v0, 0x3ff, v0
	s_ashr_i32 s2, s5, 31
	s_mov_b32 s8, s15
	s_lshr_b32 s2, s2, 24
	s_delay_alu instid0(VALU_DEP_1)
	v_lshrrev_b32_e32 v18, 3, v0
	s_add_i32 s2, s5, s2
	s_mov_b32 s5, exec_lo
	s_ashr_i32 s12, s2, 8
	s_delay_alu instid0(VALU_DEP_1) | instid1(SALU_CYCLE_1)
	v_cmpx_gt_u32_e64 s12, v18
	s_cbranch_execz .LBB271_7
; %bb.2:
	s_load_b64 s[2:3], s[0:1], 0x18
	s_mov_b32 s9, 0
	v_cvt_f32_u32_e32 v2, s4
	s_lshl_b64 s[14:15], s[8:9], 2
	v_mov_b32_e32 v19, 0
	v_mul_lo_u32 v20, v1, s12
	v_bfe_u32 v22, v0, 1, 2
	v_rcp_iflag_f32_e32 v2, v2
	v_and_b32_e32 v21, 7, v0
	s_delay_alu instid0(VALU_DEP_3)
	v_add_nc_u32_e32 v24, v18, v20
	s_waitcnt_depctr 0xfff
	v_dual_mul_f32 v2, 0x4f7ffffe, v2 :: v_dual_lshlrev_b32 v3, 3, v21
	s_waitcnt lgkmcnt(0)
	s_add_u32 s2, s2, s14
	s_addc_u32 s3, s3, s15
	s_delay_alu instid0(VALU_DEP_1)
	v_cvt_u32_f32_e32 v2, v2
	s_load_b32 s13, s[2:3], 0x0
	s_load_b128 s[0:3], s[0:1], 0x0
	s_mul_i32 s14, s12, s6
	s_waitcnt lgkmcnt(0)
	s_mul_i32 s13, s14, s13
	v_readfirstlane_b32 s14, v2
	s_mul_i32 s15, s13, 0x6e
	s_mul_hi_i32 s13, s13, 0x6e
	s_add_u32 s0, s0, s15
	s_addc_u32 s1, s1, s13
	s_sub_i32 s13, 0, s4
	v_lshlrev_b32_e32 v2, 2, v0
	s_mul_i32 s13, s13, s14
	s_mov_b32 s15, s9
	s_mul_hi_u32 s13, s14, s13
	s_delay_alu instid0(SALU_CYCLE_1)
	s_add_i32 s14, s14, s13
	v_and_b32_e32 v23, 4, v2
	s_mul_hi_u32 s13, s8, s14
	v_lshlrev_b32_e32 v2, 2, v21
	s_mul_i32 s14, s13, s4
	s_add_i32 s16, s13, 1
	s_sub_i32 s14, s8, s14
	s_delay_alu instid0(SALU_CYCLE_1)
	s_sub_i32 s17, s14, s4
	s_cmp_ge_u32 s14, s4
	s_cselect_b32 s13, s16, s13
	s_cselect_b32 s14, s17, s14
	s_add_i32 s16, s13, 1
	s_cmp_ge_u32 s14, s4
	s_cselect_b32 s4, s16, s13
	v_add_co_u32 v2, s13, s0, v2
	s_mul_i32 s14, s4, s7
	v_add_co_ci_u32_e64 v4, null, s1, 0, s13
	s_lshl_b64 s[14:15], s[14:15], 2
	v_add_co_u32 v6, s4, s0, v3
	s_add_u32 s2, s2, s14
	v_add_co_ci_u32_e64 v7, null, s1, 0, s4
	v_add_co_u32 v2, vcc_lo, 0x4a, v2
	s_addc_u32 s3, s3, s15
	v_add_co_ci_u32_e32 v3, vcc_lo, 0, v4, vcc_lo
	v_mad_u64_u32 v[4:5], null, v21, 36, s[2:3]
	v_add_co_u32 v6, vcc_lo, v6, 2
	v_add_co_ci_u32_e32 v7, vcc_lo, 0, v7, vcc_lo
	s_getpc_b64 s[14:15]
	s_add_u32 s14, s14, _ZL10iq3xs_grid@rel32@lo+4
	s_addc_u32 s15, s15, _ZL10iq3xs_grid@rel32@hi+12
.LBB271_3:                              ; =>This Loop Header: Depth=1
                                        ;     Child Loop BB271_4 Depth 2
	v_dual_mov_b32 v25, 0 :: v_dual_add_nc_u32 v10, v18, v20
	v_lshlrev_b32_e32 v12, 3, v18
	v_mad_i64_i32 v[14:15], null, 0x6e, v24, v[6:7]
	s_delay_alu instid0(VALU_DEP_3) | instskip(SKIP_1) | instid1(VALU_DEP_1)
	v_mad_i64_i32 v[8:9], null, 0x6e, v10, s[0:1]
	s_mov_b32 s2, 7
	v_add_co_u32 v10, vcc_lo, v8, v21
	s_delay_alu instid0(VALU_DEP_2) | instskip(SKIP_3) | instid1(VALU_DEP_2)
	v_add_co_ci_u32_e32 v11, vcc_lo, 0, v9, vcc_lo
	global_load_u8 v26, v[10:11], off offset:66
	v_mad_i64_i32 v[10:11], null, v12, 36, v[4:5]
	v_mad_i64_i32 v[12:13], null, 0x6e, v24, v[2:3]
	v_add_co_u32 v16, vcc_lo, v10, 4
	s_delay_alu instid0(VALU_DEP_3)
	v_add_co_ci_u32_e32 v17, vcc_lo, 0, v11, vcc_lo
.LBB271_4:                              ;   Parent Loop BB271_3 Depth=1
                                        ; =>  This Inner Loop Header: Depth=2
	global_load_u16 v27, v[14:15], off
	global_load_u8 v29, v[12:13], off
	s_add_i32 s3, s2, 1
	s_waitcnt vmcnt(2)
	v_lshlrev_b32_e32 v28, s2, v26
	v_lshlrev_b32_e32 v30, s3, v26
	s_add_i32 s2, s2, -2
	s_delay_alu instid0(SALU_CYCLE_1)
	s_cmp_lg_u32 s2, -1
	s_waitcnt vmcnt(1)
	v_lshrrev_b16 v31, 8, v27
	v_and_b32_e32 v27, 0xff, v27
	s_waitcnt vmcnt(0)
	v_and_b32_e32 v32, 15, v29
	v_lshrrev_b16 v29, 4, v29
	v_and_b32_e32 v31, 0xffff, v31
	v_and_or_b32 v27, 0x100, v30, v27
	s_delay_alu instid0(VALU_DEP_4) | instskip(NEXT) | instid1(VALU_DEP_4)
	v_and_b32_e32 v32, 0xffff, v32
	v_and_b32_e32 v29, 0xffff, v29
	s_delay_alu instid0(VALU_DEP_4) | instskip(NEXT) | instid1(VALU_DEP_4)
	v_and_or_b32 v28, 0x100, v28, v31
	v_lshlrev_b32_e32 v27, 2, v27
	s_delay_alu instid0(VALU_DEP_4) | instskip(NEXT) | instid1(VALU_DEP_4)
	v_mul_lo_u32 v32, 0x1010101, v32
	v_mul_lo_u32 v29, 0x1010101, v29
	s_delay_alu instid0(VALU_DEP_4)
	v_lshlrev_b32_e32 v28, 2, v28
	s_clause 0x1
	global_load_b32 v30, v27, s[14:15]
	global_load_b32 v31, v28, s[14:15]
	global_load_b64 v[27:28], v[16:17], off
	v_not_b32_e32 v32, v32
	v_add_co_u32 v16, vcc_lo, v16, 8
	v_add_co_ci_u32_e32 v17, vcc_lo, 0, v17, vcc_lo
	s_delay_alu instid0(VALU_DEP_3)
	v_and_b32_e32 v33, 0x8040201, v32
	v_and_b32_e32 v34, 0x40000, v32
	;; [unrolled: 1-line block ×3, first 2 shown]
	v_not_b32_e32 v29, v29
	v_and_b32_e32 v32, 1, v32
	v_cmp_gt_u32_e32 vcc_lo, 0x1000000, v33
	s_delay_alu instid0(VALU_DEP_3)
	v_and_b32_e32 v36, 0x8040201, v29
	v_and_b32_e32 v38, 0x200, v29
	v_cndmask_b32_e64 v33, 0, -1, vcc_lo
	v_cmp_eq_u32_e32 vcc_lo, 0, v34
	v_and_b32_e32 v37, 0x40000, v29
	v_and_b32_e32 v29, 1, v29
	s_delay_alu instid0(VALU_DEP_4)
	v_lshlrev_b32_e32 v33, 24, v33
	v_cndmask_b32_e64 v34, 0, 0xff0000, vcc_lo
	v_cmp_eq_u32_e32 vcc_lo, 0, v35
	v_cndmask_b32_e64 v35, 0, 0xff00, vcc_lo
	v_cmp_eq_u32_e32 vcc_lo, 0, v32
	v_cndmask_b32_e64 v32, 0, 0xff, vcc_lo
	v_cmp_gt_u32_e32 vcc_lo, 0x1000000, v36
	s_delay_alu instid0(VALU_DEP_2) | instskip(SKIP_2) | instid1(VALU_DEP_3)
	v_or_b32_e32 v39, v35, v32
	v_cndmask_b32_e64 v36, 0, -1, vcc_lo
	v_cmp_eq_u32_e32 vcc_lo, 0, v38
	v_or3_b32 v39, v39, v34, v33
	s_delay_alu instid0(VALU_DEP_3) | instskip(SKIP_4) | instid1(VALU_DEP_2)
	v_lshlrev_b32_e32 v36, 24, v36
	v_cndmask_b32_e64 v38, 0, 0xff00, vcc_lo
	v_cmp_eq_u32_e32 vcc_lo, 0, v29
	v_cndmask_b32_e64 v29, 0, 0xff, vcc_lo
	v_cmp_eq_u32_e32 vcc_lo, 0, v37
	v_or_b32_e32 v40, v38, v29
	v_cndmask_b32_e64 v37, 0, 0xff0000, vcc_lo
	v_add_co_u32 v12, vcc_lo, v12, 1
	v_add_co_ci_u32_e32 v13, vcc_lo, 0, v13, vcc_lo
	s_delay_alu instid0(VALU_DEP_3)
	v_or3_b32 v40, v40, v37, v36
	v_add_co_u32 v14, vcc_lo, v14, 2
	v_add_co_ci_u32_e32 v15, vcc_lo, 0, v15, vcc_lo
	s_waitcnt vmcnt(2)
	v_xor_b32_e32 v30, v39, v30
	s_waitcnt vmcnt(1)
	v_xor_b32_e32 v31, v40, v31
	s_waitcnt vmcnt(0)
	v_bfe_i32 v41, v27, 0, 8
	v_bfe_i32 v39, v28, 0, 8
	v_sub_nc_u32_e32 v32, v30, v32
	v_sub_nc_u32_e32 v29, v31, v29
	v_sub_nc_u32_e32 v33, v30, v33
	v_sub_nc_u32_e32 v34, v30, v34
	v_sub_nc_u32_e32 v30, v30, v35
	v_sub_nc_u32_e32 v35, v31, v37
	v_sub_nc_u32_e32 v37, v31, v38
	v_bfe_i32 v32, v32, 0, 8
	v_bfe_i32 v29, v29, 0, 8
	v_perm_b32 v34, v34, v30, 0xc06010c
	v_sub_nc_u32_e32 v31, v31, v36
	v_perm_b32 v35, v35, v37, 0xc06010c
	v_mul_i32_i24_e32 v32, v32, v41
	v_mul_i32_i24_e32 v29, v29, v39
	v_perm_b32 v36, v27, v27, 0xc0c0201
	v_perm_b32 v30, v34, v30, 0xc0c0601
	;; [unrolled: 1-line block ×4, first 2 shown]
	v_add3_u32 v25, v32, v25, v29
	v_perm_b32 v27, v28, v27, 0x7060503
	s_delay_alu instid0(VALU_DEP_3) | instskip(NEXT) | instid1(VALU_DEP_3)
	v_or_b32_e32 v28, v31, v33
	v_dot4_i32_iu8 v25, v30, v36, v25 neg_lo:[1,1,0]
	s_delay_alu instid0(VALU_DEP_1)
	v_dot4_i32_iu8 v25, v28, v27, v25 neg_lo:[1,1,0]
	s_cbranch_scc1 .LBB271_4
; %bb.5:                                ;   in Loop: Header=BB271_3 Depth=1
	v_add_co_u32 v12, vcc_lo, v8, v22
	v_add_co_ci_u32_e32 v13, vcc_lo, 0, v9, vcc_lo
	v_add_nc_u32_e32 v18, 4, v18
	v_add_nc_u32_e32 v24, 4, v24
	s_clause 0x1
	global_load_u8 v12, v[12:13], off offset:106
	global_load_u16 v8, v[8:9], off
	global_load_b32 v9, v[10:11], off
	v_cmp_le_u32_e32 vcc_lo, s12, v18
	s_or_b32 s9, vcc_lo, s9
	s_waitcnt vmcnt(2)
	v_bfe_u32 v10, v12, v23, 4
	s_waitcnt vmcnt(1)
	v_cvt_f32_f16_e32 v8, v8
	s_waitcnt vmcnt(0)
	v_cvt_f32_f16_e32 v9, v9
	v_cvt_f32_ubyte0_e32 v10, v10
	s_delay_alu instid0(VALU_DEP_1) | instskip(NEXT) | instid1(VALU_DEP_1)
	v_add_f32_e32 v10, 0.5, v10
	v_mul_f32_e32 v8, v10, v8
	s_delay_alu instid0(VALU_DEP_1) | instskip(SKIP_1) | instid1(VALU_DEP_2)
	v_mul_f32_e32 v8, v8, v9
	v_cvt_f32_i32_e32 v9, v25
	v_mul_f32_e32 v8, 0.5, v8
	s_delay_alu instid0(VALU_DEP_1)
	v_fmac_f32_e32 v19, v8, v9
	s_and_not1_b32 exec_lo, exec_lo, s9
	s_cbranch_execnz .LBB271_3
; %bb.6:
	s_or_b32 exec_lo, exec_lo, s9
.LBB271_7:
	s_delay_alu instid0(SALU_CYCLE_1) | instskip(SKIP_1) | instid1(VALU_DEP_1)
	s_or_b32 exec_lo, exec_lo, s5
	v_mbcnt_lo_u32_b32 v2, -1, 0
	v_xor_b32_e32 v3, 16, v2
	v_xor_b32_e32 v4, 8, v2
	;; [unrolled: 1-line block ×3, first 2 shown]
	s_delay_alu instid0(VALU_DEP_3) | instskip(SKIP_1) | instid1(VALU_DEP_4)
	v_cmp_gt_i32_e32 vcc_lo, 32, v3
	v_cndmask_b32_e32 v3, v2, v3, vcc_lo
	v_cmp_gt_i32_e32 vcc_lo, 32, v4
	v_cndmask_b32_e32 v4, v2, v4, vcc_lo
	v_cmp_gt_i32_e32 vcc_lo, 32, v5
	s_delay_alu instid0(VALU_DEP_2)
	v_lshlrev_b32_e32 v4, 2, v4
	v_lshlrev_b32_e32 v3, 2, v3
	v_cndmask_b32_e32 v5, v2, v5, vcc_lo
	ds_bpermute_b32 v3, v3, v19
	v_lshlrev_b32_e32 v5, 2, v5
	s_waitcnt lgkmcnt(0)
	v_add_f32_e32 v3, v19, v3
	ds_bpermute_b32 v4, v4, v3
	s_waitcnt lgkmcnt(0)
	v_add_f32_e32 v3, v3, v4
	ds_bpermute_b32 v4, v5, v3
	v_xor_b32_e32 v5, 2, v2
	s_delay_alu instid0(VALU_DEP_1) | instskip(SKIP_1) | instid1(VALU_DEP_1)
	v_cmp_gt_i32_e32 vcc_lo, 32, v5
	v_cndmask_b32_e32 v5, v2, v5, vcc_lo
	v_lshlrev_b32_e32 v5, 2, v5
	s_waitcnt lgkmcnt(0)
	v_add_f32_e32 v3, v3, v4
	ds_bpermute_b32 v4, v5, v3
	v_xor_b32_e32 v5, 1, v2
	s_delay_alu instid0(VALU_DEP_1) | instskip(SKIP_3) | instid1(VALU_DEP_2)
	v_cmp_gt_i32_e32 vcc_lo, 32, v5
	v_cndmask_b32_e32 v5, v2, v5, vcc_lo
	v_cmp_eq_u32_e32 vcc_lo, 0, v0
	s_waitcnt lgkmcnt(0)
	v_dual_add_f32 v2, v3, v4 :: v_dual_lshlrev_b32 v3, 2, v5
	ds_bpermute_b32 v3, v3, v2
	s_and_b32 exec_lo, exec_lo, vcc_lo
	s_cbranch_execz .LBB271_9
; %bb.8:
	v_mad_u64_u32 v[4:5], null, s8, s6, v[1:2]
	s_waitcnt lgkmcnt(0)
	v_dual_mov_b32 v5, 0 :: v_dual_add_f32 v2, v2, v3
	s_delay_alu instid0(VALU_DEP_1) | instskip(NEXT) | instid1(VALU_DEP_2)
	v_cvt_f16_f32_e32 v2, v2
	v_lshlrev_b64 v[0:1], 1, v[4:5]
	s_delay_alu instid0(VALU_DEP_1) | instskip(NEXT) | instid1(VALU_DEP_2)
	v_add_co_u32 v0, vcc_lo, s10, v0
	v_add_co_ci_u32_e32 v1, vcc_lo, s11, v1, vcc_lo
	global_store_b16 v[0:1], v2, off
.LBB271_9:
	s_nop 0
	s_sendmsg sendmsg(MSG_DEALLOC_VGPRS)
	s_endpgm
	.section	.rodata,"a",@progbits
	.p2align	6, 0x0
	.amdhsa_kernel _ZL9moe_vec_qIN3c104HalfELi256ELi8E11block_iq3_sLi1EXadL_ZL18vec_dot_iq3_s_q8_1PKvPK10block_q8_1RKiEEEvS4_S4_PT_PS8_iiii
		.amdhsa_group_segment_fixed_size 0
		.amdhsa_private_segment_fixed_size 0
		.amdhsa_kernarg_size 304
		.amdhsa_user_sgpr_count 14
		.amdhsa_user_sgpr_dispatch_ptr 0
		.amdhsa_user_sgpr_queue_ptr 0
		.amdhsa_user_sgpr_kernarg_segment_ptr 1
		.amdhsa_user_sgpr_dispatch_id 0
		.amdhsa_user_sgpr_private_segment_size 0
		.amdhsa_wavefront_size32 1
		.amdhsa_uses_dynamic_stack 0
		.amdhsa_enable_private_segment 0
		.amdhsa_system_sgpr_workgroup_id_x 1
		.amdhsa_system_sgpr_workgroup_id_y 0
		.amdhsa_system_sgpr_workgroup_id_z 1
		.amdhsa_system_sgpr_workgroup_info 0
		.amdhsa_system_vgpr_workitem_id 1
		.amdhsa_next_free_vgpr 42
		.amdhsa_next_free_sgpr 18
		.amdhsa_reserve_vcc 1
		.amdhsa_float_round_mode_32 0
		.amdhsa_float_round_mode_16_64 0
		.amdhsa_float_denorm_mode_32 3
		.amdhsa_float_denorm_mode_16_64 3
		.amdhsa_dx10_clamp 1
		.amdhsa_ieee_mode 1
		.amdhsa_fp16_overflow 0
		.amdhsa_workgroup_processor_mode 1
		.amdhsa_memory_ordered 1
		.amdhsa_forward_progress 0
		.amdhsa_shared_vgpr_count 0
		.amdhsa_exception_fp_ieee_invalid_op 0
		.amdhsa_exception_fp_denorm_src 0
		.amdhsa_exception_fp_ieee_div_zero 0
		.amdhsa_exception_fp_ieee_overflow 0
		.amdhsa_exception_fp_ieee_underflow 0
		.amdhsa_exception_fp_ieee_inexact 0
		.amdhsa_exception_int_div_zero 0
	.end_amdhsa_kernel
	.section	.text._ZL9moe_vec_qIN3c104HalfELi256ELi8E11block_iq3_sLi1EXadL_ZL18vec_dot_iq3_s_q8_1PKvPK10block_q8_1RKiEEEvS4_S4_PT_PS8_iiii,"axG",@progbits,_ZL9moe_vec_qIN3c104HalfELi256ELi8E11block_iq3_sLi1EXadL_ZL18vec_dot_iq3_s_q8_1PKvPK10block_q8_1RKiEEEvS4_S4_PT_PS8_iiii,comdat
.Lfunc_end271:
	.size	_ZL9moe_vec_qIN3c104HalfELi256ELi8E11block_iq3_sLi1EXadL_ZL18vec_dot_iq3_s_q8_1PKvPK10block_q8_1RKiEEEvS4_S4_PT_PS8_iiii, .Lfunc_end271-_ZL9moe_vec_qIN3c104HalfELi256ELi8E11block_iq3_sLi1EXadL_ZL18vec_dot_iq3_s_q8_1PKvPK10block_q8_1RKiEEEvS4_S4_PT_PS8_iiii
                                        ; -- End function
	.section	.AMDGPU.csdata,"",@progbits
; Kernel info:
; codeLenInByte = 1684
; NumSgprs: 20
; NumVgprs: 42
; ScratchSize: 0
; MemoryBound: 0
; FloatMode: 240
; IeeeMode: 1
; LDSByteSize: 0 bytes/workgroup (compile time only)
; SGPRBlocks: 2
; VGPRBlocks: 5
; NumSGPRsForWavesPerEU: 20
; NumVGPRsForWavesPerEU: 42
; Occupancy: 16
; WaveLimiterHint : 1
; COMPUTE_PGM_RSRC2:SCRATCH_EN: 0
; COMPUTE_PGM_RSRC2:USER_SGPR: 14
; COMPUTE_PGM_RSRC2:TRAP_HANDLER: 0
; COMPUTE_PGM_RSRC2:TGID_X_EN: 1
; COMPUTE_PGM_RSRC2:TGID_Y_EN: 0
; COMPUTE_PGM_RSRC2:TGID_Z_EN: 1
; COMPUTE_PGM_RSRC2:TIDIG_COMP_CNT: 1
	.section	.text._ZL9moe_vec_qIN3c104HalfELi256ELi8E11block_iq2_sLi1EXadL_ZL18vec_dot_iq2_s_q8_1PKvPK10block_q8_1RKiEEEvS4_S4_PT_PS8_iiii,"axG",@progbits,_ZL9moe_vec_qIN3c104HalfELi256ELi8E11block_iq2_sLi1EXadL_ZL18vec_dot_iq2_s_q8_1PKvPK10block_q8_1RKiEEEvS4_S4_PT_PS8_iiii,comdat
	.globl	_ZL9moe_vec_qIN3c104HalfELi256ELi8E11block_iq2_sLi1EXadL_ZL18vec_dot_iq2_s_q8_1PKvPK10block_q8_1RKiEEEvS4_S4_PT_PS8_iiii ; -- Begin function _ZL9moe_vec_qIN3c104HalfELi256ELi8E11block_iq2_sLi1EXadL_ZL18vec_dot_iq2_s_q8_1PKvPK10block_q8_1RKiEEEvS4_S4_PT_PS8_iiii
	.p2align	8
	.type	_ZL9moe_vec_qIN3c104HalfELi256ELi8E11block_iq2_sLi1EXadL_ZL18vec_dot_iq2_s_q8_1PKvPK10block_q8_1RKiEEEvS4_S4_PT_PS8_iiii,@function
_ZL9moe_vec_qIN3c104HalfELi256ELi8E11block_iq2_sLi1EXadL_ZL18vec_dot_iq2_s_q8_1PKvPK10block_q8_1RKiEEEvS4_S4_PT_PS8_iiii: ; @_ZL9moe_vec_qIN3c104HalfELi256ELi8E11block_iq2_sLi1EXadL_ZL18vec_dot_iq2_s_q8_1PKvPK10block_q8_1RKiEEEvS4_S4_PT_PS8_iiii
; %bb.0:
	s_clause 0x1
	s_load_b32 s2, s[0:1], 0x3c
	s_load_b128 s[4:7], s[0:1], 0x20
	v_bfe_u32 v3, v0, 10, 10
	s_waitcnt lgkmcnt(0)
	s_lshr_b32 s2, s2, 16
	s_delay_alu instid0(VALU_DEP_1) | instid1(SALU_CYCLE_1)
	v_mad_u64_u32 v[1:2], null, s14, s2, v[3:4]
	s_mov_b32 s2, exec_lo
	s_delay_alu instid0(VALU_DEP_1)
	v_cmpx_gt_u32_e64 s6, v1
	s_cbranch_execz .LBB272_11
; %bb.1:
	s_load_b64 s[10:11], s[0:1], 0x10
	v_dual_mov_b32 v15, 0 :: v_dual_and_b32 v0, 0x3ff, v0
	s_ashr_i32 s2, s5, 31
	s_mov_b32 s8, s15
	s_lshr_b32 s2, s2, 24
	s_delay_alu instid0(VALU_DEP_1)
	v_lshrrev_b32_e32 v14, 3, v0
	s_add_i32 s2, s5, s2
	s_mov_b32 s5, exec_lo
	s_ashr_i32 s14, s2, 8
	s_delay_alu instid0(VALU_DEP_1) | instid1(SALU_CYCLE_1)
	v_cmpx_gt_u32_e64 s14, v14
	s_cbranch_execz .LBB272_9
; %bb.2:
	s_load_b64 s[2:3], s[0:1], 0x18
	s_mov_b32 s9, 0
	v_cvt_f32_u32_e32 v2, s4
	s_lshl_b64 s[12:13], s[8:9], 2
	v_mul_lo_u32 v16, v1, s14
	v_and_b32_e32 v17, 7, v0
	v_mov_b32_e32 v15, 0
	v_rcp_iflag_f32_e32 v2, v2
	s_delay_alu instid0(VALU_DEP_2)
	v_lshlrev_b32_e32 v18, 2, v17
	s_waitcnt_depctr 0xfff
	v_dual_mul_f32 v2, 0x4f7ffffe, v2 :: v_dual_add_nc_u32 v19, v14, v16
	s_waitcnt lgkmcnt(0)
	s_add_u32 s2, s2, s12
	s_addc_u32 s3, s3, s13
	s_delay_alu instid0(VALU_DEP_1) | instskip(SKIP_3) | instid1(VALU_DEP_1)
	v_cvt_u32_f32_e32 v2, v2
	s_load_b32 s12, s[2:3], 0x0
	s_load_b128 s[0:3], s[0:1], 0x0
	s_mul_i32 s13, s14, s6
	v_readfirstlane_b32 s15, v2
	s_waitcnt lgkmcnt(0)
	s_mul_i32 s12, s13, s12
	s_delay_alu instid0(SALU_CYCLE_1) | instskip(SKIP_4) | instid1(SALU_CYCLE_1)
	s_mul_i32 s13, s12, 0x52
	s_mul_hi_i32 s16, s12, 0x52
	s_add_u32 s12, s0, s13
	s_addc_u32 s13, s1, s16
	s_sub_i32 s0, 0, s4
	s_mul_i32 s0, s0, s15
	s_delay_alu instid0(SALU_CYCLE_1) | instskip(NEXT) | instid1(SALU_CYCLE_1)
	s_mul_hi_u32 s0, s15, s0
	s_add_i32 s15, s15, s0
	s_delay_alu instid0(SALU_CYCLE_1) | instskip(NEXT) | instid1(SALU_CYCLE_1)
	s_mul_hi_u32 s0, s8, s15
	s_mul_i32 s1, s0, s4
	s_add_i32 s15, s0, 1
	s_sub_i32 s1, s8, s1
	s_delay_alu instid0(SALU_CYCLE_1)
	s_sub_i32 s16, s1, s4
	s_cmp_ge_u32 s1, s4
	s_cselect_b32 s0, s15, s0
	s_cselect_b32 s1, s16, s1
	s_add_i32 s15, s0, 1
	s_cmp_ge_u32 s1, s4
	s_mov_b32 s1, s9
	s_cselect_b32 s0, s15, s0
	v_add_co_u32 v4, s4, s12, v18
	s_mul_i32 s0, s0, s7
	v_add_co_ci_u32_e64 v5, null, s13, 0, s4
	s_lshl_b64 s[0:1], s[0:1], 2
	s_delay_alu instid0(VALU_DEP_2)
	v_add_co_u32 v4, vcc_lo, v4, 36
	s_add_u32 s0, s2, s0
	s_addc_u32 s1, s3, s1
	v_add_co_ci_u32_e32 v5, vcc_lo, 0, v5, vcc_lo
	v_mad_u64_u32 v[2:3], null, v17, 36, s[0:1]
.LBB272_3:                              ; =>This Loop Header: Depth=1
                                        ;     Child Loop BB272_4 Depth 2
                                        ;     Child Loop BB272_6 Depth 2
	v_add_nc_u32_e32 v8, v14, v16
	v_lshlrev_b32_e32 v10, 3, v14
	s_mov_b32 s0, -1
	s_mov_b32 s1, 0
	s_delay_alu instid0(VALU_DEP_2) | instskip(NEXT) | instid1(VALU_DEP_1)
	v_mad_i64_i32 v[6:7], null, 0x52, v8, s[12:13]
	v_add_co_u32 v8, vcc_lo, v6, v17
	s_delay_alu instid0(VALU_DEP_2) | instskip(SKIP_4) | instid1(VALU_DEP_1)
	v_add_co_ci_u32_e32 v9, vcc_lo, 0, v7, vcc_lo
	s_clause 0x1
	global_load_u8 v20, v[8:9], off offset:74
	global_load_u8 v21, v[8:9], off offset:66
	v_mad_i64_i32 v[8:9], null, v10, 36, v[2:3]
	v_add_co_u32 v10, vcc_lo, v8, 4
	s_delay_alu instid0(VALU_DEP_2) | instskip(SKIP_4) | instid1(VALU_DEP_4)
	v_add_co_ci_u32_e32 v11, vcc_lo, 0, v9, vcc_lo
	v_add_co_u32 v22, vcc_lo, v6, v18
	v_add_co_ci_u32_e32 v24, vcc_lo, 0, v7, vcc_lo
	v_add_co_u32 v12, vcc_lo, v6, 2
	;; [unrolled: 2-line block ×3, first 2 shown]
	s_delay_alu instid0(VALU_DEP_4)
	v_add_co_ci_u32_e32 v24, vcc_lo, 0, v24, vcc_lo
	v_mov_b32_e32 v22, 0
.LBB272_4:                              ;   Parent Loop BB272_3 Depth=1
                                        ; =>  This Inner Loop Header: Depth=2
	v_or_b32_e32 v25, s1, v18
	s_delay_alu instid0(VALU_DEP_1)
	v_add_co_u32 v25, vcc_lo, v12, v25
	v_add_co_ci_u32_e32 v26, vcc_lo, 0, v13, vcc_lo
	global_load_u8 v27, v[25:26], off
	v_add_co_u32 v25, vcc_lo, v23, s1
	v_add_co_ci_u32_e32 v26, vcc_lo, 0, v24, vcc_lo
	s_lshl_b32 s1, s1, 1
	s_getpc_b64 s[2:3]
	s_add_u32 s2, s2, _ZL9iq2s_grid@rel32@lo+4
	s_addc_u32 s3, s3, _ZL9iq2s_grid@rel32@hi+12
	s_sub_i32 s1, 8, s1
	global_load_u8 v29, v[25:26], off
	s_waitcnt vmcnt(2)
	v_lshlrev_b32_e32 v25, s1, v21
	s_mov_b32 s1, 1
	s_waitcnt vmcnt(1)
	s_delay_alu instid0(VALU_DEP_1) | instskip(NEXT) | instid1(VALU_DEP_1)
	v_and_or_b32 v25, 0x300, v25, v27
	v_lshlrev_b32_e32 v25, 3, v25
	global_load_b64 v[25:26], v25, s[2:3]
	global_load_b64 v[27:28], v[10:11], off
	s_waitcnt vmcnt(2)
	v_and_b32_e32 v30, 15, v29
	v_lshrrev_b16 v29, 4, v29
	s_delay_alu instid0(VALU_DEP_2) | instskip(NEXT) | instid1(VALU_DEP_2)
	v_and_b32_e32 v30, 0xffff, v30
	v_and_b32_e32 v29, 0xffff, v29
	s_delay_alu instid0(VALU_DEP_2) | instskip(NEXT) | instid1(VALU_DEP_2)
	v_mul_lo_u32 v30, 0x1010101, v30
	v_mul_lo_u32 v29, 0x1010101, v29
	s_delay_alu instid0(VALU_DEP_2) | instskip(NEXT) | instid1(VALU_DEP_2)
	v_not_b32_e32 v30, v30
	v_not_b32_e32 v29, v29
	s_delay_alu instid0(VALU_DEP_2)
	v_and_b32_e32 v31, 0x8040201, v30
	v_and_b32_e32 v32, 0x40000, v30
	;; [unrolled: 1-line block ×5, first 2 shown]
	v_cmp_gt_u32_e32 vcc_lo, 0x1000000, v31
	v_and_b32_e32 v35, 0x40000, v29
	v_and_b32_e32 v36, 0x200, v29
	;; [unrolled: 1-line block ×3, first 2 shown]
	v_cndmask_b32_e64 v31, 0, -1, vcc_lo
	v_cmp_eq_u32_e32 vcc_lo, 0, v32
	s_delay_alu instid0(VALU_DEP_2)
	v_lshlrev_b32_e32 v31, 24, v31
	v_cndmask_b32_e64 v32, 0, 0xff0000, vcc_lo
	v_cmp_eq_u32_e32 vcc_lo, 0, v33
	v_cndmask_b32_e64 v33, 0, 0xff00, vcc_lo
	v_cmp_eq_u32_e32 vcc_lo, 0, v30
	v_cndmask_b32_e64 v30, 0, 0xff, vcc_lo
	v_cmp_gt_u32_e32 vcc_lo, 0x1000000, v34
	s_delay_alu instid0(VALU_DEP_2) | instskip(SKIP_2) | instid1(VALU_DEP_3)
	v_or_b32_e32 v37, v33, v30
	v_cndmask_b32_e64 v34, 0, -1, vcc_lo
	v_cmp_eq_u32_e32 vcc_lo, 0, v35
	v_or3_b32 v37, v37, v32, v31
	s_delay_alu instid0(VALU_DEP_3)
	v_lshlrev_b32_e32 v34, 24, v34
	v_cndmask_b32_e64 v35, 0, 0xff0000, vcc_lo
	v_cmp_eq_u32_e32 vcc_lo, 0, v36
	v_cndmask_b32_e64 v36, 0, 0xff00, vcc_lo
	v_cmp_eq_u32_e32 vcc_lo, 0, v29
	v_cndmask_b32_e64 v29, 0, 0xff, vcc_lo
	v_add_co_u32 v10, vcc_lo, v10, 8
	v_add_co_ci_u32_e32 v11, vcc_lo, 0, v11, vcc_lo
	s_delay_alu instid0(VALU_DEP_3) | instskip(SKIP_2) | instid1(VALU_DEP_1)
	v_or_b32_e32 v38, v36, v29
	s_and_b32 vcc_lo, exec_lo, s0
	s_mov_b32 s0, 0
	v_or3_b32 v38, v38, v35, v34
	s_waitcnt vmcnt(1)
	v_xor_b32_e32 v25, v37, v25
	s_delay_alu instid0(VALU_DEP_2)
	v_xor_b32_e32 v26, v38, v26
	s_waitcnt vmcnt(0)
	v_bfe_i32 v39, v27, 0, 8
	v_bfe_i32 v37, v28, 0, 8
	v_sub_nc_u32_e32 v30, v25, v30
	v_sub_nc_u32_e32 v29, v26, v29
	v_sub_nc_u32_e32 v31, v25, v31
	v_sub_nc_u32_e32 v32, v25, v32
	v_sub_nc_u32_e32 v25, v25, v33
	v_sub_nc_u32_e32 v33, v26, v35
	v_sub_nc_u32_e32 v35, v26, v36
	v_bfe_i32 v30, v30, 0, 8
	v_bfe_i32 v29, v29, 0, 8
	v_sub_nc_u32_e32 v26, v26, v34
	v_perm_b32 v32, v32, v25, 0xc06010c
	v_perm_b32 v33, v33, v35, 0xc06010c
	v_mul_i32_i24_e32 v30, v30, v39
	v_mul_i32_i24_e32 v29, v29, v37
	v_perm_b32 v34, v27, v27, 0xc0c0201
	v_perm_b32 v31, v35, v31, 0xc0c0503
	v_perm_b32 v25, v32, v25, 0xc0c0601
	v_perm_b32 v26, v26, v33, 0x7020c0c
	v_add3_u32 v22, v30, v22, v29
	v_perm_b32 v27, v28, v27, 0x7060503
	s_delay_alu instid0(VALU_DEP_3) | instskip(NEXT) | instid1(VALU_DEP_3)
	v_or_b32_e32 v26, v26, v31
	v_dot4_i32_iu8 v22, v25, v34, v22 neg_lo:[1,1,0]
	s_delay_alu instid0(VALU_DEP_1)
	v_dot4_i32_iu8 v22, v26, v27, v22 neg_lo:[1,1,0]
	s_cbranch_vccnz .LBB272_4
; %bb.5:                                ;   in Loop: Header=BB272_3 Depth=1
	v_mad_i64_i32 v[12:13], null, 0x52, v19, v[4:5]
	v_mov_b32_e32 v23, 0
	s_mov_b32 s1, 4
.LBB272_6:                              ;   Parent Loop BB272_3 Depth=1
                                        ; =>  This Inner Loop Header: Depth=2
	s_clause 0x1
	global_load_u8 v24, v[12:13], off offset:-32
	global_load_u8 v28, v[12:13], off
	v_lshlrev_b32_e32 v25, s1, v21
	s_getpc_b64 s[2:3]
	s_add_u32 s2, s2, _ZL9iq2s_grid@rel32@lo+4
	s_addc_u32 s3, s3, _ZL9iq2s_grid@rel32@hi+12
	s_add_i32 s1, s1, -2
	s_delay_alu instid0(SALU_CYCLE_1)
	s_cmp_lg_u32 s1, 0
	s_waitcnt vmcnt(1)
	v_and_or_b32 v24, 0x300, v25, v24
	s_waitcnt vmcnt(0)
	v_and_b32_e32 v29, 15, v28
	v_lshrrev_b16 v28, 4, v28
	s_delay_alu instid0(VALU_DEP_3) | instskip(NEXT) | instid1(VALU_DEP_3)
	v_lshlrev_b32_e32 v24, 3, v24
	v_and_b32_e32 v29, 0xffff, v29
	s_delay_alu instid0(VALU_DEP_3)
	v_and_b32_e32 v28, 0xffff, v28
	global_load_b64 v[24:25], v24, s[2:3]
	global_load_b64 v[26:27], v[10:11], off
	v_mul_lo_u32 v29, 0x1010101, v29
	v_mul_lo_u32 v28, 0x1010101, v28
	v_add_co_u32 v10, vcc_lo, v10, 8
	v_add_co_ci_u32_e32 v11, vcc_lo, 0, v11, vcc_lo
	v_add_co_u32 v12, vcc_lo, v12, 1
	v_not_b32_e32 v29, v29
	v_not_b32_e32 v28, v28
	v_add_co_ci_u32_e32 v13, vcc_lo, 0, v13, vcc_lo
	s_delay_alu instid0(VALU_DEP_3)
	v_and_b32_e32 v33, 0x8040201, v29
	v_and_b32_e32 v34, 0x40000, v29
	v_and_b32_e32 v35, 0x200, v29
	v_and_b32_e32 v29, 1, v29
	v_and_b32_e32 v36, 0x8040201, v28
	v_cmp_gt_u32_e64 s0, 0x1000000, v33
	v_and_b32_e32 v37, 0x40000, v28
	v_and_b32_e32 v38, 0x200, v28
	;; [unrolled: 1-line block ×3, first 2 shown]
	s_delay_alu instid0(VALU_DEP_4) | instskip(SKIP_1) | instid1(VALU_DEP_2)
	v_cndmask_b32_e64 v33, 0, -1, s0
	v_cmp_eq_u32_e64 s0, 0, v34
	v_lshlrev_b32_e32 v33, 24, v33
	s_delay_alu instid0(VALU_DEP_2) | instskip(SKIP_1) | instid1(VALU_DEP_1)
	v_cndmask_b32_e64 v34, 0, 0xff0000, s0
	v_cmp_eq_u32_e64 s0, 0, v35
	v_cndmask_b32_e64 v35, 0, 0xff00, s0
	v_cmp_eq_u32_e64 s0, 0, v29
	s_delay_alu instid0(VALU_DEP_1) | instskip(SKIP_1) | instid1(VALU_DEP_2)
	v_cndmask_b32_e64 v29, 0, 0xff, s0
	v_cmp_gt_u32_e64 s0, 0x1000000, v36
	v_or_b32_e32 v39, v35, v29
	s_delay_alu instid0(VALU_DEP_2) | instskip(SKIP_1) | instid1(VALU_DEP_3)
	v_cndmask_b32_e64 v36, 0, -1, s0
	v_cmp_eq_u32_e64 s0, 0, v37
	v_or3_b32 v39, v39, v34, v33
	s_delay_alu instid0(VALU_DEP_3) | instskip(NEXT) | instid1(VALU_DEP_3)
	v_lshlrev_b32_e32 v36, 24, v36
	v_cndmask_b32_e64 v37, 0, 0xff0000, s0
	v_cmp_eq_u32_e64 s0, 0, v38
	s_delay_alu instid0(VALU_DEP_1) | instskip(SKIP_1) | instid1(VALU_DEP_1)
	v_cndmask_b32_e64 v38, 0, 0xff00, s0
	v_cmp_eq_u32_e64 s0, 0, v28
	v_cndmask_b32_e64 v28, 0, 0xff, s0
	s_delay_alu instid0(VALU_DEP_1) | instskip(NEXT) | instid1(VALU_DEP_1)
	v_or_b32_e32 v40, v38, v28
	v_or3_b32 v40, v40, v37, v36
	s_waitcnt vmcnt(1)
	v_xor_b32_e32 v24, v39, v24
	s_delay_alu instid0(VALU_DEP_2)
	v_xor_b32_e32 v25, v40, v25
	s_waitcnt vmcnt(0)
	v_bfe_i32 v30, v26, 0, 8
	v_bfe_i32 v31, v27, 0, 8
	v_perm_b32 v32, v26, v26, 0xc0c0201
	v_sub_nc_u32_e32 v33, v24, v33
	v_sub_nc_u32_e32 v34, v24, v34
	;; [unrolled: 1-line block ×8, first 2 shown]
	v_bfe_i32 v24, v24, 0, 8
	v_bfe_i32 v28, v28, 0, 8
	v_perm_b32 v34, v34, v35, 0xc06010c
	s_delay_alu instid0(VALU_DEP_4) | instskip(NEXT) | instid1(VALU_DEP_4)
	v_perm_b32 v36, v36, v25, 0xc06010c
	v_mul_i32_i24_e32 v24, v24, v30
	s_delay_alu instid0(VALU_DEP_4) | instskip(SKIP_3) | instid1(VALU_DEP_4)
	v_mul_i32_i24_e32 v28, v28, v31
	v_perm_b32 v25, v25, v33, 0xc0c0503
	v_perm_b32 v30, v34, v35, 0xc0c0601
	;; [unrolled: 1-line block ×3, first 2 shown]
	v_add3_u32 v23, v24, v23, v28
	v_perm_b32 v24, v27, v26, 0x7060503
	s_delay_alu instid0(VALU_DEP_3) | instskip(NEXT) | instid1(VALU_DEP_3)
	v_or_b32_e32 v25, v29, v25
	v_dot4_i32_iu8 v23, v30, v32, v23 neg_lo:[1,1,0]
	s_delay_alu instid0(VALU_DEP_1)
	v_dot4_i32_iu8 v23, v25, v24, v23 neg_lo:[1,1,0]
	s_cbranch_scc1 .LBB272_6
; %bb.7:                                ;   in Loop: Header=BB272_3 Depth=1
	global_load_u16 v6, v[6:7], off
	global_load_b32 v7, v[8:9], off
	v_lshrrev_b16 v8, 4, v20
	v_cvt_f32_i32_e32 v10, v23
	v_and_b32_e32 v9, 15, v20
	v_cvt_f32_i32_e32 v11, v22
	v_add_nc_u32_e32 v14, 4, v14
	v_add_nc_u32_e32 v19, 4, v19
	s_delay_alu instid0(VALU_DEP_4) | instskip(SKIP_1) | instid1(VALU_DEP_4)
	v_cvt_f32_ubyte0_e32 v9, v9
	v_and_b32_e32 v8, 15, v8
	v_cmp_le_u32_e32 vcc_lo, s14, v14
	s_delay_alu instid0(VALU_DEP_3) | instskip(NEXT) | instid1(VALU_DEP_3)
	v_add_f32_e32 v9, 0.5, v9
	v_cvt_f32_ubyte0_e32 v8, v8
	s_or_b32 s9, vcc_lo, s9
	s_delay_alu instid0(VALU_DEP_1) | instskip(NEXT) | instid1(VALU_DEP_1)
	v_add_f32_e32 v8, 0.5, v8
	v_mul_f32_e32 v8, v8, v10
	s_delay_alu instid0(VALU_DEP_1) | instskip(SKIP_4) | instid1(VALU_DEP_1)
	v_fmac_f32_e32 v8, v9, v11
	s_waitcnt vmcnt(1)
	v_cvt_f32_f16_e32 v6, v6
	s_waitcnt vmcnt(0)
	v_cvt_f32_f16_e32 v7, v7
	v_mul_f32_e32 v6, v6, v7
	s_delay_alu instid0(VALU_DEP_1) | instskip(NEXT) | instid1(VALU_DEP_1)
	v_mul_f32_e32 v6, 0x3e800000, v6
	v_fmac_f32_e32 v15, v8, v6
	s_and_not1_b32 exec_lo, exec_lo, s9
	s_cbranch_execnz .LBB272_3
; %bb.8:
	s_or_b32 exec_lo, exec_lo, s9
.LBB272_9:
	s_delay_alu instid0(SALU_CYCLE_1) | instskip(SKIP_1) | instid1(VALU_DEP_1)
	s_or_b32 exec_lo, exec_lo, s5
	v_mbcnt_lo_u32_b32 v2, -1, 0
	v_xor_b32_e32 v3, 16, v2
	v_xor_b32_e32 v4, 8, v2
	;; [unrolled: 1-line block ×3, first 2 shown]
	s_delay_alu instid0(VALU_DEP_3) | instskip(SKIP_1) | instid1(VALU_DEP_4)
	v_cmp_gt_i32_e32 vcc_lo, 32, v3
	v_cndmask_b32_e32 v3, v2, v3, vcc_lo
	v_cmp_gt_i32_e32 vcc_lo, 32, v4
	v_cndmask_b32_e32 v4, v2, v4, vcc_lo
	v_cmp_gt_i32_e32 vcc_lo, 32, v5
	s_delay_alu instid0(VALU_DEP_2)
	v_lshlrev_b32_e32 v4, 2, v4
	v_lshlrev_b32_e32 v3, 2, v3
	v_cndmask_b32_e32 v5, v2, v5, vcc_lo
	ds_bpermute_b32 v3, v3, v15
	v_lshlrev_b32_e32 v5, 2, v5
	s_waitcnt lgkmcnt(0)
	v_add_f32_e32 v3, v15, v3
	ds_bpermute_b32 v4, v4, v3
	s_waitcnt lgkmcnt(0)
	v_add_f32_e32 v3, v3, v4
	ds_bpermute_b32 v4, v5, v3
	v_xor_b32_e32 v5, 2, v2
	s_delay_alu instid0(VALU_DEP_1) | instskip(SKIP_1) | instid1(VALU_DEP_1)
	v_cmp_gt_i32_e32 vcc_lo, 32, v5
	v_cndmask_b32_e32 v5, v2, v5, vcc_lo
	v_lshlrev_b32_e32 v5, 2, v5
	s_waitcnt lgkmcnt(0)
	v_add_f32_e32 v3, v3, v4
	ds_bpermute_b32 v4, v5, v3
	v_xor_b32_e32 v5, 1, v2
	s_delay_alu instid0(VALU_DEP_1) | instskip(SKIP_3) | instid1(VALU_DEP_2)
	v_cmp_gt_i32_e32 vcc_lo, 32, v5
	v_cndmask_b32_e32 v5, v2, v5, vcc_lo
	v_cmp_eq_u32_e32 vcc_lo, 0, v0
	s_waitcnt lgkmcnt(0)
	v_dual_add_f32 v2, v3, v4 :: v_dual_lshlrev_b32 v3, 2, v5
	ds_bpermute_b32 v3, v3, v2
	s_and_b32 exec_lo, exec_lo, vcc_lo
	s_cbranch_execz .LBB272_11
; %bb.10:
	v_mad_u64_u32 v[4:5], null, s8, s6, v[1:2]
	s_waitcnt lgkmcnt(0)
	v_dual_mov_b32 v5, 0 :: v_dual_add_f32 v2, v2, v3
	s_delay_alu instid0(VALU_DEP_1) | instskip(NEXT) | instid1(VALU_DEP_2)
	v_cvt_f16_f32_e32 v2, v2
	v_lshlrev_b64 v[0:1], 1, v[4:5]
	s_delay_alu instid0(VALU_DEP_1) | instskip(NEXT) | instid1(VALU_DEP_2)
	v_add_co_u32 v0, vcc_lo, s10, v0
	v_add_co_ci_u32_e32 v1, vcc_lo, s11, v1, vcc_lo
	global_store_b16 v[0:1], v2, off
.LBB272_11:
	s_nop 0
	s_sendmsg sendmsg(MSG_DEALLOC_VGPRS)
	s_endpgm
	.section	.rodata,"a",@progbits
	.p2align	6, 0x0
	.amdhsa_kernel _ZL9moe_vec_qIN3c104HalfELi256ELi8E11block_iq2_sLi1EXadL_ZL18vec_dot_iq2_s_q8_1PKvPK10block_q8_1RKiEEEvS4_S4_PT_PS8_iiii
		.amdhsa_group_segment_fixed_size 0
		.amdhsa_private_segment_fixed_size 0
		.amdhsa_kernarg_size 304
		.amdhsa_user_sgpr_count 14
		.amdhsa_user_sgpr_dispatch_ptr 0
		.amdhsa_user_sgpr_queue_ptr 0
		.amdhsa_user_sgpr_kernarg_segment_ptr 1
		.amdhsa_user_sgpr_dispatch_id 0
		.amdhsa_user_sgpr_private_segment_size 0
		.amdhsa_wavefront_size32 1
		.amdhsa_uses_dynamic_stack 0
		.amdhsa_enable_private_segment 0
		.amdhsa_system_sgpr_workgroup_id_x 1
		.amdhsa_system_sgpr_workgroup_id_y 0
		.amdhsa_system_sgpr_workgroup_id_z 1
		.amdhsa_system_sgpr_workgroup_info 0
		.amdhsa_system_vgpr_workitem_id 1
		.amdhsa_next_free_vgpr 41
		.amdhsa_next_free_sgpr 17
		.amdhsa_reserve_vcc 1
		.amdhsa_float_round_mode_32 0
		.amdhsa_float_round_mode_16_64 0
		.amdhsa_float_denorm_mode_32 3
		.amdhsa_float_denorm_mode_16_64 3
		.amdhsa_dx10_clamp 1
		.amdhsa_ieee_mode 1
		.amdhsa_fp16_overflow 0
		.amdhsa_workgroup_processor_mode 1
		.amdhsa_memory_ordered 1
		.amdhsa_forward_progress 0
		.amdhsa_shared_vgpr_count 0
		.amdhsa_exception_fp_ieee_invalid_op 0
		.amdhsa_exception_fp_denorm_src 0
		.amdhsa_exception_fp_ieee_div_zero 0
		.amdhsa_exception_fp_ieee_overflow 0
		.amdhsa_exception_fp_ieee_underflow 0
		.amdhsa_exception_fp_ieee_inexact 0
		.amdhsa_exception_int_div_zero 0
	.end_amdhsa_kernel
	.section	.text._ZL9moe_vec_qIN3c104HalfELi256ELi8E11block_iq2_sLi1EXadL_ZL18vec_dot_iq2_s_q8_1PKvPK10block_q8_1RKiEEEvS4_S4_PT_PS8_iiii,"axG",@progbits,_ZL9moe_vec_qIN3c104HalfELi256ELi8E11block_iq2_sLi1EXadL_ZL18vec_dot_iq2_s_q8_1PKvPK10block_q8_1RKiEEEvS4_S4_PT_PS8_iiii,comdat
.Lfunc_end272:
	.size	_ZL9moe_vec_qIN3c104HalfELi256ELi8E11block_iq2_sLi1EXadL_ZL18vec_dot_iq2_s_q8_1PKvPK10block_q8_1RKiEEEvS4_S4_PT_PS8_iiii, .Lfunc_end272-_ZL9moe_vec_qIN3c104HalfELi256ELi8E11block_iq2_sLi1EXadL_ZL18vec_dot_iq2_s_q8_1PKvPK10block_q8_1RKiEEEvS4_S4_PT_PS8_iiii
                                        ; -- End function
	.section	.AMDGPU.csdata,"",@progbits
; Kernel info:
; codeLenInByte = 2348
; NumSgprs: 19
; NumVgprs: 41
; ScratchSize: 0
; MemoryBound: 0
; FloatMode: 240
; IeeeMode: 1
; LDSByteSize: 0 bytes/workgroup (compile time only)
; SGPRBlocks: 2
; VGPRBlocks: 5
; NumSGPRsForWavesPerEU: 19
; NumVGPRsForWavesPerEU: 41
; Occupancy: 16
; WaveLimiterHint : 1
; COMPUTE_PGM_RSRC2:SCRATCH_EN: 0
; COMPUTE_PGM_RSRC2:USER_SGPR: 14
; COMPUTE_PGM_RSRC2:TRAP_HANDLER: 0
; COMPUTE_PGM_RSRC2:TGID_X_EN: 1
; COMPUTE_PGM_RSRC2:TGID_Y_EN: 0
; COMPUTE_PGM_RSRC2:TGID_Z_EN: 1
; COMPUTE_PGM_RSRC2:TIDIG_COMP_CNT: 1
	.section	.text._ZL9moe_vec_qIN3c104HalfELi256ELi8E12block_iq4_xsLi1EXadL_ZL19vec_dot_iq4_xs_q8_1PKvPK10block_q8_1RKiEEEvS4_S4_PT_PS8_iiii,"axG",@progbits,_ZL9moe_vec_qIN3c104HalfELi256ELi8E12block_iq4_xsLi1EXadL_ZL19vec_dot_iq4_xs_q8_1PKvPK10block_q8_1RKiEEEvS4_S4_PT_PS8_iiii,comdat
	.globl	_ZL9moe_vec_qIN3c104HalfELi256ELi8E12block_iq4_xsLi1EXadL_ZL19vec_dot_iq4_xs_q8_1PKvPK10block_q8_1RKiEEEvS4_S4_PT_PS8_iiii ; -- Begin function _ZL9moe_vec_qIN3c104HalfELi256ELi8E12block_iq4_xsLi1EXadL_ZL19vec_dot_iq4_xs_q8_1PKvPK10block_q8_1RKiEEEvS4_S4_PT_PS8_iiii
	.p2align	8
	.type	_ZL9moe_vec_qIN3c104HalfELi256ELi8E12block_iq4_xsLi1EXadL_ZL19vec_dot_iq4_xs_q8_1PKvPK10block_q8_1RKiEEEvS4_S4_PT_PS8_iiii,@function
_ZL9moe_vec_qIN3c104HalfELi256ELi8E12block_iq4_xsLi1EXadL_ZL19vec_dot_iq4_xs_q8_1PKvPK10block_q8_1RKiEEEvS4_S4_PT_PS8_iiii: ; @_ZL9moe_vec_qIN3c104HalfELi256ELi8E12block_iq4_xsLi1EXadL_ZL19vec_dot_iq4_xs_q8_1PKvPK10block_q8_1RKiEEEvS4_S4_PT_PS8_iiii
; %bb.0:
	s_clause 0x1
	s_load_b32 s2, s[0:1], 0x3c
	s_load_b128 s[4:7], s[0:1], 0x20
	v_bfe_u32 v3, v0, 10, 10
	s_waitcnt lgkmcnt(0)
	s_lshr_b32 s2, s2, 16
	s_delay_alu instid0(VALU_DEP_1) | instid1(SALU_CYCLE_1)
	v_mad_u64_u32 v[1:2], null, s14, s2, v[3:4]
	s_mov_b32 s2, exec_lo
	s_delay_alu instid0(VALU_DEP_1)
	v_cmpx_gt_u32_e64 s6, v1
	s_cbranch_execz .LBB273_9
; %bb.1:
	s_load_b64 s[10:11], s[0:1], 0x10
	v_dual_mov_b32 v11, 0 :: v_dual_and_b32 v0, 0x3ff, v0
	s_ashr_i32 s2, s5, 31
	s_mov_b32 s8, s15
	s_lshr_b32 s2, s2, 24
	s_delay_alu instid0(VALU_DEP_1)
	v_lshrrev_b32_e32 v10, 3, v0
	s_add_i32 s2, s5, s2
	s_mov_b32 s5, exec_lo
	s_ashr_i32 s12, s2, 8
	s_delay_alu instid0(VALU_DEP_1) | instid1(SALU_CYCLE_1)
	v_cmpx_gt_u32_e64 s12, v10
	s_cbranch_execz .LBB273_7
; %bb.2:
	s_load_b64 s[2:3], s[0:1], 0x18
	s_mov_b32 s9, 0
	v_cvt_f32_u32_e32 v2, s4
	s_lshl_b64 s[14:15], s[8:9], 2
	v_and_b32_e32 v4, 7, v0
	v_mul_lo_u32 v12, v1, s12
	v_bfe_u32 v13, v0, 1, 2
	v_rcp_iflag_f32_e32 v2, v2
	v_lshlrev_b32_e32 v14, 3, v10
	v_dual_mov_b32 v11, 0 :: v_dual_lshlrev_b32 v16, 1, v4
	s_waitcnt_depctr 0xfff
	v_dual_mul_f32 v2, 0x4f7ffffe, v2 :: v_dual_add_nc_u32 v17, v10, v12
	s_waitcnt lgkmcnt(0)
	s_add_u32 s2, s2, s14
	s_addc_u32 s3, s3, s15
	s_delay_alu instid0(VALU_DEP_1)
	v_cvt_u32_f32_e32 v2, v2
	s_load_b32 s13, s[2:3], 0x0
	s_load_b128 s[0:3], s[0:1], 0x0
	s_mul_i32 s14, s12, s6
	s_waitcnt lgkmcnt(0)
	s_mul_i32 s13, s14, s13
	v_readfirstlane_b32 s14, v2
	s_mul_i32 s15, s13, 0x88
	s_mul_hi_i32 s13, s13, 0x88
	s_add_u32 s0, s0, s15
	s_addc_u32 s1, s1, s13
	s_sub_i32 s13, 0, s4
	v_lshlrev_b32_e32 v2, 2, v0
	s_mul_i32 s13, s13, s14
	s_mov_b32 s15, s9
	s_mul_hi_u32 s13, s14, s13
	s_delay_alu instid0(SALU_CYCLE_1)
	s_add_i32 s14, s14, s13
	v_and_b32_e32 v15, 4, v2
	s_mul_hi_u32 s13, s8, s14
	v_lshlrev_b32_e32 v2, 4, v4
	s_mul_i32 s14, s13, s4
	s_add_i32 s16, s13, 1
	s_sub_i32 s14, s8, s14
	s_delay_alu instid0(SALU_CYCLE_1)
	s_sub_i32 s17, s14, s4
	s_cmp_ge_u32 s14, s4
	s_cselect_b32 s13, s16, s13
	s_cselect_b32 s14, s17, s14
	s_add_i32 s16, s13, 1
	s_cmp_ge_u32 s14, s4
	s_cselect_b32 s4, s16, s13
	s_delay_alu instid0(SALU_CYCLE_1)
	s_mul_i32 s14, s4, s7
	v_add_co_u32 v5, s4, s0, v2
	s_lshl_b64 s[14:15], s[14:15], 2
	v_add_co_ci_u32_e64 v6, null, s1, 0, s4
	s_add_u32 s2, s2, s14
	s_addc_u32 s3, s3, s15
	s_getpc_b64 s[14:15]
	s_add_u32 s14, s14, _ZL13kvalues_iq4nl@rel32@lo+4
	s_addc_u32 s15, s15, _ZL13kvalues_iq4nl@rel32@hi+12
	v_mad_u64_u32 v[2:3], null, v4, 36, s[2:3]
	v_add_co_u32 v4, vcc_lo, v5, 8
	v_add_co_ci_u32_e32 v5, vcc_lo, 0, v6, vcc_lo
.LBB273_3:                              ; =>This Loop Header: Depth=1
                                        ;     Child Loop BB273_4 Depth 2
	v_dual_mov_b32 v21, 0 :: v_dual_add_nc_u32 v8, v10, v12
	v_lshlrev_b32_e32 v18, 3, v10
	s_mov_b64 s[2:3], 0
	s_delay_alu instid0(VALU_DEP_2) | instskip(NEXT) | instid1(VALU_DEP_2)
	v_mad_i64_i32 v[6:7], null, 0x88, v8, s[0:1]
	v_mad_i64_i32 v[8:9], null, v18, 36, v[2:3]
	s_delay_alu instid0(VALU_DEP_2) | instskip(NEXT) | instid1(VALU_DEP_3)
	v_add_co_u32 v19, vcc_lo, v6, v13
	v_add_co_ci_u32_e32 v20, vcc_lo, 0, v7, vcc_lo
	s_clause 0x1
	global_load_b32 v18, v[6:7], off
	global_load_u8 v22, v[19:20], off offset:4
	global_load_b32 v19, v[8:9], off
	v_mad_i64_i32 v[6:7], null, v14, 36, v[2:3]
	v_mad_i64_i32 v[8:9], null, 0x88, v17, v[4:5]
	v_mov_b32_e32 v20, 0
.LBB273_4:                              ;   Parent Loop BB273_3 Depth=1
                                        ; =>  This Inner Loop Header: Depth=2
	s_delay_alu instid0(VALU_DEP_2) | instskip(NEXT) | instid1(VALU_DEP_3)
	v_add_co_u32 v23, vcc_lo, v8, s2
	v_add_co_ci_u32_e32 v24, vcc_lo, s3, v9, vcc_lo
	global_load_b32 v23, v[23:24], off
	s_waitcnt vmcnt(0)
	v_bfe_u32 v27, v23, 12, 4
	v_bfe_u32 v26, v23, 8, 4
	;; [unrolled: 1-line block ×4, first 2 shown]
	v_and_b32_e32 v25, 15, v23
	v_lshrrev_b32_e32 v30, 28, v23
	v_bfe_u32 v24, v23, 24, 4
	v_bfe_u32 v23, v23, 4, 4
	s_clause 0x7
	global_load_i8 v27, v27, s[14:15]
	global_load_i8 v26, v26, s[14:15]
	;; [unrolled: 1-line block ×8, first 2 shown]
	v_add_co_u32 v23, vcc_lo, v6, s2
	v_add_co_ci_u32_e32 v24, vcc_lo, s3, v7, vcc_lo
	s_clause 0x1
	global_load_b32 v33, v[23:24], off offset:4
	global_load_b32 v23, v[23:24], off offset:20
	s_add_u32 s2, s2, 4
	s_addc_u32 s3, s3, 0
	s_cmp_lg_u32 s2, 16
	s_waitcnt vmcnt(4)
	v_perm_b32 v24, v26, v25, 0xc0c0400
	s_waitcnt vmcnt(3)
	v_perm_b32 v25, v31, v28, 0x4000c0c
	;; [unrolled: 2-line block ×3, first 2 shown]
	v_perm_b32 v27, v30, v29, 0x4000c0c
	s_delay_alu instid0(VALU_DEP_3) | instskip(NEXT) | instid1(VALU_DEP_2)
	v_or_b32_e32 v24, v25, v24
	v_or_b32_e32 v25, v27, v26
	s_waitcnt vmcnt(1)
	s_delay_alu instid0(VALU_DEP_2) | instskip(SKIP_1) | instid1(VALU_DEP_2)
	v_dot4_i32_iu8 v21, v33, v24, v21 neg_lo:[1,1,0]
	s_waitcnt vmcnt(0)
	v_dot4_i32_iu8 v20, v23, v25, v20 neg_lo:[1,1,0]
	s_cbranch_scc1 .LBB273_4
; %bb.5:                                ;   in Loop: Header=BB273_3 Depth=1
	v_lshrrev_b32_e32 v6, 16, v18
	v_cvt_f32_f16_e32 v8, v19
	v_and_b32_e32 v7, 0xff, v22
	v_add_nc_u32_e32 v14, 32, v14
	v_add_nc_u32_e32 v17, 4, v17
	v_lshrrev_b32_e32 v6, v16, v6
	s_delay_alu instid0(VALU_DEP_4) | instskip(NEXT) | instid1(VALU_DEP_2)
	v_bfe_u32 v7, v7, v15, 4
	v_lshlrev_b32_e32 v6, 4, v6
	s_delay_alu instid0(VALU_DEP_1) | instskip(SKIP_1) | instid1(VALU_DEP_2)
	v_and_or_b32 v6, v6, 48, v7
	v_cvt_f32_f16_e32 v7, v18
	v_subrev_nc_u32_e32 v6, 32, v6
	s_delay_alu instid0(VALU_DEP_1) | instskip(NEXT) | instid1(VALU_DEP_1)
	v_cvt_f32_i32_e32 v6, v6
	v_dual_mul_f32 v6, v7, v6 :: v_dual_add_nc_u32 v9, v20, v21
	s_delay_alu instid0(VALU_DEP_1) | instskip(NEXT) | instid1(VALU_DEP_2)
	v_cvt_f32_i32_e32 v7, v9
	v_mul_f32_e32 v6, v6, v8
	s_delay_alu instid0(VALU_DEP_1) | instskip(NEXT) | instid1(VALU_DEP_1)
	v_dual_fmac_f32 v11, v6, v7 :: v_dual_add_nc_u32 v10, 4, v10
	v_cmp_le_u32_e32 vcc_lo, s12, v10
	s_or_b32 s9, vcc_lo, s9
	s_delay_alu instid0(SALU_CYCLE_1)
	s_and_not1_b32 exec_lo, exec_lo, s9
	s_cbranch_execnz .LBB273_3
; %bb.6:
	s_or_b32 exec_lo, exec_lo, s9
.LBB273_7:
	s_delay_alu instid0(SALU_CYCLE_1) | instskip(SKIP_1) | instid1(VALU_DEP_1)
	s_or_b32 exec_lo, exec_lo, s5
	v_mbcnt_lo_u32_b32 v2, -1, 0
	v_xor_b32_e32 v3, 16, v2
	v_xor_b32_e32 v4, 8, v2
	;; [unrolled: 1-line block ×3, first 2 shown]
	s_delay_alu instid0(VALU_DEP_3) | instskip(SKIP_1) | instid1(VALU_DEP_4)
	v_cmp_gt_i32_e32 vcc_lo, 32, v3
	v_cndmask_b32_e32 v3, v2, v3, vcc_lo
	v_cmp_gt_i32_e32 vcc_lo, 32, v4
	v_cndmask_b32_e32 v4, v2, v4, vcc_lo
	v_cmp_gt_i32_e32 vcc_lo, 32, v5
	s_delay_alu instid0(VALU_DEP_2)
	v_lshlrev_b32_e32 v4, 2, v4
	v_lshlrev_b32_e32 v3, 2, v3
	v_cndmask_b32_e32 v5, v2, v5, vcc_lo
	ds_bpermute_b32 v3, v3, v11
	v_lshlrev_b32_e32 v5, 2, v5
	s_waitcnt lgkmcnt(0)
	v_add_f32_e32 v3, v11, v3
	ds_bpermute_b32 v4, v4, v3
	s_waitcnt lgkmcnt(0)
	v_add_f32_e32 v3, v3, v4
	ds_bpermute_b32 v4, v5, v3
	v_xor_b32_e32 v5, 2, v2
	s_delay_alu instid0(VALU_DEP_1) | instskip(SKIP_1) | instid1(VALU_DEP_1)
	v_cmp_gt_i32_e32 vcc_lo, 32, v5
	v_cndmask_b32_e32 v5, v2, v5, vcc_lo
	v_lshlrev_b32_e32 v5, 2, v5
	s_waitcnt lgkmcnt(0)
	v_add_f32_e32 v3, v3, v4
	ds_bpermute_b32 v4, v5, v3
	v_xor_b32_e32 v5, 1, v2
	s_delay_alu instid0(VALU_DEP_1) | instskip(SKIP_3) | instid1(VALU_DEP_2)
	v_cmp_gt_i32_e32 vcc_lo, 32, v5
	v_cndmask_b32_e32 v5, v2, v5, vcc_lo
	v_cmp_eq_u32_e32 vcc_lo, 0, v0
	s_waitcnt lgkmcnt(0)
	v_dual_add_f32 v2, v3, v4 :: v_dual_lshlrev_b32 v3, 2, v5
	ds_bpermute_b32 v3, v3, v2
	s_and_b32 exec_lo, exec_lo, vcc_lo
	s_cbranch_execz .LBB273_9
; %bb.8:
	v_mad_u64_u32 v[4:5], null, s8, s6, v[1:2]
	s_waitcnt lgkmcnt(0)
	v_dual_mov_b32 v5, 0 :: v_dual_add_f32 v2, v2, v3
	s_delay_alu instid0(VALU_DEP_1) | instskip(NEXT) | instid1(VALU_DEP_2)
	v_cvt_f16_f32_e32 v2, v2
	v_lshlrev_b64 v[0:1], 1, v[4:5]
	s_delay_alu instid0(VALU_DEP_1) | instskip(NEXT) | instid1(VALU_DEP_2)
	v_add_co_u32 v0, vcc_lo, s10, v0
	v_add_co_ci_u32_e32 v1, vcc_lo, s11, v1, vcc_lo
	global_store_b16 v[0:1], v2, off
.LBB273_9:
	s_nop 0
	s_sendmsg sendmsg(MSG_DEALLOC_VGPRS)
	s_endpgm
	.section	.rodata,"a",@progbits
	.p2align	6, 0x0
	.amdhsa_kernel _ZL9moe_vec_qIN3c104HalfELi256ELi8E12block_iq4_xsLi1EXadL_ZL19vec_dot_iq4_xs_q8_1PKvPK10block_q8_1RKiEEEvS4_S4_PT_PS8_iiii
		.amdhsa_group_segment_fixed_size 0
		.amdhsa_private_segment_fixed_size 0
		.amdhsa_kernarg_size 304
		.amdhsa_user_sgpr_count 14
		.amdhsa_user_sgpr_dispatch_ptr 0
		.amdhsa_user_sgpr_queue_ptr 0
		.amdhsa_user_sgpr_kernarg_segment_ptr 1
		.amdhsa_user_sgpr_dispatch_id 0
		.amdhsa_user_sgpr_private_segment_size 0
		.amdhsa_wavefront_size32 1
		.amdhsa_uses_dynamic_stack 0
		.amdhsa_enable_private_segment 0
		.amdhsa_system_sgpr_workgroup_id_x 1
		.amdhsa_system_sgpr_workgroup_id_y 0
		.amdhsa_system_sgpr_workgroup_id_z 1
		.amdhsa_system_sgpr_workgroup_info 0
		.amdhsa_system_vgpr_workitem_id 1
		.amdhsa_next_free_vgpr 34
		.amdhsa_next_free_sgpr 18
		.amdhsa_reserve_vcc 1
		.amdhsa_float_round_mode_32 0
		.amdhsa_float_round_mode_16_64 0
		.amdhsa_float_denorm_mode_32 3
		.amdhsa_float_denorm_mode_16_64 3
		.amdhsa_dx10_clamp 1
		.amdhsa_ieee_mode 1
		.amdhsa_fp16_overflow 0
		.amdhsa_workgroup_processor_mode 1
		.amdhsa_memory_ordered 1
		.amdhsa_forward_progress 0
		.amdhsa_shared_vgpr_count 0
		.amdhsa_exception_fp_ieee_invalid_op 0
		.amdhsa_exception_fp_denorm_src 0
		.amdhsa_exception_fp_ieee_div_zero 0
		.amdhsa_exception_fp_ieee_overflow 0
		.amdhsa_exception_fp_ieee_underflow 0
		.amdhsa_exception_fp_ieee_inexact 0
		.amdhsa_exception_int_div_zero 0
	.end_amdhsa_kernel
	.section	.text._ZL9moe_vec_qIN3c104HalfELi256ELi8E12block_iq4_xsLi1EXadL_ZL19vec_dot_iq4_xs_q8_1PKvPK10block_q8_1RKiEEEvS4_S4_PT_PS8_iiii,"axG",@progbits,_ZL9moe_vec_qIN3c104HalfELi256ELi8E12block_iq4_xsLi1EXadL_ZL19vec_dot_iq4_xs_q8_1PKvPK10block_q8_1RKiEEEvS4_S4_PT_PS8_iiii,comdat
.Lfunc_end273:
	.size	_ZL9moe_vec_qIN3c104HalfELi256ELi8E12block_iq4_xsLi1EXadL_ZL19vec_dot_iq4_xs_q8_1PKvPK10block_q8_1RKiEEEvS4_S4_PT_PS8_iiii, .Lfunc_end273-_ZL9moe_vec_qIN3c104HalfELi256ELi8E12block_iq4_xsLi1EXadL_ZL19vec_dot_iq4_xs_q8_1PKvPK10block_q8_1RKiEEEvS4_S4_PT_PS8_iiii
                                        ; -- End function
	.section	.AMDGPU.csdata,"",@progbits
; Kernel info:
; codeLenInByte = 1248
; NumSgprs: 20
; NumVgprs: 34
; ScratchSize: 0
; MemoryBound: 0
; FloatMode: 240
; IeeeMode: 1
; LDSByteSize: 0 bytes/workgroup (compile time only)
; SGPRBlocks: 2
; VGPRBlocks: 4
; NumSGPRsForWavesPerEU: 20
; NumVGPRsForWavesPerEU: 34
; Occupancy: 16
; WaveLimiterHint : 1
; COMPUTE_PGM_RSRC2:SCRATCH_EN: 0
; COMPUTE_PGM_RSRC2:USER_SGPR: 14
; COMPUTE_PGM_RSRC2:TRAP_HANDLER: 0
; COMPUTE_PGM_RSRC2:TGID_X_EN: 1
; COMPUTE_PGM_RSRC2:TGID_Y_EN: 0
; COMPUTE_PGM_RSRC2:TGID_Z_EN: 1
; COMPUTE_PGM_RSRC2:TIDIG_COMP_CNT: 1
	.section	.text._ZL9moe_vec_qIN3c104HalfELi256ELi8E11block_iq1_mLi1EXadL_ZL18vec_dot_iq1_m_q8_1PKvPK10block_q8_1RKiEEEvS4_S4_PT_PS8_iiii,"axG",@progbits,_ZL9moe_vec_qIN3c104HalfELi256ELi8E11block_iq1_mLi1EXadL_ZL18vec_dot_iq1_m_q8_1PKvPK10block_q8_1RKiEEEvS4_S4_PT_PS8_iiii,comdat
	.globl	_ZL9moe_vec_qIN3c104HalfELi256ELi8E11block_iq1_mLi1EXadL_ZL18vec_dot_iq1_m_q8_1PKvPK10block_q8_1RKiEEEvS4_S4_PT_PS8_iiii ; -- Begin function _ZL9moe_vec_qIN3c104HalfELi256ELi8E11block_iq1_mLi1EXadL_ZL18vec_dot_iq1_m_q8_1PKvPK10block_q8_1RKiEEEvS4_S4_PT_PS8_iiii
	.p2align	8
	.type	_ZL9moe_vec_qIN3c104HalfELi256ELi8E11block_iq1_mLi1EXadL_ZL18vec_dot_iq1_m_q8_1PKvPK10block_q8_1RKiEEEvS4_S4_PT_PS8_iiii,@function
_ZL9moe_vec_qIN3c104HalfELi256ELi8E11block_iq1_mLi1EXadL_ZL18vec_dot_iq1_m_q8_1PKvPK10block_q8_1RKiEEEvS4_S4_PT_PS8_iiii: ; @_ZL9moe_vec_qIN3c104HalfELi256ELi8E11block_iq1_mLi1EXadL_ZL18vec_dot_iq1_m_q8_1PKvPK10block_q8_1RKiEEEvS4_S4_PT_PS8_iiii
; %bb.0:
	s_clause 0x1
	s_load_b32 s2, s[0:1], 0x3c
	s_load_b128 s[4:7], s[0:1], 0x20
	v_bfe_u32 v3, v0, 10, 10
	s_waitcnt lgkmcnt(0)
	s_lshr_b32 s2, s2, 16
	s_delay_alu instid0(VALU_DEP_1) | instid1(SALU_CYCLE_1)
	v_mad_u64_u32 v[1:2], null, s14, s2, v[3:4]
	s_mov_b32 s2, exec_lo
	s_delay_alu instid0(VALU_DEP_1)
	v_cmpx_gt_u32_e64 s6, v1
	s_cbranch_execz .LBB274_7
; %bb.1:
	v_cvt_f32_u32_e32 v2, s4
	s_load_b64 s[10:11], s[0:1], 0x10
	v_and_b32_e32 v0, 0x3ff, v0
	s_ashr_i32 s2, s5, 31
	s_mov_b32 s8, s15
	v_rcp_iflag_f32_e32 v2, v2
	s_lshr_b32 s2, s2, 24
	s_mov_b32 s12, exec_lo
	s_add_i32 s2, s5, s2
	s_delay_alu instid0(SALU_CYCLE_1) | instskip(SKIP_2) | instid1(VALU_DEP_1)
	s_ashr_i32 s13, s2, 8
	s_waitcnt_depctr 0xfff
	v_mul_f32_e32 v3, 0x4f7ffffe, v2
	v_cvt_u32_f32_e32 v3, v3
	s_delay_alu instid0(VALU_DEP_1) | instskip(SKIP_2) | instid1(VALU_DEP_1)
	v_readfirstlane_b32 s5, v3
	v_mov_b32_e32 v3, 0
	v_lshrrev_b32_e32 v2, 3, v0
	v_cmpx_gt_u32_e64 s13, v2
	s_cbranch_execz .LBB274_5
; %bb.2:
	s_clause 0x1
	s_load_b64 s[14:15], s[0:1], 0x18
	s_load_b128 s[0:3], s[0:1], 0x0
	s_sub_i32 s16, 0, s4
	s_mov_b32 s9, 0
	s_mul_i32 s16, s16, s5
	v_dual_mov_b32 v3, 0 :: v_dual_and_b32 v8, 1, v0
	s_mul_hi_u32 s19, s5, s16
	s_lshl_b64 s[16:17], s[8:9], 2
	s_add_i32 s5, s5, s19
	s_mul_i32 s18, s13, s6
	v_and_b32_e32 v5, 7, v0
	v_bfe_u32 v10, v0, 1, 2
	v_cmp_eq_u32_e32 vcc_lo, 1, v8
	v_mul_lo_u32 v4, v1, s13
	v_lshlrev_b32_e32 v6, 3, v2
	v_lshlrev_b32_e32 v7, 1, v5
	;; [unrolled: 1-line block ×3, first 2 shown]
	v_cndmask_b32_e64 v8, 0, 6, vcc_lo
	v_lshlrev_b32_e32 v10, 1, v10
	s_waitcnt lgkmcnt(0)
	s_add_u32 s14, s14, s16
	s_addc_u32 s15, s15, s17
	s_load_b32 s14, s[14:15], 0x0
	s_mul_hi_u32 s15, s8, s5
	s_mov_b32 s5, s9
	s_mul_i32 s16, s15, s4
	s_add_i32 s17, s15, 1
	s_sub_i32 s16, s8, s16
	s_delay_alu instid0(SALU_CYCLE_1)
	s_sub_i32 s19, s16, s4
	s_cmp_ge_u32 s16, s4
	s_cselect_b32 s15, s17, s15
	s_cselect_b32 s16, s19, s16
	s_add_i32 s17, s15, 1
	s_cmp_ge_u32 s16, s4
	s_cselect_b32 s4, s17, s15
	s_delay_alu instid0(SALU_CYCLE_1) | instskip(SKIP_2) | instid1(SALU_CYCLE_1)
	s_mul_i32 s4, s4, s7
	s_waitcnt lgkmcnt(0)
	s_mul_i32 s14, s18, s14
	s_mul_i32 s7, s14, 56
	s_mul_hi_i32 s14, s14, 56
	s_add_u32 s0, s0, s7
	s_addc_u32 s1, s1, s14
	s_lshl_b64 s[4:5], s[4:5], 2
	s_mov_b32 s7, 0xbd000000
	s_add_u32 s2, s2, s4
	s_addc_u32 s3, s3, s5
.LBB274_3:                              ; =>This Inner Loop Header: Depth=1
	v_add_nc_u32_e32 v11, v4, v2
	s_getpc_b64 s[4:5]
	s_add_u32 s4, s4, _ZL13iq1s_grid_gpu@rel32@lo+4
	s_addc_u32 s5, s5, _ZL13iq1s_grid_gpu@rel32@hi+12
	v_add_nc_u32_e32 v2, 4, v2
	v_mad_i64_i32 v[19:20], null, v11, 56, s[0:1]
	s_delay_alu instid0(VALU_DEP_1) | instskip(NEXT) | instid1(VALU_DEP_2)
	v_add_co_u32 v11, vcc_lo, v19, v9
	v_add_co_ci_u32_e32 v12, vcc_lo, 0, v20, vcc_lo
	v_add_co_u32 v13, vcc_lo, v19, v7
	v_add_co_ci_u32_e32 v14, vcc_lo, 0, v20, vcc_lo
	v_add_co_u32 v21, vcc_lo, v19, v10
	s_clause 0x1
	global_load_b32 v23, v[11:12], off
	global_load_u16 v24, v[13:14], off offset:32
	v_mad_i64_i32 v[11:12], null, v6, 36, s[2:3]
	v_add_co_ci_u32_e32 v22, vcc_lo, 0, v20, vcc_lo
	v_cmp_le_u32_e32 vcc_lo, s13, v2
	v_add_nc_u32_e32 v6, 32, v6
	s_delay_alu instid0(VALU_DEP_4)
	v_mad_u64_u32 v[15:16], null, v5, 36, v[11:12]
	s_or_b32 s9, vcc_lo, s9
	s_clause 0x2
	global_load_b128 v[11:14], v[15:16], off
	global_load_b32 v25, v[15:16], off offset:32
	global_load_b128 v[15:18], v[15:16], off offset:16
	global_load_b64 v[19:20], v[19:20], off offset:48
	s_waitcnt vmcnt(5)
	v_and_b32_e32 v28, 0xff, v23
	s_waitcnt vmcnt(4)
	v_lshrrev_b16 v27, 8, v24
	v_lshlrev_b32_e32 v29, 8, v24
	v_bfe_u32 v30, v23, 8, 8
	v_lshlrev_b32_e32 v31, 4, v24
	v_and_b32_e32 v53, 8, v24
	v_and_b32_e32 v27, 0xffff, v27
	v_lshrrev_b32_e32 v26, 24, v23
	v_bfe_u32 v23, v23, 16, 8
	v_and_or_b32 v28, 0x700, v29, v28
	v_and_or_b32 v29, 0x700, v31, v30
	v_cvt_f32_ubyte0_e32 v53, v53
	v_lshlrev_b32_e32 v30, 8, v27
	v_lshlrev_b32_e32 v31, 4, v27
	;; [unrolled: 1-line block ×4, first 2 shown]
	v_fmaak_f32 v53, s7, v53, 0xbf600000
	v_and_or_b32 v23, 0x700, v30, v23
	v_and_or_b32 v26, 0x700, v31, v26
	s_clause 0x1
	global_load_b32 v28, v28, s[4:5]
	global_load_b32 v29, v29, s[4:5]
	s_waitcnt vmcnt(5)
	v_bfe_i32 v30, v12, 8, 8
	v_bfe_i32 v35, v14, 0, 8
	v_lshlrev_b32_e32 v23, 3, v23
	v_lshlrev_b32_e32 v26, 3, v26
	v_bfe_i32 v36, v14, 8, 8
	s_clause 0x1
	global_load_b32 v23, v23, s[4:5]
	global_load_b32 v26, v26, s[4:5]
	global_load_u16 v21, v[21:22], off offset:48
	v_bfe_i32 v22, v12, 0, 8
	s_waitcnt vmcnt(6)
	v_bfe_i32 v41, v16, 0, 8
	v_bfe_i32 v42, v16, 8, 8
	;; [unrolled: 1-line block ×5, first 2 shown]
	v_ashrrev_i32_e32 v12, 24, v12
	v_bfe_i32 v37, v14, 16, 8
	v_ashrrev_i32_e32 v14, 24, v14
	v_bfe_i32 v43, v16, 16, 8
	;; [unrolled: 2-line block ×3, first 2 shown]
	v_ashrrev_i32_e32 v18, 24, v18
	s_waitcnt vmcnt(5)
	v_lshrrev_b16 v55, 12, v19
	v_lshrrev_b32_e32 v19, 24, v19
	v_add_nc_u32_e32 v56, v22, v30
	v_add_nc_u32_e32 v57, v35, v36
	;; [unrolled: 1-line block ×3, first 2 shown]
	v_cvt_f32_f16_e32 v11, v11
	v_add_nc_u32_e32 v58, v41, v42
	v_bfe_i32 v32, v13, 0, 8
	v_bfe_i32 v33, v13, 8, 8
	v_bfe_i32 v38, v15, 0, 8
	v_bfe_i32 v39, v15, 8, 8
	v_bfe_i32 v44, v17, 0, 8
	v_bfe_i32 v45, v17, 8, 8
	v_bfe_i32 v50, v25, 0, 8
	v_bfe_i32 v51, v25, 8, 8
	v_lshrrev_b32_e32 v54, 16, v20
	v_lshrrev_b16 v20, 4, v20
	v_and_b32_e32 v19, 0xf0, v19
	v_add3_u32 v56, v56, v31, v12
	v_add3_u32 v57, v57, v37, v14
	;; [unrolled: 1-line block ×4, first 2 shown]
	v_and_b32_e32 v61, 8, v27
	v_bfe_i32 v34, v13, 16, 8
	v_ashrrev_i32_e32 v13, 24, v13
	v_bfe_i32 v40, v15, 16, 8
	v_ashrrev_i32_e32 v15, 24, v15
	;; [unrolled: 2-line block ×4, first 2 shown]
	v_and_b32_e32 v20, 0xf00, v20
	v_or_b32_e32 v19, v19, v55
	v_add3_u32 v56, v56, v32, v33
	v_add3_u32 v57, v57, v38, v39
	;; [unrolled: 1-line block ×4, first 2 shown]
	v_or_b32_e32 v19, v19, v20
	v_add3_u32 v20, v56, v34, v13
	v_add3_u32 v56, v57, v40, v15
	;; [unrolled: 1-line block ×4, first 2 shown]
	v_lshrrev_b32_e32 v24, 4, v24
	v_cvt_f32_i32_e32 v20, v20
	s_delay_alu instid0(VALU_DEP_4) | instskip(NEXT) | instid1(VALU_DEP_4)
	v_cvt_f32_i32_e32 v57, v57
	v_cvt_f32_i32_e32 v58, v58
	s_waitcnt vmcnt(4)
	v_bfe_u32 v62, v28, 8, 4
	v_bfe_u32 v63, v28, 16, 4
	;; [unrolled: 1-line block ×5, first 2 shown]
	s_waitcnt vmcnt(3)
	v_and_b32_e32 v68, 15, v29
	v_bfe_u32 v69, v29, 8, 4
	v_bfe_u32 v70, v29, 16, 4
	;; [unrolled: 1-line block ×3, first 2 shown]
	s_waitcnt vmcnt(0)
	v_lshrrev_b32_e32 v21, v8, v21
	v_mul_i32_i24_e32 v31, v63, v31
	v_bfe_u32 v63, v23, 4, 4
	v_mul_i32_i24_e32 v30, v62, v30
	v_mul_i32_i24_e32 v12, v64, v12
	v_lshlrev_b32_e32 v60, 1, v21
	v_bfe_u32 v62, v23, 24, 4
	v_bfe_u32 v64, v23, 12, 4
	v_mul_i32_i24_e32 v33, v66, v33
	v_bfe_u32 v71, v29, 24, 4
	v_and_or_b32 v55, v60, 14, 1
	v_cvt_f32_ubyte0_e32 v60, v61
	v_and_b32_e32 v61, 15, v28
	v_mul_i32_i24_e32 v16, v62, v16
	v_mul_i32_i24_e32 v45, v64, v45
	v_bfe_u32 v73, v29, 12, 4
	v_fmaak_f32 v59, s7, v60, 0xbf600000
	v_bfe_u32 v60, v28, 20, 4
	v_lshrrev_b32_e32 v28, 28, v28
	v_mul_i32_i24_e32 v22, v22, v61
	v_bfe_u32 v61, v23, 16, 4
	v_lshrrev_b32_e32 v21, 2, v21
	v_mul_i32_i24_e32 v34, v60, v34
	v_mul_i32_i24_e32 v13, v28, v13
	;; [unrolled: 1-line block ×6, first 2 shown]
	v_and_b32_e32 v38, 15, v23
	v_bfe_u32 v60, v23, 8, 4
	v_mad_i32_i24 v22, v32, v65, v22
	v_mul_i32_i24_e32 v43, v61, v43
	v_bfe_u32 v32, v23, 20, 4
	v_mul_i32_i24_e32 v38, v41, v38
	v_mul_i32_i24_e32 v42, v60, v42
	v_lshrrev_b32_e32 v23, 28, v23
	v_add3_u32 v22, v22, v30, v31
	v_and_b32_e32 v65, 15, v26
	v_mad_i32_i24 v38, v44, v63, v38
	v_mul_i32_i24_e32 v30, v32, v46
	v_mul_i32_i24_e32 v17, v23, v17
	v_add3_u32 v12, v22, v12, v33
	v_bfe_u32 v44, v26, 8, 4
	v_add3_u32 v38, v38, v42, v43
	v_bfe_u32 v42, v26, 4, 4
	v_bfe_u32 v60, v26, 16, 4
	v_mul_i32_i24_e32 v31, v47, v65
	v_add3_u32 v12, v12, v34, v13
	v_add3_u32 v16, v38, v16, v45
	v_mul_i32_i24_e32 v32, v50, v42
	v_bfe_u32 v23, v26, 24, 4
	v_mul_i32_i24_e32 v22, v44, v48
	v_add3_u32 v12, v12, v28, v37
	v_add3_u32 v16, v16, v30, v17
	v_bfe_u32 v17, v26, 12, 4
	v_mul_i32_i24_e32 v30, v60, v49
	v_bfe_u32 v67, v29, 20, 4
	v_lshrrev_b32_e32 v29, 28, v29
	v_add3_u32 v13, v16, v31, v32
	v_mul_i32_i24_e32 v14, v71, v14
	v_mul_i32_i24_e32 v18, v23, v18
	;; [unrolled: 1-line block ×3, first 2 shown]
	v_add3_u32 v12, v12, v35, v36
	v_add3_u32 v13, v13, v22, v30
	v_mul_i32_i24_e32 v22, v73, v39
	v_and_or_b32 v21, v21, 14, 1
	v_mul_i32_i24_e32 v15, v29, v15
	v_bfe_u32 v41, v26, 20, 4
	v_add3_u32 v13, v13, v18, v17
	v_mul_i32_i24_e32 v18, v67, v40
	v_add3_u32 v12, v12, v14, v22
	v_lshrrev_b32_e32 v16, 28, v26
	v_mul_i32_i24_e32 v23, v41, v52
	v_cvt_f32_i32_e32 v14, v56
	v_fma_f32 v17, v59, v57, 0
	v_add3_u32 v12, v12, v18, v15
	v_cvt_f32_ubyte0_e32 v15, v21
	v_and_b32_e32 v24, 8, v24
	v_mul_i32_i24_e32 v16, v16, v25
	s_delay_alu instid0(VALU_DEP_4) | instskip(NEXT) | instid1(VALU_DEP_3)
	v_cvt_f32_i32_e32 v12, v12
	v_cvt_f32_ubyte0_e32 v24, v24
	s_delay_alu instid0(VALU_DEP_3) | instskip(SKIP_1) | instid1(VALU_DEP_3)
	v_add3_u32 v13, v13, v23, v16
	v_fma_f32 v16, v53, v20, 0
	v_fmaak_f32 v24, s7, v24, 0xbf600000
	s_delay_alu instid0(VALU_DEP_3) | instskip(NEXT) | instid1(VALU_DEP_2)
	v_cvt_f32_i32_e32 v13, v13
	v_fmac_f32_e32 v16, v24, v14
	v_cvt_f32_ubyte0_e32 v14, v55
	s_delay_alu instid0(VALU_DEP_2) | instskip(SKIP_1) | instid1(VALU_DEP_1)
	v_add_f32_e32 v12, v16, v12
	v_lshrrev_b32_e32 v27, 4, v27
	v_and_b32_e32 v27, 8, v27
	s_delay_alu instid0(VALU_DEP_1) | instskip(NEXT) | instid1(VALU_DEP_1)
	v_cvt_f32_ubyte0_e32 v27, v27
	v_fmaak_f32 v27, s7, v27, 0xbf600000
	s_delay_alu instid0(VALU_DEP_1) | instskip(NEXT) | instid1(VALU_DEP_1)
	v_fmac_f32_e32 v17, v27, v58
	v_add_f32_e32 v13, v17, v13
	s_delay_alu instid0(VALU_DEP_1) | instskip(NEXT) | instid1(VALU_DEP_1)
	v_mul_f32_e32 v13, v13, v15
	v_fmac_f32_e32 v13, v12, v14
	v_and_b32_e32 v54, 0xfffff000, v54
	s_delay_alu instid0(VALU_DEP_1) | instskip(NEXT) | instid1(VALU_DEP_1)
	v_or_b32_e32 v18, v19, v54
	v_cvt_f32_f16_e32 v17, v18
	s_delay_alu instid0(VALU_DEP_1) | instskip(NEXT) | instid1(VALU_DEP_1)
	v_mul_f32_e32 v11, v11, v17
	v_fmac_f32_e32 v3, v11, v13
	s_and_not1_b32 exec_lo, exec_lo, s9
	s_cbranch_execnz .LBB274_3
; %bb.4:
	s_or_b32 exec_lo, exec_lo, s9
.LBB274_5:
	s_delay_alu instid0(SALU_CYCLE_1) | instskip(SKIP_1) | instid1(VALU_DEP_1)
	s_or_b32 exec_lo, exec_lo, s12
	v_mbcnt_lo_u32_b32 v2, -1, 0
	v_xor_b32_e32 v4, 16, v2
	v_xor_b32_e32 v5, 8, v2
	s_delay_alu instid0(VALU_DEP_2) | instskip(SKIP_1) | instid1(VALU_DEP_3)
	v_cmp_gt_i32_e32 vcc_lo, 32, v4
	v_cndmask_b32_e32 v4, v2, v4, vcc_lo
	v_cmp_gt_i32_e32 vcc_lo, 32, v5
	v_cndmask_b32_e32 v5, v2, v5, vcc_lo
	s_delay_alu instid0(VALU_DEP_1) | instskip(NEXT) | instid1(VALU_DEP_4)
	v_lshlrev_b32_e32 v5, 2, v5
	v_lshlrev_b32_e32 v4, 2, v4
	ds_bpermute_b32 v4, v4, v3
	s_waitcnt lgkmcnt(0)
	v_add_f32_e32 v3, v3, v4
	ds_bpermute_b32 v4, v5, v3
	v_xor_b32_e32 v5, 4, v2
	s_delay_alu instid0(VALU_DEP_1) | instskip(SKIP_1) | instid1(VALU_DEP_1)
	v_cmp_gt_i32_e32 vcc_lo, 32, v5
	v_cndmask_b32_e32 v5, v2, v5, vcc_lo
	v_lshlrev_b32_e32 v5, 2, v5
	s_waitcnt lgkmcnt(0)
	v_add_f32_e32 v3, v3, v4
	ds_bpermute_b32 v4, v5, v3
	v_xor_b32_e32 v5, 2, v2
	s_delay_alu instid0(VALU_DEP_1) | instskip(SKIP_1) | instid1(VALU_DEP_1)
	v_cmp_gt_i32_e32 vcc_lo, 32, v5
	v_cndmask_b32_e32 v5, v2, v5, vcc_lo
	v_lshlrev_b32_e32 v5, 2, v5
	s_waitcnt lgkmcnt(0)
	v_add_f32_e32 v3, v3, v4
	ds_bpermute_b32 v4, v5, v3
	v_xor_b32_e32 v5, 1, v2
	s_delay_alu instid0(VALU_DEP_1) | instskip(SKIP_3) | instid1(VALU_DEP_2)
	v_cmp_gt_i32_e32 vcc_lo, 32, v5
	v_cndmask_b32_e32 v5, v2, v5, vcc_lo
	v_cmp_eq_u32_e32 vcc_lo, 0, v0
	s_waitcnt lgkmcnt(0)
	v_dual_add_f32 v2, v3, v4 :: v_dual_lshlrev_b32 v3, 2, v5
	ds_bpermute_b32 v3, v3, v2
	s_and_b32 exec_lo, exec_lo, vcc_lo
	s_cbranch_execz .LBB274_7
; %bb.6:
	v_mad_u64_u32 v[4:5], null, s8, s6, v[1:2]
	s_waitcnt lgkmcnt(0)
	v_dual_mov_b32 v5, 0 :: v_dual_add_f32 v2, v2, v3
	s_delay_alu instid0(VALU_DEP_1) | instskip(NEXT) | instid1(VALU_DEP_2)
	v_cvt_f16_f32_e32 v2, v2
	v_lshlrev_b64 v[0:1], 1, v[4:5]
	s_delay_alu instid0(VALU_DEP_1) | instskip(NEXT) | instid1(VALU_DEP_2)
	v_add_co_u32 v0, vcc_lo, s10, v0
	v_add_co_ci_u32_e32 v1, vcc_lo, s11, v1, vcc_lo
	global_store_b16 v[0:1], v2, off
.LBB274_7:
	s_nop 0
	s_sendmsg sendmsg(MSG_DEALLOC_VGPRS)
	s_endpgm
	.section	.rodata,"a",@progbits
	.p2align	6, 0x0
	.amdhsa_kernel _ZL9moe_vec_qIN3c104HalfELi256ELi8E11block_iq1_mLi1EXadL_ZL18vec_dot_iq1_m_q8_1PKvPK10block_q8_1RKiEEEvS4_S4_PT_PS8_iiii
		.amdhsa_group_segment_fixed_size 0
		.amdhsa_private_segment_fixed_size 0
		.amdhsa_kernarg_size 304
		.amdhsa_user_sgpr_count 14
		.amdhsa_user_sgpr_dispatch_ptr 0
		.amdhsa_user_sgpr_queue_ptr 0
		.amdhsa_user_sgpr_kernarg_segment_ptr 1
		.amdhsa_user_sgpr_dispatch_id 0
		.amdhsa_user_sgpr_private_segment_size 0
		.amdhsa_wavefront_size32 1
		.amdhsa_uses_dynamic_stack 0
		.amdhsa_enable_private_segment 0
		.amdhsa_system_sgpr_workgroup_id_x 1
		.amdhsa_system_sgpr_workgroup_id_y 0
		.amdhsa_system_sgpr_workgroup_id_z 1
		.amdhsa_system_sgpr_workgroup_info 0
		.amdhsa_system_vgpr_workitem_id 1
		.amdhsa_next_free_vgpr 74
		.amdhsa_next_free_sgpr 20
		.amdhsa_reserve_vcc 1
		.amdhsa_float_round_mode_32 0
		.amdhsa_float_round_mode_16_64 0
		.amdhsa_float_denorm_mode_32 3
		.amdhsa_float_denorm_mode_16_64 3
		.amdhsa_dx10_clamp 1
		.amdhsa_ieee_mode 1
		.amdhsa_fp16_overflow 0
		.amdhsa_workgroup_processor_mode 1
		.amdhsa_memory_ordered 1
		.amdhsa_forward_progress 0
		.amdhsa_shared_vgpr_count 0
		.amdhsa_exception_fp_ieee_invalid_op 0
		.amdhsa_exception_fp_denorm_src 0
		.amdhsa_exception_fp_ieee_div_zero 0
		.amdhsa_exception_fp_ieee_overflow 0
		.amdhsa_exception_fp_ieee_underflow 0
		.amdhsa_exception_fp_ieee_inexact 0
		.amdhsa_exception_int_div_zero 0
	.end_amdhsa_kernel
	.section	.text._ZL9moe_vec_qIN3c104HalfELi256ELi8E11block_iq1_mLi1EXadL_ZL18vec_dot_iq1_m_q8_1PKvPK10block_q8_1RKiEEEvS4_S4_PT_PS8_iiii,"axG",@progbits,_ZL9moe_vec_qIN3c104HalfELi256ELi8E11block_iq1_mLi1EXadL_ZL18vec_dot_iq1_m_q8_1PKvPK10block_q8_1RKiEEEvS4_S4_PT_PS8_iiii,comdat
.Lfunc_end274:
	.size	_ZL9moe_vec_qIN3c104HalfELi256ELi8E11block_iq1_mLi1EXadL_ZL18vec_dot_iq1_m_q8_1PKvPK10block_q8_1RKiEEEvS4_S4_PT_PS8_iiii, .Lfunc_end274-_ZL9moe_vec_qIN3c104HalfELi256ELi8E11block_iq1_mLi1EXadL_ZL18vec_dot_iq1_m_q8_1PKvPK10block_q8_1RKiEEEvS4_S4_PT_PS8_iiii
                                        ; -- End function
	.section	.AMDGPU.csdata,"",@progbits
; Kernel info:
; codeLenInByte = 2140
; NumSgprs: 22
; NumVgprs: 74
; ScratchSize: 0
; MemoryBound: 0
; FloatMode: 240
; IeeeMode: 1
; LDSByteSize: 0 bytes/workgroup (compile time only)
; SGPRBlocks: 2
; VGPRBlocks: 9
; NumSGPRsForWavesPerEU: 22
; NumVGPRsForWavesPerEU: 74
; Occupancy: 16
; WaveLimiterHint : 1
; COMPUTE_PGM_RSRC2:SCRATCH_EN: 0
; COMPUTE_PGM_RSRC2:USER_SGPR: 14
; COMPUTE_PGM_RSRC2:TRAP_HANDLER: 0
; COMPUTE_PGM_RSRC2:TGID_X_EN: 1
; COMPUTE_PGM_RSRC2:TGID_Y_EN: 0
; COMPUTE_PGM_RSRC2:TGID_Z_EN: 1
; COMPUTE_PGM_RSRC2:TIDIG_COMP_CNT: 1
	.section	.text._ZL9moe_vec_qIN3c108BFloat16ELi32ELi4E10block_q4_0Li2EXadL_ZL17vec_dot_q4_0_q8_1PKvPK10block_q8_1RKiEEEvS4_S4_PT_PS8_iiii,"axG",@progbits,_ZL9moe_vec_qIN3c108BFloat16ELi32ELi4E10block_q4_0Li2EXadL_ZL17vec_dot_q4_0_q8_1PKvPK10block_q8_1RKiEEEvS4_S4_PT_PS8_iiii,comdat
	.globl	_ZL9moe_vec_qIN3c108BFloat16ELi32ELi4E10block_q4_0Li2EXadL_ZL17vec_dot_q4_0_q8_1PKvPK10block_q8_1RKiEEEvS4_S4_PT_PS8_iiii ; -- Begin function _ZL9moe_vec_qIN3c108BFloat16ELi32ELi4E10block_q4_0Li2EXadL_ZL17vec_dot_q4_0_q8_1PKvPK10block_q8_1RKiEEEvS4_S4_PT_PS8_iiii
	.p2align	8
	.type	_ZL9moe_vec_qIN3c108BFloat16ELi32ELi4E10block_q4_0Li2EXadL_ZL17vec_dot_q4_0_q8_1PKvPK10block_q8_1RKiEEEvS4_S4_PT_PS8_iiii,@function
_ZL9moe_vec_qIN3c108BFloat16ELi32ELi4E10block_q4_0Li2EXadL_ZL17vec_dot_q4_0_q8_1PKvPK10block_q8_1RKiEEEvS4_S4_PT_PS8_iiii: ; @_ZL9moe_vec_qIN3c108BFloat16ELi32ELi4E10block_q4_0Li2EXadL_ZL17vec_dot_q4_0_q8_1PKvPK10block_q8_1RKiEEEvS4_S4_PT_PS8_iiii
; %bb.0:
	s_clause 0x1
	s_load_b32 s2, s[0:1], 0x3c
	s_load_b128 s[4:7], s[0:1], 0x20
	v_bfe_u32 v3, v0, 10, 10
	s_waitcnt lgkmcnt(0)
	s_lshr_b32 s2, s2, 16
	s_delay_alu instid0(VALU_DEP_1) | instid1(SALU_CYCLE_1)
	v_mad_u64_u32 v[1:2], null, s14, s2, v[3:4]
	s_mov_b32 s2, exec_lo
	s_delay_alu instid0(VALU_DEP_1)
	v_cmpx_gt_u32_e64 s6, v1
	s_cbranch_execz .LBB275_7
; %bb.1:
	v_cvt_f32_u32_e32 v2, s4
	s_load_b64 s[10:11], s[0:1], 0x10
	s_ashr_i32 s2, s5, 31
	v_and_b32_e32 v0, 0x3ff, v0
	s_lshr_b32 s2, s2, 27
	v_rcp_iflag_f32_e32 v2, v2
	s_add_i32 s2, s5, s2
	s_mov_b32 s8, s15
	s_ashr_i32 s12, s2, 5
	s_mov_b32 s5, exec_lo
	s_waitcnt_depctr 0xfff
	v_mul_f32_e32 v3, 0x4f7ffffe, v2
	s_delay_alu instid0(VALU_DEP_1) | instskip(NEXT) | instid1(VALU_DEP_1)
	v_cvt_u32_f32_e32 v3, v3
	v_readfirstlane_b32 s2, v3
	v_mov_b32_e32 v3, 0
	v_lshrrev_b32_e32 v2, 1, v0
	s_delay_alu instid0(VALU_DEP_1)
	v_cmpx_gt_u32_e64 s12, v2
	s_cbranch_execz .LBB275_5
; %bb.2:
	s_load_b64 s[14:15], s[0:1], 0x18
	s_sub_i32 s3, 0, s4
	s_mov_b32 s9, 0
	s_mul_i32 s3, s3, s2
	s_lshl_b64 s[16:17], s[8:9], 2
	s_mul_hi_u32 s3, s2, s3
	v_lshlrev_b32_e32 v3, 3, v0
	s_add_i32 s13, s2, s3
	v_mul_lo_u32 v4, v1, s12
	s_mul_hi_u32 s13, s8, s13
	s_delay_alu instid0(VALU_DEP_2)
	v_and_b32_e32 v5, 8, v3
	v_mov_b32_e32 v3, 0
	s_waitcnt lgkmcnt(0)
	s_add_u32 s2, s14, s16
	s_addc_u32 s3, s15, s17
	s_mul_i32 s15, s13, s4
	s_load_b32 s14, s[2:3], 0x0
	s_load_b128 s[0:3], s[0:1], 0x0
	s_sub_i32 s17, s8, s15
	s_add_i32 s18, s13, 1
	s_sub_i32 s19, s17, s4
	s_cmp_ge_u32 s17, s4
	s_mul_i32 s16, s12, s6
	s_cselect_b32 s13, s18, s13
	s_cselect_b32 s17, s19, s17
	s_add_i32 s18, s13, 1
	s_cmp_ge_u32 s17, s4
	s_mov_b32 s15, s9
	s_cselect_b32 s4, s18, s13
	s_waitcnt lgkmcnt(0)
	s_mul_i32 s13, s16, s14
	s_mul_i32 s14, s4, s7
	;; [unrolled: 1-line block ×3, first 2 shown]
	s_mul_hi_i32 s7, s13, 18
	s_add_u32 s0, s0, s4
	s_addc_u32 s1, s1, s7
	s_lshl_b64 s[14:15], s[14:15], 2
	s_delay_alu instid0(SALU_CYCLE_1)
	s_add_u32 s2, s2, s14
	s_addc_u32 s3, s3, s15
.LBB275_3:                              ; =>This Inner Loop Header: Depth=1
	v_add_nc_u32_e32 v10, v4, v2
	v_mad_i64_i32 v[6:7], null, v2, 36, s[2:3]
	v_add_nc_u32_e32 v2, 16, v2
	s_delay_alu instid0(VALU_DEP_3) | instskip(NEXT) | instid1(VALU_DEP_3)
	v_mad_i64_i32 v[8:9], null, v10, 18, s[0:1]
	v_add_co_u32 v10, vcc_lo, v6, v5
	s_delay_alu instid0(VALU_DEP_4) | instskip(NEXT) | instid1(VALU_DEP_3)
	v_add_co_ci_u32_e32 v11, vcc_lo, 0, v7, vcc_lo
	v_add_co_u32 v12, vcc_lo, v8, v5
	s_delay_alu instid0(VALU_DEP_4)
	v_add_co_ci_u32_e32 v13, vcc_lo, 0, v9, vcc_lo
	v_cmp_le_u32_e32 vcc_lo, s12, v2
	global_load_b64 v[14:15], v[10:11], off offset:4
	global_load_b64 v[12:13], v[12:13], off offset:2
	s_clause 0x1
	global_load_b64 v[10:11], v[10:11], off offset:20
	global_load_b32 v6, v[6:7], off
	global_load_u16 v7, v[8:9], off
	s_or_b32 s9, vcc_lo, s9
	s_waitcnt vmcnt(4)
	v_bfe_i32 v8, v14, 0, 8
	s_waitcnt vmcnt(3)
	v_and_b32_e32 v26, 15, v12
	v_bfe_i32 v9, v14, 8, 8
	s_waitcnt vmcnt(2)
	v_bfe_i32 v17, v10, 0, 8
	v_bfe_i32 v20, v15, 0, 8
	v_bfe_u32 v27, v12, 8, 4
	v_bfe_u32 v28, v12, 4, 4
	v_and_b32_e32 v29, 15, v13
	v_mul_i32_i24_e32 v8, v8, v26
	v_bfe_i32 v16, v14, 16, 8
	v_ashrrev_i32_e32 v14, 24, v14
	v_bfe_u32 v26, v12, 16, 4
	v_bfe_u32 v30, v12, 24, 4
	v_mul_i32_i24_e32 v9, v27, v9
	v_mul_i32_i24_e32 v20, v20, v29
	v_mad_i32_i24 v8, v28, v17, v8
	v_bfe_i32 v18, v10, 8, 8
	v_bfe_i32 v19, v10, 16, 8
	v_bfe_u32 v17, v12, 20, 4
	v_bfe_u32 v27, v12, 12, 4
	v_mul_i32_i24_e32 v16, v26, v16
	v_mul_i32_i24_e32 v14, v30, v14
	v_add3_u32 v8, v8, v20, v9
	v_ashrrev_i32_e32 v10, 24, v10
	v_bfe_i32 v23, v11, 0, 8
	v_lshrrev_b32_e32 v9, 28, v12
	v_bfe_u32 v12, v13, 4, 4
	v_mul_i32_i24_e32 v18, v27, v18
	v_mul_i32_i24_e32 v17, v17, v19
	v_add3_u32 v8, v8, v16, v14
	v_bfe_i32 v21, v15, 8, 8
	v_bfe_i32 v22, v15, 16, 8
	v_bfe_u32 v14, v13, 8, 4
	v_bfe_u32 v16, v13, 16, 4
	v_mul_i32_i24_e32 v9, v9, v10
	v_mul_i32_i24_e32 v10, v12, v23
	v_add3_u32 v8, v8, v18, v17
	v_ashrrev_i32_e32 v15, 24, v15
	v_bfe_i32 v24, v11, 8, 8
	v_bfe_u32 v12, v13, 24, 4
	v_bfe_u32 v17, v13, 12, 4
	v_mul_i32_i24_e32 v14, v14, v21
	v_mul_i32_i24_e32 v16, v16, v22
	v_add3_u32 v8, v8, v9, v10
	v_bfe_i32 v25, v11, 16, 8
	v_ashrrev_i32_e32 v11, 24, v11
	v_bfe_u32 v9, v13, 20, 4
	v_lshrrev_b32_e32 v10, 28, v13
	v_mul_i32_i24_e32 v12, v12, v15
	v_mul_i32_i24_e32 v13, v17, v24
	v_add3_u32 v8, v8, v14, v16
	s_waitcnt vmcnt(1)
	v_lshrrev_b32_e32 v14, 16, v6
	v_mul_i32_i24_e32 v9, v9, v25
	v_mul_i32_i24_e32 v10, v10, v11
	v_add3_u32 v8, v8, v12, v13
	s_delay_alu instid0(VALU_DEP_4) | instskip(NEXT) | instid1(VALU_DEP_2)
	v_cvt_f32_f16_e32 v11, v14
	v_add3_u32 v8, v8, v9, v10
	s_delay_alu instid0(VALU_DEP_2) | instskip(NEXT) | instid1(VALU_DEP_2)
	v_mul_f32_e32 v9, -4.0, v11
	v_cvt_f32_i32_e32 v8, v8
	s_delay_alu instid0(VALU_DEP_1) | instskip(SKIP_1) | instid1(VALU_DEP_1)
	v_fma_mix_f32 v6, v6, v8, v9 op_sel_hi:[1,0,0]
	s_waitcnt vmcnt(0)
	v_fma_mix_f32 v3, v6, v7, v3 op_sel_hi:[0,1,0]
	s_and_not1_b32 exec_lo, exec_lo, s9
	s_cbranch_execnz .LBB275_3
; %bb.4:
	s_or_b32 exec_lo, exec_lo, s9
.LBB275_5:
	s_delay_alu instid0(SALU_CYCLE_1) | instskip(SKIP_1) | instid1(VALU_DEP_1)
	s_or_b32 exec_lo, exec_lo, s5
	v_mbcnt_lo_u32_b32 v2, -1, 0
	v_xor_b32_e32 v4, 16, v2
	v_xor_b32_e32 v5, 8, v2
	s_delay_alu instid0(VALU_DEP_2) | instskip(SKIP_1) | instid1(VALU_DEP_3)
	v_cmp_gt_i32_e32 vcc_lo, 32, v4
	v_cndmask_b32_e32 v4, v2, v4, vcc_lo
	v_cmp_gt_i32_e32 vcc_lo, 32, v5
	v_cndmask_b32_e32 v5, v2, v5, vcc_lo
	s_delay_alu instid0(VALU_DEP_1) | instskip(NEXT) | instid1(VALU_DEP_4)
	v_lshlrev_b32_e32 v5, 2, v5
	v_lshlrev_b32_e32 v4, 2, v4
	ds_bpermute_b32 v4, v4, v3
	s_waitcnt lgkmcnt(0)
	v_add_f32_e32 v3, v3, v4
	ds_bpermute_b32 v4, v5, v3
	v_xor_b32_e32 v5, 4, v2
	s_delay_alu instid0(VALU_DEP_1) | instskip(SKIP_1) | instid1(VALU_DEP_1)
	v_cmp_gt_i32_e32 vcc_lo, 32, v5
	v_cndmask_b32_e32 v5, v2, v5, vcc_lo
	v_lshlrev_b32_e32 v5, 2, v5
	s_waitcnt lgkmcnt(0)
	v_add_f32_e32 v3, v3, v4
	ds_bpermute_b32 v4, v5, v3
	v_xor_b32_e32 v5, 2, v2
	s_delay_alu instid0(VALU_DEP_1) | instskip(SKIP_1) | instid1(VALU_DEP_1)
	v_cmp_gt_i32_e32 vcc_lo, 32, v5
	v_cndmask_b32_e32 v5, v2, v5, vcc_lo
	v_lshlrev_b32_e32 v5, 2, v5
	s_waitcnt lgkmcnt(0)
	v_add_f32_e32 v3, v3, v4
	ds_bpermute_b32 v4, v5, v3
	v_xor_b32_e32 v5, 1, v2
	s_delay_alu instid0(VALU_DEP_1) | instskip(SKIP_3) | instid1(VALU_DEP_2)
	v_cmp_gt_i32_e32 vcc_lo, 32, v5
	v_cndmask_b32_e32 v5, v2, v5, vcc_lo
	v_cmp_eq_u32_e32 vcc_lo, 0, v0
	s_waitcnt lgkmcnt(0)
	v_dual_add_f32 v2, v3, v4 :: v_dual_lshlrev_b32 v3, 2, v5
	ds_bpermute_b32 v3, v3, v2
	s_and_b32 exec_lo, exec_lo, vcc_lo
	s_cbranch_execz .LBB275_7
; %bb.6:
	s_waitcnt lgkmcnt(0)
	v_add_f32_e32 v4, v2, v3
	v_mad_u64_u32 v[2:3], null, s8, s6, v[1:2]
	v_mov_b32_e32 v3, 0
	s_delay_alu instid0(VALU_DEP_3) | instskip(SKIP_1) | instid1(VALU_DEP_2)
	v_bfe_u32 v0, v4, 16, 1
	v_cmp_o_f32_e32 vcc_lo, v4, v4
	v_add3_u32 v0, v4, v0, 0x7fff
	s_delay_alu instid0(VALU_DEP_1) | instskip(SKIP_1) | instid1(VALU_DEP_2)
	v_lshrrev_b32_e32 v5, 16, v0
	v_lshlrev_b64 v[0:1], 1, v[2:3]
	v_cndmask_b32_e32 v2, 0x7fc0, v5, vcc_lo
	s_delay_alu instid0(VALU_DEP_2) | instskip(NEXT) | instid1(VALU_DEP_3)
	v_add_co_u32 v0, vcc_lo, s10, v0
	v_add_co_ci_u32_e32 v1, vcc_lo, s11, v1, vcc_lo
	global_store_b16 v[0:1], v2, off
.LBB275_7:
	s_nop 0
	s_sendmsg sendmsg(MSG_DEALLOC_VGPRS)
	s_endpgm
	.section	.rodata,"a",@progbits
	.p2align	6, 0x0
	.amdhsa_kernel _ZL9moe_vec_qIN3c108BFloat16ELi32ELi4E10block_q4_0Li2EXadL_ZL17vec_dot_q4_0_q8_1PKvPK10block_q8_1RKiEEEvS4_S4_PT_PS8_iiii
		.amdhsa_group_segment_fixed_size 0
		.amdhsa_private_segment_fixed_size 0
		.amdhsa_kernarg_size 304
		.amdhsa_user_sgpr_count 14
		.amdhsa_user_sgpr_dispatch_ptr 0
		.amdhsa_user_sgpr_queue_ptr 0
		.amdhsa_user_sgpr_kernarg_segment_ptr 1
		.amdhsa_user_sgpr_dispatch_id 0
		.amdhsa_user_sgpr_private_segment_size 0
		.amdhsa_wavefront_size32 1
		.amdhsa_uses_dynamic_stack 0
		.amdhsa_enable_private_segment 0
		.amdhsa_system_sgpr_workgroup_id_x 1
		.amdhsa_system_sgpr_workgroup_id_y 0
		.amdhsa_system_sgpr_workgroup_id_z 1
		.amdhsa_system_sgpr_workgroup_info 0
		.amdhsa_system_vgpr_workitem_id 1
		.amdhsa_next_free_vgpr 31
		.amdhsa_next_free_sgpr 20
		.amdhsa_reserve_vcc 1
		.amdhsa_float_round_mode_32 0
		.amdhsa_float_round_mode_16_64 0
		.amdhsa_float_denorm_mode_32 3
		.amdhsa_float_denorm_mode_16_64 3
		.amdhsa_dx10_clamp 1
		.amdhsa_ieee_mode 1
		.amdhsa_fp16_overflow 0
		.amdhsa_workgroup_processor_mode 1
		.amdhsa_memory_ordered 1
		.amdhsa_forward_progress 0
		.amdhsa_shared_vgpr_count 0
		.amdhsa_exception_fp_ieee_invalid_op 0
		.amdhsa_exception_fp_denorm_src 0
		.amdhsa_exception_fp_ieee_div_zero 0
		.amdhsa_exception_fp_ieee_overflow 0
		.amdhsa_exception_fp_ieee_underflow 0
		.amdhsa_exception_fp_ieee_inexact 0
		.amdhsa_exception_int_div_zero 0
	.end_amdhsa_kernel
	.section	.text._ZL9moe_vec_qIN3c108BFloat16ELi32ELi4E10block_q4_0Li2EXadL_ZL17vec_dot_q4_0_q8_1PKvPK10block_q8_1RKiEEEvS4_S4_PT_PS8_iiii,"axG",@progbits,_ZL9moe_vec_qIN3c108BFloat16ELi32ELi4E10block_q4_0Li2EXadL_ZL17vec_dot_q4_0_q8_1PKvPK10block_q8_1RKiEEEvS4_S4_PT_PS8_iiii,comdat
.Lfunc_end275:
	.size	_ZL9moe_vec_qIN3c108BFloat16ELi32ELi4E10block_q4_0Li2EXadL_ZL17vec_dot_q4_0_q8_1PKvPK10block_q8_1RKiEEEvS4_S4_PT_PS8_iiii, .Lfunc_end275-_ZL9moe_vec_qIN3c108BFloat16ELi32ELi4E10block_q4_0Li2EXadL_ZL17vec_dot_q4_0_q8_1PKvPK10block_q8_1RKiEEEvS4_S4_PT_PS8_iiii
                                        ; -- End function
	.section	.AMDGPU.csdata,"",@progbits
; Kernel info:
; codeLenInByte = 1188
; NumSgprs: 22
; NumVgprs: 31
; ScratchSize: 0
; MemoryBound: 0
; FloatMode: 240
; IeeeMode: 1
; LDSByteSize: 0 bytes/workgroup (compile time only)
; SGPRBlocks: 2
; VGPRBlocks: 3
; NumSGPRsForWavesPerEU: 22
; NumVGPRsForWavesPerEU: 31
; Occupancy: 16
; WaveLimiterHint : 1
; COMPUTE_PGM_RSRC2:SCRATCH_EN: 0
; COMPUTE_PGM_RSRC2:USER_SGPR: 14
; COMPUTE_PGM_RSRC2:TRAP_HANDLER: 0
; COMPUTE_PGM_RSRC2:TGID_X_EN: 1
; COMPUTE_PGM_RSRC2:TGID_Y_EN: 0
; COMPUTE_PGM_RSRC2:TGID_Z_EN: 1
; COMPUTE_PGM_RSRC2:TIDIG_COMP_CNT: 1
	.section	.text._ZL9moe_vec_qIN3c108BFloat16ELi32ELi4E10block_q4_1Li2EXadL_ZL17vec_dot_q4_1_q8_1PKvPK10block_q8_1RKiEEEvS4_S4_PT_PS8_iiii,"axG",@progbits,_ZL9moe_vec_qIN3c108BFloat16ELi32ELi4E10block_q4_1Li2EXadL_ZL17vec_dot_q4_1_q8_1PKvPK10block_q8_1RKiEEEvS4_S4_PT_PS8_iiii,comdat
	.globl	_ZL9moe_vec_qIN3c108BFloat16ELi32ELi4E10block_q4_1Li2EXadL_ZL17vec_dot_q4_1_q8_1PKvPK10block_q8_1RKiEEEvS4_S4_PT_PS8_iiii ; -- Begin function _ZL9moe_vec_qIN3c108BFloat16ELi32ELi4E10block_q4_1Li2EXadL_ZL17vec_dot_q4_1_q8_1PKvPK10block_q8_1RKiEEEvS4_S4_PT_PS8_iiii
	.p2align	8
	.type	_ZL9moe_vec_qIN3c108BFloat16ELi32ELi4E10block_q4_1Li2EXadL_ZL17vec_dot_q4_1_q8_1PKvPK10block_q8_1RKiEEEvS4_S4_PT_PS8_iiii,@function
_ZL9moe_vec_qIN3c108BFloat16ELi32ELi4E10block_q4_1Li2EXadL_ZL17vec_dot_q4_1_q8_1PKvPK10block_q8_1RKiEEEvS4_S4_PT_PS8_iiii: ; @_ZL9moe_vec_qIN3c108BFloat16ELi32ELi4E10block_q4_1Li2EXadL_ZL17vec_dot_q4_1_q8_1PKvPK10block_q8_1RKiEEEvS4_S4_PT_PS8_iiii
; %bb.0:
	s_clause 0x1
	s_load_b32 s2, s[0:1], 0x3c
	s_load_b128 s[4:7], s[0:1], 0x20
	v_bfe_u32 v3, v0, 10, 10
	s_waitcnt lgkmcnt(0)
	s_lshr_b32 s2, s2, 16
	s_delay_alu instid0(VALU_DEP_1) | instid1(SALU_CYCLE_1)
	v_mad_u64_u32 v[1:2], null, s14, s2, v[3:4]
	s_mov_b32 s2, exec_lo
	s_delay_alu instid0(VALU_DEP_1)
	v_cmpx_gt_u32_e64 s6, v1
	s_cbranch_execz .LBB276_7
; %bb.1:
	v_cvt_f32_u32_e32 v2, s4
	s_load_b64 s[10:11], s[0:1], 0x10
	s_ashr_i32 s2, s5, 31
	v_and_b32_e32 v0, 0x3ff, v0
	s_lshr_b32 s2, s2, 27
	v_rcp_iflag_f32_e32 v2, v2
	s_add_i32 s2, s5, s2
	s_mov_b32 s8, s15
	s_ashr_i32 s12, s2, 5
	s_mov_b32 s5, exec_lo
	s_waitcnt_depctr 0xfff
	v_mul_f32_e32 v3, 0x4f7ffffe, v2
	s_delay_alu instid0(VALU_DEP_1) | instskip(NEXT) | instid1(VALU_DEP_1)
	v_cvt_u32_f32_e32 v3, v3
	v_readfirstlane_b32 s2, v3
	v_mov_b32_e32 v3, 0
	v_lshrrev_b32_e32 v2, 1, v0
	s_delay_alu instid0(VALU_DEP_1)
	v_cmpx_gt_u32_e64 s12, v2
	s_cbranch_execz .LBB276_5
; %bb.2:
	s_load_b64 s[14:15], s[0:1], 0x18
	s_sub_i32 s3, 0, s4
	s_mov_b32 s9, 0
	s_mul_i32 s3, s3, s2
	s_lshl_b64 s[16:17], s[8:9], 2
	s_mul_hi_u32 s3, s2, s3
	v_lshlrev_b32_e32 v5, 3, v0
	s_add_i32 s13, s2, s3
	v_mul_lo_u32 v4, v1, s12
	s_mul_hi_u32 s13, s8, s13
	v_mov_b32_e32 v3, 0
	v_and_b32_e32 v5, 8, v5
	s_waitcnt lgkmcnt(0)
	s_add_u32 s2, s14, s16
	s_addc_u32 s3, s15, s17
	s_mul_i32 s15, s13, s4
	s_load_b32 s14, s[2:3], 0x0
	s_load_b128 s[0:3], s[0:1], 0x0
	s_sub_i32 s15, s8, s15
	s_add_i32 s17, s13, 1
	s_sub_i32 s18, s15, s4
	s_cmp_ge_u32 s15, s4
	s_mul_i32 s16, s12, s6
	s_cselect_b32 s13, s17, s13
	s_cselect_b32 s15, s18, s15
	s_add_i32 s17, s13, 1
	s_cmp_ge_u32 s15, s4
	s_mov_b32 s15, s9
	s_cselect_b32 s4, s17, s13
	s_waitcnt lgkmcnt(0)
	s_mul_i32 s13, s16, s14
	s_mul_i32 s14, s4, s7
	;; [unrolled: 1-line block ×3, first 2 shown]
	s_mul_hi_i32 s7, s13, 20
	s_add_u32 s0, s0, s4
	s_addc_u32 s1, s1, s7
	s_lshl_b64 s[14:15], s[14:15], 2
	s_mov_b32 s4, 0.5
	s_add_u32 s2, s2, s14
	s_addc_u32 s3, s3, s15
.LBB276_3:                              ; =>This Inner Loop Header: Depth=1
	v_add_nc_u32_e32 v10, v4, v2
	v_mad_i64_i32 v[6:7], null, v2, 36, s[2:3]
	v_add_nc_u32_e32 v2, 16, v2
	s_delay_alu instid0(VALU_DEP_3) | instskip(NEXT) | instid1(VALU_DEP_3)
	v_mad_i64_i32 v[8:9], null, v10, 20, s[0:1]
	v_add_co_u32 v10, vcc_lo, v6, v5
	s_delay_alu instid0(VALU_DEP_4) | instskip(NEXT) | instid1(VALU_DEP_3)
	v_add_co_ci_u32_e32 v11, vcc_lo, 0, v7, vcc_lo
	v_add_co_u32 v12, vcc_lo, v8, v5
	s_delay_alu instid0(VALU_DEP_4)
	v_add_co_ci_u32_e32 v13, vcc_lo, 0, v9, vcc_lo
	v_cmp_le_u32_e32 vcc_lo, s12, v2
	global_load_b64 v[14:15], v[10:11], off offset:4
	global_load_b64 v[12:13], v[12:13], off offset:4
	s_clause 0x1
	global_load_b64 v[10:11], v[10:11], off offset:20
	global_load_b32 v6, v[6:7], off
	global_load_b32 v7, v[8:9], off
	s_or_b32 s9, vcc_lo, s9
	s_waitcnt vmcnt(4)
	v_bfe_i32 v8, v14, 0, 8
	s_waitcnt vmcnt(3)
	v_and_b32_e32 v26, 15, v12
	v_bfe_i32 v9, v14, 8, 8
	v_bfe_i32 v16, v14, 16, 8
	s_waitcnt vmcnt(2)
	v_bfe_i32 v17, v10, 0, 8
	v_bfe_u32 v27, v12, 8, 4
	v_bfe_u32 v28, v12, 16, 4
	;; [unrolled: 1-line block ×3, first 2 shown]
	v_mul_i32_i24_e32 v8, v8, v26
	v_ashrrev_i32_e32 v14, 24, v14
	v_bfe_i32 v18, v10, 8, 8
	v_bfe_u32 v26, v12, 24, 4
	v_bfe_u32 v30, v12, 12, 4
	v_mul_i32_i24_e32 v9, v9, v27
	v_mul_i32_i24_e32 v16, v16, v28
	v_mad_i32_i24 v8, v17, v29, v8
	v_bfe_i32 v19, v10, 16, 8
	v_ashrrev_i32_e32 v10, 24, v10
	v_bfe_u32 v17, v12, 20, 4
	v_lshrrev_b32_e32 v12, 28, v12
	v_mul_i32_i24_e32 v14, v14, v26
	v_mul_i32_i24_e32 v18, v30, v18
	v_add3_u32 v8, v8, v9, v16
	v_bfe_i32 v20, v15, 0, 8
	v_bfe_i32 v23, v11, 0, 8
	v_and_b32_e32 v9, 15, v13
	v_bfe_u32 v16, v13, 4, 4
	v_mul_i32_i24_e32 v17, v17, v19
	v_mul_i32_i24_e32 v10, v12, v10
	v_add3_u32 v8, v8, v14, v18
	v_bfe_i32 v21, v15, 8, 8
	v_bfe_i32 v22, v15, 16, 8
	v_bfe_u32 v12, v13, 8, 4
	v_bfe_u32 v14, v13, 16, 4
	v_mul_i32_i24_e32 v9, v20, v9
	v_mul_i32_i24_e32 v16, v23, v16
	v_add3_u32 v8, v8, v17, v10
	v_ashrrev_i32_e32 v15, 24, v15
	v_bfe_i32 v24, v11, 8, 8
	v_bfe_u32 v10, v13, 24, 4
	v_bfe_u32 v17, v13, 12, 4
	v_mul_i32_i24_e32 v12, v21, v12
	v_mul_i32_i24_e32 v14, v22, v14
	v_add3_u32 v8, v8, v9, v16
	v_bfe_i32 v25, v11, 16, 8
	v_ashrrev_i32_e32 v11, 24, v11
	v_bfe_u32 v9, v13, 20, 4
	v_lshrrev_b32_e32 v13, 28, v13
	v_mul_i32_i24_e32 v10, v15, v10
	v_mul_i32_i24_e32 v15, v17, v24
	v_add3_u32 v8, v8, v12, v14
	v_mul_i32_i24_e32 v9, v9, v25
	v_mul_i32_i24_e32 v11, v13, v11
	s_waitcnt vmcnt(0)
	v_pk_mul_f16 v6, v7, v6
	v_add3_u32 v8, v8, v10, v15
	s_delay_alu instid0(VALU_DEP_1) | instskip(NEXT) | instid1(VALU_DEP_3)
	v_add3_u32 v7, v8, v9, v11
	v_cvt_f32_f16_e32 v8, v6
	s_delay_alu instid0(VALU_DEP_2) | instskip(NEXT) | instid1(VALU_DEP_1)
	v_cvt_f32_i32_e32 v7, v7
	v_mul_f32_e32 v7, v8, v7
	s_delay_alu instid0(VALU_DEP_1) | instskip(NEXT) | instid1(VALU_DEP_1)
	v_fma_mix_f32 v6, v6, s4, v7 op_sel:[1,0,0] op_sel_hi:[1,0,0]
	v_add_f32_e32 v3, v3, v6
	s_and_not1_b32 exec_lo, exec_lo, s9
	s_cbranch_execnz .LBB276_3
; %bb.4:
	s_or_b32 exec_lo, exec_lo, s9
.LBB276_5:
	s_delay_alu instid0(SALU_CYCLE_1) | instskip(SKIP_1) | instid1(VALU_DEP_1)
	s_or_b32 exec_lo, exec_lo, s5
	v_mbcnt_lo_u32_b32 v2, -1, 0
	v_xor_b32_e32 v4, 16, v2
	v_xor_b32_e32 v5, 8, v2
	s_delay_alu instid0(VALU_DEP_2) | instskip(SKIP_1) | instid1(VALU_DEP_3)
	v_cmp_gt_i32_e32 vcc_lo, 32, v4
	v_cndmask_b32_e32 v4, v2, v4, vcc_lo
	v_cmp_gt_i32_e32 vcc_lo, 32, v5
	v_cndmask_b32_e32 v5, v2, v5, vcc_lo
	s_delay_alu instid0(VALU_DEP_1) | instskip(NEXT) | instid1(VALU_DEP_4)
	v_lshlrev_b32_e32 v5, 2, v5
	v_lshlrev_b32_e32 v4, 2, v4
	ds_bpermute_b32 v4, v4, v3
	s_waitcnt lgkmcnt(0)
	v_add_f32_e32 v3, v3, v4
	ds_bpermute_b32 v4, v5, v3
	v_xor_b32_e32 v5, 4, v2
	s_delay_alu instid0(VALU_DEP_1) | instskip(SKIP_1) | instid1(VALU_DEP_1)
	v_cmp_gt_i32_e32 vcc_lo, 32, v5
	v_cndmask_b32_e32 v5, v2, v5, vcc_lo
	v_lshlrev_b32_e32 v5, 2, v5
	s_waitcnt lgkmcnt(0)
	v_add_f32_e32 v3, v3, v4
	ds_bpermute_b32 v4, v5, v3
	v_xor_b32_e32 v5, 2, v2
	s_delay_alu instid0(VALU_DEP_1) | instskip(SKIP_1) | instid1(VALU_DEP_1)
	v_cmp_gt_i32_e32 vcc_lo, 32, v5
	v_cndmask_b32_e32 v5, v2, v5, vcc_lo
	v_lshlrev_b32_e32 v5, 2, v5
	s_waitcnt lgkmcnt(0)
	v_add_f32_e32 v3, v3, v4
	ds_bpermute_b32 v4, v5, v3
	v_xor_b32_e32 v5, 1, v2
	s_delay_alu instid0(VALU_DEP_1) | instskip(SKIP_3) | instid1(VALU_DEP_2)
	v_cmp_gt_i32_e32 vcc_lo, 32, v5
	v_cndmask_b32_e32 v5, v2, v5, vcc_lo
	v_cmp_eq_u32_e32 vcc_lo, 0, v0
	s_waitcnt lgkmcnt(0)
	v_dual_add_f32 v2, v3, v4 :: v_dual_lshlrev_b32 v3, 2, v5
	ds_bpermute_b32 v3, v3, v2
	s_and_b32 exec_lo, exec_lo, vcc_lo
	s_cbranch_execz .LBB276_7
; %bb.6:
	s_waitcnt lgkmcnt(0)
	v_add_f32_e32 v4, v2, v3
	v_mad_u64_u32 v[2:3], null, s8, s6, v[1:2]
	v_mov_b32_e32 v3, 0
	s_delay_alu instid0(VALU_DEP_3) | instskip(SKIP_1) | instid1(VALU_DEP_2)
	v_bfe_u32 v0, v4, 16, 1
	v_cmp_o_f32_e32 vcc_lo, v4, v4
	v_add3_u32 v0, v4, v0, 0x7fff
	s_delay_alu instid0(VALU_DEP_1) | instskip(SKIP_1) | instid1(VALU_DEP_2)
	v_lshrrev_b32_e32 v5, 16, v0
	v_lshlrev_b64 v[0:1], 1, v[2:3]
	v_cndmask_b32_e32 v2, 0x7fc0, v5, vcc_lo
	s_delay_alu instid0(VALU_DEP_2) | instskip(NEXT) | instid1(VALU_DEP_3)
	v_add_co_u32 v0, vcc_lo, s10, v0
	v_add_co_ci_u32_e32 v1, vcc_lo, s11, v1, vcc_lo
	global_store_b16 v[0:1], v2, off
.LBB276_7:
	s_nop 0
	s_sendmsg sendmsg(MSG_DEALLOC_VGPRS)
	s_endpgm
	.section	.rodata,"a",@progbits
	.p2align	6, 0x0
	.amdhsa_kernel _ZL9moe_vec_qIN3c108BFloat16ELi32ELi4E10block_q4_1Li2EXadL_ZL17vec_dot_q4_1_q8_1PKvPK10block_q8_1RKiEEEvS4_S4_PT_PS8_iiii
		.amdhsa_group_segment_fixed_size 0
		.amdhsa_private_segment_fixed_size 0
		.amdhsa_kernarg_size 304
		.amdhsa_user_sgpr_count 14
		.amdhsa_user_sgpr_dispatch_ptr 0
		.amdhsa_user_sgpr_queue_ptr 0
		.amdhsa_user_sgpr_kernarg_segment_ptr 1
		.amdhsa_user_sgpr_dispatch_id 0
		.amdhsa_user_sgpr_private_segment_size 0
		.amdhsa_wavefront_size32 1
		.amdhsa_uses_dynamic_stack 0
		.amdhsa_enable_private_segment 0
		.amdhsa_system_sgpr_workgroup_id_x 1
		.amdhsa_system_sgpr_workgroup_id_y 0
		.amdhsa_system_sgpr_workgroup_id_z 1
		.amdhsa_system_sgpr_workgroup_info 0
		.amdhsa_system_vgpr_workitem_id 1
		.amdhsa_next_free_vgpr 31
		.amdhsa_next_free_sgpr 19
		.amdhsa_reserve_vcc 1
		.amdhsa_float_round_mode_32 0
		.amdhsa_float_round_mode_16_64 0
		.amdhsa_float_denorm_mode_32 3
		.amdhsa_float_denorm_mode_16_64 3
		.amdhsa_dx10_clamp 1
		.amdhsa_ieee_mode 1
		.amdhsa_fp16_overflow 0
		.amdhsa_workgroup_processor_mode 1
		.amdhsa_memory_ordered 1
		.amdhsa_forward_progress 0
		.amdhsa_shared_vgpr_count 0
		.amdhsa_exception_fp_ieee_invalid_op 0
		.amdhsa_exception_fp_denorm_src 0
		.amdhsa_exception_fp_ieee_div_zero 0
		.amdhsa_exception_fp_ieee_overflow 0
		.amdhsa_exception_fp_ieee_underflow 0
		.amdhsa_exception_fp_ieee_inexact 0
		.amdhsa_exception_int_div_zero 0
	.end_amdhsa_kernel
	.section	.text._ZL9moe_vec_qIN3c108BFloat16ELi32ELi4E10block_q4_1Li2EXadL_ZL17vec_dot_q4_1_q8_1PKvPK10block_q8_1RKiEEEvS4_S4_PT_PS8_iiii,"axG",@progbits,_ZL9moe_vec_qIN3c108BFloat16ELi32ELi4E10block_q4_1Li2EXadL_ZL17vec_dot_q4_1_q8_1PKvPK10block_q8_1RKiEEEvS4_S4_PT_PS8_iiii,comdat
.Lfunc_end276:
	.size	_ZL9moe_vec_qIN3c108BFloat16ELi32ELi4E10block_q4_1Li2EXadL_ZL17vec_dot_q4_1_q8_1PKvPK10block_q8_1RKiEEEvS4_S4_PT_PS8_iiii, .Lfunc_end276-_ZL9moe_vec_qIN3c108BFloat16ELi32ELi4E10block_q4_1Li2EXadL_ZL17vec_dot_q4_1_q8_1PKvPK10block_q8_1RKiEEEvS4_S4_PT_PS8_iiii
                                        ; -- End function
	.section	.AMDGPU.csdata,"",@progbits
; Kernel info:
; codeLenInByte = 1180
; NumSgprs: 21
; NumVgprs: 31
; ScratchSize: 0
; MemoryBound: 0
; FloatMode: 240
; IeeeMode: 1
; LDSByteSize: 0 bytes/workgroup (compile time only)
; SGPRBlocks: 2
; VGPRBlocks: 3
; NumSGPRsForWavesPerEU: 21
; NumVGPRsForWavesPerEU: 31
; Occupancy: 16
; WaveLimiterHint : 1
; COMPUTE_PGM_RSRC2:SCRATCH_EN: 0
; COMPUTE_PGM_RSRC2:USER_SGPR: 14
; COMPUTE_PGM_RSRC2:TRAP_HANDLER: 0
; COMPUTE_PGM_RSRC2:TGID_X_EN: 1
; COMPUTE_PGM_RSRC2:TGID_Y_EN: 0
; COMPUTE_PGM_RSRC2:TGID_Z_EN: 1
; COMPUTE_PGM_RSRC2:TIDIG_COMP_CNT: 1
	.section	.text._ZL9moe_vec_qIN3c108BFloat16ELi32ELi4E10block_q5_0Li2EXadL_ZL17vec_dot_q5_0_q8_1PKvPK10block_q8_1RKiEEEvS4_S4_PT_PS8_iiii,"axG",@progbits,_ZL9moe_vec_qIN3c108BFloat16ELi32ELi4E10block_q5_0Li2EXadL_ZL17vec_dot_q5_0_q8_1PKvPK10block_q8_1RKiEEEvS4_S4_PT_PS8_iiii,comdat
	.globl	_ZL9moe_vec_qIN3c108BFloat16ELi32ELi4E10block_q5_0Li2EXadL_ZL17vec_dot_q5_0_q8_1PKvPK10block_q8_1RKiEEEvS4_S4_PT_PS8_iiii ; -- Begin function _ZL9moe_vec_qIN3c108BFloat16ELi32ELi4E10block_q5_0Li2EXadL_ZL17vec_dot_q5_0_q8_1PKvPK10block_q8_1RKiEEEvS4_S4_PT_PS8_iiii
	.p2align	8
	.type	_ZL9moe_vec_qIN3c108BFloat16ELi32ELi4E10block_q5_0Li2EXadL_ZL17vec_dot_q5_0_q8_1PKvPK10block_q8_1RKiEEEvS4_S4_PT_PS8_iiii,@function
_ZL9moe_vec_qIN3c108BFloat16ELi32ELi4E10block_q5_0Li2EXadL_ZL17vec_dot_q5_0_q8_1PKvPK10block_q8_1RKiEEEvS4_S4_PT_PS8_iiii: ; @_ZL9moe_vec_qIN3c108BFloat16ELi32ELi4E10block_q5_0Li2EXadL_ZL17vec_dot_q5_0_q8_1PKvPK10block_q8_1RKiEEEvS4_S4_PT_PS8_iiii
; %bb.0:
	s_clause 0x1
	s_load_b32 s2, s[0:1], 0x3c
	s_load_b128 s[4:7], s[0:1], 0x20
	v_bfe_u32 v3, v0, 10, 10
	s_waitcnt lgkmcnt(0)
	s_lshr_b32 s2, s2, 16
	s_delay_alu instid0(VALU_DEP_1) | instid1(SALU_CYCLE_1)
	v_mad_u64_u32 v[1:2], null, s14, s2, v[3:4]
	s_mov_b32 s2, exec_lo
	s_delay_alu instid0(VALU_DEP_1)
	v_cmpx_gt_u32_e64 s6, v1
	s_cbranch_execz .LBB277_7
; %bb.1:
	v_cvt_f32_u32_e32 v2, s4
	s_load_b64 s[10:11], s[0:1], 0x10
	s_ashr_i32 s2, s5, 31
	v_and_b32_e32 v0, 0x3ff, v0
	s_lshr_b32 s2, s2, 27
	v_rcp_iflag_f32_e32 v2, v2
	s_add_i32 s2, s5, s2
	s_mov_b32 s8, s15
	s_ashr_i32 s12, s2, 5
	s_mov_b32 s5, exec_lo
	s_waitcnt_depctr 0xfff
	v_mul_f32_e32 v3, 0x4f7ffffe, v2
	s_delay_alu instid0(VALU_DEP_1) | instskip(NEXT) | instid1(VALU_DEP_1)
	v_cvt_u32_f32_e32 v3, v3
	v_readfirstlane_b32 s2, v3
	v_mov_b32_e32 v3, 0
	v_lshrrev_b32_e32 v2, 1, v0
	s_delay_alu instid0(VALU_DEP_1)
	v_cmpx_gt_u32_e64 s12, v2
	s_cbranch_execz .LBB277_5
; %bb.2:
	s_load_b64 s[14:15], s[0:1], 0x18
	s_sub_i32 s3, 0, s4
	s_mov_b32 s9, 0
	s_mul_i32 s3, s3, s2
	s_lshl_b64 s[16:17], s[8:9], 2
	s_mul_hi_u32 s3, s2, s3
	v_lshlrev_b32_e32 v5, 3, v0
	s_add_i32 s13, s2, s3
	v_mul_lo_u32 v4, v1, s12
	s_mul_hi_u32 s13, s8, s13
	v_mov_b32_e32 v3, 0
	v_and_b32_e32 v5, 8, v5
	s_delay_alu instid0(VALU_DEP_1)
	v_or_b32_e32 v6, 4, v5
	s_waitcnt lgkmcnt(0)
	s_add_u32 s2, s14, s16
	s_addc_u32 s3, s15, s17
	s_mul_i32 s15, s13, s4
	s_load_b32 s14, s[2:3], 0x0
	s_load_b128 s[0:3], s[0:1], 0x0
	s_sub_i32 s17, s8, s15
	s_add_i32 s18, s13, 1
	s_sub_i32 s19, s17, s4
	s_cmp_ge_u32 s17, s4
	s_mul_i32 s16, s12, s6
	s_cselect_b32 s13, s18, s13
	s_cselect_b32 s17, s19, s17
	s_add_i32 s18, s13, 1
	s_cmp_ge_u32 s17, s4
	s_mov_b32 s15, s9
	s_cselect_b32 s4, s18, s13
	s_waitcnt lgkmcnt(0)
	s_mul_i32 s13, s16, s14
	s_mul_i32 s14, s4, s7
	;; [unrolled: 1-line block ×3, first 2 shown]
	s_mul_hi_i32 s7, s13, 22
	s_add_u32 s0, s0, s4
	s_addc_u32 s1, s1, s7
	s_lshl_b64 s[14:15], s[14:15], 2
	s_delay_alu instid0(SALU_CYCLE_1)
	s_add_u32 s2, s2, s14
	s_addc_u32 s3, s3, s15
.LBB277_3:                              ; =>This Inner Loop Header: Depth=1
	v_add_nc_u32_e32 v11, v4, v2
	v_mad_i64_i32 v[7:8], null, v2, 36, s[2:3]
	v_add_nc_u32_e32 v2, 16, v2
	s_delay_alu instid0(VALU_DEP_3) | instskip(NEXT) | instid1(VALU_DEP_3)
	v_mad_i64_i32 v[9:10], null, v11, 22, s[0:1]
	v_add_co_u32 v11, vcc_lo, v7, v5
	s_delay_alu instid0(VALU_DEP_4) | instskip(NEXT) | instid1(VALU_DEP_3)
	v_add_co_ci_u32_e32 v12, vcc_lo, 0, v8, vcc_lo
	v_add_co_u32 v13, vcc_lo, v9, v5
	s_delay_alu instid0(VALU_DEP_4)
	v_add_co_ci_u32_e32 v14, vcc_lo, 0, v10, vcc_lo
	s_clause 0x1
	global_load_b32 v15, v[9:10], off
	global_load_u16 v16, v[9:10], off offset:4
	global_load_b64 v[9:10], v[11:12], off offset:4
	s_clause 0x1
	global_load_b32 v17, v[13:14], off offset:6
	global_load_b32 v13, v[13:14], off offset:10
	s_clause 0x1
	global_load_b64 v[11:12], v[11:12], off offset:20
	global_load_b32 v7, v[7:8], off
	v_cmp_le_u32_e32 vcc_lo, s12, v2
	s_or_b32 s9, vcc_lo, s9
	s_waitcnt vmcnt(5)
	v_perm_b32 v8, v15, v16, 0x1000706
	s_waitcnt vmcnt(4)
	v_bfe_i32 v14, v9, 0, 8
	s_waitcnt vmcnt(3)
	v_and_b32_e32 v29, 0xf0f0f0f, v17
	v_lshrrev_b32_e32 v17, 4, v17
	s_waitcnt vmcnt(2)
	v_and_b32_e32 v30, 0xf0f0f0f, v13
	v_ashrrev_i32_e32 v28, v5, v8
	v_ashrrev_i32_e32 v8, v6, v8
	v_bfe_i32 v16, v9, 8, 8
	v_and_b32_e32 v17, 0xf0f0f0f, v17
	s_waitcnt vmcnt(1)
	v_bfe_i32 v19, v11, 0, 8
	v_lshlrev_b32_e32 v34, 25, v28
	v_lshl_or_b32 v31, v28, 4, v29
	v_lshlrev_b32_e32 v32, 11, v28
	v_lshlrev_b32_e32 v33, 18, v28
	v_lshrrev_b32_e32 v35, 12, v28
	v_lshrrev_b32_e32 v36, 5, v28
	v_lshlrev_b32_e32 v37, 2, v28
	v_lshlrev_b32_e32 v28, 9, v28
	v_and_b32_e32 v34, 0x10000000, v34
	v_and_b32_e32 v32, 0x1000, v32
	v_lshl_or_b32 v38, v8, 4, v30
	v_and_b32_e32 v31, 31, v31
	v_and_b32_e32 v28, 0x10000000, v28
	v_and_or_b32 v33, 0x100000, v33, v34
	v_and_or_b32 v35, v35, 16, v17
	v_and_b32_e32 v36, 0x1000, v36
	v_bfe_i32 v22, v10, 0, 8
	v_and_or_b32 v28, 0x100000, v37, v28
	v_or3_b32 v29, v33, v32, v29
	v_lshrrev_b32_e32 v13, 4, v13
	v_lshlrev_b32_e32 v39, 11, v8
	v_lshlrev_b32_e32 v40, 18, v8
	;; [unrolled: 1-line block ×3, first 2 shown]
	v_lshrrev_b32_e32 v42, 12, v8
	v_lshrrev_b32_e32 v43, 5, v8
	v_lshlrev_b32_e32 v44, 2, v8
	v_lshlrev_b32_e32 v8, 9, v8
	v_and_b32_e32 v38, 31, v38
	v_mul_i32_i24_e32 v14, v31, v14
	v_and_b32_e32 v31, 31, v35
	v_or3_b32 v17, v28, v36, v17
	v_bfe_u32 v28, v29, 8, 5
	v_bfe_i32 v18, v9, 16, 8
	v_ashrrev_i32_e32 v9, 24, v9
	v_and_b32_e32 v13, 0xf0f0f0f, v13
	v_and_b32_e32 v41, 0x10000000, v41
	;; [unrolled: 1-line block ×3, first 2 shown]
	v_mul_i32_i24_e32 v22, v38, v22
	v_mad_i32_i24 v14, v31, v19, v14
	v_bfe_u32 v19, v29, 16, 5
	v_lshrrev_b32_e32 v29, 24, v29
	v_mul_i32_i24_e32 v16, v28, v16
	v_bfe_i32 v20, v11, 8, 8
	v_bfe_i32 v21, v11, 16, 8
	v_and_b32_e32 v39, 0x1000, v39
	v_and_or_b32 v42, v42, 16, v13
	v_and_b32_e32 v43, 0x1000, v43
	v_and_or_b32 v34, 0x100000, v40, v41
	v_and_or_b32 v8, 0x100000, v44, v8
	v_bfe_u32 v28, v17, 8, 5
	v_bfe_u32 v31, v17, 16, 5
	v_mul_i32_i24_e32 v18, v19, v18
	v_mul_i32_i24_e32 v9, v29, v9
	v_add3_u32 v14, v14, v22, v16
	v_ashrrev_i32_e32 v11, 24, v11
	v_bfe_i32 v25, v12, 0, 8
	v_and_b32_e32 v32, 31, v42
	v_or3_b32 v30, v34, v39, v30
	v_or3_b32 v8, v8, v43, v13
	v_lshrrev_b32_e32 v13, 24, v17
	v_mul_i32_i24_e32 v16, v28, v20
	v_mul_i32_i24_e32 v17, v31, v21
	v_add3_u32 v9, v14, v18, v9
	v_bfe_i32 v23, v10, 8, 8
	v_bfe_i32 v24, v10, 16, 8
	v_mul_i32_i24_e32 v14, v32, v25
	v_bfe_u32 v18, v30, 8, 5
	v_bfe_u32 v19, v30, 16, 5
	v_mul_i32_i24_e32 v11, v13, v11
	v_add3_u32 v9, v9, v16, v17
	v_ashrrev_i32_e32 v10, 24, v10
	v_bfe_i32 v26, v12, 8, 8
	v_lshrrev_b32_e32 v13, 24, v30
	v_bfe_u32 v16, v8, 8, 5
	v_mul_i32_i24_e32 v17, v18, v23
	v_mul_i32_i24_e32 v18, v19, v24
	v_add3_u32 v9, v9, v11, v14
	v_bfe_i32 v27, v12, 16, 8
	v_ashrrev_i32_e32 v12, 24, v12
	v_bfe_u32 v11, v8, 16, 5
	v_lshrrev_b32_e32 v8, 24, v8
	v_mul_i32_i24_e32 v10, v13, v10
	v_mul_i32_i24_e32 v13, v16, v26
	v_add3_u32 v9, v9, v17, v18
	s_waitcnt vmcnt(0)
	v_lshrrev_b32_e32 v14, 16, v7
	v_mul_i32_i24_e32 v11, v11, v27
	v_mul_i32_i24_e32 v8, v8, v12
	v_add3_u32 v9, v9, v10, v13
	s_delay_alu instid0(VALU_DEP_4) | instskip(NEXT) | instid1(VALU_DEP_2)
	v_cvt_f32_f16_e32 v10, v14
	v_add3_u32 v8, v9, v11, v8
	s_delay_alu instid0(VALU_DEP_2) | instskip(NEXT) | instid1(VALU_DEP_2)
	v_mul_f32_e32 v9, 0xc1000000, v10
	v_cvt_f32_i32_e32 v8, v8
	s_delay_alu instid0(VALU_DEP_1) | instskip(NEXT) | instid1(VALU_DEP_1)
	v_fma_mix_f32 v7, v7, v8, v9 op_sel_hi:[1,0,0]
	v_fma_mix_f32 v3, v7, v15, v3 op_sel_hi:[0,1,0]
	s_and_not1_b32 exec_lo, exec_lo, s9
	s_cbranch_execnz .LBB277_3
; %bb.4:
	s_or_b32 exec_lo, exec_lo, s9
.LBB277_5:
	s_delay_alu instid0(SALU_CYCLE_1) | instskip(SKIP_1) | instid1(VALU_DEP_1)
	s_or_b32 exec_lo, exec_lo, s5
	v_mbcnt_lo_u32_b32 v2, -1, 0
	v_xor_b32_e32 v4, 16, v2
	v_xor_b32_e32 v5, 8, v2
	s_delay_alu instid0(VALU_DEP_2) | instskip(SKIP_1) | instid1(VALU_DEP_3)
	v_cmp_gt_i32_e32 vcc_lo, 32, v4
	v_cndmask_b32_e32 v4, v2, v4, vcc_lo
	v_cmp_gt_i32_e32 vcc_lo, 32, v5
	v_cndmask_b32_e32 v5, v2, v5, vcc_lo
	s_delay_alu instid0(VALU_DEP_1) | instskip(NEXT) | instid1(VALU_DEP_4)
	v_lshlrev_b32_e32 v5, 2, v5
	v_lshlrev_b32_e32 v4, 2, v4
	ds_bpermute_b32 v4, v4, v3
	s_waitcnt lgkmcnt(0)
	v_add_f32_e32 v3, v3, v4
	ds_bpermute_b32 v4, v5, v3
	v_xor_b32_e32 v5, 4, v2
	s_delay_alu instid0(VALU_DEP_1) | instskip(SKIP_1) | instid1(VALU_DEP_1)
	v_cmp_gt_i32_e32 vcc_lo, 32, v5
	v_cndmask_b32_e32 v5, v2, v5, vcc_lo
	v_lshlrev_b32_e32 v5, 2, v5
	s_waitcnt lgkmcnt(0)
	v_add_f32_e32 v3, v3, v4
	ds_bpermute_b32 v4, v5, v3
	v_xor_b32_e32 v5, 2, v2
	s_delay_alu instid0(VALU_DEP_1) | instskip(SKIP_1) | instid1(VALU_DEP_1)
	v_cmp_gt_i32_e32 vcc_lo, 32, v5
	v_cndmask_b32_e32 v5, v2, v5, vcc_lo
	v_lshlrev_b32_e32 v5, 2, v5
	s_waitcnt lgkmcnt(0)
	v_add_f32_e32 v3, v3, v4
	ds_bpermute_b32 v4, v5, v3
	v_xor_b32_e32 v5, 1, v2
	s_delay_alu instid0(VALU_DEP_1) | instskip(SKIP_3) | instid1(VALU_DEP_2)
	v_cmp_gt_i32_e32 vcc_lo, 32, v5
	v_cndmask_b32_e32 v5, v2, v5, vcc_lo
	v_cmp_eq_u32_e32 vcc_lo, 0, v0
	s_waitcnt lgkmcnt(0)
	v_dual_add_f32 v2, v3, v4 :: v_dual_lshlrev_b32 v3, 2, v5
	ds_bpermute_b32 v3, v3, v2
	s_and_b32 exec_lo, exec_lo, vcc_lo
	s_cbranch_execz .LBB277_7
; %bb.6:
	s_waitcnt lgkmcnt(0)
	v_add_f32_e32 v4, v2, v3
	v_mad_u64_u32 v[2:3], null, s8, s6, v[1:2]
	v_mov_b32_e32 v3, 0
	s_delay_alu instid0(VALU_DEP_3) | instskip(SKIP_1) | instid1(VALU_DEP_2)
	v_bfe_u32 v0, v4, 16, 1
	v_cmp_o_f32_e32 vcc_lo, v4, v4
	v_add3_u32 v0, v4, v0, 0x7fff
	s_delay_alu instid0(VALU_DEP_1) | instskip(SKIP_1) | instid1(VALU_DEP_2)
	v_lshrrev_b32_e32 v5, 16, v0
	v_lshlrev_b64 v[0:1], 1, v[2:3]
	v_cndmask_b32_e32 v2, 0x7fc0, v5, vcc_lo
	s_delay_alu instid0(VALU_DEP_2) | instskip(NEXT) | instid1(VALU_DEP_3)
	v_add_co_u32 v0, vcc_lo, s10, v0
	v_add_co_ci_u32_e32 v1, vcc_lo, s11, v1, vcc_lo
	global_store_b16 v[0:1], v2, off
.LBB277_7:
	s_nop 0
	s_sendmsg sendmsg(MSG_DEALLOC_VGPRS)
	s_endpgm
	.section	.rodata,"a",@progbits
	.p2align	6, 0x0
	.amdhsa_kernel _ZL9moe_vec_qIN3c108BFloat16ELi32ELi4E10block_q5_0Li2EXadL_ZL17vec_dot_q5_0_q8_1PKvPK10block_q8_1RKiEEEvS4_S4_PT_PS8_iiii
		.amdhsa_group_segment_fixed_size 0
		.amdhsa_private_segment_fixed_size 0
		.amdhsa_kernarg_size 304
		.amdhsa_user_sgpr_count 14
		.amdhsa_user_sgpr_dispatch_ptr 0
		.amdhsa_user_sgpr_queue_ptr 0
		.amdhsa_user_sgpr_kernarg_segment_ptr 1
		.amdhsa_user_sgpr_dispatch_id 0
		.amdhsa_user_sgpr_private_segment_size 0
		.amdhsa_wavefront_size32 1
		.amdhsa_uses_dynamic_stack 0
		.amdhsa_enable_private_segment 0
		.amdhsa_system_sgpr_workgroup_id_x 1
		.amdhsa_system_sgpr_workgroup_id_y 0
		.amdhsa_system_sgpr_workgroup_id_z 1
		.amdhsa_system_sgpr_workgroup_info 0
		.amdhsa_system_vgpr_workitem_id 1
		.amdhsa_next_free_vgpr 45
		.amdhsa_next_free_sgpr 20
		.amdhsa_reserve_vcc 1
		.amdhsa_float_round_mode_32 0
		.amdhsa_float_round_mode_16_64 0
		.amdhsa_float_denorm_mode_32 3
		.amdhsa_float_denorm_mode_16_64 3
		.amdhsa_dx10_clamp 1
		.amdhsa_ieee_mode 1
		.amdhsa_fp16_overflow 0
		.amdhsa_workgroup_processor_mode 1
		.amdhsa_memory_ordered 1
		.amdhsa_forward_progress 0
		.amdhsa_shared_vgpr_count 0
		.amdhsa_exception_fp_ieee_invalid_op 0
		.amdhsa_exception_fp_denorm_src 0
		.amdhsa_exception_fp_ieee_div_zero 0
		.amdhsa_exception_fp_ieee_overflow 0
		.amdhsa_exception_fp_ieee_underflow 0
		.amdhsa_exception_fp_ieee_inexact 0
		.amdhsa_exception_int_div_zero 0
	.end_amdhsa_kernel
	.section	.text._ZL9moe_vec_qIN3c108BFloat16ELi32ELi4E10block_q5_0Li2EXadL_ZL17vec_dot_q5_0_q8_1PKvPK10block_q8_1RKiEEEvS4_S4_PT_PS8_iiii,"axG",@progbits,_ZL9moe_vec_qIN3c108BFloat16ELi32ELi4E10block_q5_0Li2EXadL_ZL17vec_dot_q5_0_q8_1PKvPK10block_q8_1RKiEEEvS4_S4_PT_PS8_iiii,comdat
.Lfunc_end277:
	.size	_ZL9moe_vec_qIN3c108BFloat16ELi32ELi4E10block_q5_0Li2EXadL_ZL17vec_dot_q5_0_q8_1PKvPK10block_q8_1RKiEEEvS4_S4_PT_PS8_iiii, .Lfunc_end277-_ZL9moe_vec_qIN3c108BFloat16ELi32ELi4E10block_q5_0Li2EXadL_ZL17vec_dot_q5_0_q8_1PKvPK10block_q8_1RKiEEEvS4_S4_PT_PS8_iiii
                                        ; -- End function
	.section	.AMDGPU.csdata,"",@progbits
; Kernel info:
; codeLenInByte = 1500
; NumSgprs: 22
; NumVgprs: 45
; ScratchSize: 0
; MemoryBound: 0
; FloatMode: 240
; IeeeMode: 1
; LDSByteSize: 0 bytes/workgroup (compile time only)
; SGPRBlocks: 2
; VGPRBlocks: 5
; NumSGPRsForWavesPerEU: 22
; NumVGPRsForWavesPerEU: 45
; Occupancy: 16
; WaveLimiterHint : 1
; COMPUTE_PGM_RSRC2:SCRATCH_EN: 0
; COMPUTE_PGM_RSRC2:USER_SGPR: 14
; COMPUTE_PGM_RSRC2:TRAP_HANDLER: 0
; COMPUTE_PGM_RSRC2:TGID_X_EN: 1
; COMPUTE_PGM_RSRC2:TGID_Y_EN: 0
; COMPUTE_PGM_RSRC2:TGID_Z_EN: 1
; COMPUTE_PGM_RSRC2:TIDIG_COMP_CNT: 1
	.section	.text._ZL9moe_vec_qIN3c108BFloat16ELi32ELi4E10block_q5_1Li2EXadL_ZL17vec_dot_q5_1_q8_1PKvPK10block_q8_1RKiEEEvS4_S4_PT_PS8_iiii,"axG",@progbits,_ZL9moe_vec_qIN3c108BFloat16ELi32ELi4E10block_q5_1Li2EXadL_ZL17vec_dot_q5_1_q8_1PKvPK10block_q8_1RKiEEEvS4_S4_PT_PS8_iiii,comdat
	.globl	_ZL9moe_vec_qIN3c108BFloat16ELi32ELi4E10block_q5_1Li2EXadL_ZL17vec_dot_q5_1_q8_1PKvPK10block_q8_1RKiEEEvS4_S4_PT_PS8_iiii ; -- Begin function _ZL9moe_vec_qIN3c108BFloat16ELi32ELi4E10block_q5_1Li2EXadL_ZL17vec_dot_q5_1_q8_1PKvPK10block_q8_1RKiEEEvS4_S4_PT_PS8_iiii
	.p2align	8
	.type	_ZL9moe_vec_qIN3c108BFloat16ELi32ELi4E10block_q5_1Li2EXadL_ZL17vec_dot_q5_1_q8_1PKvPK10block_q8_1RKiEEEvS4_S4_PT_PS8_iiii,@function
_ZL9moe_vec_qIN3c108BFloat16ELi32ELi4E10block_q5_1Li2EXadL_ZL17vec_dot_q5_1_q8_1PKvPK10block_q8_1RKiEEEvS4_S4_PT_PS8_iiii: ; @_ZL9moe_vec_qIN3c108BFloat16ELi32ELi4E10block_q5_1Li2EXadL_ZL17vec_dot_q5_1_q8_1PKvPK10block_q8_1RKiEEEvS4_S4_PT_PS8_iiii
; %bb.0:
	s_clause 0x1
	s_load_b32 s2, s[0:1], 0x3c
	s_load_b128 s[4:7], s[0:1], 0x20
	v_bfe_u32 v3, v0, 10, 10
	s_waitcnt lgkmcnt(0)
	s_lshr_b32 s2, s2, 16
	s_delay_alu instid0(VALU_DEP_1) | instid1(SALU_CYCLE_1)
	v_mad_u64_u32 v[1:2], null, s14, s2, v[3:4]
	s_mov_b32 s2, exec_lo
	s_delay_alu instid0(VALU_DEP_1)
	v_cmpx_gt_u32_e64 s6, v1
	s_cbranch_execz .LBB278_7
; %bb.1:
	v_cvt_f32_u32_e32 v2, s4
	s_load_b64 s[10:11], s[0:1], 0x10
	s_ashr_i32 s2, s5, 31
	v_and_b32_e32 v0, 0x3ff, v0
	s_lshr_b32 s2, s2, 27
	v_rcp_iflag_f32_e32 v2, v2
	s_add_i32 s2, s5, s2
	s_mov_b32 s8, s15
	s_ashr_i32 s12, s2, 5
	s_mov_b32 s5, exec_lo
	s_waitcnt_depctr 0xfff
	v_mul_f32_e32 v3, 0x4f7ffffe, v2
	s_delay_alu instid0(VALU_DEP_1) | instskip(NEXT) | instid1(VALU_DEP_1)
	v_cvt_u32_f32_e32 v3, v3
	v_readfirstlane_b32 s2, v3
	v_mov_b32_e32 v3, 0
	v_lshrrev_b32_e32 v2, 1, v0
	s_delay_alu instid0(VALU_DEP_1)
	v_cmpx_gt_u32_e64 s12, v2
	s_cbranch_execz .LBB278_5
; %bb.2:
	s_load_b64 s[14:15], s[0:1], 0x18
	s_sub_i32 s3, 0, s4
	s_mov_b32 s9, 0
	s_mul_i32 s3, s3, s2
	s_lshl_b64 s[16:17], s[8:9], 2
	s_mul_hi_u32 s3, s2, s3
	v_lshlrev_b32_e32 v5, 3, v0
	s_add_i32 s13, s2, s3
	v_mul_lo_u32 v4, v1, s12
	s_mul_hi_u32 s13, s8, s13
	v_mov_b32_e32 v3, 0
	v_and_b32_e32 v5, 8, v5
	s_delay_alu instid0(VALU_DEP_1)
	v_or_b32_e32 v6, 4, v5
	s_waitcnt lgkmcnt(0)
	s_add_u32 s2, s14, s16
	s_addc_u32 s3, s15, s17
	s_mul_i32 s15, s13, s4
	s_load_b32 s14, s[2:3], 0x0
	s_load_b128 s[0:3], s[0:1], 0x0
	s_sub_i32 s17, s8, s15
	s_add_i32 s18, s13, 1
	s_sub_i32 s19, s17, s4
	s_cmp_ge_u32 s17, s4
	s_mul_i32 s16, s12, s6
	s_cselect_b32 s13, s18, s13
	s_cselect_b32 s17, s19, s17
	s_add_i32 s18, s13, 1
	s_cmp_ge_u32 s17, s4
	s_mov_b32 s15, s9
	s_cselect_b32 s4, s18, s13
	s_waitcnt lgkmcnt(0)
	s_mul_i32 s13, s16, s14
	s_mul_i32 s14, s4, s7
	;; [unrolled: 1-line block ×3, first 2 shown]
	s_mul_hi_i32 s7, s13, 24
	s_add_u32 s0, s0, s4
	s_addc_u32 s1, s1, s7
	s_lshl_b64 s[14:15], s[14:15], 2
	s_mov_b32 s4, 0.5
	s_add_u32 s2, s2, s14
	s_addc_u32 s3, s3, s15
.LBB278_3:                              ; =>This Inner Loop Header: Depth=1
	v_add_nc_u32_e32 v11, v4, v2
	v_mad_i64_i32 v[7:8], null, v2, 36, s[2:3]
	v_add_nc_u32_e32 v2, 16, v2
	s_delay_alu instid0(VALU_DEP_3) | instskip(NEXT) | instid1(VALU_DEP_3)
	v_mad_i64_i32 v[9:10], null, v11, 24, s[0:1]
	v_add_co_u32 v11, vcc_lo, v7, v5
	s_delay_alu instid0(VALU_DEP_4)
	v_add_co_ci_u32_e32 v12, vcc_lo, 0, v8, vcc_lo
	global_load_b64 v[13:14], v[9:10], off
	v_add_co_u32 v9, vcc_lo, v9, v5
	v_add_co_ci_u32_e32 v10, vcc_lo, 0, v10, vcc_lo
	v_cmp_le_u32_e32 vcc_lo, s12, v2
	global_load_b64 v[15:16], v[11:12], off offset:4
	global_load_b64 v[9:10], v[9:10], off offset:8
	s_clause 0x1
	global_load_b64 v[11:12], v[11:12], off offset:20
	global_load_b32 v7, v[7:8], off
	s_or_b32 s9, vcc_lo, s9
	s_waitcnt vmcnt(4)
	v_ashrrev_i32_e32 v8, v5, v14
	v_ashrrev_i32_e32 v14, v6, v14
	s_waitcnt vmcnt(3)
	v_bfe_i32 v17, v15, 0, 8
	s_waitcnt vmcnt(2)
	v_and_b32_e32 v29, 0xf0f0f0f, v9
	v_lshlrev_b32_e32 v32, 25, v8
	v_lshrrev_b32_e32 v9, 4, v9
	v_lshlrev_b32_e32 v36, 9, v8
	v_and_b32_e32 v37, 0xf0f0f0f, v10
	v_lshrrev_b32_e32 v10, 4, v10
	v_lshlrev_b32_e32 v30, 11, v8
	v_lshlrev_b32_e32 v31, 18, v8
	v_lshrrev_b32_e32 v33, 12, v8
	v_lshrrev_b32_e32 v34, 5, v8
	v_lshlrev_b32_e32 v35, 2, v8
	v_lshrrev_b32_e32 v41, 12, v14
	v_lshl_or_b32 v8, v8, 4, v29
	v_and_b32_e32 v32, 0x10000000, v32
	v_and_b32_e32 v9, 0xf0f0f0f, v9
	;; [unrolled: 1-line block ×4, first 2 shown]
	v_lshlrev_b32_e32 v38, 11, v14
	v_lshlrev_b32_e32 v39, 18, v14
	;; [unrolled: 1-line block ×3, first 2 shown]
	v_lshrrev_b32_e32 v42, 5, v14
	v_lshlrev_b32_e32 v43, 2, v14
	v_lshlrev_b32_e32 v44, 9, v14
	v_and_b32_e32 v30, 0x1000, v30
	v_lshl_or_b32 v14, v14, 4, v37
	v_and_or_b32 v31, 0x100000, v31, v32
	v_and_b32_e32 v8, 31, v8
	v_and_or_b32 v32, v33, 16, v9
	v_and_or_b32 v33, 0x100000, v35, v36
	v_and_or_b32 v36, v41, 16, v10
	s_waitcnt vmcnt(1)
	v_bfe_i32 v20, v11, 0, 8
	v_bfe_i32 v23, v16, 0, 8
	;; [unrolled: 1-line block ×3, first 2 shown]
	v_and_b32_e32 v34, 0x1000, v34
	v_and_b32_e32 v14, 31, v14
	v_or3_b32 v29, v31, v30, v29
	v_mul_i32_i24_e32 v8, v8, v17
	v_and_b32_e32 v17, 31, v32
	v_and_b32_e32 v31, 31, v36
	v_bfe_i32 v18, v15, 8, 8
	v_bfe_i32 v19, v15, 16, 8
	v_and_b32_e32 v40, 0x10000000, v40
	v_or3_b32 v9, v33, v34, v9
	v_mul_i32_i24_e32 v14, v14, v23
	v_bfe_u32 v23, v29, 8, 5
	v_bfe_u32 v32, v29, 16, 5
	v_mul_i32_i24_e32 v26, v31, v26
	v_mad_i32_i24 v8, v17, v20, v8
	v_ashrrev_i32_e32 v15, 24, v15
	v_bfe_i32 v21, v11, 8, 8
	v_and_b32_e32 v38, 0x1000, v38
	v_and_b32_e32 v44, 0x10000000, v44
	v_and_or_b32 v35, 0x100000, v39, v40
	v_lshrrev_b32_e32 v17, 24, v29
	v_bfe_u32 v20, v9, 8, 5
	v_mul_i32_i24_e32 v18, v23, v18
	v_mul_i32_i24_e32 v19, v32, v19
	v_add3_u32 v8, v8, v14, v26
	v_bfe_i32 v22, v11, 16, 8
	v_ashrrev_i32_e32 v11, 24, v11
	v_and_b32_e32 v42, 0x1000, v42
	v_and_or_b32 v39, 0x100000, v43, v44
	v_or3_b32 v30, v35, v38, v37
	v_bfe_u32 v14, v9, 16, 5
	v_lshrrev_b32_e32 v9, 24, v9
	v_mul_i32_i24_e32 v15, v17, v15
	v_mul_i32_i24_e32 v17, v20, v21
	v_add3_u32 v8, v8, v18, v19
	v_bfe_i32 v24, v16, 8, 8
	v_bfe_i32 v25, v16, 16, 8
	v_or3_b32 v10, v39, v42, v10
	v_bfe_u32 v18, v30, 8, 5
	v_bfe_u32 v19, v30, 16, 5
	v_mul_i32_i24_e32 v14, v14, v22
	v_mul_i32_i24_e32 v9, v9, v11
	v_add3_u32 v8, v8, v15, v17
	v_ashrrev_i32_e32 v16, 24, v16
	v_bfe_i32 v27, v12, 8, 8
	v_lshrrev_b32_e32 v11, 24, v30
	v_bfe_u32 v15, v10, 8, 5
	v_mul_i32_i24_e32 v17, v18, v24
	v_mul_i32_i24_e32 v18, v19, v25
	v_add3_u32 v8, v8, v14, v9
	v_bfe_i32 v28, v12, 16, 8
	v_ashrrev_i32_e32 v12, 24, v12
	v_bfe_u32 v9, v10, 16, 5
	v_lshrrev_b32_e32 v10, 24, v10
	v_mul_i32_i24_e32 v11, v11, v16
	v_mul_i32_i24_e32 v14, v15, v27
	v_add3_u32 v8, v8, v17, v18
	v_mul_i32_i24_e32 v9, v9, v28
	v_mul_i32_i24_e32 v10, v10, v12
	s_waitcnt vmcnt(0)
	v_pk_mul_f16 v7, v13, v7
	v_add3_u32 v8, v8, v11, v14
	s_delay_alu instid0(VALU_DEP_1) | instskip(NEXT) | instid1(VALU_DEP_3)
	v_add3_u32 v8, v8, v9, v10
	v_cvt_f32_f16_e32 v9, v7
	s_delay_alu instid0(VALU_DEP_2) | instskip(NEXT) | instid1(VALU_DEP_1)
	v_cvt_f32_i32_e32 v8, v8
	v_mul_f32_e32 v8, v9, v8
	s_delay_alu instid0(VALU_DEP_1) | instskip(NEXT) | instid1(VALU_DEP_1)
	v_fma_mix_f32 v7, v7, s4, v8 op_sel:[1,0,0] op_sel_hi:[1,0,0]
	v_add_f32_e32 v3, v3, v7
	s_and_not1_b32 exec_lo, exec_lo, s9
	s_cbranch_execnz .LBB278_3
; %bb.4:
	s_or_b32 exec_lo, exec_lo, s9
.LBB278_5:
	s_delay_alu instid0(SALU_CYCLE_1) | instskip(SKIP_1) | instid1(VALU_DEP_1)
	s_or_b32 exec_lo, exec_lo, s5
	v_mbcnt_lo_u32_b32 v2, -1, 0
	v_xor_b32_e32 v4, 16, v2
	v_xor_b32_e32 v5, 8, v2
	s_delay_alu instid0(VALU_DEP_2) | instskip(SKIP_1) | instid1(VALU_DEP_3)
	v_cmp_gt_i32_e32 vcc_lo, 32, v4
	v_cndmask_b32_e32 v4, v2, v4, vcc_lo
	v_cmp_gt_i32_e32 vcc_lo, 32, v5
	v_cndmask_b32_e32 v5, v2, v5, vcc_lo
	s_delay_alu instid0(VALU_DEP_1) | instskip(NEXT) | instid1(VALU_DEP_4)
	v_lshlrev_b32_e32 v5, 2, v5
	v_lshlrev_b32_e32 v4, 2, v4
	ds_bpermute_b32 v4, v4, v3
	s_waitcnt lgkmcnt(0)
	v_add_f32_e32 v3, v3, v4
	ds_bpermute_b32 v4, v5, v3
	v_xor_b32_e32 v5, 4, v2
	s_delay_alu instid0(VALU_DEP_1) | instskip(SKIP_1) | instid1(VALU_DEP_1)
	v_cmp_gt_i32_e32 vcc_lo, 32, v5
	v_cndmask_b32_e32 v5, v2, v5, vcc_lo
	v_lshlrev_b32_e32 v5, 2, v5
	s_waitcnt lgkmcnt(0)
	v_add_f32_e32 v3, v3, v4
	ds_bpermute_b32 v4, v5, v3
	v_xor_b32_e32 v5, 2, v2
	s_delay_alu instid0(VALU_DEP_1) | instskip(SKIP_1) | instid1(VALU_DEP_1)
	v_cmp_gt_i32_e32 vcc_lo, 32, v5
	v_cndmask_b32_e32 v5, v2, v5, vcc_lo
	v_lshlrev_b32_e32 v5, 2, v5
	s_waitcnt lgkmcnt(0)
	v_add_f32_e32 v3, v3, v4
	ds_bpermute_b32 v4, v5, v3
	v_xor_b32_e32 v5, 1, v2
	s_delay_alu instid0(VALU_DEP_1) | instskip(SKIP_3) | instid1(VALU_DEP_2)
	v_cmp_gt_i32_e32 vcc_lo, 32, v5
	v_cndmask_b32_e32 v5, v2, v5, vcc_lo
	v_cmp_eq_u32_e32 vcc_lo, 0, v0
	s_waitcnt lgkmcnt(0)
	v_dual_add_f32 v2, v3, v4 :: v_dual_lshlrev_b32 v3, 2, v5
	ds_bpermute_b32 v3, v3, v2
	s_and_b32 exec_lo, exec_lo, vcc_lo
	s_cbranch_execz .LBB278_7
; %bb.6:
	s_waitcnt lgkmcnt(0)
	v_add_f32_e32 v4, v2, v3
	v_mad_u64_u32 v[2:3], null, s8, s6, v[1:2]
	v_mov_b32_e32 v3, 0
	s_delay_alu instid0(VALU_DEP_3) | instskip(SKIP_1) | instid1(VALU_DEP_2)
	v_bfe_u32 v0, v4, 16, 1
	v_cmp_o_f32_e32 vcc_lo, v4, v4
	v_add3_u32 v0, v4, v0, 0x7fff
	s_delay_alu instid0(VALU_DEP_1) | instskip(SKIP_1) | instid1(VALU_DEP_2)
	v_lshrrev_b32_e32 v5, 16, v0
	v_lshlrev_b64 v[0:1], 1, v[2:3]
	v_cndmask_b32_e32 v2, 0x7fc0, v5, vcc_lo
	s_delay_alu instid0(VALU_DEP_2) | instskip(NEXT) | instid1(VALU_DEP_3)
	v_add_co_u32 v0, vcc_lo, s10, v0
	v_add_co_ci_u32_e32 v1, vcc_lo, s11, v1, vcc_lo
	global_store_b16 v[0:1], v2, off
.LBB278_7:
	s_nop 0
	s_sendmsg sendmsg(MSG_DEALLOC_VGPRS)
	s_endpgm
	.section	.rodata,"a",@progbits
	.p2align	6, 0x0
	.amdhsa_kernel _ZL9moe_vec_qIN3c108BFloat16ELi32ELi4E10block_q5_1Li2EXadL_ZL17vec_dot_q5_1_q8_1PKvPK10block_q8_1RKiEEEvS4_S4_PT_PS8_iiii
		.amdhsa_group_segment_fixed_size 0
		.amdhsa_private_segment_fixed_size 0
		.amdhsa_kernarg_size 304
		.amdhsa_user_sgpr_count 14
		.amdhsa_user_sgpr_dispatch_ptr 0
		.amdhsa_user_sgpr_queue_ptr 0
		.amdhsa_user_sgpr_kernarg_segment_ptr 1
		.amdhsa_user_sgpr_dispatch_id 0
		.amdhsa_user_sgpr_private_segment_size 0
		.amdhsa_wavefront_size32 1
		.amdhsa_uses_dynamic_stack 0
		.amdhsa_enable_private_segment 0
		.amdhsa_system_sgpr_workgroup_id_x 1
		.amdhsa_system_sgpr_workgroup_id_y 0
		.amdhsa_system_sgpr_workgroup_id_z 1
		.amdhsa_system_sgpr_workgroup_info 0
		.amdhsa_system_vgpr_workitem_id 1
		.amdhsa_next_free_vgpr 45
		.amdhsa_next_free_sgpr 20
		.amdhsa_reserve_vcc 1
		.amdhsa_float_round_mode_32 0
		.amdhsa_float_round_mode_16_64 0
		.amdhsa_float_denorm_mode_32 3
		.amdhsa_float_denorm_mode_16_64 3
		.amdhsa_dx10_clamp 1
		.amdhsa_ieee_mode 1
		.amdhsa_fp16_overflow 0
		.amdhsa_workgroup_processor_mode 1
		.amdhsa_memory_ordered 1
		.amdhsa_forward_progress 0
		.amdhsa_shared_vgpr_count 0
		.amdhsa_exception_fp_ieee_invalid_op 0
		.amdhsa_exception_fp_denorm_src 0
		.amdhsa_exception_fp_ieee_div_zero 0
		.amdhsa_exception_fp_ieee_overflow 0
		.amdhsa_exception_fp_ieee_underflow 0
		.amdhsa_exception_fp_ieee_inexact 0
		.amdhsa_exception_int_div_zero 0
	.end_amdhsa_kernel
	.section	.text._ZL9moe_vec_qIN3c108BFloat16ELi32ELi4E10block_q5_1Li2EXadL_ZL17vec_dot_q5_1_q8_1PKvPK10block_q8_1RKiEEEvS4_S4_PT_PS8_iiii,"axG",@progbits,_ZL9moe_vec_qIN3c108BFloat16ELi32ELi4E10block_q5_1Li2EXadL_ZL17vec_dot_q5_1_q8_1PKvPK10block_q8_1RKiEEEvS4_S4_PT_PS8_iiii,comdat
.Lfunc_end278:
	.size	_ZL9moe_vec_qIN3c108BFloat16ELi32ELi4E10block_q5_1Li2EXadL_ZL17vec_dot_q5_1_q8_1PKvPK10block_q8_1RKiEEEvS4_S4_PT_PS8_iiii, .Lfunc_end278-_ZL9moe_vec_qIN3c108BFloat16ELi32ELi4E10block_q5_1Li2EXadL_ZL17vec_dot_q5_1_q8_1PKvPK10block_q8_1RKiEEEvS4_S4_PT_PS8_iiii
                                        ; -- End function
	.section	.AMDGPU.csdata,"",@progbits
; Kernel info:
; codeLenInByte = 1452
; NumSgprs: 22
; NumVgprs: 45
; ScratchSize: 0
; MemoryBound: 0
; FloatMode: 240
; IeeeMode: 1
; LDSByteSize: 0 bytes/workgroup (compile time only)
; SGPRBlocks: 2
; VGPRBlocks: 5
; NumSGPRsForWavesPerEU: 22
; NumVGPRsForWavesPerEU: 45
; Occupancy: 16
; WaveLimiterHint : 1
; COMPUTE_PGM_RSRC2:SCRATCH_EN: 0
; COMPUTE_PGM_RSRC2:USER_SGPR: 14
; COMPUTE_PGM_RSRC2:TRAP_HANDLER: 0
; COMPUTE_PGM_RSRC2:TGID_X_EN: 1
; COMPUTE_PGM_RSRC2:TGID_Y_EN: 0
; COMPUTE_PGM_RSRC2:TGID_Z_EN: 1
; COMPUTE_PGM_RSRC2:TIDIG_COMP_CNT: 1
	.section	.text._ZL9moe_vec_qIN3c108BFloat16ELi32ELi8E10block_q8_0Li2EXadL_ZL17vec_dot_q8_0_q8_1PKvPK10block_q8_1RKiEEEvS4_S4_PT_PS8_iiii,"axG",@progbits,_ZL9moe_vec_qIN3c108BFloat16ELi32ELi8E10block_q8_0Li2EXadL_ZL17vec_dot_q8_0_q8_1PKvPK10block_q8_1RKiEEEvS4_S4_PT_PS8_iiii,comdat
	.globl	_ZL9moe_vec_qIN3c108BFloat16ELi32ELi8E10block_q8_0Li2EXadL_ZL17vec_dot_q8_0_q8_1PKvPK10block_q8_1RKiEEEvS4_S4_PT_PS8_iiii ; -- Begin function _ZL9moe_vec_qIN3c108BFloat16ELi32ELi8E10block_q8_0Li2EXadL_ZL17vec_dot_q8_0_q8_1PKvPK10block_q8_1RKiEEEvS4_S4_PT_PS8_iiii
	.p2align	8
	.type	_ZL9moe_vec_qIN3c108BFloat16ELi32ELi8E10block_q8_0Li2EXadL_ZL17vec_dot_q8_0_q8_1PKvPK10block_q8_1RKiEEEvS4_S4_PT_PS8_iiii,@function
_ZL9moe_vec_qIN3c108BFloat16ELi32ELi8E10block_q8_0Li2EXadL_ZL17vec_dot_q8_0_q8_1PKvPK10block_q8_1RKiEEEvS4_S4_PT_PS8_iiii: ; @_ZL9moe_vec_qIN3c108BFloat16ELi32ELi8E10block_q8_0Li2EXadL_ZL17vec_dot_q8_0_q8_1PKvPK10block_q8_1RKiEEEvS4_S4_PT_PS8_iiii
; %bb.0:
	s_clause 0x1
	s_load_b32 s2, s[0:1], 0x3c
	s_load_b128 s[4:7], s[0:1], 0x20
	v_bfe_u32 v3, v0, 10, 10
	s_waitcnt lgkmcnt(0)
	s_lshr_b32 s2, s2, 16
	s_delay_alu instid0(VALU_DEP_1) | instid1(SALU_CYCLE_1)
	v_mad_u64_u32 v[1:2], null, s14, s2, v[3:4]
	s_mov_b32 s2, exec_lo
	s_delay_alu instid0(VALU_DEP_1)
	v_cmpx_gt_u32_e64 s6, v1
	s_cbranch_execz .LBB279_7
; %bb.1:
	v_cvt_f32_u32_e32 v2, s4
	s_load_b64 s[10:11], s[0:1], 0x10
	s_ashr_i32 s2, s5, 31
	v_and_b32_e32 v0, 0x3ff, v0
	s_lshr_b32 s2, s2, 27
	v_rcp_iflag_f32_e32 v2, v2
	s_add_i32 s2, s5, s2
	s_mov_b32 s8, s15
	s_ashr_i32 s12, s2, 5
	s_mov_b32 s5, exec_lo
	s_waitcnt_depctr 0xfff
	v_mul_f32_e32 v3, 0x4f7ffffe, v2
	s_delay_alu instid0(VALU_DEP_1) | instskip(NEXT) | instid1(VALU_DEP_1)
	v_cvt_u32_f32_e32 v3, v3
	v_readfirstlane_b32 s2, v3
	v_mov_b32_e32 v3, 0
	v_lshrrev_b32_e32 v2, 2, v0
	s_delay_alu instid0(VALU_DEP_1)
	v_cmpx_gt_u32_e64 s12, v2
	s_cbranch_execz .LBB279_5
; %bb.2:
	s_load_b64 s[14:15], s[0:1], 0x18
	s_sub_i32 s3, 0, s4
	s_mov_b32 s9, 0
	s_mul_i32 s3, s3, s2
	s_lshl_b64 s[16:17], s[8:9], 2
	s_mul_hi_u32 s3, s2, s3
	v_lshlrev_b32_e32 v3, 3, v0
	s_add_i32 s13, s2, s3
	v_mul_lo_u32 v4, v1, s12
	s_mul_hi_u32 s13, s8, s13
	s_delay_alu instid0(VALU_DEP_2)
	v_and_b32_e32 v5, 24, v3
	v_mov_b32_e32 v3, 0
	s_waitcnt lgkmcnt(0)
	s_add_u32 s2, s14, s16
	s_addc_u32 s3, s15, s17
	s_mul_i32 s15, s13, s4
	s_load_b32 s14, s[2:3], 0x0
	s_load_b128 s[0:3], s[0:1], 0x0
	s_sub_i32 s17, s8, s15
	s_add_i32 s18, s13, 1
	s_sub_i32 s19, s17, s4
	s_cmp_ge_u32 s17, s4
	s_mul_i32 s16, s12, s6
	s_cselect_b32 s13, s18, s13
	s_cselect_b32 s17, s19, s17
	s_add_i32 s18, s13, 1
	s_cmp_ge_u32 s17, s4
	s_mov_b32 s15, s9
	s_cselect_b32 s4, s18, s13
	s_waitcnt lgkmcnt(0)
	s_mul_i32 s13, s16, s14
	s_mul_i32 s14, s4, s7
	;; [unrolled: 1-line block ×3, first 2 shown]
	s_mul_hi_i32 s7, s13, 34
	s_add_u32 s0, s0, s4
	s_addc_u32 s1, s1, s7
	s_lshl_b64 s[14:15], s[14:15], 2
	s_delay_alu instid0(SALU_CYCLE_1)
	s_add_u32 s2, s2, s14
	s_addc_u32 s3, s3, s15
	s_set_inst_prefetch_distance 0x1
	.p2align	6
.LBB279_3:                              ; =>This Inner Loop Header: Depth=1
	v_add_nc_u32_e32 v10, v4, v2
	v_mad_i64_i32 v[6:7], null, v2, 36, s[2:3]
	v_add_nc_u32_e32 v2, 8, v2
	s_delay_alu instid0(VALU_DEP_3) | instskip(NEXT) | instid1(VALU_DEP_3)
	v_mad_i64_i32 v[8:9], null, v10, 34, s[0:1]
	v_add_co_u32 v10, vcc_lo, v6, v5
	s_delay_alu instid0(VALU_DEP_4) | instskip(NEXT) | instid1(VALU_DEP_3)
	v_add_co_ci_u32_e32 v11, vcc_lo, 0, v7, vcc_lo
	v_add_co_u32 v12, vcc_lo, v8, v5
	s_delay_alu instid0(VALU_DEP_4)
	v_add_co_ci_u32_e32 v13, vcc_lo, 0, v9, vcc_lo
	v_cmp_le_u32_e32 vcc_lo, s12, v2
	global_load_b64 v[10:11], v[10:11], off offset:4
	global_load_b64 v[12:13], v[12:13], off offset:2
	global_load_b32 v6, v[6:7], off
	global_load_u16 v7, v[8:9], off
	s_or_b32 s9, vcc_lo, s9
	s_waitcnt vmcnt(2)
	v_perm_b32 v8, v10, v13, 0x6050004
	v_perm_b32 v9, v12, v11, 0x6050004
	;; [unrolled: 1-line block ×4, first 2 shown]
	s_waitcnt vmcnt(1)
	v_cvt_f32_f16_e32 v6, v6
	s_waitcnt vmcnt(0)
	v_cvt_f32_f16_e32 v7, v7
	v_dot4_i32_iu8 v8, v9, v8, 0 neg_lo:[1,1,0]
	s_delay_alu instid0(VALU_DEP_2) | instskip(NEXT) | instid1(VALU_DEP_2)
	v_mul_f32_e32 v6, v7, v6
	v_dot4_i32_iu8 v8, v11, v10, v8 neg_lo:[1,1,0]
	s_delay_alu instid0(VALU_DEP_1) | instskip(NEXT) | instid1(VALU_DEP_1)
	v_cvt_f32_i32_e32 v7, v8
	v_fmac_f32_e32 v3, v6, v7
	s_and_not1_b32 exec_lo, exec_lo, s9
	s_cbranch_execnz .LBB279_3
; %bb.4:
	s_set_inst_prefetch_distance 0x2
	s_or_b32 exec_lo, exec_lo, s9
.LBB279_5:
	s_delay_alu instid0(SALU_CYCLE_1) | instskip(SKIP_1) | instid1(VALU_DEP_1)
	s_or_b32 exec_lo, exec_lo, s5
	v_mbcnt_lo_u32_b32 v2, -1, 0
	v_xor_b32_e32 v4, 16, v2
	v_xor_b32_e32 v5, 8, v2
	s_delay_alu instid0(VALU_DEP_2) | instskip(SKIP_1) | instid1(VALU_DEP_3)
	v_cmp_gt_i32_e32 vcc_lo, 32, v4
	v_cndmask_b32_e32 v4, v2, v4, vcc_lo
	v_cmp_gt_i32_e32 vcc_lo, 32, v5
	v_cndmask_b32_e32 v5, v2, v5, vcc_lo
	s_delay_alu instid0(VALU_DEP_1) | instskip(NEXT) | instid1(VALU_DEP_4)
	v_lshlrev_b32_e32 v5, 2, v5
	v_lshlrev_b32_e32 v4, 2, v4
	ds_bpermute_b32 v4, v4, v3
	s_waitcnt lgkmcnt(0)
	v_add_f32_e32 v3, v3, v4
	ds_bpermute_b32 v4, v5, v3
	v_xor_b32_e32 v5, 4, v2
	s_delay_alu instid0(VALU_DEP_1) | instskip(SKIP_1) | instid1(VALU_DEP_1)
	v_cmp_gt_i32_e32 vcc_lo, 32, v5
	v_cndmask_b32_e32 v5, v2, v5, vcc_lo
	v_lshlrev_b32_e32 v5, 2, v5
	s_waitcnt lgkmcnt(0)
	v_add_f32_e32 v3, v3, v4
	ds_bpermute_b32 v4, v5, v3
	v_xor_b32_e32 v5, 2, v2
	s_delay_alu instid0(VALU_DEP_1) | instskip(SKIP_1) | instid1(VALU_DEP_1)
	v_cmp_gt_i32_e32 vcc_lo, 32, v5
	v_cndmask_b32_e32 v5, v2, v5, vcc_lo
	v_lshlrev_b32_e32 v5, 2, v5
	s_waitcnt lgkmcnt(0)
	v_add_f32_e32 v3, v3, v4
	ds_bpermute_b32 v4, v5, v3
	v_xor_b32_e32 v5, 1, v2
	s_delay_alu instid0(VALU_DEP_1) | instskip(SKIP_3) | instid1(VALU_DEP_2)
	v_cmp_gt_i32_e32 vcc_lo, 32, v5
	v_cndmask_b32_e32 v5, v2, v5, vcc_lo
	v_cmp_eq_u32_e32 vcc_lo, 0, v0
	s_waitcnt lgkmcnt(0)
	v_dual_add_f32 v2, v3, v4 :: v_dual_lshlrev_b32 v3, 2, v5
	ds_bpermute_b32 v3, v3, v2
	s_and_b32 exec_lo, exec_lo, vcc_lo
	s_cbranch_execz .LBB279_7
; %bb.6:
	s_waitcnt lgkmcnt(0)
	v_add_f32_e32 v4, v2, v3
	v_mad_u64_u32 v[2:3], null, s8, s6, v[1:2]
	v_mov_b32_e32 v3, 0
	s_delay_alu instid0(VALU_DEP_3) | instskip(SKIP_1) | instid1(VALU_DEP_2)
	v_bfe_u32 v0, v4, 16, 1
	v_cmp_o_f32_e32 vcc_lo, v4, v4
	v_add3_u32 v0, v4, v0, 0x7fff
	s_delay_alu instid0(VALU_DEP_1) | instskip(SKIP_1) | instid1(VALU_DEP_2)
	v_lshrrev_b32_e32 v5, 16, v0
	v_lshlrev_b64 v[0:1], 1, v[2:3]
	v_cndmask_b32_e32 v2, 0x7fc0, v5, vcc_lo
	s_delay_alu instid0(VALU_DEP_2) | instskip(NEXT) | instid1(VALU_DEP_3)
	v_add_co_u32 v0, vcc_lo, s10, v0
	v_add_co_ci_u32_e32 v1, vcc_lo, s11, v1, vcc_lo
	global_store_b16 v[0:1], v2, off
.LBB279_7:
	s_nop 0
	s_sendmsg sendmsg(MSG_DEALLOC_VGPRS)
	s_endpgm
	.section	.rodata,"a",@progbits
	.p2align	6, 0x0
	.amdhsa_kernel _ZL9moe_vec_qIN3c108BFloat16ELi32ELi8E10block_q8_0Li2EXadL_ZL17vec_dot_q8_0_q8_1PKvPK10block_q8_1RKiEEEvS4_S4_PT_PS8_iiii
		.amdhsa_group_segment_fixed_size 0
		.amdhsa_private_segment_fixed_size 0
		.amdhsa_kernarg_size 304
		.amdhsa_user_sgpr_count 14
		.amdhsa_user_sgpr_dispatch_ptr 0
		.amdhsa_user_sgpr_queue_ptr 0
		.amdhsa_user_sgpr_kernarg_segment_ptr 1
		.amdhsa_user_sgpr_dispatch_id 0
		.amdhsa_user_sgpr_private_segment_size 0
		.amdhsa_wavefront_size32 1
		.amdhsa_uses_dynamic_stack 0
		.amdhsa_enable_private_segment 0
		.amdhsa_system_sgpr_workgroup_id_x 1
		.amdhsa_system_sgpr_workgroup_id_y 0
		.amdhsa_system_sgpr_workgroup_id_z 1
		.amdhsa_system_sgpr_workgroup_info 0
		.amdhsa_system_vgpr_workitem_id 1
		.amdhsa_next_free_vgpr 14
		.amdhsa_next_free_sgpr 20
		.amdhsa_reserve_vcc 1
		.amdhsa_float_round_mode_32 0
		.amdhsa_float_round_mode_16_64 0
		.amdhsa_float_denorm_mode_32 3
		.amdhsa_float_denorm_mode_16_64 3
		.amdhsa_dx10_clamp 1
		.amdhsa_ieee_mode 1
		.amdhsa_fp16_overflow 0
		.amdhsa_workgroup_processor_mode 1
		.amdhsa_memory_ordered 1
		.amdhsa_forward_progress 0
		.amdhsa_shared_vgpr_count 0
		.amdhsa_exception_fp_ieee_invalid_op 0
		.amdhsa_exception_fp_denorm_src 0
		.amdhsa_exception_fp_ieee_div_zero 0
		.amdhsa_exception_fp_ieee_overflow 0
		.amdhsa_exception_fp_ieee_underflow 0
		.amdhsa_exception_fp_ieee_inexact 0
		.amdhsa_exception_int_div_zero 0
	.end_amdhsa_kernel
	.section	.text._ZL9moe_vec_qIN3c108BFloat16ELi32ELi8E10block_q8_0Li2EXadL_ZL17vec_dot_q8_0_q8_1PKvPK10block_q8_1RKiEEEvS4_S4_PT_PS8_iiii,"axG",@progbits,_ZL9moe_vec_qIN3c108BFloat16ELi32ELi8E10block_q8_0Li2EXadL_ZL17vec_dot_q8_0_q8_1PKvPK10block_q8_1RKiEEEvS4_S4_PT_PS8_iiii,comdat
.Lfunc_end279:
	.size	_ZL9moe_vec_qIN3c108BFloat16ELi32ELi8E10block_q8_0Li2EXadL_ZL17vec_dot_q8_0_q8_1PKvPK10block_q8_1RKiEEEvS4_S4_PT_PS8_iiii, .Lfunc_end279-_ZL9moe_vec_qIN3c108BFloat16ELi32ELi8E10block_q8_0Li2EXadL_ZL17vec_dot_q8_0_q8_1PKvPK10block_q8_1RKiEEEvS4_S4_PT_PS8_iiii
                                        ; -- End function
	.section	.AMDGPU.csdata,"",@progbits
; Kernel info:
; codeLenInByte = 876
; NumSgprs: 22
; NumVgprs: 14
; ScratchSize: 0
; MemoryBound: 0
; FloatMode: 240
; IeeeMode: 1
; LDSByteSize: 0 bytes/workgroup (compile time only)
; SGPRBlocks: 2
; VGPRBlocks: 1
; NumSGPRsForWavesPerEU: 22
; NumVGPRsForWavesPerEU: 14
; Occupancy: 16
; WaveLimiterHint : 1
; COMPUTE_PGM_RSRC2:SCRATCH_EN: 0
; COMPUTE_PGM_RSRC2:USER_SGPR: 14
; COMPUTE_PGM_RSRC2:TRAP_HANDLER: 0
; COMPUTE_PGM_RSRC2:TGID_X_EN: 1
; COMPUTE_PGM_RSRC2:TGID_Y_EN: 0
; COMPUTE_PGM_RSRC2:TGID_Z_EN: 1
; COMPUTE_PGM_RSRC2:TIDIG_COMP_CNT: 1
	.section	.text._ZL9moe_vec_qIN3c108BFloat16ELi256ELi16E10block_q2_KLi1EXadL_ZL17vec_dot_q2_K_q8_1PKvPK10block_q8_1RKiEEEvS4_S4_PT_PS8_iiii,"axG",@progbits,_ZL9moe_vec_qIN3c108BFloat16ELi256ELi16E10block_q2_KLi1EXadL_ZL17vec_dot_q2_K_q8_1PKvPK10block_q8_1RKiEEEvS4_S4_PT_PS8_iiii,comdat
	.globl	_ZL9moe_vec_qIN3c108BFloat16ELi256ELi16E10block_q2_KLi1EXadL_ZL17vec_dot_q2_K_q8_1PKvPK10block_q8_1RKiEEEvS4_S4_PT_PS8_iiii ; -- Begin function _ZL9moe_vec_qIN3c108BFloat16ELi256ELi16E10block_q2_KLi1EXadL_ZL17vec_dot_q2_K_q8_1PKvPK10block_q8_1RKiEEEvS4_S4_PT_PS8_iiii
	.p2align	8
	.type	_ZL9moe_vec_qIN3c108BFloat16ELi256ELi16E10block_q2_KLi1EXadL_ZL17vec_dot_q2_K_q8_1PKvPK10block_q8_1RKiEEEvS4_S4_PT_PS8_iiii,@function
_ZL9moe_vec_qIN3c108BFloat16ELi256ELi16E10block_q2_KLi1EXadL_ZL17vec_dot_q2_K_q8_1PKvPK10block_q8_1RKiEEEvS4_S4_PT_PS8_iiii: ; @_ZL9moe_vec_qIN3c108BFloat16ELi256ELi16E10block_q2_KLi1EXadL_ZL17vec_dot_q2_K_q8_1PKvPK10block_q8_1RKiEEEvS4_S4_PT_PS8_iiii
; %bb.0:
	s_clause 0x1
	s_load_b32 s2, s[0:1], 0x3c
	s_load_b128 s[4:7], s[0:1], 0x20
	v_bfe_u32 v3, v0, 10, 10
	s_waitcnt lgkmcnt(0)
	s_lshr_b32 s2, s2, 16
	s_delay_alu instid0(VALU_DEP_1) | instid1(SALU_CYCLE_1)
	v_mad_u64_u32 v[1:2], null, s14, s2, v[3:4]
	s_mov_b32 s2, exec_lo
	s_delay_alu instid0(VALU_DEP_1)
	v_cmpx_gt_u32_e64 s6, v1
	s_cbranch_execz .LBB280_7
; %bb.1:
	v_cvt_f32_u32_e32 v2, s4
	s_load_b64 s[10:11], s[0:1], 0x10
	v_dual_mov_b32 v3, 0 :: v_dual_and_b32 v0, 0x3ff, v0
	s_ashr_i32 s2, s5, 31
	s_delay_alu instid0(VALU_DEP_2) | instskip(SKIP_1) | instid1(VALU_DEP_1)
	v_rcp_iflag_f32_e32 v2, v2
	s_lshr_b32 s2, s2, 24
	v_lshrrev_b32_e32 v8, 4, v0
	s_add_i32 s2, s5, s2
	s_mov_b32 s8, s15
	s_ashr_i32 s12, s2, 8
	s_mov_b32 s5, exec_lo
	s_waitcnt_depctr 0xfff
	v_mul_f32_e32 v2, 0x4f7ffffe, v2
	s_delay_alu instid0(VALU_DEP_1) | instskip(NEXT) | instid1(VALU_DEP_1)
	v_cvt_u32_f32_e32 v2, v2
	v_readfirstlane_b32 s13, v2
	v_cmpx_gt_u32_e64 s12, v8
	s_cbranch_execz .LBB280_5
; %bb.2:
	s_clause 0x1
	s_load_b64 s[14:15], s[0:1], 0x18
	s_load_b128 s[0:3], s[0:1], 0x0
	s_sub_i32 s16, 0, s4
	s_mov_b32 s9, 0
	s_mul_i32 s16, s16, s13
	v_dual_mov_b32 v3, 0 :: v_dual_and_b32 v4, 15, v0
	s_mul_hi_u32 s19, s13, s16
	s_lshl_b64 s[16:17], s[8:9], 2
	s_add_i32 s13, s13, s19
	s_delay_alu instid0(VALU_DEP_1)
	v_cmp_lt_u32_e32 vcc_lo, 7, v4
	s_mul_hi_u32 s13, s8, s13
	v_add_nc_u32_e32 v5, -8, v4
	s_mul_i32 s18, s12, s6
	v_mul_lo_u32 v9, v1, s12
	v_cndmask_b32_e64 v2, 0, 1, vcc_lo
	v_cmp_gt_u32_e32 vcc_lo, 8, v4
	v_lshlrev_b32_e32 v11, 2, v4
	v_lshlrev_b32_e32 v12, 3, v8
	s_delay_alu instid0(VALU_DEP_4)
	v_lshlrev_b32_e32 v6, 2, v2
	s_waitcnt lgkmcnt(0)
	s_add_u32 s14, s14, s16
	s_addc_u32 s15, s15, s17
	s_mul_i32 s16, s13, s4
	s_load_b32 s14, s[14:15], 0x0
	s_sub_i32 s16, s8, s16
	s_add_i32 s17, s13, 1
	s_sub_i32 s19, s16, s4
	s_cmp_ge_u32 s16, s4
	v_cndmask_b32_e32 v2, v5, v4, vcc_lo
	s_cselect_b32 s13, s17, s13
	s_cselect_b32 s16, s19, s16
	s_add_i32 s17, s13, 1
	s_cmp_ge_u32 s16, s4
	s_mov_b32 s15, s9
	s_cselect_b32 s4, s17, s13
	v_sub_nc_u32_e32 v5, v4, v2
	v_cmp_lt_u32_e32 vcc_lo, 3, v2
	s_delay_alu instid0(VALU_DEP_2)
	v_add_co_ci_u32_e32 v10, vcc_lo, 0, v5, vcc_lo
	s_waitcnt lgkmcnt(0)
	s_mul_i32 s13, s18, s14
	s_mul_i32 s14, s4, s7
	;; [unrolled: 1-line block ×3, first 2 shown]
	s_mul_hi_i32 s7, s13, 0x54
	s_add_u32 s0, s0, s4
	s_addc_u32 s1, s1, s7
	s_lshl_b64 s[14:15], s[14:15], 2
	s_delay_alu instid0(SALU_CYCLE_1) | instskip(SKIP_1) | instid1(SALU_CYCLE_1)
	s_add_u32 s2, s2, s14
	s_addc_u32 s3, s3, s15
	v_mad_u64_u32 v[4:5], null, v6, 36, s[2:3]
	v_lshlrev_b64 v[6:7], 2, v[2:3]
	v_ashrrev_i32_e32 v2, 31, v10
.LBB280_3:                              ; =>This Inner Loop Header: Depth=1
	s_delay_alu instid0(VALU_DEP_3)
	v_mad_i64_i32 v[13:14], null, v12, 36, v[4:5]
	v_add_nc_u32_e32 v17, v9, v8
	v_add_nc_u32_e32 v8, 2, v8
	;; [unrolled: 1-line block ×3, first 2 shown]
	s_clause 0x2
	global_load_b32 v27, v[13:14], off
	global_load_b32 v28, v[13:14], off offset:36
	global_load_b32 v29, v[13:14], off offset:72
	v_mad_i64_i32 v[15:16], null, 0x54, v17, s[0:1]
	v_add_co_u32 v17, vcc_lo, v13, v6
	v_add_co_ci_u32_e32 v18, vcc_lo, v14, v7, vcc_lo
	v_add_co_u32 v21, vcc_lo, v13, 36
	v_add_co_ci_u32_e32 v22, vcc_lo, 0, v14, vcc_lo
	;; [unrolled: 2-line block ×5, first 2 shown]
	global_load_b32 v30, v[17:18], off offset:4
	v_add_co_u32 v17, vcc_lo, v21, v6
	v_add_co_ci_u32_e32 v18, vcc_lo, v22, v7, vcc_lo
	v_add_co_u32 v21, vcc_lo, v23, v6
	v_add_co_ci_u32_e32 v22, vcc_lo, v24, v7, vcc_lo
	;; [unrolled: 2-line block ×4, first 2 shown]
	s_clause 0x1
	global_load_b32 v19, v[19:20], off offset:16
	global_load_u8 v20, v[25:26], off
	global_load_b32 v17, v[17:18], off offset:4
	global_load_u8 v18, v[25:26], off offset:2
	global_load_b32 v21, v[21:22], off offset:4
	global_load_u8 v22, v[25:26], off offset:4
	global_load_b32 v23, v[23:24], off offset:4
	s_clause 0x1
	global_load_u8 v24, v[25:26], off offset:6
	global_load_b32 v15, v[15:16], off offset:80
	global_load_b32 v13, v[13:14], off offset:108
	v_cmp_le_u32_e32 vcc_lo, s12, v8
	s_or_b32 s9, vcc_lo, s9
	s_waitcnt vmcnt(10)
	v_bfe_i32 v25, v30, 16, 8
	v_ashrrev_i32_e32 v26, 24, v30
	v_bfe_i32 v14, v30, 0, 8
	v_bfe_i32 v16, v30, 8, 8
	v_perm_b32 v30, v30, v30, 0xc0c0201
	s_waitcnt vmcnt(9)
	v_bfe_u32 v33, v19, 16, 2
	v_bfe_u32 v34, v19, 24, 2
	s_waitcnt vmcnt(8)
	v_and_b32_e32 v35, 15, v20
	v_lshrrev_b32_e32 v20, 4, v20
	v_and_b32_e32 v31, 3, v19
	v_ashrrev_i32_e32 v36, 2, v19
	v_ashrrev_i32_e32 v42, 4, v19
	s_waitcnt vmcnt(6)
	v_and_b32_e32 v41, 15, v18
	v_lshrrev_b32_e32 v18, 4, v18
	v_mul_i32_i24_e32 v25, v25, v33
	v_mul_i32_i24_e32 v33, v26, v34
	v_mul_lo_u32 v34, 0x1010101, v20
	v_bfe_u32 v32, v19, 8, 2
	v_bfe_i32 v37, v17, 0, 8
	s_waitcnt vmcnt(5)
	v_bfe_i32 v45, v21, 16, 8
	v_ashrrev_i32_e32 v19, 6, v19
	v_mul_i32_i24_e32 v31, v14, v31
	v_mul_i32_i24_e32 v14, v20, v14
	v_and_b32_e32 v20, 3, v36
	v_bfe_u32 v59, v42, 16, 2
	s_waitcnt vmcnt(4)
	v_and_b32_e32 v47, 15, v22
	v_lshrrev_b32_e32 v22, 4, v22
	v_mul_lo_u32 v56, 0x1010101, v18
	v_ashrrev_i32_e32 v40, 24, v17
	v_bfe_i32 v43, v21, 0, 8
	s_waitcnt vmcnt(3)
	v_bfe_i32 v50, v23, 16, 8
	v_bfe_u32 v54, v36, 8, 2
	v_bfe_u32 v55, v36, 16, 2
	;; [unrolled: 1-line block ×3, first 2 shown]
	v_mul_i32_i24_e32 v18, v18, v37
	v_and_b32_e32 v57, 3, v42
	v_bfe_u32 v63, v19, 16, 2
	v_mul_i32_i24_e32 v20, v37, v20
	v_mul_i32_i24_e32 v37, v45, v59
	v_lshrrev_b32_e32 v45, 24, v34
	v_perm_b32 v34, v34, v34, 0xc0c0201
	v_bfe_i32 v38, v17, 8, 8
	v_bfe_i32 v39, v17, 16, 8
	s_waitcnt vmcnt(2)
	v_and_b32_e32 v52, 15, v24
	v_lshrrev_b32_e32 v24, 4, v24
	v_mul_lo_u32 v60, 0x1010101, v22
	v_mad_i32_i24 v16, v16, v32, v31
	v_perm_b32 v17, v17, v17, 0xc0c0201
	v_ashrrev_i32_e32 v46, 24, v21
	v_bfe_i32 v48, v23, 0, 8
	v_bfe_u32 v58, v42, 8, 2
	v_bfe_u32 v42, v42, 24, 2
	v_mul_i32_i24_e32 v22, v22, v43
	v_and_b32_e32 v61, 3, v19
	v_mul_i32_i24_e32 v32, v40, v36
	v_mul_i32_i24_e32 v36, v43, v57
	;; [unrolled: 1-line block ×3, first 2 shown]
	v_perm_b32 v50, v56, v56, 0xc0c0201
	v_dot4_i32_iu8 v14, v34, v30, v14 neg_lo:[1,1,0]
	v_bfe_i32 v44, v21, 8, 8
	v_mul_lo_u32 v64, 0x1010101, v24
	v_mul_i32_i24_e32 v31, v39, v55
	v_add3_u32 v16, v16, v25, v33
	v_mad_i32_i24 v20, v38, v54, v20
	v_perm_b32 v21, v21, v21, 0xc0c0201
	v_mul_i32_i24_e32 v24, v24, v48
	v_mul_i32_i24_e32 v39, v46, v42
	;; [unrolled: 1-line block ×3, first 2 shown]
	v_lshrrev_b32_e32 v48, 24, v56
	v_perm_b32 v56, v60, v60, 0xc0c0201
	v_dot4_i32_iu8 v17, v50, v17, v18 neg_lo:[1,1,0]
	v_mad_i32_i24 v14, v45, v26, v14
	v_bfe_i32 v49, v23, 8, 8
	v_ashrrev_i32_e32 v51, 24, v23
	v_bfe_u32 v62, v19, 8, 2
	v_bfe_u32 v19, v19, 24, 2
	v_mad_i32_i24 v25, v44, v58, v36
	v_mul_lo_u32 v16, v35, v16
	v_add3_u32 v20, v20, v31, v32
	v_perm_b32 v23, v23, v23, 0xc0c0201
	v_lshrrev_b32_e32 v55, 24, v60
	v_perm_b32 v59, v64, v64, 0xc0c0201
	v_dot4_i32_iu8 v18, v56, v21, v22 neg_lo:[1,1,0]
	v_mad_i32_i24 v17, v48, v40, v17
	v_cvt_f32_i32_e32 v14, v14
	v_mul_i32_i24_e32 v19, v51, v19
	v_mad_i32_i24 v33, v49, v62, v42
	v_add3_u32 v22, v25, v37, v39
	v_mul_lo_u32 v20, v41, v20
	v_lshrrev_b32_e32 v57, 24, v64
	v_dot4_i32_iu8 v21, v59, v23, v24 neg_lo:[1,1,0]
	v_mad_i32_i24 v18, v55, v46, v18
	v_cvt_f32_i32_e32 v16, v16
	v_cvt_f32_i32_e32 v17, v17
	v_fma_mix_f32 v14, v27, v14, 0 op_sel_hi:[1,0,0]
	v_add3_u32 v19, v33, v43, v19
	v_mul_lo_u32 v22, v47, v22
	v_mad_i32_i24 v21, v57, v51, v21
	v_cvt_f32_i32_e32 v18, v18
	v_fma_mix_f32 v16, v27, v16, 0 op_sel_hi:[1,0,0]
	v_cvt_f32_i32_e32 v20, v20
	v_fma_mix_f32 v14, v28, v17, v14 op_sel_hi:[1,0,0]
	v_mul_lo_u32 v17, v52, v19
	s_waitcnt vmcnt(1)
	v_lshrrev_b32_e32 v53, 16, v15
	v_cvt_f32_i32_e32 v19, v21
	v_cvt_f32_i32_e32 v21, v22
	v_fma_mix_f32 v16, v28, v20, v16 op_sel_hi:[1,0,0]
	v_fma_mix_f32 v14, v29, v18, v14 op_sel_hi:[1,0,0]
	v_cvt_f32_f16_e32 v18, v53
	v_cvt_f32_i32_e32 v17, v17
	s_delay_alu instid0(VALU_DEP_4) | instskip(SKIP_2) | instid1(VALU_DEP_2)
	v_fma_mix_f32 v16, v29, v21, v16 op_sel_hi:[1,0,0]
	s_waitcnt vmcnt(0)
	v_fma_mix_f32 v14, v13, v19, v14 op_sel_hi:[1,0,0]
	v_fma_mix_f32 v13, v13, v17, v16 op_sel_hi:[1,0,0]
	s_delay_alu instid0(VALU_DEP_2) | instskip(NEXT) | instid1(VALU_DEP_1)
	v_mul_f32_e32 v14, v14, v18
	v_fma_mix_f32 v13, v13, v15, -v14 op_sel_hi:[0,1,0]
	s_delay_alu instid0(VALU_DEP_1)
	v_add_f32_e32 v3, v3, v13
	s_and_not1_b32 exec_lo, exec_lo, s9
	s_cbranch_execnz .LBB280_3
; %bb.4:
	s_or_b32 exec_lo, exec_lo, s9
.LBB280_5:
	s_delay_alu instid0(SALU_CYCLE_1) | instskip(SKIP_1) | instid1(VALU_DEP_1)
	s_or_b32 exec_lo, exec_lo, s5
	v_mbcnt_lo_u32_b32 v2, -1, 0
	v_xor_b32_e32 v4, 16, v2
	v_xor_b32_e32 v5, 8, v2
	s_delay_alu instid0(VALU_DEP_2) | instskip(SKIP_1) | instid1(VALU_DEP_3)
	v_cmp_gt_i32_e32 vcc_lo, 32, v4
	v_cndmask_b32_e32 v4, v2, v4, vcc_lo
	v_cmp_gt_i32_e32 vcc_lo, 32, v5
	v_cndmask_b32_e32 v5, v2, v5, vcc_lo
	s_delay_alu instid0(VALU_DEP_1) | instskip(NEXT) | instid1(VALU_DEP_4)
	v_lshlrev_b32_e32 v5, 2, v5
	v_lshlrev_b32_e32 v4, 2, v4
	ds_bpermute_b32 v4, v4, v3
	s_waitcnt lgkmcnt(0)
	v_add_f32_e32 v3, v3, v4
	ds_bpermute_b32 v4, v5, v3
	v_xor_b32_e32 v5, 4, v2
	s_delay_alu instid0(VALU_DEP_1) | instskip(SKIP_1) | instid1(VALU_DEP_1)
	v_cmp_gt_i32_e32 vcc_lo, 32, v5
	v_cndmask_b32_e32 v5, v2, v5, vcc_lo
	v_lshlrev_b32_e32 v5, 2, v5
	s_waitcnt lgkmcnt(0)
	v_add_f32_e32 v3, v3, v4
	ds_bpermute_b32 v4, v5, v3
	v_xor_b32_e32 v5, 2, v2
	s_delay_alu instid0(VALU_DEP_1) | instskip(SKIP_1) | instid1(VALU_DEP_1)
	v_cmp_gt_i32_e32 vcc_lo, 32, v5
	v_cndmask_b32_e32 v5, v2, v5, vcc_lo
	v_lshlrev_b32_e32 v5, 2, v5
	s_waitcnt lgkmcnt(0)
	v_add_f32_e32 v3, v3, v4
	ds_bpermute_b32 v4, v5, v3
	v_xor_b32_e32 v5, 1, v2
	s_delay_alu instid0(VALU_DEP_1) | instskip(SKIP_3) | instid1(VALU_DEP_2)
	v_cmp_gt_i32_e32 vcc_lo, 32, v5
	v_cndmask_b32_e32 v5, v2, v5, vcc_lo
	v_cmp_eq_u32_e32 vcc_lo, 0, v0
	s_waitcnt lgkmcnt(0)
	v_dual_add_f32 v2, v3, v4 :: v_dual_lshlrev_b32 v3, 2, v5
	ds_bpermute_b32 v3, v3, v2
	s_and_b32 exec_lo, exec_lo, vcc_lo
	s_cbranch_execz .LBB280_7
; %bb.6:
	s_waitcnt lgkmcnt(0)
	v_add_f32_e32 v4, v2, v3
	v_mad_u64_u32 v[2:3], null, s8, s6, v[1:2]
	v_mov_b32_e32 v3, 0
	s_delay_alu instid0(VALU_DEP_3) | instskip(SKIP_1) | instid1(VALU_DEP_2)
	v_bfe_u32 v0, v4, 16, 1
	v_cmp_o_f32_e32 vcc_lo, v4, v4
	v_add3_u32 v0, v4, v0, 0x7fff
	s_delay_alu instid0(VALU_DEP_1) | instskip(SKIP_1) | instid1(VALU_DEP_2)
	v_lshrrev_b32_e32 v5, 16, v0
	v_lshlrev_b64 v[0:1], 1, v[2:3]
	v_cndmask_b32_e32 v2, 0x7fc0, v5, vcc_lo
	s_delay_alu instid0(VALU_DEP_2) | instskip(NEXT) | instid1(VALU_DEP_3)
	v_add_co_u32 v0, vcc_lo, s10, v0
	v_add_co_ci_u32_e32 v1, vcc_lo, s11, v1, vcc_lo
	global_store_b16 v[0:1], v2, off
.LBB280_7:
	s_nop 0
	s_sendmsg sendmsg(MSG_DEALLOC_VGPRS)
	s_endpgm
	.section	.rodata,"a",@progbits
	.p2align	6, 0x0
	.amdhsa_kernel _ZL9moe_vec_qIN3c108BFloat16ELi256ELi16E10block_q2_KLi1EXadL_ZL17vec_dot_q2_K_q8_1PKvPK10block_q8_1RKiEEEvS4_S4_PT_PS8_iiii
		.amdhsa_group_segment_fixed_size 0
		.amdhsa_private_segment_fixed_size 0
		.amdhsa_kernarg_size 304
		.amdhsa_user_sgpr_count 14
		.amdhsa_user_sgpr_dispatch_ptr 0
		.amdhsa_user_sgpr_queue_ptr 0
		.amdhsa_user_sgpr_kernarg_segment_ptr 1
		.amdhsa_user_sgpr_dispatch_id 0
		.amdhsa_user_sgpr_private_segment_size 0
		.amdhsa_wavefront_size32 1
		.amdhsa_uses_dynamic_stack 0
		.amdhsa_enable_private_segment 0
		.amdhsa_system_sgpr_workgroup_id_x 1
		.amdhsa_system_sgpr_workgroup_id_y 0
		.amdhsa_system_sgpr_workgroup_id_z 1
		.amdhsa_system_sgpr_workgroup_info 0
		.amdhsa_system_vgpr_workitem_id 1
		.amdhsa_next_free_vgpr 65
		.amdhsa_next_free_sgpr 20
		.amdhsa_reserve_vcc 1
		.amdhsa_float_round_mode_32 0
		.amdhsa_float_round_mode_16_64 0
		.amdhsa_float_denorm_mode_32 3
		.amdhsa_float_denorm_mode_16_64 3
		.amdhsa_dx10_clamp 1
		.amdhsa_ieee_mode 1
		.amdhsa_fp16_overflow 0
		.amdhsa_workgroup_processor_mode 1
		.amdhsa_memory_ordered 1
		.amdhsa_forward_progress 0
		.amdhsa_shared_vgpr_count 0
		.amdhsa_exception_fp_ieee_invalid_op 0
		.amdhsa_exception_fp_denorm_src 0
		.amdhsa_exception_fp_ieee_div_zero 0
		.amdhsa_exception_fp_ieee_overflow 0
		.amdhsa_exception_fp_ieee_underflow 0
		.amdhsa_exception_fp_ieee_inexact 0
		.amdhsa_exception_int_div_zero 0
	.end_amdhsa_kernel
	.section	.text._ZL9moe_vec_qIN3c108BFloat16ELi256ELi16E10block_q2_KLi1EXadL_ZL17vec_dot_q2_K_q8_1PKvPK10block_q8_1RKiEEEvS4_S4_PT_PS8_iiii,"axG",@progbits,_ZL9moe_vec_qIN3c108BFloat16ELi256ELi16E10block_q2_KLi1EXadL_ZL17vec_dot_q2_K_q8_1PKvPK10block_q8_1RKiEEEvS4_S4_PT_PS8_iiii,comdat
.Lfunc_end280:
	.size	_ZL9moe_vec_qIN3c108BFloat16ELi256ELi16E10block_q2_KLi1EXadL_ZL17vec_dot_q2_K_q8_1PKvPK10block_q8_1RKiEEEvS4_S4_PT_PS8_iiii, .Lfunc_end280-_ZL9moe_vec_qIN3c108BFloat16ELi256ELi16E10block_q2_KLi1EXadL_ZL17vec_dot_q2_K_q8_1PKvPK10block_q8_1RKiEEEvS4_S4_PT_PS8_iiii
                                        ; -- End function
	.section	.AMDGPU.csdata,"",@progbits
; Kernel info:
; codeLenInByte = 1856
; NumSgprs: 22
; NumVgprs: 65
; ScratchSize: 0
; MemoryBound: 0
; FloatMode: 240
; IeeeMode: 1
; LDSByteSize: 0 bytes/workgroup (compile time only)
; SGPRBlocks: 2
; VGPRBlocks: 8
; NumSGPRsForWavesPerEU: 22
; NumVGPRsForWavesPerEU: 65
; Occupancy: 16
; WaveLimiterHint : 1
; COMPUTE_PGM_RSRC2:SCRATCH_EN: 0
; COMPUTE_PGM_RSRC2:USER_SGPR: 14
; COMPUTE_PGM_RSRC2:TRAP_HANDLER: 0
; COMPUTE_PGM_RSRC2:TGID_X_EN: 1
; COMPUTE_PGM_RSRC2:TGID_Y_EN: 0
; COMPUTE_PGM_RSRC2:TGID_Z_EN: 1
; COMPUTE_PGM_RSRC2:TIDIG_COMP_CNT: 1
	.section	.text._ZL9moe_vec_qIN3c108BFloat16ELi256ELi16E10block_q3_KLi1EXadL_ZL17vec_dot_q3_K_q8_1PKvPK10block_q8_1RKiEEEvS4_S4_PT_PS8_iiii,"axG",@progbits,_ZL9moe_vec_qIN3c108BFloat16ELi256ELi16E10block_q3_KLi1EXadL_ZL17vec_dot_q3_K_q8_1PKvPK10block_q8_1RKiEEEvS4_S4_PT_PS8_iiii,comdat
	.globl	_ZL9moe_vec_qIN3c108BFloat16ELi256ELi16E10block_q3_KLi1EXadL_ZL17vec_dot_q3_K_q8_1PKvPK10block_q8_1RKiEEEvS4_S4_PT_PS8_iiii ; -- Begin function _ZL9moe_vec_qIN3c108BFloat16ELi256ELi16E10block_q3_KLi1EXadL_ZL17vec_dot_q3_K_q8_1PKvPK10block_q8_1RKiEEEvS4_S4_PT_PS8_iiii
	.p2align	8
	.type	_ZL9moe_vec_qIN3c108BFloat16ELi256ELi16E10block_q3_KLi1EXadL_ZL17vec_dot_q3_K_q8_1PKvPK10block_q8_1RKiEEEvS4_S4_PT_PS8_iiii,@function
_ZL9moe_vec_qIN3c108BFloat16ELi256ELi16E10block_q3_KLi1EXadL_ZL17vec_dot_q3_K_q8_1PKvPK10block_q8_1RKiEEEvS4_S4_PT_PS8_iiii: ; @_ZL9moe_vec_qIN3c108BFloat16ELi256ELi16E10block_q3_KLi1EXadL_ZL17vec_dot_q3_K_q8_1PKvPK10block_q8_1RKiEEEvS4_S4_PT_PS8_iiii
; %bb.0:
	s_clause 0x1
	s_load_b32 s2, s[0:1], 0x3c
	s_load_b128 s[4:7], s[0:1], 0x20
	v_bfe_u32 v3, v0, 10, 10
	s_waitcnt lgkmcnt(0)
	s_lshr_b32 s2, s2, 16
	s_delay_alu instid0(VALU_DEP_1) | instid1(SALU_CYCLE_1)
	v_mad_u64_u32 v[1:2], null, s14, s2, v[3:4]
	s_mov_b32 s2, exec_lo
	s_delay_alu instid0(VALU_DEP_1)
	v_cmpx_gt_u32_e64 s6, v1
	s_cbranch_execz .LBB281_7
; %bb.1:
	v_cvt_f32_u32_e32 v2, s4
	s_load_b64 s[10:11], s[0:1], 0x10
	v_dual_mov_b32 v3, 0 :: v_dual_and_b32 v0, 0x3ff, v0
	s_ashr_i32 s2, s5, 31
	s_delay_alu instid0(VALU_DEP_2) | instskip(SKIP_1) | instid1(VALU_DEP_1)
	v_rcp_iflag_f32_e32 v2, v2
	s_lshr_b32 s2, s2, 24
	v_lshrrev_b32_e32 v8, 4, v0
	s_add_i32 s2, s5, s2
	s_mov_b32 s8, s15
	s_ashr_i32 s12, s2, 8
	s_mov_b32 s5, exec_lo
	s_waitcnt_depctr 0xfff
	v_mul_f32_e32 v2, 0x4f7ffffe, v2
	s_delay_alu instid0(VALU_DEP_1) | instskip(NEXT) | instid1(VALU_DEP_1)
	v_cvt_u32_f32_e32 v2, v2
	v_readfirstlane_b32 s13, v2
	v_cmpx_gt_u32_e64 s12, v8
	s_cbranch_execz .LBB281_5
; %bb.2:
	v_and_b32_e32 v3, 15, v0
	s_load_b64 s[14:15], s[0:1], 0x18
	s_sub_i32 s16, 0, s4
	s_mov_b32 s9, 0
	s_mul_i32 s16, s16, s13
	v_add_nc_u32_e32 v2, -8, v3
	v_cmp_gt_u32_e32 vcc_lo, 8, v3
	v_lshlrev_b32_e32 v11, 2, v3
	s_mul_hi_u32 s19, s13, s16
	s_lshl_b64 s[16:17], s[8:9], 2
	s_add_i32 s13, s13, s19
	v_cndmask_b32_e32 v2, v2, v3, vcc_lo
	s_load_b128 s[0:3], s[0:1], 0x0
	s_mul_hi_u32 s13, s8, s13
	s_mul_i32 s18, s12, s6
	v_mul_lo_u32 v9, v1, s12
	v_sub_nc_u32_e32 v4, v3, v2
	v_cmp_lt_u32_e32 vcc_lo, 3, v2
	v_lshlrev_b32_e32 v35, 3, v8
	s_waitcnt lgkmcnt(0)
	s_add_u32 s14, s14, s16
	v_add_co_ci_u32_e32 v6, vcc_lo, 0, v4, vcc_lo
	v_cmp_lt_u32_e32 vcc_lo, 7, v3
	v_mov_b32_e32 v3, 0
	s_addc_u32 s15, s15, s17
	s_delay_alu instid0(VALU_DEP_3)
	v_bfe_i32 v4, v6, 0, 8
	v_add_nc_u16 v7, v6, 2
	v_cndmask_b32_e64 v5, 0, 1, vcc_lo
	v_add_nc_u16 v26, v6, 4
	s_load_b32 s14, s[14:15], 0x0
	v_lshrrev_b16 v4, 7, v4
	v_bfe_i32 v13, v7, 0, 8
	s_mul_i32 s16, s13, s4
	v_bfe_i32 v18, v26, 0, 8
	s_sub_i32 s16, s8, s16
	v_and_b32_e32 v4, 0xff, v4
	s_add_i32 s17, s13, 1
	s_sub_i32 s19, s16, s4
	v_lshrrev_b16 v18, 7, v18
	s_cmp_ge_u32 s16, s4
	v_lshrrev_b16 v10, 5, v4
	v_lshrrev_b16 v4, 6, v4
	s_cselect_b32 s13, s17, s13
	v_and_b32_e32 v21, 0xff, v18
	s_cselect_b32 s16, s19, s16
	v_add_nc_u16 v12, v6, v10
	v_lshlrev_b32_e32 v10, 2, v5
	v_lshrrev_b16 v5, 7, v13
	v_lshrrev_b16 v22, 5, v21
	;; [unrolled: 1-line block ×3, first 2 shown]
	v_bfe_i32 v14, v12, 0, 8
	s_add_i32 s17, s13, 1
	v_and_b32_e32 v15, 0xff, v5
	v_add_nc_u16 v22, v26, v22
	s_cmp_ge_u32 s16, s4
	v_lshrrev_b16 v13, 3, v14
	v_add_nc_u16 v14, v6, v4
	v_and_b32_e32 v4, 0xf8, v12
	v_lshrrev_b16 v17, 5, v15
	v_bfe_i32 v25, v22, 0, 8
	v_and_b32_e32 v12, 0xff, v13
	v_bfe_i32 v13, v14, 0, 8
	v_sub_nc_u16 v16, v6, v4
	v_lshlrev_b64 v[4:5], 2, v[2:3]
	v_and_b32_e32 v14, 0xfc, v14
	v_lshlrev_b32_e32 v2, 2, v12
	v_ashrrev_i16 v13, 2, v13
	v_bfe_i32 v12, v16, 0, 8
	v_add_nc_u16 v16, v7, v17
	v_sub_nc_u16 v20, v6, v14
	v_add_nc_u16 v6, v6, 6
	v_bfe_i32 v17, v13, 0, 16
	v_and_b32_e32 v22, 0xf8, v22
	v_bfe_i32 v19, v16, 0, 8
	v_and_b32_e32 v16, 0xf8, v16
	v_bfe_i32 v24, v6, 0, 8
	v_lshlrev_b32_e32 v14, 1, v17
	v_lshrrev_b16 v17, 6, v15
	v_lshrrev_b16 v19, 3, v19
	v_bfe_i32 v15, v20, 0, 8
	v_lshrrev_b16 v24, 7, v24
	v_sub_nc_u16 v18, v7, v16
	v_add_nc_u16 v20, v7, v17
	v_and_b32_e32 v17, 0xff, v19
	s_cselect_b32 s4, s17, s13
	v_and_b32_e32 v27, 0xff, v24
	v_sub_nc_u16 v24, v26, v22
	v_bfe_i32 v19, v20, 0, 8
	v_and_b32_e32 v20, 0xfc, v20
	s_waitcnt lgkmcnt(0)
	s_mul_i32 s13, s18, s14
	v_lshrrev_b16 v29, 5, v27
	v_lshrrev_b16 v27, 6, v27
	v_ashrrev_i16 v23, 2, v19
	v_sub_nc_u16 v7, v7, v20
	s_mul_i32 s14, s4, s7
	s_mul_hi_i32 s4, s13, 0x6e
	v_add_nc_u16 v27, v6, v27
	v_bfe_i32 v23, v23, 0, 16
	s_mulk_i32 s13, 0x6e
	s_mov_b32 s15, s9
	s_add_u32 s0, s0, s13
	v_and_b32_e32 v31, 0xfc, v27
	v_lshlrev_b32_e32 v20, 1, v23
	v_lshrrev_b16 v23, 3, v25
	v_add_nc_u16 v25, v26, v21
	v_bfe_i32 v21, v7, 0, 8
	s_addc_u32 s1, s1, s4
	s_lshl_b64 s[14:15], s[14:15], 2
	v_and_b32_e32 v7, 0xff, v23
	v_bfe_i32 v28, v25, 0, 8
	s_add_u32 s2, s2, s14
	s_addc_u32 s3, s3, s15
	v_bfe_i32 v18, v18, 0, 8
	v_lshlrev_b32_e32 v23, 2, v7
	v_lshrrev_b16 v7, 2, v28
	v_add_nc_u16 v28, v6, v29
	v_and_b32_e32 v29, 0xfc, v25
	v_bfe_i32 v24, v24, 0, 8
	v_ashrrev_i32_e32 v13, 31, v12
	v_and_b32_e32 v7, 0xff, v7
	v_bfe_i32 v30, v28, 0, 8
	v_sub_nc_u16 v29, v26, v29
	v_and_b32_e32 v28, 0xf8, v28
	v_ashrrev_i32_e32 v16, 31, v15
	v_lshlrev_b32_e32 v26, 1, v7
	v_lshrrev_b16 v7, 3, v30
	v_bfe_i32 v30, v27, 0, 8
	v_sub_nc_u16 v28, v6, v28
	v_sub_nc_u16 v6, v6, v31
	v_bfe_i32 v27, v29, 0, 8
	v_and_b32_e32 v7, 0xff, v7
	v_lshrrev_b16 v32, 2, v30
	v_bfe_i32 v28, v28, 0, 8
	v_bfe_i32 v31, v6, 0, 8
	v_lshlrev_b32_e32 v17, 2, v17
	v_lshlrev_b32_e32 v30, 2, v7
	v_and_b32_e32 v33, 0xff, v32
	v_mad_u64_u32 v[6:7], null, v10, 36, s[2:3]
	v_ashrrev_i32_e32 v19, 31, v18
	v_ashrrev_i32_e32 v22, 31, v21
	;; [unrolled: 1-line block ×5, first 2 shown]
	v_lshlrev_b32_e32 v33, 1, v33
	v_ashrrev_i32_e32 v34, 31, v31
.LBB281_3:                              ; =>This Inner Loop Header: Depth=1
	v_mad_i64_i32 v[36:37], null, v35, 36, v[6:7]
	v_add_nc_u32_e32 v40, v9, v8
	v_add_nc_u32_e32 v8, 2, v8
	;; [unrolled: 1-line block ×3, first 2 shown]
	s_delay_alu instid0(VALU_DEP_3)
	v_mad_i64_i32 v[38:39], null, 0x6e, v40, s[0:1]
	v_add_co_u32 v40, vcc_lo, v36, v4
	v_add_co_ci_u32_e32 v41, vcc_lo, v37, v5, vcc_lo
	v_add_co_u32 v46, vcc_lo, v36, 36
	v_add_co_ci_u32_e32 v47, vcc_lo, 0, v37, vcc_lo
	;; [unrolled: 2-line block ×6, first 2 shown]
	global_load_b32 v65, v[40:41], off offset:4
	v_add_co_u32 v40, vcc_lo, v46, v4
	v_add_co_ci_u32_e32 v41, vcc_lo, v47, v5, vcc_lo
	v_add_co_u32 v46, vcc_lo, v48, v4
	v_add_co_ci_u32_e32 v47, vcc_lo, v49, v5, vcc_lo
	;; [unrolled: 2-line block ×9, first 2 shown]
	global_load_u16 v64, v[38:39], off offset:108
	v_add_co_u32 v38, vcc_lo, v38, v31
	v_add_co_ci_u32_e32 v39, vcc_lo, v39, v34, vcc_lo
	s_clause 0x5
	global_load_b32 v44, v[44:45], off
	global_load_u8 v45, v[48:49], off offset:96
	global_load_u8 v48, v[50:51], off offset:104
	global_load_b32 v42, v[42:43], off offset:32
	global_load_u8 v43, v[52:53], off offset:96
	global_load_u8 v49, v[54:55], off offset:104
	global_load_b32 v40, v[40:41], off offset:4
	s_clause 0x3
	global_load_u8 v41, v[56:57], off offset:96
	global_load_u8 v50, v[58:59], off offset:104
	global_load_u8 v51, v[60:61], off offset:96
	global_load_u8 v52, v[38:39], off offset:104
	global_load_b32 v46, v[46:47], off offset:4
	v_add_co_u32 v38, vcc_lo, v62, v4
	v_add_co_ci_u32_e32 v39, vcc_lo, v63, v5, vcc_lo
	s_clause 0x4
	global_load_b32 v38, v[38:39], off offset:4
	global_load_b32 v39, v[36:37], off
	global_load_b32 v47, v[36:37], off offset:36
	global_load_b32 v53, v[36:37], off offset:72
	;; [unrolled: 1-line block ×3, first 2 shown]
	v_cmp_le_u32_e32 vcc_lo, s12, v8
	s_or_b32 s9, vcc_lo, s9
	s_waitcnt vmcnt(18)
	v_perm_b32 v37, v65, v65, 0x30201
	s_waitcnt vmcnt(16)
	v_ashrrev_i32_e32 v44, v10, v44
	s_waitcnt vmcnt(15)
	v_bfe_u32 v45, v45, v2, 4
	s_waitcnt vmcnt(14)
	v_lshrrev_b32_e32 v48, v14, v48
	s_waitcnt vmcnt(13)
	v_lshrrev_b32_e32 v57, 4, v42
	v_and_b32_e32 v54, 0x3030303, v42
	v_not_b32_e32 v44, v44
	s_waitcnt vmcnt(11)
	v_lshrrev_b32_e32 v49, v20, v49
	v_lshlrev_b32_e32 v48, 4, v48
	s_waitcnt vmcnt(8)
	v_lshrrev_b32_e32 v50, v26, v50
	v_lshrrev_b32_e32 v56, 2, v42
	v_bfe_u32 v41, v41, v23, 4
	s_waitcnt vmcnt(6)
	v_lshrrev_b32_e32 v52, v33, v52
	v_and_or_b32 v45, v48, 48, v45
	v_lshlrev_b32_e32 v48, 2, v44
	v_lshrrev_b32_e32 v58, 6, v42
	v_lshlrev_b32_e32 v50, 4, v50
	v_and_b32_e32 v62, 0x3030303, v57
	v_lshlrev_b32_e32 v65, 1, v44
	v_and_b32_e32 v67, 0x4040404, v44
	v_lshrrev_b32_e32 v44, 1, v44
	v_and_b32_e32 v48, 0x4040404, v48
	v_bfe_u32 v55, v42, 24, 2
	v_bfe_u32 v43, v43, v17, 4
	;; [unrolled: 1-line block ×3, first 2 shown]
	v_lshrrev_b16 v59, 8, v54
	v_lshrrev_b32_e32 v60, 16, v54
	v_lshlrev_b32_e32 v49, 4, v49
	v_and_b32_e32 v61, 0x3030303, v56
	v_bfe_u32 v57, v57, 24, 2
	v_lshlrev_b32_e32 v52, 4, v52
	v_and_b32_e32 v58, 0x3030303, v58
	v_and_or_b32 v41, v50, 48, v41
	v_lshrrev_b16 v50, 8, v62
	v_lshrrev_b32_e32 v66, 16, v62
	v_and_b32_e32 v65, 0x4040404, v65
	v_lshrrev_b16 v69, 8, v67
	v_lshrrev_b32_e32 v70, 16, v67
	v_lshrrev_b32_e32 v71, 24, v67
	v_sub_nc_u16 v62, v62, v67
	v_and_b32_e32 v44, 0x4040404, v44
	v_lshrrev_b16 v67, 8, v48
	v_lshrrev_b32_e32 v72, 16, v48
	v_lshrrev_b32_e32 v73, 24, v48
	v_bfe_u32 v56, v56, 24, 2
	v_and_or_b32 v43, v49, 48, v43
	v_lshrrev_b16 v49, 8, v61
	v_lshrrev_b32_e32 v63, 16, v61
	v_and_or_b32 v51, v52, 48, v51
	v_lshrrev_b16 v52, 8, v58
	v_lshrrev_b32_e32 v68, 16, v58
	v_sub_nc_u16 v48, v54, v48
	v_lshrrev_b16 v54, 8, v65
	v_lshrrev_b32_e32 v74, 16, v65
	v_lshrrev_b32_e32 v75, 24, v65
	v_sub_nc_u16 v61, v61, v65
	v_sub_nc_u16 v57, v57, v71
	;; [unrolled: 1-line block ×4, first 2 shown]
	v_lshrrev_b16 v69, 8, v44
	v_lshrrev_b32_e32 v70, 16, v44
	v_lshrrev_b32_e32 v71, 24, v44
	v_sub_nc_u16 v44, v58, v44
	v_sub_nc_u16 v55, v55, v73
	;; [unrolled: 1-line block ×4, first 2 shown]
	v_lshrrev_b32_e32 v42, 30, v42
	v_and_b32_e32 v60, 0xff, v48
	v_sub_nc_u16 v56, v56, v75
	v_sub_nc_u16 v63, v63, v74
	;; [unrolled: 1-line block ×3, first 2 shown]
	v_lshlrev_b16 v54, 8, v57
	v_and_b32_e32 v57, 0xff, v65
	v_sub_nc_u16 v52, v52, v69
	v_lshlrev_b16 v55, 8, v55
	v_and_b32_e32 v69, 0xff, v58
	v_lshlrev_b16 v59, 8, v59
	v_and_b32_e32 v67, 0xff, v61
	v_sub_nc_u16 v42, v42, v71
	v_lshlrev_b16 v56, 8, v56
	v_and_b32_e32 v71, 0xff, v63
	v_lshlrev_b16 v49, 8, v49
	v_or_b32_e32 v54, v57, v54
	v_or_b32_e32 v57, v60, v59
	;; [unrolled: 1-line block ×3, first 2 shown]
	v_and_b32_e32 v66, 0xff, v62
	v_lshlrev_b16 v50, 8, v50
	v_sub_nc_u16 v68, v68, v70
	v_or_b32_e32 v56, v71, v56
	v_or_b32_e32 v49, v67, v49
	v_perm_b32 v57, v58, v57, 0xc0c0401
	v_perm_b32 v48, v48, v55, 0x4010c0c
	v_and_b32_e32 v70, 0xff, v44
	v_or_b32_e32 v50, v66, v50
	v_lshlrev_b16 v42, 8, v42
	v_and_b32_e32 v59, 0xff, v68
	v_lshlrev_b16 v52, 8, v52
	v_perm_b32 v49, v63, v49, 0xc0c0401
	v_perm_b32 v55, v61, v56, 0x4010c0c
	v_or_b32_e32 v48, v48, v57
	v_perm_b32 v40, v40, v40, 0x30201
	v_subrev_nc_u32_e32 v45, 32, v45
	v_perm_b32 v50, v65, v50, 0xc0c0401
	v_perm_b32 v54, v62, v54, 0x4010c0c
	v_or_b32_e32 v52, v70, v52
	v_or_b32_e32 v42, v59, v42
	;; [unrolled: 1-line block ×3, first 2 shown]
	v_dot4_i32_iu8 v37, v48, v37, 0 neg_lo:[1,1,0]
	s_waitcnt vmcnt(5)
	v_perm_b32 v46, v46, v46, 0x30201
	v_subrev_nc_u32_e32 v43, 32, v43
	v_or_b32_e32 v48, v54, v50
	v_perm_b32 v44, v52, v44, 0xc0c0500
	v_perm_b32 v42, v42, v68, 0x5000c0c
	v_dot4_i32_iu8 v40, v49, v40, 0 neg_lo:[1,1,0]
	v_mul_lo_u32 v37, v45, v37
	v_subrev_nc_u32_e32 v41, 32, v41
	v_dot4_i32_iu8 v45, v48, v46, 0 neg_lo:[1,1,0]
	v_or_b32_e32 v42, v42, v44
	v_mul_lo_u32 v40, v43, v40
	v_subrev_nc_u32_e32 v43, 32, v51
	s_delay_alu instid0(VALU_DEP_4)
	v_mul_lo_u32 v41, v41, v45
	v_cvt_f32_i32_e32 v37, v37
	s_waitcnt vmcnt(4)
	v_dot4_i32_iu8 v38, v38, v42, 0 neg_lo:[1,1,0]
	v_cvt_f32_i32_e32 v40, v40
	s_waitcnt vmcnt(3)
	v_fma_mix_f32 v37, v39, v37, 0 op_sel_hi:[1,0,0]
	s_delay_alu instid0(VALU_DEP_3) | instskip(SKIP_2) | instid1(VALU_DEP_3)
	v_mul_lo_u32 v38, v43, v38
	v_cvt_f32_i32_e32 v39, v41
	s_waitcnt vmcnt(2)
	v_fma_mix_f32 v37, v47, v40, v37 op_sel_hi:[1,0,0]
	s_delay_alu instid0(VALU_DEP_3) | instskip(SKIP_1) | instid1(VALU_DEP_2)
	v_cvt_f32_i32_e32 v38, v38
	s_waitcnt vmcnt(1)
	v_fma_mix_f32 v37, v53, v39, v37 op_sel_hi:[1,0,0]
	s_waitcnt vmcnt(0)
	s_delay_alu instid0(VALU_DEP_1) | instskip(NEXT) | instid1(VALU_DEP_1)
	v_fma_mix_f32 v36, v36, v38, v37 op_sel_hi:[1,0,0]
	v_fma_mix_f32 v3, v36, v64, v3 op_sel_hi:[0,1,0]
	s_and_not1_b32 exec_lo, exec_lo, s9
	s_cbranch_execnz .LBB281_3
; %bb.4:
	s_or_b32 exec_lo, exec_lo, s9
.LBB281_5:
	s_delay_alu instid0(SALU_CYCLE_1) | instskip(SKIP_1) | instid1(VALU_DEP_1)
	s_or_b32 exec_lo, exec_lo, s5
	v_mbcnt_lo_u32_b32 v2, -1, 0
	v_xor_b32_e32 v4, 16, v2
	v_xor_b32_e32 v5, 8, v2
	s_delay_alu instid0(VALU_DEP_2) | instskip(SKIP_1) | instid1(VALU_DEP_3)
	v_cmp_gt_i32_e32 vcc_lo, 32, v4
	v_cndmask_b32_e32 v4, v2, v4, vcc_lo
	v_cmp_gt_i32_e32 vcc_lo, 32, v5
	v_cndmask_b32_e32 v5, v2, v5, vcc_lo
	s_delay_alu instid0(VALU_DEP_1) | instskip(NEXT) | instid1(VALU_DEP_4)
	v_lshlrev_b32_e32 v5, 2, v5
	v_lshlrev_b32_e32 v4, 2, v4
	ds_bpermute_b32 v4, v4, v3
	s_waitcnt lgkmcnt(0)
	v_add_f32_e32 v3, v3, v4
	ds_bpermute_b32 v4, v5, v3
	v_xor_b32_e32 v5, 4, v2
	s_delay_alu instid0(VALU_DEP_1) | instskip(SKIP_1) | instid1(VALU_DEP_1)
	v_cmp_gt_i32_e32 vcc_lo, 32, v5
	v_cndmask_b32_e32 v5, v2, v5, vcc_lo
	v_lshlrev_b32_e32 v5, 2, v5
	s_waitcnt lgkmcnt(0)
	v_add_f32_e32 v3, v3, v4
	ds_bpermute_b32 v4, v5, v3
	v_xor_b32_e32 v5, 2, v2
	s_delay_alu instid0(VALU_DEP_1) | instskip(SKIP_1) | instid1(VALU_DEP_1)
	v_cmp_gt_i32_e32 vcc_lo, 32, v5
	v_cndmask_b32_e32 v5, v2, v5, vcc_lo
	v_lshlrev_b32_e32 v5, 2, v5
	s_waitcnt lgkmcnt(0)
	v_add_f32_e32 v3, v3, v4
	ds_bpermute_b32 v4, v5, v3
	v_xor_b32_e32 v5, 1, v2
	s_delay_alu instid0(VALU_DEP_1) | instskip(SKIP_3) | instid1(VALU_DEP_2)
	v_cmp_gt_i32_e32 vcc_lo, 32, v5
	v_cndmask_b32_e32 v5, v2, v5, vcc_lo
	v_cmp_eq_u32_e32 vcc_lo, 0, v0
	s_waitcnt lgkmcnt(0)
	v_dual_add_f32 v2, v3, v4 :: v_dual_lshlrev_b32 v3, 2, v5
	ds_bpermute_b32 v3, v3, v2
	s_and_b32 exec_lo, exec_lo, vcc_lo
	s_cbranch_execz .LBB281_7
; %bb.6:
	s_waitcnt lgkmcnt(0)
	v_add_f32_e32 v4, v2, v3
	v_mad_u64_u32 v[2:3], null, s8, s6, v[1:2]
	v_mov_b32_e32 v3, 0
	s_delay_alu instid0(VALU_DEP_3) | instskip(SKIP_1) | instid1(VALU_DEP_2)
	v_bfe_u32 v0, v4, 16, 1
	v_cmp_o_f32_e32 vcc_lo, v4, v4
	v_add3_u32 v0, v4, v0, 0x7fff
	s_delay_alu instid0(VALU_DEP_1) | instskip(SKIP_1) | instid1(VALU_DEP_2)
	v_lshrrev_b32_e32 v5, 16, v0
	v_lshlrev_b64 v[0:1], 1, v[2:3]
	v_cndmask_b32_e32 v2, 0x7fc0, v5, vcc_lo
	s_delay_alu instid0(VALU_DEP_2) | instskip(NEXT) | instid1(VALU_DEP_3)
	v_add_co_u32 v0, vcc_lo, s10, v0
	v_add_co_ci_u32_e32 v1, vcc_lo, s11, v1, vcc_lo
	global_store_b16 v[0:1], v2, off
.LBB281_7:
	s_nop 0
	s_sendmsg sendmsg(MSG_DEALLOC_VGPRS)
	s_endpgm
	.section	.rodata,"a",@progbits
	.p2align	6, 0x0
	.amdhsa_kernel _ZL9moe_vec_qIN3c108BFloat16ELi256ELi16E10block_q3_KLi1EXadL_ZL17vec_dot_q3_K_q8_1PKvPK10block_q8_1RKiEEEvS4_S4_PT_PS8_iiii
		.amdhsa_group_segment_fixed_size 0
		.amdhsa_private_segment_fixed_size 0
		.amdhsa_kernarg_size 304
		.amdhsa_user_sgpr_count 14
		.amdhsa_user_sgpr_dispatch_ptr 0
		.amdhsa_user_sgpr_queue_ptr 0
		.amdhsa_user_sgpr_kernarg_segment_ptr 1
		.amdhsa_user_sgpr_dispatch_id 0
		.amdhsa_user_sgpr_private_segment_size 0
		.amdhsa_wavefront_size32 1
		.amdhsa_uses_dynamic_stack 0
		.amdhsa_enable_private_segment 0
		.amdhsa_system_sgpr_workgroup_id_x 1
		.amdhsa_system_sgpr_workgroup_id_y 0
		.amdhsa_system_sgpr_workgroup_id_z 1
		.amdhsa_system_sgpr_workgroup_info 0
		.amdhsa_system_vgpr_workitem_id 1
		.amdhsa_next_free_vgpr 76
		.amdhsa_next_free_sgpr 20
		.amdhsa_reserve_vcc 1
		.amdhsa_float_round_mode_32 0
		.amdhsa_float_round_mode_16_64 0
		.amdhsa_float_denorm_mode_32 3
		.amdhsa_float_denorm_mode_16_64 3
		.amdhsa_dx10_clamp 1
		.amdhsa_ieee_mode 1
		.amdhsa_fp16_overflow 0
		.amdhsa_workgroup_processor_mode 1
		.amdhsa_memory_ordered 1
		.amdhsa_forward_progress 0
		.amdhsa_shared_vgpr_count 0
		.amdhsa_exception_fp_ieee_invalid_op 0
		.amdhsa_exception_fp_denorm_src 0
		.amdhsa_exception_fp_ieee_div_zero 0
		.amdhsa_exception_fp_ieee_overflow 0
		.amdhsa_exception_fp_ieee_underflow 0
		.amdhsa_exception_fp_ieee_inexact 0
		.amdhsa_exception_int_div_zero 0
	.end_amdhsa_kernel
	.section	.text._ZL9moe_vec_qIN3c108BFloat16ELi256ELi16E10block_q3_KLi1EXadL_ZL17vec_dot_q3_K_q8_1PKvPK10block_q8_1RKiEEEvS4_S4_PT_PS8_iiii,"axG",@progbits,_ZL9moe_vec_qIN3c108BFloat16ELi256ELi16E10block_q3_KLi1EXadL_ZL17vec_dot_q3_K_q8_1PKvPK10block_q8_1RKiEEEvS4_S4_PT_PS8_iiii,comdat
.Lfunc_end281:
	.size	_ZL9moe_vec_qIN3c108BFloat16ELi256ELi16E10block_q3_KLi1EXadL_ZL17vec_dot_q3_K_q8_1PKvPK10block_q8_1RKiEEEvS4_S4_PT_PS8_iiii, .Lfunc_end281-_ZL9moe_vec_qIN3c108BFloat16ELi256ELi16E10block_q3_KLi1EXadL_ZL17vec_dot_q3_K_q8_1PKvPK10block_q8_1RKiEEEvS4_S4_PT_PS8_iiii
                                        ; -- End function
	.section	.AMDGPU.csdata,"",@progbits
; Kernel info:
; codeLenInByte = 2816
; NumSgprs: 22
; NumVgprs: 76
; ScratchSize: 0
; MemoryBound: 0
; FloatMode: 240
; IeeeMode: 1
; LDSByteSize: 0 bytes/workgroup (compile time only)
; SGPRBlocks: 2
; VGPRBlocks: 9
; NumSGPRsForWavesPerEU: 22
; NumVGPRsForWavesPerEU: 76
; Occupancy: 16
; WaveLimiterHint : 1
; COMPUTE_PGM_RSRC2:SCRATCH_EN: 0
; COMPUTE_PGM_RSRC2:USER_SGPR: 14
; COMPUTE_PGM_RSRC2:TRAP_HANDLER: 0
; COMPUTE_PGM_RSRC2:TGID_X_EN: 1
; COMPUTE_PGM_RSRC2:TGID_Y_EN: 0
; COMPUTE_PGM_RSRC2:TGID_Z_EN: 1
; COMPUTE_PGM_RSRC2:TIDIG_COMP_CNT: 1
	.section	.text._ZL9moe_vec_qIN3c108BFloat16ELi256ELi32E10block_q4_KLi2EXadL_ZL17vec_dot_q4_K_q8_1PKvPK10block_q8_1RKiEEEvS4_S4_PT_PS8_iiii,"axG",@progbits,_ZL9moe_vec_qIN3c108BFloat16ELi256ELi32E10block_q4_KLi2EXadL_ZL17vec_dot_q4_K_q8_1PKvPK10block_q8_1RKiEEEvS4_S4_PT_PS8_iiii,comdat
	.globl	_ZL9moe_vec_qIN3c108BFloat16ELi256ELi32E10block_q4_KLi2EXadL_ZL17vec_dot_q4_K_q8_1PKvPK10block_q8_1RKiEEEvS4_S4_PT_PS8_iiii ; -- Begin function _ZL9moe_vec_qIN3c108BFloat16ELi256ELi32E10block_q4_KLi2EXadL_ZL17vec_dot_q4_K_q8_1PKvPK10block_q8_1RKiEEEvS4_S4_PT_PS8_iiii
	.p2align	8
	.type	_ZL9moe_vec_qIN3c108BFloat16ELi256ELi32E10block_q4_KLi2EXadL_ZL17vec_dot_q4_K_q8_1PKvPK10block_q8_1RKiEEEvS4_S4_PT_PS8_iiii,@function
_ZL9moe_vec_qIN3c108BFloat16ELi256ELi32E10block_q4_KLi2EXadL_ZL17vec_dot_q4_K_q8_1PKvPK10block_q8_1RKiEEEvS4_S4_PT_PS8_iiii: ; @_ZL9moe_vec_qIN3c108BFloat16ELi256ELi32E10block_q4_KLi2EXadL_ZL17vec_dot_q4_K_q8_1PKvPK10block_q8_1RKiEEEvS4_S4_PT_PS8_iiii
; %bb.0:
	s_clause 0x1
	s_load_b32 s2, s[0:1], 0x3c
	s_load_b128 s[4:7], s[0:1], 0x20
	v_bfe_u32 v3, v0, 10, 10
	s_waitcnt lgkmcnt(0)
	s_lshr_b32 s2, s2, 16
	s_delay_alu instid0(VALU_DEP_1) | instid1(SALU_CYCLE_1)
	v_mad_u64_u32 v[1:2], null, s14, s2, v[3:4]
	s_mov_b32 s2, exec_lo
	s_delay_alu instid0(VALU_DEP_1)
	v_cmpx_gt_u32_e64 s6, v1
	s_cbranch_execz .LBB282_11
; %bb.1:
	s_load_b64 s[10:11], s[0:1], 0x10
	v_dual_mov_b32 v9, 0 :: v_dual_and_b32 v0, 0x3ff, v0
	s_ashr_i32 s2, s5, 31
	s_mov_b32 s8, s15
	s_lshr_b32 s2, s2, 24
	s_delay_alu instid0(VALU_DEP_1)
	v_lshrrev_b32_e32 v8, 4, v0
	s_add_i32 s2, s5, s2
	s_mov_b32 s5, exec_lo
	s_ashr_i32 s14, s2, 8
	s_delay_alu instid0(VALU_DEP_1) | instid1(SALU_CYCLE_1)
	v_cmpx_gt_u32_e64 s14, v8
	s_cbranch_execz .LBB282_9
; %bb.2:
	s_load_b64 s[2:3], s[0:1], 0x18
	s_mov_b32 s9, 0
	v_cvt_f32_u32_e32 v2, s4
	s_lshl_b64 s[12:13], s[8:9], 2
	v_and_b32_e32 v4, 3, v0
	v_mul_lo_u32 v10, v1, s14
	v_lshlrev_b32_e32 v13, 3, v8
	v_rcp_iflag_f32_e32 v2, v2
	v_mov_b32_e32 v9, 0
	v_lshlrev_b32_e32 v11, 2, v4
	s_waitcnt_depctr 0xfff
	v_dual_mul_f32 v2, 0x4f7ffffe, v2 :: v_dual_lshlrev_b32 v15, 2, v4
	s_waitcnt lgkmcnt(0)
	s_add_u32 s2, s2, s12
	s_addc_u32 s3, s3, s13
	s_delay_alu instid0(VALU_DEP_1) | instskip(SKIP_3) | instid1(VALU_DEP_1)
	v_cvt_u32_f32_e32 v2, v2
	s_load_b32 s12, s[2:3], 0x0
	s_load_b128 s[0:3], s[0:1], 0x0
	s_mul_i32 s13, s14, s6
	v_readfirstlane_b32 s15, v2
	v_lshlrev_b32_e32 v2, 1, v0
	s_delay_alu instid0(VALU_DEP_1) | instskip(SKIP_1) | instid1(VALU_DEP_2)
	v_bfe_u32 v5, v2, 3, 2
	v_and_b32_e32 v2, 30, v2
	v_lshlrev_b32_e32 v6, 1, v5
	s_delay_alu instid0(VALU_DEP_2) | instskip(SKIP_4) | instid1(SALU_CYCLE_1)
	v_cmp_lt_u32_e32 vcc_lo, 15, v2
	v_lshlrev_b32_e32 v12, 5, v5
	v_lshlrev_b32_e32 v14, 1, v5
	s_waitcnt lgkmcnt(0)
	s_mul_i32 s12, s13, s12
	s_mul_i32 s13, s12, 0x90
	s_mul_hi_i32 s16, s12, 0x90
	s_add_u32 s12, s0, s13
	s_addc_u32 s13, s1, s16
	s_sub_i32 s0, 0, s4
	s_mov_b32 s1, s9
	s_mul_i32 s0, s0, s15
	s_delay_alu instid0(SALU_CYCLE_1) | instskip(NEXT) | instid1(SALU_CYCLE_1)
	s_mul_hi_u32 s0, s15, s0
	s_add_i32 s15, s15, s0
	s_delay_alu instid0(SALU_CYCLE_1) | instskip(NEXT) | instid1(SALU_CYCLE_1)
	s_mul_hi_u32 s0, s8, s15
	s_mul_i32 s15, s0, s4
	s_add_i32 s16, s0, 1
	s_sub_i32 s15, s8, s15
	s_delay_alu instid0(SALU_CYCLE_1)
	s_sub_i32 s17, s15, s4
	s_cmp_ge_u32 s15, s4
	s_cselect_b32 s0, s16, s0
	s_cselect_b32 s15, s17, s15
	s_add_i32 s16, s0, 1
	s_cmp_ge_u32 s15, s4
	s_cselect_b32 s0, s16, s0
	s_delay_alu instid0(SALU_CYCLE_1) | instskip(NEXT) | instid1(SALU_CYCLE_1)
	s_mul_i32 s0, s0, s7
	s_lshl_b64 s[0:1], s[0:1], 2
	s_delay_alu instid0(SALU_CYCLE_1) | instskip(SKIP_1) | instid1(SALU_CYCLE_1)
	s_add_u32 s0, s2, s0
	s_addc_u32 s1, s3, s1
	v_mad_u64_u32 v[2:3], null, v6, 36, s[0:1]
	s_branch .LBB282_4
.LBB282_3:                              ;   in Loop: Header=BB282_4 Depth=1
	s_or_b32 exec_lo, exec_lo, s0
	v_mad_i64_i32 v[6:7], null, v13, 36, v[2:3]
	s_waitcnt vmcnt(1)
	v_and_b32_e32 v25, 15, v16
	v_bfe_u32 v26, v16, 8, 4
	v_bfe_u32 v27, v16, 16, 4
	;; [unrolled: 1-line block ×3, first 2 shown]
	v_ashrrev_i32_e32 v16, 4, v16
	s_waitcnt vmcnt(0)
	v_and_b32_e32 v29, 15, v17
	v_add_co_u32 v20, s0, v6, v15
	s_delay_alu instid0(VALU_DEP_1)
	v_add_co_ci_u32_e64 v21, s0, 0, v7, s0
	v_bfe_u32 v30, v17, 8, 4
	v_bfe_u32 v31, v17, 16, 4
	;; [unrolled: 1-line block ×3, first 2 shown]
	s_clause 0x3
	global_load_b32 v22, v[20:21], off offset:4
	global_load_b32 v23, v[20:21], off offset:20
	;; [unrolled: 1-line block ×4, first 2 shown]
	global_load_b32 v4, v[4:5], off
	s_clause 0x1
	global_load_b32 v5, v[6:7], off
	global_load_b32 v6, v[6:7], off offset:36
	v_ashrrev_i32_e32 v17, 4, v17
	v_and_b32_e32 v33, 15, v16
	v_bfe_u32 v34, v16, 8, 4
	v_bfe_u32 v35, v16, 16, 4
	v_lshrrev_b16 v7, 8, v18
	v_and_b32_e32 v36, 15, v17
	v_and_b32_e32 v18, 0xff, v18
	v_bfe_u32 v16, v16, 24, 4
	v_bfe_u32 v37, v17, 8, 4
	v_lshrrev_b16 v21, 8, v19
	v_and_b32_e32 v19, 0xff, v19
	v_and_b32_e32 v18, 0xffff, v18
	v_bfe_u32 v38, v17, 16, 4
	v_bfe_u32 v17, v17, 24, 4
	v_and_b32_e32 v7, 0xffff, v7
	v_and_b32_e32 v19, 0xffff, v19
	;; [unrolled: 1-line block ×3, first 2 shown]
	v_add_nc_u32_e32 v8, 2, v8
	v_add_nc_u32_e32 v13, 16, v13
	s_delay_alu instid0(VALU_DEP_2) | instskip(NEXT) | instid1(VALU_DEP_1)
	v_cmp_le_u32_e64 s0, s14, v8
	s_or_b32 s9, s0, s9
	s_waitcnt vmcnt(6)
	v_bfe_i32 v39, v22, 0, 8
	s_waitcnt vmcnt(5)
	v_bfe_i32 v42, v23, 0, 8
	v_bfe_i32 v40, v22, 8, 8
	;; [unrolled: 1-line block ×3, first 2 shown]
	s_waitcnt vmcnt(4)
	v_bfe_i32 v45, v24, 0, 8
	s_waitcnt vmcnt(3)
	v_bfe_i32 v48, v20, 0, 8
	v_mul_i32_i24_e32 v25, v39, v25
	v_add_nc_u32_e32 v39, v42, v39
	v_ashrrev_i32_e32 v22, 24, v22
	v_bfe_i32 v43, v23, 8, 8
	v_bfe_i32 v46, v24, 8, 8
	;; [unrolled: 1-line block ×3, first 2 shown]
	v_mul_i32_i24_e32 v26, v40, v26
	v_mul_i32_i24_e32 v27, v41, v27
	;; [unrolled: 1-line block ×3, first 2 shown]
	v_add_nc_u32_e32 v45, v48, v45
	v_mad_i32_i24 v25, v42, v29, v25
	v_add3_u32 v29, v39, v40, v41
	v_bfe_i32 v44, v23, 16, 8
	v_ashrrev_i32_e32 v23, 24, v23
	v_ashrrev_i32_e32 v24, 24, v24
	v_bfe_i32 v49, v20, 8, 8
	v_mul_i32_i24_e32 v28, v22, v28
	v_mul_i32_i24_e32 v30, v43, v30
	;; [unrolled: 1-line block ×4, first 2 shown]
	v_mad_i32_i24 v33, v48, v36, v33
	v_add3_u32 v36, v45, v46, v47
	v_add3_u32 v25, v25, v26, v27
	;; [unrolled: 1-line block ×3, first 2 shown]
	v_bfe_i32 v50, v20, 16, 8
	v_ashrrev_i32_e32 v20, 24, v20
	v_mul_i32_i24_e32 v31, v44, v31
	v_mul_i32_i24_e32 v32, v23, v32
	;; [unrolled: 1-line block ×4, first 2 shown]
	v_add3_u32 v27, v33, v34, v35
	v_add3_u32 v24, v36, v24, v49
	;; [unrolled: 1-line block ×4, first 2 shown]
	v_mul_i32_i24_e32 v26, v50, v38
	v_mul_i32_i24_e32 v17, v20, v17
	v_add3_u32 v16, v27, v16, v37
	v_add3_u32 v20, v24, v50, v20
	;; [unrolled: 1-line block ×3, first 2 shown]
	v_mul_lo_u32 v18, v22, v18
	s_delay_alu instid0(VALU_DEP_4) | instskip(NEXT) | instid1(VALU_DEP_4)
	v_add3_u32 v16, v16, v26, v17
	v_mul_lo_u32 v7, v20, v7
	s_delay_alu instid0(VALU_DEP_4) | instskip(SKIP_4) | instid1(VALU_DEP_3)
	v_mul_lo_u32 v17, v23, v19
	s_waitcnt vmcnt(2)
	v_lshrrev_b32_e32 v19, 16, v4
	v_mul_lo_u32 v16, v16, v21
	v_cvt_f32_i32_e32 v18, v18
	v_cvt_f32_f16_e32 v19, v19
	v_cvt_f32_i32_e32 v7, v7
	v_cvt_f32_i32_e32 v17, v17
	s_waitcnt vmcnt(1)
	v_fma_mix_f32 v18, v5, v18, 0 op_sel_hi:[1,0,0]
	v_cvt_f32_i32_e32 v16, v16
	s_delay_alu instid0(VALU_DEP_3) | instskip(SKIP_1) | instid1(VALU_DEP_3)
	v_fma_mix_f32 v5, v5, v17, 0 op_sel_hi:[1,0,0]
	s_waitcnt vmcnt(0)
	v_fma_mix_f32 v7, v6, v7, v18 op_sel_hi:[1,0,0]
	s_delay_alu instid0(VALU_DEP_2) | instskip(NEXT) | instid1(VALU_DEP_2)
	v_fma_mix_f32 v5, v6, v16, v5 op_sel_hi:[1,0,0]
	v_mul_f32_e32 v6, v7, v19
	s_delay_alu instid0(VALU_DEP_1) | instskip(NEXT) | instid1(VALU_DEP_1)
	v_fma_mix_f32 v4, v5, v4, -v6 op_sel_hi:[0,1,0]
	v_add_f32_e32 v9, v9, v4
	s_and_not1_b32 exec_lo, exec_lo, s9
	s_cbranch_execz .LBB282_8
.LBB282_4:                              ; =>This Inner Loop Header: Depth=1
	v_add_nc_u32_e32 v6, v10, v8
                                        ; implicit-def: $vgpr19
                                        ; implicit-def: $vgpr18
	s_delay_alu instid0(VALU_DEP_1) | instskip(NEXT) | instid1(VALU_DEP_1)
	v_mad_i64_i32 v[4:5], null, 0x90, v6, s[12:13]
	v_add_co_u32 v6, s0, v4, v12
	s_delay_alu instid0(VALU_DEP_1) | instskip(NEXT) | instid1(VALU_DEP_2)
	v_add_co_ci_u32_e64 v7, s0, 0, v5, s0
	v_add_co_u32 v6, s0, v6, v11
	s_delay_alu instid0(VALU_DEP_1) | instskip(SKIP_4) | instid1(VALU_DEP_1)
	v_add_co_ci_u32_e64 v7, s0, 0, v7, s0
	s_clause 0x1
	global_load_b32 v16, v[6:7], off offset:16
	global_load_b32 v17, v[6:7], off offset:32
	v_add_co_u32 v6, s0, v4, v14
	v_add_co_ci_u32_e64 v7, s0, 0, v5, s0
	s_and_saveexec_b32 s0, vcc_lo
	s_delay_alu instid0(SALU_CYCLE_1)
	s_xor_b32 s0, exec_lo, s0
	s_cbranch_execz .LBB282_6
; %bb.5:                                ;   in Loop: Header=BB282_4 Depth=1
	s_clause 0x2
	global_load_u16 v18, v[6:7], off
	global_load_u16 v19, v[6:7], off offset:8
	global_load_u16 v6, v[6:7], off offset:4
	s_waitcnt vmcnt(2)
	v_lshrrev_b16 v7, 2, v18
	s_waitcnt vmcnt(1)
	v_lshrrev_b16 v18, 4, v19
	;; [unrolled: 2-line block ×3, first 2 shown]
	v_and_b32_e32 v19, 0xf0f, v19
	v_and_b32_e32 v7, 0x3030, v7
	;; [unrolled: 1-line block ×3, first 2 shown]
	s_delay_alu instid0(VALU_DEP_4) | instskip(NEXT) | instid1(VALU_DEP_3)
	v_and_b32_e32 v6, 0x3030, v6
	v_or_b32_e32 v19, v7, v19
	s_delay_alu instid0(VALU_DEP_2)
	v_or_b32_e32 v18, v6, v18
                                        ; implicit-def: $vgpr6_vgpr7
.LBB282_6:                              ;   in Loop: Header=BB282_4 Depth=1
	s_and_not1_saveexec_b32 s0, s0
	s_cbranch_execz .LBB282_3
; %bb.7:                                ;   in Loop: Header=BB282_4 Depth=1
	s_clause 0x1
	global_load_u16 v18, v[6:7], off offset:4
	global_load_u16 v6, v[6:7], off offset:8
	s_waitcnt vmcnt(1)
	v_and_b32_e32 v19, 0x3f3f, v18
	s_waitcnt vmcnt(0)
	v_and_b32_e32 v18, 0x3f3f, v6
	s_branch .LBB282_3
.LBB282_8:
	s_or_b32 exec_lo, exec_lo, s9
.LBB282_9:
	s_delay_alu instid0(SALU_CYCLE_1) | instskip(SKIP_1) | instid1(VALU_DEP_1)
	s_or_b32 exec_lo, exec_lo, s5
	v_mbcnt_lo_u32_b32 v2, -1, 0
	v_xor_b32_e32 v3, 16, v2
	v_xor_b32_e32 v4, 8, v2
	;; [unrolled: 1-line block ×3, first 2 shown]
	s_delay_alu instid0(VALU_DEP_3) | instskip(SKIP_1) | instid1(VALU_DEP_4)
	v_cmp_gt_i32_e32 vcc_lo, 32, v3
	v_cndmask_b32_e32 v3, v2, v3, vcc_lo
	v_cmp_gt_i32_e32 vcc_lo, 32, v4
	v_cndmask_b32_e32 v4, v2, v4, vcc_lo
	v_cmp_gt_i32_e32 vcc_lo, 32, v5
	s_delay_alu instid0(VALU_DEP_2)
	v_lshlrev_b32_e32 v4, 2, v4
	v_lshlrev_b32_e32 v3, 2, v3
	v_cndmask_b32_e32 v5, v2, v5, vcc_lo
	ds_bpermute_b32 v3, v3, v9
	v_lshlrev_b32_e32 v5, 2, v5
	s_waitcnt lgkmcnt(0)
	v_add_f32_e32 v3, v9, v3
	ds_bpermute_b32 v4, v4, v3
	s_waitcnt lgkmcnt(0)
	v_add_f32_e32 v3, v3, v4
	ds_bpermute_b32 v4, v5, v3
	v_xor_b32_e32 v5, 2, v2
	s_delay_alu instid0(VALU_DEP_1) | instskip(SKIP_1) | instid1(VALU_DEP_1)
	v_cmp_gt_i32_e32 vcc_lo, 32, v5
	v_cndmask_b32_e32 v5, v2, v5, vcc_lo
	v_lshlrev_b32_e32 v5, 2, v5
	s_waitcnt lgkmcnt(0)
	v_add_f32_e32 v3, v3, v4
	ds_bpermute_b32 v4, v5, v3
	v_xor_b32_e32 v5, 1, v2
	s_delay_alu instid0(VALU_DEP_1) | instskip(SKIP_3) | instid1(VALU_DEP_2)
	v_cmp_gt_i32_e32 vcc_lo, 32, v5
	v_cndmask_b32_e32 v5, v2, v5, vcc_lo
	v_cmp_eq_u32_e32 vcc_lo, 0, v0
	s_waitcnt lgkmcnt(0)
	v_dual_add_f32 v2, v3, v4 :: v_dual_lshlrev_b32 v3, 2, v5
	ds_bpermute_b32 v3, v3, v2
	s_and_b32 exec_lo, exec_lo, vcc_lo
	s_cbranch_execz .LBB282_11
; %bb.10:
	s_waitcnt lgkmcnt(0)
	v_add_f32_e32 v4, v2, v3
	v_mad_u64_u32 v[2:3], null, s8, s6, v[1:2]
	v_mov_b32_e32 v3, 0
	s_delay_alu instid0(VALU_DEP_3) | instskip(SKIP_1) | instid1(VALU_DEP_2)
	v_bfe_u32 v0, v4, 16, 1
	v_cmp_o_f32_e32 vcc_lo, v4, v4
	v_add3_u32 v0, v4, v0, 0x7fff
	s_delay_alu instid0(VALU_DEP_1) | instskip(SKIP_1) | instid1(VALU_DEP_2)
	v_lshrrev_b32_e32 v5, 16, v0
	v_lshlrev_b64 v[0:1], 1, v[2:3]
	v_cndmask_b32_e32 v2, 0x7fc0, v5, vcc_lo
	s_delay_alu instid0(VALU_DEP_2) | instskip(NEXT) | instid1(VALU_DEP_3)
	v_add_co_u32 v0, vcc_lo, s10, v0
	v_add_co_ci_u32_e32 v1, vcc_lo, s11, v1, vcc_lo
	global_store_b16 v[0:1], v2, off
.LBB282_11:
	s_nop 0
	s_sendmsg sendmsg(MSG_DEALLOC_VGPRS)
	s_endpgm
	.section	.rodata,"a",@progbits
	.p2align	6, 0x0
	.amdhsa_kernel _ZL9moe_vec_qIN3c108BFloat16ELi256ELi32E10block_q4_KLi2EXadL_ZL17vec_dot_q4_K_q8_1PKvPK10block_q8_1RKiEEEvS4_S4_PT_PS8_iiii
		.amdhsa_group_segment_fixed_size 0
		.amdhsa_private_segment_fixed_size 0
		.amdhsa_kernarg_size 304
		.amdhsa_user_sgpr_count 14
		.amdhsa_user_sgpr_dispatch_ptr 0
		.amdhsa_user_sgpr_queue_ptr 0
		.amdhsa_user_sgpr_kernarg_segment_ptr 1
		.amdhsa_user_sgpr_dispatch_id 0
		.amdhsa_user_sgpr_private_segment_size 0
		.amdhsa_wavefront_size32 1
		.amdhsa_uses_dynamic_stack 0
		.amdhsa_enable_private_segment 0
		.amdhsa_system_sgpr_workgroup_id_x 1
		.amdhsa_system_sgpr_workgroup_id_y 0
		.amdhsa_system_sgpr_workgroup_id_z 1
		.amdhsa_system_sgpr_workgroup_info 0
		.amdhsa_system_vgpr_workitem_id 1
		.amdhsa_next_free_vgpr 51
		.amdhsa_next_free_sgpr 18
		.amdhsa_reserve_vcc 1
		.amdhsa_float_round_mode_32 0
		.amdhsa_float_round_mode_16_64 0
		.amdhsa_float_denorm_mode_32 3
		.amdhsa_float_denorm_mode_16_64 3
		.amdhsa_dx10_clamp 1
		.amdhsa_ieee_mode 1
		.amdhsa_fp16_overflow 0
		.amdhsa_workgroup_processor_mode 1
		.amdhsa_memory_ordered 1
		.amdhsa_forward_progress 0
		.amdhsa_shared_vgpr_count 0
		.amdhsa_exception_fp_ieee_invalid_op 0
		.amdhsa_exception_fp_denorm_src 0
		.amdhsa_exception_fp_ieee_div_zero 0
		.amdhsa_exception_fp_ieee_overflow 0
		.amdhsa_exception_fp_ieee_underflow 0
		.amdhsa_exception_fp_ieee_inexact 0
		.amdhsa_exception_int_div_zero 0
	.end_amdhsa_kernel
	.section	.text._ZL9moe_vec_qIN3c108BFloat16ELi256ELi32E10block_q4_KLi2EXadL_ZL17vec_dot_q4_K_q8_1PKvPK10block_q8_1RKiEEEvS4_S4_PT_PS8_iiii,"axG",@progbits,_ZL9moe_vec_qIN3c108BFloat16ELi256ELi32E10block_q4_KLi2EXadL_ZL17vec_dot_q4_K_q8_1PKvPK10block_q8_1RKiEEEvS4_S4_PT_PS8_iiii,comdat
.Lfunc_end282:
	.size	_ZL9moe_vec_qIN3c108BFloat16ELi256ELi32E10block_q4_KLi2EXadL_ZL17vec_dot_q4_K_q8_1PKvPK10block_q8_1RKiEEEvS4_S4_PT_PS8_iiii, .Lfunc_end282-_ZL9moe_vec_qIN3c108BFloat16ELi256ELi32E10block_q4_KLi2EXadL_ZL17vec_dot_q4_K_q8_1PKvPK10block_q8_1RKiEEEvS4_S4_PT_PS8_iiii
                                        ; -- End function
	.section	.AMDGPU.csdata,"",@progbits
; Kernel info:
; codeLenInByte = 1776
; NumSgprs: 20
; NumVgprs: 51
; ScratchSize: 0
; MemoryBound: 0
; FloatMode: 240
; IeeeMode: 1
; LDSByteSize: 0 bytes/workgroup (compile time only)
; SGPRBlocks: 2
; VGPRBlocks: 6
; NumSGPRsForWavesPerEU: 20
; NumVGPRsForWavesPerEU: 51
; Occupancy: 16
; WaveLimiterHint : 1
; COMPUTE_PGM_RSRC2:SCRATCH_EN: 0
; COMPUTE_PGM_RSRC2:USER_SGPR: 14
; COMPUTE_PGM_RSRC2:TRAP_HANDLER: 0
; COMPUTE_PGM_RSRC2:TGID_X_EN: 1
; COMPUTE_PGM_RSRC2:TGID_Y_EN: 0
; COMPUTE_PGM_RSRC2:TGID_Z_EN: 1
; COMPUTE_PGM_RSRC2:TIDIG_COMP_CNT: 1
	.section	.text._ZL9moe_vec_qIN3c108BFloat16ELi256ELi32E10block_q5_KLi2EXadL_ZL17vec_dot_q5_K_q8_1PKvPK10block_q8_1RKiEEEvS4_S4_PT_PS8_iiii,"axG",@progbits,_ZL9moe_vec_qIN3c108BFloat16ELi256ELi32E10block_q5_KLi2EXadL_ZL17vec_dot_q5_K_q8_1PKvPK10block_q8_1RKiEEEvS4_S4_PT_PS8_iiii,comdat
	.globl	_ZL9moe_vec_qIN3c108BFloat16ELi256ELi32E10block_q5_KLi2EXadL_ZL17vec_dot_q5_K_q8_1PKvPK10block_q8_1RKiEEEvS4_S4_PT_PS8_iiii ; -- Begin function _ZL9moe_vec_qIN3c108BFloat16ELi256ELi32E10block_q5_KLi2EXadL_ZL17vec_dot_q5_K_q8_1PKvPK10block_q8_1RKiEEEvS4_S4_PT_PS8_iiii
	.p2align	8
	.type	_ZL9moe_vec_qIN3c108BFloat16ELi256ELi32E10block_q5_KLi2EXadL_ZL17vec_dot_q5_K_q8_1PKvPK10block_q8_1RKiEEEvS4_S4_PT_PS8_iiii,@function
_ZL9moe_vec_qIN3c108BFloat16ELi256ELi32E10block_q5_KLi2EXadL_ZL17vec_dot_q5_K_q8_1PKvPK10block_q8_1RKiEEEvS4_S4_PT_PS8_iiii: ; @_ZL9moe_vec_qIN3c108BFloat16ELi256ELi32E10block_q5_KLi2EXadL_ZL17vec_dot_q5_K_q8_1PKvPK10block_q8_1RKiEEEvS4_S4_PT_PS8_iiii
; %bb.0:
	s_clause 0x1
	s_load_b32 s2, s[0:1], 0x3c
	s_load_b128 s[4:7], s[0:1], 0x20
	v_bfe_u32 v3, v0, 10, 10
	s_waitcnt lgkmcnt(0)
	s_lshr_b32 s2, s2, 16
	s_delay_alu instid0(VALU_DEP_1) | instid1(SALU_CYCLE_1)
	v_mad_u64_u32 v[1:2], null, s14, s2, v[3:4]
	s_mov_b32 s2, exec_lo
	s_delay_alu instid0(VALU_DEP_1)
	v_cmpx_gt_u32_e64 s6, v1
	s_cbranch_execz .LBB283_11
; %bb.1:
	s_load_b64 s[10:11], s[0:1], 0x10
	v_dual_mov_b32 v9, 0 :: v_dual_and_b32 v0, 0x3ff, v0
	s_ashr_i32 s2, s5, 31
	s_mov_b32 s8, s15
	s_lshr_b32 s2, s2, 24
	s_delay_alu instid0(VALU_DEP_1)
	v_lshrrev_b32_e32 v8, 4, v0
	s_add_i32 s2, s5, s2
	s_mov_b32 s5, exec_lo
	s_ashr_i32 s14, s2, 8
	s_delay_alu instid0(VALU_DEP_1) | instid1(SALU_CYCLE_1)
	v_cmpx_gt_u32_e64 s14, v8
	s_cbranch_execz .LBB283_9
; %bb.2:
	s_load_b64 s[2:3], s[0:1], 0x18
	s_mov_b32 s9, 0
	v_cvt_f32_u32_e32 v2, s4
	s_lshl_b64 s[12:13], s[8:9], 2
	v_and_b32_e32 v4, 3, v0
	v_mul_lo_u32 v10, v1, s14
	v_lshlrev_b32_e32 v14, 3, v8
	v_rcp_iflag_f32_e32 v2, v2
	v_mov_b32_e32 v9, 0
	v_lshlrev_b32_e32 v11, 2, v4
	v_lshlrev_b32_e32 v16, 2, v4
	s_waitcnt_depctr 0xfff
	v_mul_f32_e32 v2, 0x4f7ffffe, v2
	s_waitcnt lgkmcnt(0)
	s_add_u32 s2, s2, s12
	s_addc_u32 s3, s3, s13
	s_delay_alu instid0(VALU_DEP_1) | instskip(SKIP_3) | instid1(VALU_DEP_1)
	v_cvt_u32_f32_e32 v2, v2
	s_load_b32 s12, s[2:3], 0x0
	s_load_b128 s[0:3], s[0:1], 0x0
	s_mul_i32 s13, s14, s6
	v_readfirstlane_b32 s15, v2
	v_lshlrev_b32_e32 v2, 1, v0
	s_delay_alu instid0(VALU_DEP_1) | instskip(SKIP_1) | instid1(VALU_DEP_2)
	v_bfe_u32 v5, v2, 3, 2
	v_and_b32_e32 v2, 30, v2
	v_lshlrev_b32_e32 v13, 1, v5
	s_delay_alu instid0(VALU_DEP_2) | instskip(SKIP_4) | instid1(SALU_CYCLE_1)
	v_cmp_lt_u32_e32 vcc_lo, 15, v2
	v_lshlrev_b32_e32 v12, 5, v5
	v_lshlrev_b32_e32 v15, 1, v5
	s_waitcnt lgkmcnt(0)
	s_mul_i32 s12, s13, s12
	s_mul_i32 s13, s12, 0xb0
	s_mul_hi_i32 s16, s12, 0xb0
	s_add_u32 s12, s0, s13
	s_addc_u32 s13, s1, s16
	s_sub_i32 s0, 0, s4
	s_mov_b32 s1, s9
	s_mul_i32 s0, s0, s15
	s_delay_alu instid0(SALU_CYCLE_1) | instskip(NEXT) | instid1(SALU_CYCLE_1)
	s_mul_hi_u32 s0, s15, s0
	s_add_i32 s15, s15, s0
	s_delay_alu instid0(SALU_CYCLE_1) | instskip(NEXT) | instid1(SALU_CYCLE_1)
	s_mul_hi_u32 s0, s8, s15
	s_mul_i32 s15, s0, s4
	s_add_i32 s16, s0, 1
	s_sub_i32 s15, s8, s15
	s_delay_alu instid0(SALU_CYCLE_1)
	s_sub_i32 s17, s15, s4
	s_cmp_ge_u32 s15, s4
	s_cselect_b32 s0, s16, s0
	s_cselect_b32 s15, s17, s15
	s_add_i32 s16, s0, 1
	s_cmp_ge_u32 s15, s4
	s_cselect_b32 s0, s16, s0
	s_delay_alu instid0(SALU_CYCLE_1) | instskip(NEXT) | instid1(SALU_CYCLE_1)
	s_mul_i32 s0, s0, s7
	s_lshl_b64 s[0:1], s[0:1], 2
	s_delay_alu instid0(SALU_CYCLE_1) | instskip(SKIP_1) | instid1(SALU_CYCLE_1)
	s_add_u32 s0, s2, s0
	s_addc_u32 s1, s3, s1
	v_mad_u64_u32 v[2:3], null, v13, 36, s[0:1]
	s_branch .LBB283_4
.LBB283_3:                              ;   in Loop: Header=BB283_4 Depth=1
	s_or_b32 exec_lo, exec_lo, s0
	v_mad_i64_i32 v[6:7], null, v14, 36, v[2:3]
	s_waitcnt vmcnt(3)
	v_ashrrev_i32_e32 v21, v13, v21
	s_waitcnt vmcnt(0)
	v_ashrrev_i32_e32 v22, v13, v22
	v_and_b32_e32 v28, 0xf0f0f0f, v18
	v_lshrrev_b32_e32 v18, 4, v18
	v_and_b32_e32 v29, 0xf0f0f0f, v17
	v_lshlrev_b32_e32 v30, 4, v21
	v_add_co_u32 v23, s0, v6, v16
	s_delay_alu instid0(VALU_DEP_1)
	v_add_co_ci_u32_e64 v24, s0, 0, v7, s0
	v_lshrrev_b32_e32 v17, 4, v17
	v_lshlrev_b32_e32 v31, 4, v22
	v_and_b32_e32 v18, 0xf0f0f0f, v18
	s_clause 0x3
	global_load_b32 v25, v[23:24], off offset:20
	global_load_b32 v26, v[23:24], off offset:4
	;; [unrolled: 1-line block ×4, first 2 shown]
	global_load_b32 v4, v[4:5], off
	s_clause 0x1
	global_load_b32 v5, v[6:7], off
	global_load_b32 v6, v[6:7], off offset:36
	v_lshlrev_b32_e32 v21, 3, v21
	v_and_or_b32 v28, 0x10101010, v30, v28
	v_and_b32_e32 v17, 0xf0f0f0f, v17
	v_lshlrev_b32_e32 v22, 3, v22
	v_and_or_b32 v29, 0x10101010, v31, v29
	v_and_or_b32 v18, 0x10101010, v21, v18
	v_and_b32_e32 v31, 31, v28
	v_bfe_u32 v32, v28, 8, 5
	v_and_or_b32 v17, 0x10101010, v22, v17
	v_and_b32_e32 v21, 31, v29
	v_bfe_u32 v33, v28, 16, 5
	v_and_b32_e32 v37, 31, v18
	v_bfe_u32 v22, v29, 8, 5
	v_lshrrev_b32_e32 v28, 24, v28
	v_and_b32_e32 v34, 31, v17
	v_bfe_u32 v38, v18, 8, 5
	v_bfe_u32 v39, v18, 16, 5
	v_lshrrev_b16 v7, 8, v19
	v_and_b32_e32 v19, 0xff, v19
	v_bfe_u32 v30, v29, 16, 5
	v_lshrrev_b32_e32 v29, 24, v29
	v_bfe_u32 v35, v17, 8, 5
	v_lshrrev_b32_e32 v18, 24, v18
	v_lshrrev_b16 v24, 8, v20
	v_and_b32_e32 v20, 0xff, v20
	v_and_b32_e32 v19, 0xffff, v19
	v_bfe_u32 v36, v17, 16, 5
	v_lshrrev_b32_e32 v17, 24, v17
	v_and_b32_e32 v7, 0xffff, v7
	v_and_b32_e32 v20, 0xffff, v20
	v_add_nc_u32_e32 v8, 2, v8
	v_add_nc_u32_e32 v14, 16, v14
	s_delay_alu instid0(VALU_DEP_2) | instskip(NEXT) | instid1(VALU_DEP_1)
	v_cmp_le_u32_e64 s0, s14, v8
	s_or_b32 s9, s0, s9
	s_waitcnt vmcnt(6)
	v_bfe_i32 v40, v25, 0, 8
	s_waitcnt vmcnt(5)
	v_bfe_i32 v43, v26, 0, 8
	v_bfe_i32 v44, v26, 8, 8
	;; [unrolled: 1-line block ×3, first 2 shown]
	s_waitcnt vmcnt(4)
	v_bfe_i32 v46, v27, 0, 8
	s_waitcnt vmcnt(3)
	v_bfe_i32 v49, v23, 0, 8
	v_mul_i32_i24_e32 v31, v43, v31
	v_add_nc_u32_e32 v43, v40, v43
	v_bfe_i32 v41, v25, 8, 8
	v_ashrrev_i32_e32 v26, 24, v26
	v_bfe_i32 v50, v23, 8, 8
	v_bfe_i32 v51, v23, 16, 8
	v_mul_i32_i24_e32 v32, v44, v32
	v_mul_i32_i24_e32 v33, v45, v33
	;; [unrolled: 1-line block ×3, first 2 shown]
	v_add_nc_u32_e32 v49, v46, v49
	v_mad_i32_i24 v21, v40, v21, v31
	v_add3_u32 v31, v43, v44, v45
	v_bfe_i32 v42, v25, 16, 8
	v_ashrrev_i32_e32 v25, 24, v25
	v_bfe_i32 v47, v27, 8, 8
	v_ashrrev_i32_e32 v23, 24, v23
	v_mul_i32_i24_e32 v22, v41, v22
	v_mul_i32_i24_e32 v28, v26, v28
	;; [unrolled: 1-line block ×4, first 2 shown]
	v_mad_i32_i24 v34, v46, v34, v37
	v_add3_u32 v37, v49, v50, v51
	v_add3_u32 v21, v21, v32, v33
	;; [unrolled: 1-line block ×3, first 2 shown]
	v_bfe_i32 v48, v27, 16, 8
	v_ashrrev_i32_e32 v27, 24, v27
	v_mul_i32_i24_e32 v30, v42, v30
	v_mul_i32_i24_e32 v29, v25, v29
	;; [unrolled: 1-line block ×4, first 2 shown]
	v_add3_u32 v31, v34, v38, v39
	v_add3_u32 v23, v37, v23, v47
	;; [unrolled: 1-line block ×4, first 2 shown]
	v_mul_i32_i24_e32 v36, v48, v36
	v_mul_i32_i24_e32 v17, v27, v17
	v_add3_u32 v18, v31, v18, v35
	v_add3_u32 v23, v23, v48, v27
	;; [unrolled: 1-line block ×3, first 2 shown]
	v_mul_lo_u32 v19, v22, v19
	v_and_b32_e32 v22, 0xffff, v24
	v_add3_u32 v17, v18, v36, v17
	v_mul_lo_u32 v7, v23, v7
	v_mul_lo_u32 v18, v21, v20
	s_waitcnt vmcnt(2)
	v_lshrrev_b32_e32 v20, 16, v4
	v_mul_lo_u32 v17, v17, v22
	v_cvt_f32_i32_e32 v19, v19
	s_delay_alu instid0(VALU_DEP_3)
	v_cvt_f32_f16_e32 v20, v20
	v_cvt_f32_i32_e32 v7, v7
	v_cvt_f32_i32_e32 v18, v18
	s_waitcnt vmcnt(1)
	v_fma_mix_f32 v19, v5, v19, 0 op_sel_hi:[1,0,0]
	v_cvt_f32_i32_e32 v17, v17
	s_delay_alu instid0(VALU_DEP_3) | instskip(SKIP_1) | instid1(VALU_DEP_3)
	v_fma_mix_f32 v5, v5, v18, 0 op_sel_hi:[1,0,0]
	s_waitcnt vmcnt(0)
	v_fma_mix_f32 v7, v6, v7, v19 op_sel_hi:[1,0,0]
	s_delay_alu instid0(VALU_DEP_2) | instskip(NEXT) | instid1(VALU_DEP_2)
	v_fma_mix_f32 v5, v6, v17, v5 op_sel_hi:[1,0,0]
	v_mul_f32_e32 v6, v7, v20
	s_delay_alu instid0(VALU_DEP_1) | instskip(NEXT) | instid1(VALU_DEP_1)
	v_fma_mix_f32 v4, v5, v4, -v6 op_sel_hi:[0,1,0]
	v_add_f32_e32 v9, v9, v4
	s_and_not1_b32 exec_lo, exec_lo, s9
	s_cbranch_execz .LBB283_8
.LBB283_4:                              ; =>This Inner Loop Header: Depth=1
	v_add_nc_u32_e32 v6, v10, v8
                                        ; implicit-def: $vgpr20
	s_delay_alu instid0(VALU_DEP_1) | instskip(NEXT) | instid1(VALU_DEP_1)
	v_mad_i64_i32 v[4:5], null, 0xb0, v6, s[12:13]
	v_add_co_u32 v6, s0, v4, v11
	s_delay_alu instid0(VALU_DEP_1) | instskip(NEXT) | instid1(VALU_DEP_2)
	v_add_co_ci_u32_e64 v7, s0, 0, v5, s0
	v_add_co_u32 v18, s0, v6, v12
	s_delay_alu instid0(VALU_DEP_1)
	v_add_co_ci_u32_e64 v19, s0, 0, v7, s0
	s_clause 0x3
	global_load_b32 v21, v[6:7], off offset:16
	global_load_b32 v17, v[18:19], off offset:64
	;; [unrolled: 1-line block ×4, first 2 shown]
	v_add_co_u32 v6, s0, v4, v15
	s_delay_alu instid0(VALU_DEP_1) | instskip(SKIP_1) | instid1(SALU_CYCLE_1)
	v_add_co_ci_u32_e64 v7, s0, 0, v5, s0
                                        ; implicit-def: $vgpr19
	s_and_saveexec_b32 s0, vcc_lo
	s_xor_b32 s0, exec_lo, s0
	s_cbranch_execz .LBB283_6
; %bb.5:                                ;   in Loop: Header=BB283_4 Depth=1
	s_clause 0x2
	global_load_u16 v19, v[6:7], off
	global_load_u16 v20, v[6:7], off offset:8
	global_load_u16 v6, v[6:7], off offset:4
	s_waitcnt vmcnt(2)
	v_lshrrev_b16 v7, 2, v19
	s_waitcnt vmcnt(1)
	v_lshrrev_b16 v19, 4, v20
	;; [unrolled: 2-line block ×3, first 2 shown]
	v_and_b32_e32 v20, 0xf0f, v20
	v_and_b32_e32 v7, 0x3030, v7
	;; [unrolled: 1-line block ×3, first 2 shown]
	s_delay_alu instid0(VALU_DEP_4) | instskip(NEXT) | instid1(VALU_DEP_3)
	v_and_b32_e32 v6, 0x3030, v6
	v_or_b32_e32 v20, v7, v20
	s_delay_alu instid0(VALU_DEP_2)
	v_or_b32_e32 v19, v6, v19
                                        ; implicit-def: $vgpr6_vgpr7
.LBB283_6:                              ;   in Loop: Header=BB283_4 Depth=1
	s_and_not1_saveexec_b32 s0, s0
	s_cbranch_execz .LBB283_3
; %bb.7:                                ;   in Loop: Header=BB283_4 Depth=1
	s_clause 0x1
	global_load_u16 v19, v[6:7], off offset:4
	global_load_u16 v6, v[6:7], off offset:8
	s_waitcnt vmcnt(1)
	v_and_b32_e32 v20, 0x3f3f, v19
	s_waitcnt vmcnt(0)
	v_and_b32_e32 v19, 0x3f3f, v6
	s_branch .LBB283_3
.LBB283_8:
	s_or_b32 exec_lo, exec_lo, s9
.LBB283_9:
	s_delay_alu instid0(SALU_CYCLE_1) | instskip(SKIP_1) | instid1(VALU_DEP_1)
	s_or_b32 exec_lo, exec_lo, s5
	v_mbcnt_lo_u32_b32 v2, -1, 0
	v_xor_b32_e32 v3, 16, v2
	v_xor_b32_e32 v4, 8, v2
	;; [unrolled: 1-line block ×3, first 2 shown]
	s_delay_alu instid0(VALU_DEP_3) | instskip(SKIP_1) | instid1(VALU_DEP_4)
	v_cmp_gt_i32_e32 vcc_lo, 32, v3
	v_cndmask_b32_e32 v3, v2, v3, vcc_lo
	v_cmp_gt_i32_e32 vcc_lo, 32, v4
	v_cndmask_b32_e32 v4, v2, v4, vcc_lo
	v_cmp_gt_i32_e32 vcc_lo, 32, v5
	s_delay_alu instid0(VALU_DEP_2)
	v_lshlrev_b32_e32 v4, 2, v4
	v_lshlrev_b32_e32 v3, 2, v3
	v_cndmask_b32_e32 v5, v2, v5, vcc_lo
	ds_bpermute_b32 v3, v3, v9
	v_lshlrev_b32_e32 v5, 2, v5
	s_waitcnt lgkmcnt(0)
	v_add_f32_e32 v3, v9, v3
	ds_bpermute_b32 v4, v4, v3
	s_waitcnt lgkmcnt(0)
	v_add_f32_e32 v3, v3, v4
	ds_bpermute_b32 v4, v5, v3
	v_xor_b32_e32 v5, 2, v2
	s_delay_alu instid0(VALU_DEP_1) | instskip(SKIP_1) | instid1(VALU_DEP_1)
	v_cmp_gt_i32_e32 vcc_lo, 32, v5
	v_cndmask_b32_e32 v5, v2, v5, vcc_lo
	v_lshlrev_b32_e32 v5, 2, v5
	s_waitcnt lgkmcnt(0)
	v_add_f32_e32 v3, v3, v4
	ds_bpermute_b32 v4, v5, v3
	v_xor_b32_e32 v5, 1, v2
	s_delay_alu instid0(VALU_DEP_1) | instskip(SKIP_3) | instid1(VALU_DEP_2)
	v_cmp_gt_i32_e32 vcc_lo, 32, v5
	v_cndmask_b32_e32 v5, v2, v5, vcc_lo
	v_cmp_eq_u32_e32 vcc_lo, 0, v0
	s_waitcnt lgkmcnt(0)
	v_dual_add_f32 v2, v3, v4 :: v_dual_lshlrev_b32 v3, 2, v5
	ds_bpermute_b32 v3, v3, v2
	s_and_b32 exec_lo, exec_lo, vcc_lo
	s_cbranch_execz .LBB283_11
; %bb.10:
	s_waitcnt lgkmcnt(0)
	v_add_f32_e32 v4, v2, v3
	v_mad_u64_u32 v[2:3], null, s8, s6, v[1:2]
	v_mov_b32_e32 v3, 0
	s_delay_alu instid0(VALU_DEP_3) | instskip(SKIP_1) | instid1(VALU_DEP_2)
	v_bfe_u32 v0, v4, 16, 1
	v_cmp_o_f32_e32 vcc_lo, v4, v4
	v_add3_u32 v0, v4, v0, 0x7fff
	s_delay_alu instid0(VALU_DEP_1) | instskip(SKIP_1) | instid1(VALU_DEP_2)
	v_lshrrev_b32_e32 v5, 16, v0
	v_lshlrev_b64 v[0:1], 1, v[2:3]
	v_cndmask_b32_e32 v2, 0x7fc0, v5, vcc_lo
	s_delay_alu instid0(VALU_DEP_2) | instskip(NEXT) | instid1(VALU_DEP_3)
	v_add_co_u32 v0, vcc_lo, s10, v0
	v_add_co_ci_u32_e32 v1, vcc_lo, s11, v1, vcc_lo
	global_store_b16 v[0:1], v2, off
.LBB283_11:
	s_nop 0
	s_sendmsg sendmsg(MSG_DEALLOC_VGPRS)
	s_endpgm
	.section	.rodata,"a",@progbits
	.p2align	6, 0x0
	.amdhsa_kernel _ZL9moe_vec_qIN3c108BFloat16ELi256ELi32E10block_q5_KLi2EXadL_ZL17vec_dot_q5_K_q8_1PKvPK10block_q8_1RKiEEEvS4_S4_PT_PS8_iiii
		.amdhsa_group_segment_fixed_size 0
		.amdhsa_private_segment_fixed_size 0
		.amdhsa_kernarg_size 304
		.amdhsa_user_sgpr_count 14
		.amdhsa_user_sgpr_dispatch_ptr 0
		.amdhsa_user_sgpr_queue_ptr 0
		.amdhsa_user_sgpr_kernarg_segment_ptr 1
		.amdhsa_user_sgpr_dispatch_id 0
		.amdhsa_user_sgpr_private_segment_size 0
		.amdhsa_wavefront_size32 1
		.amdhsa_uses_dynamic_stack 0
		.amdhsa_enable_private_segment 0
		.amdhsa_system_sgpr_workgroup_id_x 1
		.amdhsa_system_sgpr_workgroup_id_y 0
		.amdhsa_system_sgpr_workgroup_id_z 1
		.amdhsa_system_sgpr_workgroup_info 0
		.amdhsa_system_vgpr_workitem_id 1
		.amdhsa_next_free_vgpr 52
		.amdhsa_next_free_sgpr 18
		.amdhsa_reserve_vcc 1
		.amdhsa_float_round_mode_32 0
		.amdhsa_float_round_mode_16_64 0
		.amdhsa_float_denorm_mode_32 3
		.amdhsa_float_denorm_mode_16_64 3
		.amdhsa_dx10_clamp 1
		.amdhsa_ieee_mode 1
		.amdhsa_fp16_overflow 0
		.amdhsa_workgroup_processor_mode 1
		.amdhsa_memory_ordered 1
		.amdhsa_forward_progress 0
		.amdhsa_shared_vgpr_count 0
		.amdhsa_exception_fp_ieee_invalid_op 0
		.amdhsa_exception_fp_denorm_src 0
		.amdhsa_exception_fp_ieee_div_zero 0
		.amdhsa_exception_fp_ieee_overflow 0
		.amdhsa_exception_fp_ieee_underflow 0
		.amdhsa_exception_fp_ieee_inexact 0
		.amdhsa_exception_int_div_zero 0
	.end_amdhsa_kernel
	.section	.text._ZL9moe_vec_qIN3c108BFloat16ELi256ELi32E10block_q5_KLi2EXadL_ZL17vec_dot_q5_K_q8_1PKvPK10block_q8_1RKiEEEvS4_S4_PT_PS8_iiii,"axG",@progbits,_ZL9moe_vec_qIN3c108BFloat16ELi256ELi32E10block_q5_KLi2EXadL_ZL17vec_dot_q5_K_q8_1PKvPK10block_q8_1RKiEEEvS4_S4_PT_PS8_iiii,comdat
.Lfunc_end283:
	.size	_ZL9moe_vec_qIN3c108BFloat16ELi256ELi32E10block_q5_KLi2EXadL_ZL17vec_dot_q5_K_q8_1PKvPK10block_q8_1RKiEEEvS4_S4_PT_PS8_iiii, .Lfunc_end283-_ZL9moe_vec_qIN3c108BFloat16ELi256ELi32E10block_q5_KLi2EXadL_ZL17vec_dot_q5_K_q8_1PKvPK10block_q8_1RKiEEEvS4_S4_PT_PS8_iiii
                                        ; -- End function
	.section	.AMDGPU.csdata,"",@progbits
; Kernel info:
; codeLenInByte = 1876
; NumSgprs: 20
; NumVgprs: 52
; ScratchSize: 0
; MemoryBound: 0
; FloatMode: 240
; IeeeMode: 1
; LDSByteSize: 0 bytes/workgroup (compile time only)
; SGPRBlocks: 2
; VGPRBlocks: 6
; NumSGPRsForWavesPerEU: 20
; NumVGPRsForWavesPerEU: 52
; Occupancy: 16
; WaveLimiterHint : 1
; COMPUTE_PGM_RSRC2:SCRATCH_EN: 0
; COMPUTE_PGM_RSRC2:USER_SGPR: 14
; COMPUTE_PGM_RSRC2:TRAP_HANDLER: 0
; COMPUTE_PGM_RSRC2:TGID_X_EN: 1
; COMPUTE_PGM_RSRC2:TGID_Y_EN: 0
; COMPUTE_PGM_RSRC2:TGID_Z_EN: 1
; COMPUTE_PGM_RSRC2:TIDIG_COMP_CNT: 1
	.section	.text._ZL9moe_vec_qIN3c108BFloat16ELi256ELi32E10block_q6_KLi1EXadL_ZL17vec_dot_q6_K_q8_1PKvPK10block_q8_1RKiEEEvS4_S4_PT_PS8_iiii,"axG",@progbits,_ZL9moe_vec_qIN3c108BFloat16ELi256ELi32E10block_q6_KLi1EXadL_ZL17vec_dot_q6_K_q8_1PKvPK10block_q8_1RKiEEEvS4_S4_PT_PS8_iiii,comdat
	.globl	_ZL9moe_vec_qIN3c108BFloat16ELi256ELi32E10block_q6_KLi1EXadL_ZL17vec_dot_q6_K_q8_1PKvPK10block_q8_1RKiEEEvS4_S4_PT_PS8_iiii ; -- Begin function _ZL9moe_vec_qIN3c108BFloat16ELi256ELi32E10block_q6_KLi1EXadL_ZL17vec_dot_q6_K_q8_1PKvPK10block_q8_1RKiEEEvS4_S4_PT_PS8_iiii
	.p2align	8
	.type	_ZL9moe_vec_qIN3c108BFloat16ELi256ELi32E10block_q6_KLi1EXadL_ZL17vec_dot_q6_K_q8_1PKvPK10block_q8_1RKiEEEvS4_S4_PT_PS8_iiii,@function
_ZL9moe_vec_qIN3c108BFloat16ELi256ELi32E10block_q6_KLi1EXadL_ZL17vec_dot_q6_K_q8_1PKvPK10block_q8_1RKiEEEvS4_S4_PT_PS8_iiii: ; @_ZL9moe_vec_qIN3c108BFloat16ELi256ELi32E10block_q6_KLi1EXadL_ZL17vec_dot_q6_K_q8_1PKvPK10block_q8_1RKiEEEvS4_S4_PT_PS8_iiii
; %bb.0:
	s_clause 0x1
	s_load_b32 s2, s[0:1], 0x3c
	s_load_b128 s[4:7], s[0:1], 0x20
	v_bfe_u32 v3, v0, 10, 10
	s_waitcnt lgkmcnt(0)
	s_lshr_b32 s2, s2, 16
	s_delay_alu instid0(VALU_DEP_1) | instid1(SALU_CYCLE_1)
	v_mad_u64_u32 v[1:2], null, s14, s2, v[3:4]
	s_mov_b32 s2, exec_lo
	s_delay_alu instid0(VALU_DEP_1)
	v_cmpx_gt_u32_e64 s6, v1
	s_cbranch_execz .LBB284_7
; %bb.1:
	s_load_b64 s[10:11], s[0:1], 0x10
	v_dual_mov_b32 v5, 0 :: v_dual_and_b32 v0, 0x3ff, v0
	s_ashr_i32 s2, s5, 31
	s_mov_b32 s8, s15
	s_lshr_b32 s2, s2, 24
	s_delay_alu instid0(VALU_DEP_1)
	v_lshrrev_b32_e32 v4, 5, v0
	s_add_i32 s2, s5, s2
	s_mov_b32 s5, exec_lo
	s_ashr_i32 s12, s2, 8
	s_delay_alu instid0(VALU_DEP_1) | instid1(SALU_CYCLE_1)
	v_cmpx_gt_u32_e64 s12, v4
	s_cbranch_execz .LBB284_5
; %bb.2:
	s_load_b64 s[2:3], s[0:1], 0x18
	s_mov_b32 s9, 0
	v_cvt_f32_u32_e32 v2, s4
	s_lshl_b64 s[14:15], s[8:9], 2
	v_mul_lo_u32 v6, v1, s12
	v_and_b32_e32 v3, 31, v0
	v_mov_b32_e32 v5, 0
	v_rcp_iflag_f32_e32 v2, v2
	s_delay_alu instid0(VALU_DEP_2)
	v_cmp_lt_u32_e32 vcc_lo, 15, v3
	v_lshlrev_b32_e32 v7, 2, v3
	v_cndmask_b32_e64 v10, 0, 1, vcc_lo
	v_cmp_gt_u32_e32 vcc_lo, 16, v3
	s_waitcnt_depctr 0xfff
	v_mul_f32_e32 v2, 0x4f7ffffe, v2
	s_waitcnt lgkmcnt(0)
	s_add_u32 s2, s2, s14
	s_addc_u32 s3, s3, s15
	s_delay_alu instid0(VALU_DEP_1)
	v_cvt_u32_f32_e32 v2, v2
	s_load_b32 s13, s[2:3], 0x0
	s_load_b128 s[0:3], s[0:1], 0x0
	s_mul_i32 s14, s12, s6
	s_mov_b32 s15, s9
	v_lshlrev_b32_e32 v11, 3, v10
	s_waitcnt lgkmcnt(0)
	s_mul_i32 s13, s14, s13
	v_readfirstlane_b32 s14, v2
	s_mul_i32 s16, s13, 0xd2
	s_mul_hi_i32 s13, s13, 0xd2
	s_add_u32 s0, s0, s16
	s_addc_u32 s1, s1, s13
	s_sub_i32 s13, 0, s4
	v_add_nc_u32_e32 v2, 0xf0, v3
	s_mul_i32 s13, s13, s14
	v_and_b32_e32 v9, 7, v0
	s_mul_hi_u32 s13, s14, s13
	s_delay_alu instid0(VALU_DEP_2) | instskip(SKIP_1) | instid1(VALU_DEP_2)
	v_cndmask_b32_e32 v2, v2, v3, vcc_lo
	s_add_i32 s14, s14, s13
	v_or_b32_e32 v8, v11, v9
	s_mul_hi_u32 s13, s8, s14
	v_lshlrev_b32_e32 v9, 2, v9
	s_mul_i32 s14, s13, s4
	v_and_b32_e32 v3, 0xf8, v2
	s_sub_i32 s14, s8, s14
	s_add_i32 s16, s13, 1
	s_sub_i32 s17, s14, s4
	s_cmp_ge_u32 s14, s4
	v_cmp_ne_u32_e32 vcc_lo, 0, v3
	s_cselect_b32 s13, s16, s13
	s_cselect_b32 s14, s17, s14
	s_add_i32 s16, s13, 1
	s_cmp_ge_u32 s14, s4
	v_cndmask_b32_e64 v12, 0, 1, vcc_lo
	s_cselect_b32 s4, s16, s13
	v_bfe_u32 v13, v2, 2, 6
	s_mul_i32 s14, s4, s7
	v_lshlrev_b32_e32 v8, 2, v8
	s_lshl_b64 s[14:15], s[14:15], 2
	v_lshl_or_b32 v10, v10, 2, v12
	s_add_u32 s2, s2, s14
	s_addc_u32 s3, s3, s15
	v_add_nc_u32_e32 v11, v13, v11
	s_delay_alu instid0(VALU_DEP_2)
	v_mad_u64_u32 v[2:3], null, v10, 36, s[2:3]
	v_lshlrev_b32_e32 v10, 1, v12
	v_lshlrev_b32_e32 v12, 3, v4
.LBB284_3:                              ; =>This Inner Loop Header: Depth=1
	v_add_nc_u32_e32 v17, v6, v4
	s_delay_alu instid0(VALU_DEP_2) | instskip(SKIP_2) | instid1(VALU_DEP_4)
	v_mad_i64_i32 v[13:14], null, v12, 36, v[2:3]
	v_add_nc_u32_e32 v4, 1, v4
	v_add_nc_u32_e32 v12, 8, v12
	v_mad_i64_i32 v[15:16], null, 0xd2, v17, s[0:1]
	s_delay_alu instid0(VALU_DEP_4) | instskip(SKIP_1) | instid1(VALU_DEP_3)
	v_add_co_u32 v17, vcc_lo, v13, v9
	v_add_co_ci_u32_e32 v18, vcc_lo, 0, v14, vcc_lo
	v_add_co_u32 v19, vcc_lo, v15, v8
	s_delay_alu instid0(VALU_DEP_4)
	v_add_co_ci_u32_e32 v20, vcc_lo, 0, v16, vcc_lo
	v_add_co_u32 v21, vcc_lo, v15, v7
	v_add_co_ci_u32_e32 v22, vcc_lo, 0, v16, vcc_lo
	global_load_b32 v23, v[17:18], off offset:4
	s_clause 0x1
	global_load_b32 v19, v[19:20], off offset:128
	global_load_b32 v20, v[21:22], off
	global_load_b32 v21, v[17:18], off offset:76
	v_add_co_u32 v17, vcc_lo, v15, v11
	v_add_co_ci_u32_e32 v18, vcc_lo, 0, v16, vcc_lo
	v_cmp_le_u32_e32 vcc_lo, s12, v4
	s_clause 0x1
	global_load_i8 v22, v[17:18], off offset:192
	global_load_i8 v17, v[17:18], off offset:196
	s_clause 0x1
	global_load_b32 v18, v[13:14], off
	global_load_b32 v13, v[13:14], off offset:72
	global_load_u16 v14, v[15:16], off offset:208
	s_or_b32 s9, vcc_lo, s9
	s_waitcnt vmcnt(8)
	v_bfe_i32 v16, v23, 8, 8
	s_waitcnt vmcnt(7)
	v_ashrrev_i32_e32 v19, v10, v19
	s_waitcnt vmcnt(6)
	v_and_b32_e32 v28, 0xf0f0f0f, v20
	v_lshrrev_b32_e32 v20, 4, v20
	v_bfe_i32 v15, v23, 0, 8
	v_bfe_i32 v24, v23, 16, 8
	v_lshlrev_b32_e32 v29, 4, v19
	v_and_b32_e32 v19, 0x30303030, v19
	v_ashrrev_i32_e32 v23, 24, v23
	s_waitcnt vmcnt(5)
	v_bfe_i32 v26, v21, 8, 8
	v_bfe_i32 v25, v21, 0, 8
	v_and_or_b32 v28, 0x30303030, v29, v28
	v_and_or_b32 v19, 0xf0f0f0f, v20, v19
	v_bfe_i32 v27, v21, 16, 8
	v_ashrrev_i32_e32 v21, 24, v21
	s_delay_alu instid0(VALU_DEP_4)
	v_lshrrev_b32_e32 v20, 16, v28
	v_and_b32_e32 v29, 0x3f00, v28
	v_lshlrev_b16 v28, 8, v28
	v_lshrrev_b32_e32 v30, 16, v19
	v_and_b32_e32 v31, 0x3f00, v19
	v_lshlrev_b16 v19, 8, v19
	v_and_b32_e32 v32, 0x3f00, v20
	v_add_nc_u16 v28, v28, 0xe000
	v_lshlrev_b16 v20, 8, v20
	v_and_b32_e32 v33, 0x3f00, v30
	v_add_nc_u16 v19, v19, 0xe000
	v_lshlrev_b16 v30, 8, v30
	v_lshrrev_b16 v28, 8, v28
	v_add_nc_u16 v20, v20, 0xe000
	s_delay_alu instid0(VALU_DEP_4) | instskip(NEXT) | instid1(VALU_DEP_4)
	v_lshrrev_b16 v19, 8, v19
	v_add_nc_u16 v30, v30, 0xe000
	s_delay_alu instid0(VALU_DEP_4) | instskip(NEXT) | instid1(VALU_DEP_4)
	v_or_b32_e32 v28, v29, v28
	v_lshrrev_b16 v20, 8, v20
	s_delay_alu instid0(VALU_DEP_4) | instskip(NEXT) | instid1(VALU_DEP_4)
	v_or_b32_e32 v19, v31, v19
	v_lshrrev_b16 v29, 8, v30
	s_delay_alu instid0(VALU_DEP_4) | instskip(NEXT) | instid1(VALU_DEP_4)
	v_add_nc_u16 v28, v28, 0xe000
	v_or_b32_e32 v20, v32, v20
	s_delay_alu instid0(VALU_DEP_4) | instskip(NEXT) | instid1(VALU_DEP_4)
	v_add_nc_u16 v19, v19, 0xe000
	v_or_b32_e32 v29, v33, v29
	s_delay_alu instid0(VALU_DEP_4) | instskip(NEXT) | instid1(VALU_DEP_4)
	v_and_b32_e32 v28, 0xffff, v28
	v_add_nc_u16 v20, v20, 0xe000
	s_delay_alu instid0(VALU_DEP_4) | instskip(NEXT) | instid1(VALU_DEP_4)
	v_and_b32_e32 v19, 0xffff, v19
	v_add_nc_u16 v29, v29, 0xe000
	s_delay_alu instid0(VALU_DEP_4)
	v_bfe_i32 v30, v28, 0, 8
	v_bfe_i32 v28, v28, 8, 8
	;; [unrolled: 1-line block ×6, first 2 shown]
	v_mul_i32_i24_e32 v16, v28, v16
	v_bfe_i32 v33, v29, 0, 8
	v_bfe_i32 v28, v29, 8, 8
	v_mul_i32_i24_e32 v15, v30, v15
	v_mul_i32_i24_e32 v20, v20, v23
	v_mul_i32_i24_e32 v19, v19, v26
	v_mad_i32_i24 v16, v31, v24, v16
	v_mul_i32_i24_e32 v23, v32, v25
	v_mul_i32_i24_e32 v21, v28, v21
	s_delay_alu instid0(VALU_DEP_4) | instskip(NEXT) | instid1(VALU_DEP_4)
	v_mad_i32_i24 v19, v33, v27, v19
	v_add3_u32 v15, v16, v20, v15
	s_delay_alu instid0(VALU_DEP_2) | instskip(SKIP_1) | instid1(VALU_DEP_2)
	v_add3_u32 v16, v19, v21, v23
	s_waitcnt vmcnt(4)
	v_mul_lo_u32 v15, v15, v22
	s_waitcnt vmcnt(3)
	s_delay_alu instid0(VALU_DEP_2) | instskip(NEXT) | instid1(VALU_DEP_2)
	v_mul_lo_u32 v16, v16, v17
	v_cvt_f32_i32_e32 v15, v15
	s_delay_alu instid0(VALU_DEP_2) | instskip(SKIP_1) | instid1(VALU_DEP_2)
	v_cvt_f32_i32_e32 v16, v16
	s_waitcnt vmcnt(2)
	v_fma_mix_f32 v15, v18, v15, 0 op_sel_hi:[1,0,0]
	s_waitcnt vmcnt(1)
	s_delay_alu instid0(VALU_DEP_1) | instskip(SKIP_1) | instid1(VALU_DEP_1)
	v_fma_mix_f32 v13, v13, v16, v15 op_sel_hi:[1,0,0]
	s_waitcnt vmcnt(0)
	v_fma_mix_f32 v5, v13, v14, v5 op_sel_hi:[0,1,0]
	s_and_not1_b32 exec_lo, exec_lo, s9
	s_cbranch_execnz .LBB284_3
; %bb.4:
	s_or_b32 exec_lo, exec_lo, s9
.LBB284_5:
	s_delay_alu instid0(SALU_CYCLE_1) | instskip(SKIP_1) | instid1(VALU_DEP_1)
	s_or_b32 exec_lo, exec_lo, s5
	v_mbcnt_lo_u32_b32 v2, -1, 0
	v_xor_b32_e32 v3, 16, v2
	v_xor_b32_e32 v4, 8, v2
	s_delay_alu instid0(VALU_DEP_2) | instskip(SKIP_1) | instid1(VALU_DEP_3)
	v_cmp_gt_i32_e32 vcc_lo, 32, v3
	v_cndmask_b32_e32 v3, v2, v3, vcc_lo
	v_cmp_gt_i32_e32 vcc_lo, 32, v4
	v_cndmask_b32_e32 v4, v2, v4, vcc_lo
	s_delay_alu instid0(VALU_DEP_1) | instskip(NEXT) | instid1(VALU_DEP_4)
	v_lshlrev_b32_e32 v4, 2, v4
	v_lshlrev_b32_e32 v3, 2, v3
	ds_bpermute_b32 v3, v3, v5
	s_waitcnt lgkmcnt(0)
	v_add_f32_e32 v3, v5, v3
	v_xor_b32_e32 v5, 4, v2
	ds_bpermute_b32 v4, v4, v3
	v_cmp_gt_i32_e32 vcc_lo, 32, v5
	v_cndmask_b32_e32 v5, v2, v5, vcc_lo
	s_delay_alu instid0(VALU_DEP_1) | instskip(SKIP_4) | instid1(VALU_DEP_1)
	v_lshlrev_b32_e32 v5, 2, v5
	s_waitcnt lgkmcnt(0)
	v_add_f32_e32 v3, v3, v4
	ds_bpermute_b32 v4, v5, v3
	v_xor_b32_e32 v5, 2, v2
	v_cmp_gt_i32_e32 vcc_lo, 32, v5
	v_cndmask_b32_e32 v5, v2, v5, vcc_lo
	s_delay_alu instid0(VALU_DEP_1) | instskip(SKIP_4) | instid1(VALU_DEP_1)
	v_lshlrev_b32_e32 v5, 2, v5
	s_waitcnt lgkmcnt(0)
	v_add_f32_e32 v3, v3, v4
	ds_bpermute_b32 v4, v5, v3
	v_xor_b32_e32 v5, 1, v2
	v_cmp_gt_i32_e32 vcc_lo, 32, v5
	v_cndmask_b32_e32 v5, v2, v5, vcc_lo
	v_cmp_eq_u32_e32 vcc_lo, 0, v0
	s_waitcnt lgkmcnt(0)
	s_delay_alu instid0(VALU_DEP_2)
	v_dual_add_f32 v2, v3, v4 :: v_dual_lshlrev_b32 v3, 2, v5
	ds_bpermute_b32 v3, v3, v2
	s_and_b32 exec_lo, exec_lo, vcc_lo
	s_cbranch_execz .LBB284_7
; %bb.6:
	s_waitcnt lgkmcnt(0)
	v_add_f32_e32 v4, v2, v3
	v_mad_u64_u32 v[2:3], null, s8, s6, v[1:2]
	v_mov_b32_e32 v3, 0
	s_delay_alu instid0(VALU_DEP_3) | instskip(SKIP_1) | instid1(VALU_DEP_2)
	v_bfe_u32 v0, v4, 16, 1
	v_cmp_o_f32_e32 vcc_lo, v4, v4
	v_add3_u32 v0, v4, v0, 0x7fff
	s_delay_alu instid0(VALU_DEP_1) | instskip(SKIP_1) | instid1(VALU_DEP_2)
	v_lshrrev_b32_e32 v5, 16, v0
	v_lshlrev_b64 v[0:1], 1, v[2:3]
	v_cndmask_b32_e32 v2, 0x7fc0, v5, vcc_lo
	s_delay_alu instid0(VALU_DEP_2) | instskip(NEXT) | instid1(VALU_DEP_3)
	v_add_co_u32 v0, vcc_lo, s10, v0
	v_add_co_ci_u32_e32 v1, vcc_lo, s11, v1, vcc_lo
	global_store_b16 v[0:1], v2, off
.LBB284_7:
	s_nop 0
	s_sendmsg sendmsg(MSG_DEALLOC_VGPRS)
	s_endpgm
	.section	.rodata,"a",@progbits
	.p2align	6, 0x0
	.amdhsa_kernel _ZL9moe_vec_qIN3c108BFloat16ELi256ELi32E10block_q6_KLi1EXadL_ZL17vec_dot_q6_K_q8_1PKvPK10block_q8_1RKiEEEvS4_S4_PT_PS8_iiii
		.amdhsa_group_segment_fixed_size 0
		.amdhsa_private_segment_fixed_size 0
		.amdhsa_kernarg_size 304
		.amdhsa_user_sgpr_count 14
		.amdhsa_user_sgpr_dispatch_ptr 0
		.amdhsa_user_sgpr_queue_ptr 0
		.amdhsa_user_sgpr_kernarg_segment_ptr 1
		.amdhsa_user_sgpr_dispatch_id 0
		.amdhsa_user_sgpr_private_segment_size 0
		.amdhsa_wavefront_size32 1
		.amdhsa_uses_dynamic_stack 0
		.amdhsa_enable_private_segment 0
		.amdhsa_system_sgpr_workgroup_id_x 1
		.amdhsa_system_sgpr_workgroup_id_y 0
		.amdhsa_system_sgpr_workgroup_id_z 1
		.amdhsa_system_sgpr_workgroup_info 0
		.amdhsa_system_vgpr_workitem_id 1
		.amdhsa_next_free_vgpr 34
		.amdhsa_next_free_sgpr 18
		.amdhsa_reserve_vcc 1
		.amdhsa_float_round_mode_32 0
		.amdhsa_float_round_mode_16_64 0
		.amdhsa_float_denorm_mode_32 3
		.amdhsa_float_denorm_mode_16_64 3
		.amdhsa_dx10_clamp 1
		.amdhsa_ieee_mode 1
		.amdhsa_fp16_overflow 0
		.amdhsa_workgroup_processor_mode 1
		.amdhsa_memory_ordered 1
		.amdhsa_forward_progress 0
		.amdhsa_shared_vgpr_count 0
		.amdhsa_exception_fp_ieee_invalid_op 0
		.amdhsa_exception_fp_denorm_src 0
		.amdhsa_exception_fp_ieee_div_zero 0
		.amdhsa_exception_fp_ieee_overflow 0
		.amdhsa_exception_fp_ieee_underflow 0
		.amdhsa_exception_fp_ieee_inexact 0
		.amdhsa_exception_int_div_zero 0
	.end_amdhsa_kernel
	.section	.text._ZL9moe_vec_qIN3c108BFloat16ELi256ELi32E10block_q6_KLi1EXadL_ZL17vec_dot_q6_K_q8_1PKvPK10block_q8_1RKiEEEvS4_S4_PT_PS8_iiii,"axG",@progbits,_ZL9moe_vec_qIN3c108BFloat16ELi256ELi32E10block_q6_KLi1EXadL_ZL17vec_dot_q6_K_q8_1PKvPK10block_q8_1RKiEEEvS4_S4_PT_PS8_iiii,comdat
.Lfunc_end284:
	.size	_ZL9moe_vec_qIN3c108BFloat16ELi256ELi32E10block_q6_KLi1EXadL_ZL17vec_dot_q6_K_q8_1PKvPK10block_q8_1RKiEEEvS4_S4_PT_PS8_iiii, .Lfunc_end284-_ZL9moe_vec_qIN3c108BFloat16ELi256ELi32E10block_q6_KLi1EXadL_ZL17vec_dot_q6_K_q8_1PKvPK10block_q8_1RKiEEEvS4_S4_PT_PS8_iiii
                                        ; -- End function
	.section	.AMDGPU.csdata,"",@progbits
; Kernel info:
; codeLenInByte = 1568
; NumSgprs: 20
; NumVgprs: 34
; ScratchSize: 0
; MemoryBound: 0
; FloatMode: 240
; IeeeMode: 1
; LDSByteSize: 0 bytes/workgroup (compile time only)
; SGPRBlocks: 2
; VGPRBlocks: 4
; NumSGPRsForWavesPerEU: 20
; NumVGPRsForWavesPerEU: 34
; Occupancy: 16
; WaveLimiterHint : 1
; COMPUTE_PGM_RSRC2:SCRATCH_EN: 0
; COMPUTE_PGM_RSRC2:USER_SGPR: 14
; COMPUTE_PGM_RSRC2:TRAP_HANDLER: 0
; COMPUTE_PGM_RSRC2:TGID_X_EN: 1
; COMPUTE_PGM_RSRC2:TGID_Y_EN: 0
; COMPUTE_PGM_RSRC2:TGID_Z_EN: 1
; COMPUTE_PGM_RSRC2:TIDIG_COMP_CNT: 1
	.section	.text._ZL9moe_vec_qIN3c108BFloat16ELi256ELi8E13block_iq2_xxsLi1EXadL_ZL20vec_dot_iq2_xxs_q8_1PKvPK10block_q8_1RKiEEEvS4_S4_PT_PS8_iiii,"axG",@progbits,_ZL9moe_vec_qIN3c108BFloat16ELi256ELi8E13block_iq2_xxsLi1EXadL_ZL20vec_dot_iq2_xxs_q8_1PKvPK10block_q8_1RKiEEEvS4_S4_PT_PS8_iiii,comdat
	.globl	_ZL9moe_vec_qIN3c108BFloat16ELi256ELi8E13block_iq2_xxsLi1EXadL_ZL20vec_dot_iq2_xxs_q8_1PKvPK10block_q8_1RKiEEEvS4_S4_PT_PS8_iiii ; -- Begin function _ZL9moe_vec_qIN3c108BFloat16ELi256ELi8E13block_iq2_xxsLi1EXadL_ZL20vec_dot_iq2_xxs_q8_1PKvPK10block_q8_1RKiEEEvS4_S4_PT_PS8_iiii
	.p2align	8
	.type	_ZL9moe_vec_qIN3c108BFloat16ELi256ELi8E13block_iq2_xxsLi1EXadL_ZL20vec_dot_iq2_xxs_q8_1PKvPK10block_q8_1RKiEEEvS4_S4_PT_PS8_iiii,@function
_ZL9moe_vec_qIN3c108BFloat16ELi256ELi8E13block_iq2_xxsLi1EXadL_ZL20vec_dot_iq2_xxs_q8_1PKvPK10block_q8_1RKiEEEvS4_S4_PT_PS8_iiii: ; @_ZL9moe_vec_qIN3c108BFloat16ELi256ELi8E13block_iq2_xxsLi1EXadL_ZL20vec_dot_iq2_xxs_q8_1PKvPK10block_q8_1RKiEEEvS4_S4_PT_PS8_iiii
; %bb.0:
	s_clause 0x1
	s_load_b32 s2, s[0:1], 0x3c
	s_load_b128 s[16:19], s[0:1], 0x20
	v_bfe_u32 v3, v0, 10, 10
	s_waitcnt lgkmcnt(0)
	s_lshr_b32 s2, s2, 16
	s_delay_alu instid0(VALU_DEP_1) | instid1(SALU_CYCLE_1)
	v_mad_u64_u32 v[1:2], null, s14, s2, v[3:4]
	s_mov_b32 s2, exec_lo
	s_delay_alu instid0(VALU_DEP_1)
	v_cmpx_gt_u32_e64 s18, v1
	s_cbranch_execz .LBB285_7
; %bb.1:
	s_mov_b32 s12, s15
	s_load_b64 s[14:15], s[0:1], 0x10
	v_dual_mov_b32 v5, 0 :: v_dual_and_b32 v0, 0x3ff, v0
	s_ashr_i32 s2, s17, 31
	s_mov_b32 s11, exec_lo
	s_lshr_b32 s2, s2, 24
	s_delay_alu instid0(VALU_DEP_1) | instskip(SKIP_1) | instid1(SALU_CYCLE_1)
	v_lshrrev_b32_e32 v4, 3, v0
	s_add_i32 s2, s17, s2
	s_ashr_i32 s17, s2, 8
	s_delay_alu instid0(VALU_DEP_1) | instid1(SALU_CYCLE_1)
	v_cmpx_gt_u32_e64 s17, v4
	s_cbranch_execz .LBB285_5
; %bb.2:
	s_load_b64 s[2:3], s[0:1], 0x18
	s_mov_b32 s13, 0
	v_cvt_f32_u32_e32 v2, s16
	s_lshl_b64 s[4:5], s[12:13], 2
	v_mul_lo_u32 v6, v1, s17
	v_lshlrev_b32_e32 v7, 3, v4
	v_and_b32_e32 v5, 7, v0
	v_rcp_iflag_f32_e32 v2, v2
	s_delay_alu instid0(VALU_DEP_1)
	v_lshlrev_b32_e32 v8, 2, v5
	s_waitcnt_depctr 0xfff
	v_mul_f32_e32 v2, 0x4f7ffffe, v2
	s_waitcnt lgkmcnt(0)
	s_add_u32 s2, s2, s4
	s_addc_u32 s3, s3, s5
	s_delay_alu instid0(VALU_DEP_1)
	v_cvt_u32_f32_e32 v2, v2
	s_load_b32 s4, s[2:3], 0x0
	s_load_b128 s[0:3], s[0:1], 0x0
	s_mul_i32 s5, s17, s18
	s_waitcnt lgkmcnt(0)
	s_mul_i32 s4, s5, s4
	v_readfirstlane_b32 s5, v2
	s_mul_i32 s6, s4, 0x42
	s_mul_hi_i32 s4, s4, 0x42
	s_add_u32 s20, s0, s6
	s_addc_u32 s21, s1, s4
	s_sub_i32 s0, 0, s16
	s_delay_alu instid0(SALU_CYCLE_1) | instskip(NEXT) | instid1(SALU_CYCLE_1)
	s_mul_i32 s0, s0, s5
	s_mul_hi_u32 s0, s5, s0
	s_delay_alu instid0(SALU_CYCLE_1) | instskip(NEXT) | instid1(SALU_CYCLE_1)
	s_add_i32 s5, s5, s0
	s_mul_hi_u32 s0, s12, s5
	s_delay_alu instid0(SALU_CYCLE_1) | instskip(SKIP_2) | instid1(SALU_CYCLE_1)
	s_mul_i32 s1, s0, s16
	s_add_i32 s4, s0, 1
	s_sub_i32 s1, s12, s1
	s_sub_i32 s5, s1, s16
	s_cmp_ge_u32 s1, s16
	s_cselect_b32 s0, s4, s0
	s_cselect_b32 s1, s5, s1
	s_add_i32 s4, s0, 1
	s_cmp_ge_u32 s1, s16
	s_mov_b32 s1, s13
	s_cselect_b32 s0, s4, s0
	s_delay_alu instid0(SALU_CYCLE_1) | instskip(NEXT) | instid1(SALU_CYCLE_1)
	s_mul_i32 s0, s0, s19
	s_lshl_b64 s[0:1], s[0:1], 2
	s_delay_alu instid0(SALU_CYCLE_1) | instskip(SKIP_1) | instid1(SALU_CYCLE_1)
	s_add_u32 s0, s2, s0
	s_addc_u32 s1, s3, s1
	v_mad_u64_u32 v[2:3], null, v5, 36, s[0:1]
	v_dual_mov_b32 v5, 0 :: v_dual_lshlrev_b32 v8, 1, v8
.LBB285_3:                              ; =>This Inner Loop Header: Depth=1
	v_add_nc_u32_e32 v9, v6, v4
	s_delay_alu instid0(VALU_DEP_3)
	v_mad_i64_i32 v[19:20], null, v7, 36, v[2:3]
	s_getpc_b64 s[0:1]
	s_add_u32 s0, s0, _ZL11iq2xxs_grid@rel32@lo+4
	s_addc_u32 s1, s1, _ZL11iq2xxs_grid@rel32@hi+12
	s_getpc_b64 s[2:3]
	s_add_u32 s2, s2, _ZL12ksigns_iq2xs@rel32@lo+4
	s_addc_u32 s3, s3, _ZL12ksigns_iq2xs@rel32@hi+12
	v_mad_i64_i32 v[17:18], null, 0x42, v9, s[20:21]
	v_add_nc_u32_e32 v4, 4, v4
	v_add_nc_u32_e32 v7, 32, v7
	s_delay_alu instid0(VALU_DEP_3) | instskip(NEXT) | instid1(VALU_DEP_4)
	v_add_co_u32 v9, vcc_lo, v17, v8
	v_add_co_ci_u32_e32 v10, vcc_lo, 0, v18, vcc_lo
	s_clause 0x1
	global_load_b32 v27, v[9:10], off offset:6
	global_load_b32 v21, v[9:10], off offset:2
	s_clause 0x1
	global_load_b128 v[9:12], v[19:20], off offset:4
	global_load_b128 v[13:16], v[19:20], off offset:20
	global_load_u16 v28, v[17:18], off
	s_waitcnt vmcnt(2)
	v_bfe_i32 v37, v9, 8, 8
	v_and_b32_e32 v29, 0x7f, v27
	v_bfe_u32 v30, v27, 7, 7
	v_bfe_u32 v31, v27, 21, 7
	v_lshrrev_b32_e32 v22, 5, v21
	v_lshrrev_b32_e32 v23, 13, v21
	s_clause 0x2
	global_load_i8 v32, v29, s[2:3]
	global_load_i8 v33, v30, s[2:3]
	;; [unrolled: 1-line block ×3, first 2 shown]
	s_waitcnt vmcnt(3)
	v_cvt_f32_f16_e32 v28, v28
	v_and_b32_e32 v22, 0x7f8, v22
	v_and_b32_e32 v23, 0x7f8, v23
	v_bfe_i32 v39, v10, 0, 8
	v_bfe_i32 v38, v9, 16, 8
	;; [unrolled: 1-line block ×12, first 2 shown]
	v_ashrrev_i32_e32 v14, 24, v14
	v_bfe_i32 v41, v10, 16, 8
	v_ashrrev_i32_e32 v10, 24, v10
	v_bfe_i32 v42, v11, 0, 8
	v_bfe_i32 v43, v11, 8, 8
	v_bfe_i32 v44, v11, 16, 8
	v_ashrrev_i32_e32 v11, 24, v11
	v_bfe_i32 v45, v12, 0, 8
	v_bfe_i32 v46, v12, 8, 8
	;; [unrolled: 4-line block ×3, first 2 shown]
	v_bfe_i32 v50, v13, 16, 8
	v_ashrrev_i32_e32 v13, 24, v13
	v_ashrrev_i32_e32 v15, 24, v15
	;; [unrolled: 1-line block ×3, first 2 shown]
	s_waitcnt vmcnt(2)
	v_and_b32_e32 v60, 2, v32
	v_and_b32_e32 v62, 8, v32
	;; [unrolled: 1-line block ×5, first 2 shown]
	v_cmp_eq_u16_e32 vcc_lo, 0, v60
	v_and_b32_e32 v17, 0xffff0000, v27
	s_waitcnt vmcnt(1)
	v_and_b32_e32 v65, 1, v33
	v_and_b32_e32 v66, 2, v33
	;; [unrolled: 1-line block ×4, first 2 shown]
	v_and_or_b32 v17, 0xffff, v27, v17
	v_lshrrev_b32_e32 v27, 28, v27
	v_and_b32_e32 v93, 16, v33
	v_cmp_gt_i16_e64 s6, 0, v33
	v_cmp_eq_u16_e64 s4, 0, v68
	v_bfe_u32 v35, v17, 14, 7
	v_cvt_f32_ubyte0_e32 v27, v27
	v_and_b32_e32 v18, 0xff, v21
	v_lshrrev_b32_e32 v21, 21, v21
	s_delay_alu instid0(VALU_DEP_2) | instskip(NEXT) | instid1(VALU_DEP_1)
	v_dual_add_f32 v27, 0.5, v27 :: v_dual_lshlrev_b32 v18, 3, v18
	v_mul_f32_e32 v27, v27, v28
	s_delay_alu instid0(VALU_DEP_3)
	v_and_b32_e32 v25, 0x7f8, v21
	s_clause 0x3
	global_load_b64 v[17:18], v18, s[0:1]
	global_load_b64 v[21:22], v22, s[0:1]
	global_load_b64 v[23:24], v23, s[0:1]
	global_load_b64 v[25:26], v25, s[0:1]
	global_load_i8 v36, v35, s[2:3]
	global_load_u16 v19, v[19:20], off
	v_bfe_i32 v20, v9, 0, 8
	v_ashrrev_i32_e32 v9, 24, v9
	v_cmp_eq_u16_e64 s0, 0, v62
	v_cmp_eq_u16_e64 s1, 0, v64
	v_cmp_gt_i16_e64 s2, 0, v32
	v_cmp_eq_u16_e64 s3, 0, v66
	s_waitcnt vmcnt(5)
	v_bfe_u32 v72, v17, 8, 8
	v_and_b32_e32 v73, 0xff, v18
	v_lshrrev_b32_e32 v69, 24, v17
	v_and_b32_e32 v71, 0xff, v17
	v_bfe_u32 v17, v17, 16, 8
	s_waitcnt vmcnt(2)
	v_lshrrev_b32_e32 v87, 24, v25
	v_and_b32_e32 v89, 0xff, v25
	v_bfe_u32 v90, v25, 8, 8
	v_bfe_u32 v25, v25, 16, 8
	v_bfe_u32 v92, v26, 8, 8
	v_mul_i32_i24_e32 v37, v72, v37
	v_mul_i32_i24_e32 v39, v73, v39
	v_lshrrev_b32_e32 v82, 24, v24
	v_and_b32_e32 v85, 0xff, v24
	v_bfe_u32 v86, v24, 8, 8
	v_bfe_u32 v24, v24, 16, 8
	v_lshrrev_b32_e32 v88, 24, v26
	v_and_b32_e32 v91, 0xff, v26
	v_bfe_u32 v26, v26, 16, 8
	v_mul_i32_i24_e32 v20, v71, v20
	v_mul_i32_i24_e32 v17, v17, v38
	;; [unrolled: 1-line block ×4, first 2 shown]
	v_sub_nc_u32_e32 v58, 0, v37
	v_sub_nc_u32_e32 v62, 0, v39
	v_and_b32_e32 v28, 1, v32
	v_bfe_u32 v74, v18, 8, 8
	v_mul_i32_i24_e32 v9, v69, v9
	v_mul_i32_i24_e32 v24, v24, v53
	;; [unrolled: 1-line block ×6, first 2 shown]
	v_sub_nc_u32_e32 v57, 0, v20
	v_sub_nc_u32_e32 v59, 0, v17
	v_cmp_eq_u16_e64 s10, 0, v28
	v_cndmask_b32_e32 v28, v58, v37, vcc_lo
	v_cmp_eq_u16_e32 vcc_lo, 0, v61
	v_lshrrev_b32_e32 v70, 24, v18
	v_bfe_u32 v18, v18, 16, 8
	v_and_b32_e32 v77, 0xff, v21
	v_mul_i32_i24_e32 v40, v74, v40
	v_mul_i32_i24_e32 v14, v82, v14
	v_sub_nc_u32_e32 v60, 0, v9
	v_cndmask_b32_e64 v20, v57, v20, s10
	v_cndmask_b32_e32 v17, v59, v17, vcc_lo
	v_cmp_eq_u16_e32 vcc_lo, 0, v63
	v_bfe_u32 v78, v21, 8, 8
	v_mul_i32_i24_e32 v18, v18, v41
	v_mul_i32_i24_e32 v10, v70, v10
	v_mul_i32_i24_e32 v42, v77, v42
	v_cndmask_b32_e32 v39, v62, v39, vcc_lo
	v_sub_nc_u32_e32 v77, 0, v40
	v_cndmask_b32_e64 v9, v60, v9, s0
	v_add_nc_u32_e32 v20, v28, v20
	v_sub_nc_u32_e32 v28, 0, v14
	s_waitcnt vmcnt(1)
	v_cmp_gt_i16_e32 vcc_lo, 0, v36
	v_lshrrev_b32_e32 v75, 24, v21
	v_bfe_u32 v21, v21, 16, 8
	v_and_b32_e32 v79, 0xff, v22
	v_mul_i32_i24_e32 v43, v78, v43
	v_sub_nc_u32_e32 v64, 0, v18
	v_sub_nc_u32_e32 v78, 0, v10
	v_cndmask_b32_e64 v40, v77, v40, s1
	v_add3_u32 v9, v20, v17, v9
	v_cndmask_b32_e32 v14, v14, v28, vcc_lo
	v_cmp_gt_u32_e64 s0, 64, v29
	v_bfe_u32 v80, v22, 8, 8
	v_mul_i32_i24_e32 v21, v21, v44
	v_mul_i32_i24_e32 v11, v75, v11
	;; [unrolled: 1-line block ×3, first 2 shown]
	v_sub_nc_u32_e32 v32, 0, v42
	v_sub_nc_u32_e32 v79, 0, v43
	v_cndmask_b32_e64 v17, v64, v18, s0
	v_cndmask_b32_e64 v10, v10, v78, s2
	v_add3_u32 v9, v9, v39, v40
	v_cmp_eq_u16_e64 s0, 0, v65
	v_lshrrev_b32_e32 v76, 24, v22
	v_bfe_u32 v22, v22, 16, 8
	v_lshrrev_b32_e32 v81, 24, v23
	v_and_b32_e32 v71, 32, v33
	v_mul_i32_i24_e32 v45, v80, v46
	v_sub_nc_u32_e32 v66, 0, v21
	v_sub_nc_u32_e32 v80, 0, v11
	v_cndmask_b32_e64 v20, v32, v42, s0
	v_cndmask_b32_e64 v29, v79, v43, s3
	v_add3_u32 v9, v9, v17, v10
	v_cmp_eq_u16_e64 s0, 0, v67
	v_and_b32_e32 v83, 0xff, v23
	v_bfe_u32 v84, v23, 8, 8
	v_mul_i32_i24_e32 v22, v22, v47
	v_mul_i32_i24_e32 v12, v76, v12
	;; [unrolled: 1-line block ×3, first 2 shown]
	v_sub_nc_u32_e32 v68, 0, v44
	v_sub_nc_u32_e32 v81, 0, v45
	v_cmp_eq_u16_e64 s5, 0, v71
	v_cndmask_b32_e64 v17, v66, v21, s0
	v_cndmask_b32_e64 v11, v80, v11, s4
	v_add3_u32 v9, v9, v20, v29
	v_cmp_eq_u16_e64 s1, 0, v93
	v_bfe_u32 v23, v23, 16, 8
	v_mul_i32_i24_e32 v46, v83, v48
	v_and_b32_e32 v47, 1, v36
	v_mul_i32_i24_e32 v48, v84, v49
	v_and_b32_e32 v49, 2, v36
	v_sub_nc_u32_e32 v71, 0, v22
	v_sub_nc_u32_e32 v82, 0, v12
	v_cndmask_b32_e64 v20, v68, v44, s1
	v_cndmask_b32_e64 v21, v81, v45, s5
	v_add3_u32 v9, v9, v17, v11
	v_cmp_gt_u32_e64 s1, 64, v30
	v_mul_i32_i24_e32 v23, v23, v50
	v_and_b32_e32 v50, 4, v36
	v_and_b32_e32 v70, 8, v36
	v_sub_nc_u32_e32 v33, 0, v46
	v_sub_nc_u32_e32 v83, 0, v48
	v_cmp_eq_u16_e64 s7, 0, v49
	v_cndmask_b32_e64 v17, v71, v22, s1
	v_cndmask_b32_e64 v12, v12, v82, s6
	v_add3_u32 v9, v9, v20, v21
	v_cmp_eq_u16_e64 s1, 0, v47
	v_mul_i32_i24_e32 v51, v85, v51
	v_and_b32_e32 v75, 16, v36
	v_mul_i32_i24_e32 v52, v86, v52
	v_and_b32_e32 v76, 32, v36
	v_sub_nc_u32_e32 v49, 0, v23
	v_sub_nc_u32_e32 v84, 0, v13
	v_cmp_eq_u16_e64 s8, 0, v70
	v_cndmask_b32_e64 v21, v33, v46, s1
	v_cndmask_b32_e64 v22, v83, v48, s7
	v_add3_u32 v9, v9, v17, v12
	v_cmp_eq_u16_e64 s2, 0, v50
	v_sub_nc_u32_e32 v70, 0, v51
	v_sub_nc_u32_e32 v85, 0, v52
	v_cmp_eq_u16_e64 s9, 0, v76
	v_cndmask_b32_e64 v13, v84, v13, s8
	v_cndmask_b32_e64 v12, v49, v23, s2
	v_add3_u32 v9, v9, v21, v22
	v_cmp_eq_u16_e64 s2, 0, v75
	v_and_b32_e32 v72, 1, v34
	v_and_b32_e32 v38, 2, v34
	v_sub_nc_u32_e32 v37, 0, v24
	v_cndmask_b32_e64 v22, v85, v52, s9
	v_cndmask_b32_e64 v21, v70, v51, s2
	v_add3_u32 v9, v9, v12, v13
	v_cmp_gt_u32_e64 s2, 64, v35
	v_and_b32_e32 v69, 4, v34
	v_and_b32_e32 v73, 8, v34
	v_mul_i32_i24_e32 v15, v87, v15
	v_sub_nc_u32_e32 v18, 0, v53
	v_sub_nc_u32_e32 v10, 0, v54
	v_cmp_eq_u16_e64 s0, 0, v38
	v_cndmask_b32_e64 v13, v37, v24, s2
	v_add3_u32 v9, v9, v21, v22
	v_cmp_eq_u16_e64 s2, 0, v72
	v_and_b32_e32 v74, 16, v34
	v_and_b32_e32 v41, 32, v34
	v_sub_nc_u32_e32 v11, 0, v25
	v_sub_nc_u32_e32 v20, 0, v15
	v_cmp_eq_u16_e64 s1, 0, v73
	v_cndmask_b32_e64 v18, v18, v53, s2
	v_cndmask_b32_e64 v10, v10, v54, s0
	v_add3_u32 v9, v9, v13, v14
	v_cmp_eq_u16_e64 s0, 0, v69
	v_mul_i32_i24_e32 v16, v88, v16
	v_sub_nc_u32_e32 v17, 0, v55
	v_sub_nc_u32_e32 v12, 0, v56
	v_cmp_eq_u16_e32 vcc_lo, 0, v41
	v_cndmask_b32_e64 v11, v11, v25, s0
	v_cndmask_b32_e64 v14, v20, v15, s1
	v_add3_u32 v9, v9, v18, v10
	v_cmp_eq_u16_e64 s0, 0, v74
	v_sub_nc_u32_e32 v13, 0, v26
	v_sub_nc_u32_e32 v10, 0, v16
	v_cndmask_b32_e32 v12, v12, v56, vcc_lo
	v_add3_u32 v9, v9, v11, v14
	v_cndmask_b32_e64 v15, v17, v55, s0
	v_cmp_gt_i16_e32 vcc_lo, 0, v34
	v_cmp_gt_u32_e64 s0, 64, v31
	s_waitcnt vmcnt(0)
	v_cvt_f32_f16_e32 v19, v19
	v_add3_u32 v9, v9, v15, v12
	v_cndmask_b32_e32 v10, v16, v10, vcc_lo
	v_cndmask_b32_e64 v11, v13, v26, s0
	s_delay_alu instid0(VALU_DEP_4) | instskip(SKIP_1) | instid1(VALU_DEP_3)
	v_mul_f32_e32 v12, v27, v19
	v_cmp_le_u32_e32 vcc_lo, s17, v4
	v_add3_u32 v9, v9, v11, v10
	s_delay_alu instid0(VALU_DEP_3) | instskip(SKIP_1) | instid1(VALU_DEP_2)
	v_mul_f32_e32 v10, 0x3e800000, v12
	s_or_b32 s13, vcc_lo, s13
	v_cvt_f32_i32_e32 v9, v9
	s_delay_alu instid0(VALU_DEP_1)
	v_fmac_f32_e32 v5, v10, v9
	s_and_not1_b32 exec_lo, exec_lo, s13
	s_cbranch_execnz .LBB285_3
; %bb.4:
	s_or_b32 exec_lo, exec_lo, s13
.LBB285_5:
	s_delay_alu instid0(SALU_CYCLE_1) | instskip(SKIP_1) | instid1(VALU_DEP_1)
	s_or_b32 exec_lo, exec_lo, s11
	v_mbcnt_lo_u32_b32 v2, -1, 0
	v_xor_b32_e32 v3, 16, v2
	v_xor_b32_e32 v4, 8, v2
	s_delay_alu instid0(VALU_DEP_2) | instskip(SKIP_1) | instid1(VALU_DEP_3)
	v_cmp_gt_i32_e32 vcc_lo, 32, v3
	v_cndmask_b32_e32 v3, v2, v3, vcc_lo
	v_cmp_gt_i32_e32 vcc_lo, 32, v4
	v_cndmask_b32_e32 v4, v2, v4, vcc_lo
	s_delay_alu instid0(VALU_DEP_1) | instskip(NEXT) | instid1(VALU_DEP_4)
	v_lshlrev_b32_e32 v4, 2, v4
	v_lshlrev_b32_e32 v3, 2, v3
	ds_bpermute_b32 v3, v3, v5
	s_waitcnt lgkmcnt(0)
	v_add_f32_e32 v3, v5, v3
	v_xor_b32_e32 v5, 4, v2
	ds_bpermute_b32 v4, v4, v3
	v_cmp_gt_i32_e32 vcc_lo, 32, v5
	v_cndmask_b32_e32 v5, v2, v5, vcc_lo
	s_delay_alu instid0(VALU_DEP_1) | instskip(SKIP_4) | instid1(VALU_DEP_1)
	v_lshlrev_b32_e32 v5, 2, v5
	s_waitcnt lgkmcnt(0)
	v_add_f32_e32 v3, v3, v4
	ds_bpermute_b32 v4, v5, v3
	v_xor_b32_e32 v5, 2, v2
	v_cmp_gt_i32_e32 vcc_lo, 32, v5
	v_cndmask_b32_e32 v5, v2, v5, vcc_lo
	s_delay_alu instid0(VALU_DEP_1) | instskip(SKIP_4) | instid1(VALU_DEP_1)
	v_lshlrev_b32_e32 v5, 2, v5
	s_waitcnt lgkmcnt(0)
	v_add_f32_e32 v3, v3, v4
	ds_bpermute_b32 v4, v5, v3
	v_xor_b32_e32 v5, 1, v2
	v_cmp_gt_i32_e32 vcc_lo, 32, v5
	v_cndmask_b32_e32 v5, v2, v5, vcc_lo
	v_cmp_eq_u32_e32 vcc_lo, 0, v0
	s_waitcnt lgkmcnt(0)
	s_delay_alu instid0(VALU_DEP_2)
	v_dual_add_f32 v2, v3, v4 :: v_dual_lshlrev_b32 v3, 2, v5
	ds_bpermute_b32 v3, v3, v2
	s_and_b32 exec_lo, exec_lo, vcc_lo
	s_cbranch_execz .LBB285_7
; %bb.6:
	s_waitcnt lgkmcnt(0)
	v_add_f32_e32 v4, v2, v3
	v_mad_u64_u32 v[2:3], null, s12, s18, v[1:2]
	v_mov_b32_e32 v3, 0
	s_delay_alu instid0(VALU_DEP_3) | instskip(SKIP_1) | instid1(VALU_DEP_2)
	v_bfe_u32 v0, v4, 16, 1
	v_cmp_o_f32_e32 vcc_lo, v4, v4
	v_add3_u32 v0, v4, v0, 0x7fff
	s_delay_alu instid0(VALU_DEP_1) | instskip(SKIP_1) | instid1(VALU_DEP_2)
	v_lshrrev_b32_e32 v5, 16, v0
	v_lshlrev_b64 v[0:1], 1, v[2:3]
	v_cndmask_b32_e32 v2, 0x7fc0, v5, vcc_lo
	s_delay_alu instid0(VALU_DEP_2) | instskip(NEXT) | instid1(VALU_DEP_3)
	v_add_co_u32 v0, vcc_lo, s14, v0
	v_add_co_ci_u32_e32 v1, vcc_lo, s15, v1, vcc_lo
	global_store_b16 v[0:1], v2, off
.LBB285_7:
	s_nop 0
	s_sendmsg sendmsg(MSG_DEALLOC_VGPRS)
	s_endpgm
	.section	.rodata,"a",@progbits
	.p2align	6, 0x0
	.amdhsa_kernel _ZL9moe_vec_qIN3c108BFloat16ELi256ELi8E13block_iq2_xxsLi1EXadL_ZL20vec_dot_iq2_xxs_q8_1PKvPK10block_q8_1RKiEEEvS4_S4_PT_PS8_iiii
		.amdhsa_group_segment_fixed_size 0
		.amdhsa_private_segment_fixed_size 0
		.amdhsa_kernarg_size 304
		.amdhsa_user_sgpr_count 14
		.amdhsa_user_sgpr_dispatch_ptr 0
		.amdhsa_user_sgpr_queue_ptr 0
		.amdhsa_user_sgpr_kernarg_segment_ptr 1
		.amdhsa_user_sgpr_dispatch_id 0
		.amdhsa_user_sgpr_private_segment_size 0
		.amdhsa_wavefront_size32 1
		.amdhsa_uses_dynamic_stack 0
		.amdhsa_enable_private_segment 0
		.amdhsa_system_sgpr_workgroup_id_x 1
		.amdhsa_system_sgpr_workgroup_id_y 0
		.amdhsa_system_sgpr_workgroup_id_z 1
		.amdhsa_system_sgpr_workgroup_info 0
		.amdhsa_system_vgpr_workitem_id 1
		.amdhsa_next_free_vgpr 94
		.amdhsa_next_free_sgpr 22
		.amdhsa_reserve_vcc 1
		.amdhsa_float_round_mode_32 0
		.amdhsa_float_round_mode_16_64 0
		.amdhsa_float_denorm_mode_32 3
		.amdhsa_float_denorm_mode_16_64 3
		.amdhsa_dx10_clamp 1
		.amdhsa_ieee_mode 1
		.amdhsa_fp16_overflow 0
		.amdhsa_workgroup_processor_mode 1
		.amdhsa_memory_ordered 1
		.amdhsa_forward_progress 0
		.amdhsa_shared_vgpr_count 0
		.amdhsa_exception_fp_ieee_invalid_op 0
		.amdhsa_exception_fp_denorm_src 0
		.amdhsa_exception_fp_ieee_div_zero 0
		.amdhsa_exception_fp_ieee_overflow 0
		.amdhsa_exception_fp_ieee_underflow 0
		.amdhsa_exception_fp_ieee_inexact 0
		.amdhsa_exception_int_div_zero 0
	.end_amdhsa_kernel
	.section	.text._ZL9moe_vec_qIN3c108BFloat16ELi256ELi8E13block_iq2_xxsLi1EXadL_ZL20vec_dot_iq2_xxs_q8_1PKvPK10block_q8_1RKiEEEvS4_S4_PT_PS8_iiii,"axG",@progbits,_ZL9moe_vec_qIN3c108BFloat16ELi256ELi8E13block_iq2_xxsLi1EXadL_ZL20vec_dot_iq2_xxs_q8_1PKvPK10block_q8_1RKiEEEvS4_S4_PT_PS8_iiii,comdat
.Lfunc_end285:
	.size	_ZL9moe_vec_qIN3c108BFloat16ELi256ELi8E13block_iq2_xxsLi1EXadL_ZL20vec_dot_iq2_xxs_q8_1PKvPK10block_q8_1RKiEEEvS4_S4_PT_PS8_iiii, .Lfunc_end285-_ZL9moe_vec_qIN3c108BFloat16ELi256ELi8E13block_iq2_xxsLi1EXadL_ZL20vec_dot_iq2_xxs_q8_1PKvPK10block_q8_1RKiEEEvS4_S4_PT_PS8_iiii
                                        ; -- End function
	.section	.AMDGPU.csdata,"",@progbits
; Kernel info:
; codeLenInByte = 2520
; NumSgprs: 24
; NumVgprs: 94
; ScratchSize: 0
; MemoryBound: 0
; FloatMode: 240
; IeeeMode: 1
; LDSByteSize: 0 bytes/workgroup (compile time only)
; SGPRBlocks: 2
; VGPRBlocks: 11
; NumSGPRsForWavesPerEU: 24
; NumVGPRsForWavesPerEU: 94
; Occupancy: 16
; WaveLimiterHint : 1
; COMPUTE_PGM_RSRC2:SCRATCH_EN: 0
; COMPUTE_PGM_RSRC2:USER_SGPR: 14
; COMPUTE_PGM_RSRC2:TRAP_HANDLER: 0
; COMPUTE_PGM_RSRC2:TGID_X_EN: 1
; COMPUTE_PGM_RSRC2:TGID_Y_EN: 0
; COMPUTE_PGM_RSRC2:TGID_Z_EN: 1
; COMPUTE_PGM_RSRC2:TIDIG_COMP_CNT: 1
	.section	.text._ZL9moe_vec_qIN3c108BFloat16ELi256ELi8E12block_iq2_xsLi1EXadL_ZL19vec_dot_iq2_xs_q8_1PKvPK10block_q8_1RKiEEEvS4_S4_PT_PS8_iiii,"axG",@progbits,_ZL9moe_vec_qIN3c108BFloat16ELi256ELi8E12block_iq2_xsLi1EXadL_ZL19vec_dot_iq2_xs_q8_1PKvPK10block_q8_1RKiEEEvS4_S4_PT_PS8_iiii,comdat
	.globl	_ZL9moe_vec_qIN3c108BFloat16ELi256ELi8E12block_iq2_xsLi1EXadL_ZL19vec_dot_iq2_xs_q8_1PKvPK10block_q8_1RKiEEEvS4_S4_PT_PS8_iiii ; -- Begin function _ZL9moe_vec_qIN3c108BFloat16ELi256ELi8E12block_iq2_xsLi1EXadL_ZL19vec_dot_iq2_xs_q8_1PKvPK10block_q8_1RKiEEEvS4_S4_PT_PS8_iiii
	.p2align	8
	.type	_ZL9moe_vec_qIN3c108BFloat16ELi256ELi8E12block_iq2_xsLi1EXadL_ZL19vec_dot_iq2_xs_q8_1PKvPK10block_q8_1RKiEEEvS4_S4_PT_PS8_iiii,@function
_ZL9moe_vec_qIN3c108BFloat16ELi256ELi8E12block_iq2_xsLi1EXadL_ZL19vec_dot_iq2_xs_q8_1PKvPK10block_q8_1RKiEEEvS4_S4_PT_PS8_iiii: ; @_ZL9moe_vec_qIN3c108BFloat16ELi256ELi8E12block_iq2_xsLi1EXadL_ZL19vec_dot_iq2_xs_q8_1PKvPK10block_q8_1RKiEEEvS4_S4_PT_PS8_iiii
; %bb.0:
	s_clause 0x1
	s_load_b32 s2, s[0:1], 0x3c
	s_load_b128 s[28:31], s[0:1], 0x20
	v_bfe_u32 v3, v0, 10, 10
	s_waitcnt lgkmcnt(0)
	s_lshr_b32 s2, s2, 16
	s_delay_alu instid0(VALU_DEP_1) | instid1(SALU_CYCLE_1)
	v_mad_u64_u32 v[1:2], null, s14, s2, v[3:4]
	s_mov_b32 s2, exec_lo
	s_delay_alu instid0(VALU_DEP_1)
	v_cmpx_gt_u32_e64 s30, v1
	s_cbranch_execz .LBB286_7
; %bb.1:
	s_load_b64 s[36:37], s[0:1], 0x10
	v_dual_mov_b32 v7, 0 :: v_dual_and_b32 v0, 0x3ff, v0
	s_ashr_i32 s2, s29, 31
	s_mov_b32 s34, s15
	s_lshr_b32 s2, s2, 24
	s_delay_alu instid0(VALU_DEP_1)
	v_lshrrev_b32_e32 v6, 3, v0
	s_add_i32 s2, s29, s2
	s_mov_b32 s33, exec_lo
	s_ashr_i32 s40, s2, 8
	s_delay_alu instid0(VALU_DEP_1) | instid1(SALU_CYCLE_1)
	v_cmpx_gt_u32_e64 s40, v6
	s_cbranch_execz .LBB286_5
; %bb.2:
	s_load_b64 s[2:3], s[0:1], 0x18
	s_mov_b32 s35, 0
	v_cvt_f32_u32_e32 v2, s28
	s_lshl_b64 s[4:5], s[34:35], 2
	v_and_b32_e32 v8, 7, v0
	v_mul_lo_u32 v9, v1, s40
	v_lshlrev_b32_e32 v10, 3, v6
	v_rcp_iflag_f32_e32 v2, v2
	s_delay_alu instid0(VALU_DEP_3)
	v_dual_mov_b32 v7, 0 :: v_dual_lshlrev_b32 v4, 2, v8
	s_waitcnt_depctr 0xfff
	v_dual_mul_f32 v2, 0x4f7ffffe, v2 :: v_dual_lshlrev_b32 v11, 1, v4
	s_waitcnt lgkmcnt(0)
	s_add_u32 s2, s2, s4
	s_addc_u32 s3, s3, s5
	s_delay_alu instid0(VALU_DEP_1)
	v_cvt_u32_f32_e32 v2, v2
	s_load_b32 s4, s[2:3], 0x0
	s_load_b128 s[0:3], s[0:1], 0x0
	s_mul_i32 s5, s40, s30
	s_waitcnt lgkmcnt(0)
	s_mul_i32 s4, s5, s4
	v_readfirstlane_b32 s5, v2
	s_mul_i32 s6, s4, 0x4a
	s_mul_hi_i32 s4, s4, 0x4a
	s_add_u32 s38, s0, s6
	s_addc_u32 s39, s1, s4
	s_sub_i32 s0, 0, s28
	s_delay_alu instid0(SALU_CYCLE_1) | instskip(NEXT) | instid1(SALU_CYCLE_1)
	s_mul_i32 s0, s0, s5
	s_mul_hi_u32 s0, s5, s0
	s_delay_alu instid0(SALU_CYCLE_1) | instskip(NEXT) | instid1(SALU_CYCLE_1)
	s_add_i32 s5, s5, s0
	s_mul_hi_u32 s0, s34, s5
	s_delay_alu instid0(SALU_CYCLE_1) | instskip(SKIP_2) | instid1(SALU_CYCLE_1)
	s_mul_i32 s1, s0, s28
	s_add_i32 s4, s0, 1
	s_sub_i32 s1, s34, s1
	s_sub_i32 s5, s1, s28
	s_cmp_ge_u32 s1, s28
	s_cselect_b32 s0, s4, s0
	s_cselect_b32 s1, s5, s1
	s_add_i32 s4, s0, 1
	s_cmp_ge_u32 s1, s28
	s_mov_b32 s1, s35
	s_cselect_b32 s0, s4, s0
	s_delay_alu instid0(SALU_CYCLE_1) | instskip(NEXT) | instid1(SALU_CYCLE_1)
	s_mul_i32 s0, s0, s31
	s_lshl_b64 s[0:1], s[0:1], 2
	s_delay_alu instid0(SALU_CYCLE_1) | instskip(SKIP_1) | instid1(SALU_CYCLE_1)
	s_add_u32 s0, s2, s0
	s_addc_u32 s1, s3, s1
	v_mad_u64_u32 v[2:3], null, v8, 36, s[0:1]
.LBB286_3:                              ; =>This Inner Loop Header: Depth=1
	v_add_nc_u32_e32 v4, v9, v6
	s_delay_alu instid0(VALU_DEP_2)
	v_mad_i64_i32 v[22:23], null, v10, 36, v[2:3]
	s_getpc_b64 s[0:1]
	s_add_u32 s0, s0, _ZL10iq2xs_grid@rel32@lo+4
	s_addc_u32 s1, s1, _ZL10iq2xs_grid@rel32@hi+12
	s_getpc_b64 s[2:3]
	s_add_u32 s2, s2, _ZL12ksigns_iq2xs@rel32@lo+4
	s_addc_u32 s3, s3, _ZL12ksigns_iq2xs@rel32@hi+12
	v_mad_i64_i32 v[20:21], null, 0x4a, v4, s[38:39]
	v_add_nc_u32_e32 v6, 4, v6
	v_add_nc_u32_e32 v10, 32, v10
	s_delay_alu instid0(VALU_DEP_3) | instskip(NEXT) | instid1(VALU_DEP_4)
	v_add_co_u32 v4, vcc_lo, v20, v11
	v_add_co_ci_u32_e32 v5, vcc_lo, 0, v21, vcc_lo
	v_add_co_u32 v24, vcc_lo, v20, v8
	v_add_co_ci_u32_e32 v25, vcc_lo, 0, v21, vcc_lo
	global_load_b64 v[4:5], v[4:5], off offset:2
	s_clause 0x1
	global_load_b128 v[12:15], v[22:23], off offset:4
	global_load_b128 v[16:19], v[22:23], off offset:20
	s_clause 0x1
	global_load_u8 v30, v[24:25], off offset:66
	global_load_u16 v31, v[20:21], off
	s_waitcnt vmcnt(3)
	v_bfe_i32 v36, v12, 8, 8
	v_and_b32_e32 v20, 0x1ff, v4
	v_lshrrev_b32_e32 v24, 13, v4
	v_and_b32_e32 v26, 0x1ff, v5
	v_lshrrev_b32_e32 v28, 13, v5
	v_bfe_u32 v21, v4, 9, 7
	v_lshrrev_b32_e32 v25, 25, v4
	v_bfe_u32 v27, v5, 9, 7
	v_lshrrev_b32_e32 v29, 25, v5
	v_lshlrev_b32_e32 v20, 3, v20
	v_and_b32_e32 v24, 0xff8, v24
	v_lshlrev_b32_e32 v26, 3, v26
	v_and_b32_e32 v28, 0xff8, v28
	s_clause 0x3
	global_load_i8 v32, v21, s[2:3]
	global_load_i8 v33, v25, s[2:3]
	;; [unrolled: 1-line block ×4, first 2 shown]
	s_clause 0x3
	global_load_b64 v[20:21], v20, s[0:1]
	global_load_b64 v[24:25], v24, s[0:1]
	global_load_b64 v[26:27], v26, s[0:1]
	global_load_b64 v[28:29], v28, s[0:1]
	global_load_u16 v22, v[22:23], off
	v_bfe_i32 v38, v13, 0, 8
	v_bfe_i32 v39, v13, 8, 8
	s_waitcnt vmcnt(11)
	v_bfe_i32 v47, v16, 0, 8
	v_bfe_i32 v48, v16, 8, 8
	s_waitcnt vmcnt(10)
	v_lshrrev_b16 v59, 4, v30
	v_bfe_i32 v23, v12, 0, 8
	v_bfe_i32 v37, v12, 16, 8
	v_ashrrev_i32_e32 v12, 24, v12
	v_bfe_i32 v40, v13, 16, 8
	v_ashrrev_i32_e32 v13, 24, v13
	;; [unrolled: 2-line block ×3, first 2 shown]
	v_bfe_i32 v50, v17, 0, 8
	v_bfe_i32 v51, v17, 8, 8
	;; [unrolled: 1-line block ×4, first 2 shown]
	v_cvt_f32_ubyte0_e32 v59, v59
	v_bfe_i32 v41, v14, 0, 8
	v_bfe_i32 v42, v14, 8, 8
	;; [unrolled: 1-line block ×3, first 2 shown]
	v_ashrrev_i32_e32 v14, 24, v14
	v_bfe_i32 v44, v15, 0, 8
	v_bfe_i32 v45, v15, 8, 8
	;; [unrolled: 1-line block ×3, first 2 shown]
	v_ashrrev_i32_e32 v15, 24, v15
	v_bfe_i32 v55, v18, 16, 8
	v_bfe_i32 v52, v17, 16, 8
	v_ashrrev_i32_e32 v17, 24, v17
	v_bfe_i32 v54, v18, 8, 8
	v_bfe_i32 v57, v19, 8, 8
	;; [unrolled: 1-line block ×3, first 2 shown]
	v_lshrrev_b32_e32 v60, 16, v4
	v_cmp_gt_i16_e64 s4, 0, v4
	v_ashrrev_i32_e32 v18, 24, v18
	v_lshrrev_b32_e32 v61, 16, v5
	v_cmp_gt_i16_e64 s19, 0, v5
	v_ashrrev_i32_e32 v19, 24, v19
	v_and_b32_e32 v30, 15, v30
	s_delay_alu instid0(VALU_DEP_4)
	v_cmp_gt_i16_e64 s27, 0, v61
	s_waitcnt vmcnt(5)
	v_cmp_gt_i16_e64 s28, 0, v35
	s_waitcnt vmcnt(4)
	v_bfe_u32 v72, v20, 8, 8
	v_and_b32_e32 v73, 0xff, v21
	v_bfe_u32 v74, v21, 8, 8
	s_waitcnt vmcnt(2)
	v_and_b32_e32 v83, 0xff, v26
	v_bfe_u32 v84, v26, 8, 8
	v_and_b32_e32 v63, 2, v32
	v_and_b32_e32 v64, 4, v32
	;; [unrolled: 1-line block ×4, first 2 shown]
	v_lshrrev_b32_e32 v69, 24, v20
	v_lshrrev_b32_e32 v70, 24, v21
	v_and_b32_e32 v71, 0xff, v20
	v_bfe_u32 v20, v20, 16, 8
	v_bfe_u32 v21, v21, 16, 8
	v_lshrrev_b32_e32 v81, 24, v26
	v_bfe_u32 v26, v26, 16, 8
	v_and_b32_e32 v85, 0xff, v27
	v_bfe_u32 v86, v27, 8, 8
	s_waitcnt vmcnt(1)
	v_and_b32_e32 v89, 0xff, v28
	v_and_b32_e32 v91, 0xff, v29
	v_mul_i32_i24_e32 v36, v72, v36
	v_mul_i32_i24_e32 v38, v73, v38
	v_and_b32_e32 v73, 1, v34
	v_mul_i32_i24_e32 v39, v74, v39
	v_and_b32_e32 v74, 2, v34
	v_mul_i32_i24_e32 v47, v83, v47
	v_mul_i32_i24_e32 v48, v84, v48
	v_and_b32_e32 v62, 1, v32
	v_and_b32_e32 v68, 1, v33
	v_lshrrev_b32_e32 v75, 24, v24
	v_lshrrev_b32_e32 v76, 24, v25
	v_and_b32_e32 v77, 0xff, v24
	v_bfe_u32 v78, v24, 8, 8
	v_bfe_u32 v24, v24, 16, 8
	v_and_b32_e32 v79, 0xff, v25
	v_bfe_u32 v80, v25, 8, 8
	v_bfe_u32 v25, v25, 16, 8
	v_lshrrev_b32_e32 v87, 24, v28
	v_bfe_u32 v90, v28, 8, 8
	v_bfe_u32 v28, v28, 16, 8
	v_and_b32_e32 v93, 2, v33
	v_mul_i32_i24_e32 v23, v71, v23
	v_and_b32_e32 v71, 4, v33
	v_and_b32_e32 v72, 8, v33
	v_mul_i32_i24_e32 v20, v20, v37
	v_and_b32_e32 v37, 16, v33
	v_mul_i32_i24_e32 v12, v69, v12
	;; [unrolled: 2-line block ×5, first 2 shown]
	v_mul_i32_i24_e32 v16, v81, v16
	v_mul_i32_i24_e32 v49, v85, v50
	;; [unrolled: 1-line block ×5, first 2 shown]
	v_sub_nc_u32_e32 v56, 0, v36
	v_cmp_eq_u16_e32 vcc_lo, 0, v63
	v_cmp_eq_u16_e64 s0, 0, v64
	v_sub_nc_u32_e32 v63, 0, v38
	v_cmp_eq_u16_e64 s2, 0, v66
	v_sub_nc_u32_e32 v64, 0, v39
	v_cmp_eq_u16_e64 s3, 0, v67
	v_cmp_gt_i16_e64 s12, 0, v33
	v_sub_nc_u32_e32 v33, 0, v47
	v_cmp_eq_u16_e64 s13, 0, v73
	v_sub_nc_u32_e32 v73, 0, v48
	v_cmp_eq_u16_e64 s14, 0, v74
	s_waitcnt vmcnt(0)
	v_cvt_f32_f16_e32 v22, v22
	v_and_b32_e32 v65, 8, v32
	v_lshrrev_b32_e32 v82, 24, v27
	v_bfe_u32 v27, v27, 16, 8
	v_lshrrev_b32_e32 v88, 24, v29
	v_bfe_u32 v92, v29, 8, 8
	v_bfe_u32 v29, v29, 16, 8
	v_mul_i32_i24_e32 v41, v77, v41
	v_and_b32_e32 v77, 16, v34
	v_mul_i32_i24_e32 v42, v78, v42
	v_and_b32_e32 v78, 32, v34
	v_mul_i32_i24_e32 v24, v24, v43
	v_and_b32_e32 v43, 1, v35
	v_mul_i32_i24_e32 v14, v75, v14
	v_and_b32_e32 v75, 2, v35
	v_mul_i32_i24_e32 v44, v79, v44
	v_and_b32_e32 v79, 4, v35
	v_mul_i32_i24_e32 v45, v80, v45
	v_and_b32_e32 v80, 8, v35
	v_mul_i32_i24_e32 v25, v25, v46
	v_and_b32_e32 v46, 16, v35
	v_mul_i32_i24_e32 v15, v76, v15
	v_and_b32_e32 v76, 32, v35
	v_mul_i32_i24_e32 v28, v28, v55
	v_sub_nc_u32_e32 v55, 0, v23
	v_sub_nc_u32_e32 v4, 0, v13
	v_cmp_gt_i16_e64 s5, 0, v32
	v_sub_nc_u32_e32 v74, 0, v26
	v_cmp_eq_u16_e64 s15, 0, v40
	v_sub_nc_u32_e32 v40, 0, v16
	v_cmp_eq_u16_e64 s16, 0, v70
	v_cmp_eq_u16_e64 s29, 0, v62
	v_cndmask_b32_e32 v35, v56, v36, vcc_lo
	v_cndmask_b32_e64 v36, v63, v38, s2
	v_cndmask_b32_e64 v38, v64, v39, s3
	;; [unrolled: 1-line block ×4, first 2 shown]
	v_mul_i32_i24_e32 v27, v27, v52
	v_mul_i32_i24_e32 v17, v82, v17
	;; [unrolled: 1-line block ×5, first 2 shown]
	v_sub_nc_u32_e32 v57, 0, v20
	v_sub_nc_u32_e32 v58, 0, v12
	v_cmp_eq_u16_e64 s1, 0, v65
	v_sub_nc_u32_e32 v70, 0, v49
	v_cmp_eq_u16_e64 s17, 0, v77
	;; [unrolled: 2-line block ×3, first 2 shown]
	v_cndmask_b32_e64 v23, v55, v23, s29
	v_cndmask_b32_e64 v4, v13, v4, s5
	;; [unrolled: 1-line block ×4, first 2 shown]
	v_add_nc_u32_e32 v26, v39, v33
	v_sub_nc_u32_e32 v78, 0, v27
	v_sub_nc_u32_e32 v5, 0, v17
	v_cmp_gt_i16_e64 s20, 0, v34
	v_cndmask_b32_e64 v20, v57, v20, s0
	v_cndmask_b32_e64 v12, v58, v12, s1
	;; [unrolled: 1-line block ×4, first 2 shown]
	v_add_nc_u32_e32 v23, v35, v23
	v_add3_u32 v13, v26, v13, v16
	v_mul_i32_i24_e32 v18, v87, v18
	v_sub_nc_u32_e32 v65, 0, v21
	v_sub_nc_u32_e32 v34, 0, v51
	v_cmp_eq_u16_e64 s21, 0, v43
	v_sub_nc_u32_e32 v43, 0, v52
	v_cmp_eq_u16_e64 s22, 0, v75
	v_cndmask_b32_e64 v26, v27, v78, s19
	v_cndmask_b32_e64 v5, v17, v5, s20
	v_add3_u32 v12, v23, v20, v12
	v_add3_u32 v13, v13, v33, v39
	v_sub_nc_u32_e32 v32, 0, v41
	v_cmp_eq_u16_e64 s6, 0, v68
	v_sub_nc_u32_e32 v66, 0, v42
	v_cmp_eq_u16_e64 s7, 0, v93
	;; [unrolled: 2-line block ×5, first 2 shown]
	v_cndmask_b32_e64 v21, v21, v65, s4
	v_cndmask_b32_e64 v20, v34, v51, s21
	v_cndmask_b32_e64 v23, v43, v52, s22
	v_add3_u32 v12, v12, v36, v38
	v_add3_u32 v5, v13, v26, v5
	v_mul_i32_i24_e32 v19, v88, v19
	v_sub_nc_u32_e32 v67, 0, v24
	v_cmp_eq_u16_e64 s8, 0, v71
	v_sub_nc_u32_e32 v80, 0, v53
	v_cmp_eq_u16_e64 s25, 0, v46
	;; [unrolled: 2-line block ×3, first 2 shown]
	v_cndmask_b32_e64 v32, v32, v41, s6
	v_cndmask_b32_e64 v16, v66, v42, s7
	;; [unrolled: 1-line block ×5, first 2 shown]
	v_add3_u32 v4, v12, v21, v4
	v_add3_u32 v5, v5, v20, v23
	v_sub_nc_u32_e32 v71, 0, v44
	v_cmp_eq_u16_e64 s10, 0, v37
	v_sub_nc_u32_e32 v37, 0, v45
	v_cmp_eq_u16_e64 s11, 0, v69
	v_sub_nc_u32_e32 v76, 0, v29
	v_sub_nc_u32_e32 v61, 0, v19
	v_cndmask_b32_e64 v17, v67, v24, s8
	v_cndmask_b32_e64 v20, v80, v53, s25
	;; [unrolled: 1-line block ×3, first 2 shown]
	v_add3_u32 v4, v4, v32, v16
	v_add3_u32 v5, v5, v14, v18
	v_sub_nc_u32_e32 v69, 0, v25
	v_sub_nc_u32_e32 v72, 0, v15
	v_cndmask_b32_e64 v12, v71, v44, s10
	v_cndmask_b32_e64 v14, v37, v45, s11
	;; [unrolled: 1-line block ×4, first 2 shown]
	v_add3_u32 v4, v4, v17, v13
	v_add3_u32 v5, v5, v20, v21
	v_cmp_gt_i16_e32 vcc_lo, 0, v60
	v_cndmask_b32_e64 v15, v15, v72, s12
	s_delay_alu instid0(VALU_DEP_4) | instskip(NEXT) | instid1(VALU_DEP_4)
	v_add3_u32 v4, v4, v12, v14
	v_add3_u32 v5, v5, v16, v18
	v_cndmask_b32_e32 v13, v25, v69, vcc_lo
	v_cvt_f32_f16_e32 v12, v31
	v_cvt_f32_ubyte0_e32 v14, v30
	v_add_f32_e32 v16, 0.5, v59
	v_cvt_f32_i32_e32 v5, v5
	v_add3_u32 v4, v4, v13, v15
	v_mul_f32_e32 v12, v12, v22
	v_add_f32_e32 v13, 0.5, v14
	v_cmp_le_u32_e32 vcc_lo, s40, v6
	v_mul_f32_e32 v5, v16, v5
	v_cvt_f32_i32_e32 v4, v4
	v_mul_f32_e32 v12, 0x3e800000, v12
	s_or_b32 s35, vcc_lo, s35
	s_delay_alu instid0(VALU_DEP_2) | instskip(NEXT) | instid1(VALU_DEP_1)
	v_fmac_f32_e32 v5, v13, v4
	v_fmac_f32_e32 v7, v12, v5
	s_and_not1_b32 exec_lo, exec_lo, s35
	s_cbranch_execnz .LBB286_3
; %bb.4:
	s_or_b32 exec_lo, exec_lo, s35
.LBB286_5:
	s_delay_alu instid0(SALU_CYCLE_1) | instskip(SKIP_1) | instid1(VALU_DEP_1)
	s_or_b32 exec_lo, exec_lo, s33
	v_mbcnt_lo_u32_b32 v2, -1, 0
	v_xor_b32_e32 v3, 16, v2
	v_xor_b32_e32 v4, 8, v2
	;; [unrolled: 1-line block ×3, first 2 shown]
	s_delay_alu instid0(VALU_DEP_3) | instskip(SKIP_1) | instid1(VALU_DEP_4)
	v_cmp_gt_i32_e32 vcc_lo, 32, v3
	v_cndmask_b32_e32 v3, v2, v3, vcc_lo
	v_cmp_gt_i32_e32 vcc_lo, 32, v4
	v_cndmask_b32_e32 v4, v2, v4, vcc_lo
	v_cmp_gt_i32_e32 vcc_lo, 32, v5
	s_delay_alu instid0(VALU_DEP_2)
	v_lshlrev_b32_e32 v4, 2, v4
	v_lshlrev_b32_e32 v3, 2, v3
	v_cndmask_b32_e32 v5, v2, v5, vcc_lo
	ds_bpermute_b32 v3, v3, v7
	v_lshlrev_b32_e32 v5, 2, v5
	s_waitcnt lgkmcnt(0)
	v_add_f32_e32 v3, v7, v3
	ds_bpermute_b32 v4, v4, v3
	s_waitcnt lgkmcnt(0)
	v_add_f32_e32 v3, v3, v4
	ds_bpermute_b32 v4, v5, v3
	v_xor_b32_e32 v5, 2, v2
	s_delay_alu instid0(VALU_DEP_1) | instskip(SKIP_1) | instid1(VALU_DEP_1)
	v_cmp_gt_i32_e32 vcc_lo, 32, v5
	v_cndmask_b32_e32 v5, v2, v5, vcc_lo
	v_lshlrev_b32_e32 v5, 2, v5
	s_waitcnt lgkmcnt(0)
	v_add_f32_e32 v3, v3, v4
	ds_bpermute_b32 v4, v5, v3
	v_xor_b32_e32 v5, 1, v2
	s_delay_alu instid0(VALU_DEP_1) | instskip(SKIP_3) | instid1(VALU_DEP_2)
	v_cmp_gt_i32_e32 vcc_lo, 32, v5
	v_cndmask_b32_e32 v5, v2, v5, vcc_lo
	v_cmp_eq_u32_e32 vcc_lo, 0, v0
	s_waitcnt lgkmcnt(0)
	v_dual_add_f32 v2, v3, v4 :: v_dual_lshlrev_b32 v3, 2, v5
	ds_bpermute_b32 v3, v3, v2
	s_and_b32 exec_lo, exec_lo, vcc_lo
	s_cbranch_execz .LBB286_7
; %bb.6:
	s_waitcnt lgkmcnt(0)
	v_add_f32_e32 v4, v2, v3
	v_mad_u64_u32 v[2:3], null, s34, s30, v[1:2]
	v_mov_b32_e32 v3, 0
	s_delay_alu instid0(VALU_DEP_3) | instskip(SKIP_1) | instid1(VALU_DEP_2)
	v_bfe_u32 v0, v4, 16, 1
	v_cmp_o_f32_e32 vcc_lo, v4, v4
	v_add3_u32 v0, v4, v0, 0x7fff
	s_delay_alu instid0(VALU_DEP_1) | instskip(SKIP_1) | instid1(VALU_DEP_2)
	v_lshrrev_b32_e32 v5, 16, v0
	v_lshlrev_b64 v[0:1], 1, v[2:3]
	v_cndmask_b32_e32 v2, 0x7fc0, v5, vcc_lo
	s_delay_alu instid0(VALU_DEP_2) | instskip(NEXT) | instid1(VALU_DEP_3)
	v_add_co_u32 v0, vcc_lo, s36, v0
	v_add_co_ci_u32_e32 v1, vcc_lo, s37, v1, vcc_lo
	global_store_b16 v[0:1], v2, off
.LBB286_7:
	s_nop 0
	s_sendmsg sendmsg(MSG_DEALLOC_VGPRS)
	s_endpgm
	.section	.rodata,"a",@progbits
	.p2align	6, 0x0
	.amdhsa_kernel _ZL9moe_vec_qIN3c108BFloat16ELi256ELi8E12block_iq2_xsLi1EXadL_ZL19vec_dot_iq2_xs_q8_1PKvPK10block_q8_1RKiEEEvS4_S4_PT_PS8_iiii
		.amdhsa_group_segment_fixed_size 0
		.amdhsa_private_segment_fixed_size 0
		.amdhsa_kernarg_size 304
		.amdhsa_user_sgpr_count 14
		.amdhsa_user_sgpr_dispatch_ptr 0
		.amdhsa_user_sgpr_queue_ptr 0
		.amdhsa_user_sgpr_kernarg_segment_ptr 1
		.amdhsa_user_sgpr_dispatch_id 0
		.amdhsa_user_sgpr_private_segment_size 0
		.amdhsa_wavefront_size32 1
		.amdhsa_uses_dynamic_stack 0
		.amdhsa_enable_private_segment 0
		.amdhsa_system_sgpr_workgroup_id_x 1
		.amdhsa_system_sgpr_workgroup_id_y 0
		.amdhsa_system_sgpr_workgroup_id_z 1
		.amdhsa_system_sgpr_workgroup_info 0
		.amdhsa_system_vgpr_workitem_id 1
		.amdhsa_next_free_vgpr 94
		.amdhsa_next_free_sgpr 41
		.amdhsa_reserve_vcc 1
		.amdhsa_float_round_mode_32 0
		.amdhsa_float_round_mode_16_64 0
		.amdhsa_float_denorm_mode_32 3
		.amdhsa_float_denorm_mode_16_64 3
		.amdhsa_dx10_clamp 1
		.amdhsa_ieee_mode 1
		.amdhsa_fp16_overflow 0
		.amdhsa_workgroup_processor_mode 1
		.amdhsa_memory_ordered 1
		.amdhsa_forward_progress 0
		.amdhsa_shared_vgpr_count 0
		.amdhsa_exception_fp_ieee_invalid_op 0
		.amdhsa_exception_fp_denorm_src 0
		.amdhsa_exception_fp_ieee_div_zero 0
		.amdhsa_exception_fp_ieee_overflow 0
		.amdhsa_exception_fp_ieee_underflow 0
		.amdhsa_exception_fp_ieee_inexact 0
		.amdhsa_exception_int_div_zero 0
	.end_amdhsa_kernel
	.section	.text._ZL9moe_vec_qIN3c108BFloat16ELi256ELi8E12block_iq2_xsLi1EXadL_ZL19vec_dot_iq2_xs_q8_1PKvPK10block_q8_1RKiEEEvS4_S4_PT_PS8_iiii,"axG",@progbits,_ZL9moe_vec_qIN3c108BFloat16ELi256ELi8E12block_iq2_xsLi1EXadL_ZL19vec_dot_iq2_xs_q8_1PKvPK10block_q8_1RKiEEEvS4_S4_PT_PS8_iiii,comdat
.Lfunc_end286:
	.size	_ZL9moe_vec_qIN3c108BFloat16ELi256ELi8E12block_iq2_xsLi1EXadL_ZL19vec_dot_iq2_xs_q8_1PKvPK10block_q8_1RKiEEEvS4_S4_PT_PS8_iiii, .Lfunc_end286-_ZL9moe_vec_qIN3c108BFloat16ELi256ELi8E12block_iq2_xsLi1EXadL_ZL19vec_dot_iq2_xs_q8_1PKvPK10block_q8_1RKiEEEvS4_S4_PT_PS8_iiii
                                        ; -- End function
	.section	.AMDGPU.csdata,"",@progbits
; Kernel info:
; codeLenInByte = 2552
; NumSgprs: 43
; NumVgprs: 94
; ScratchSize: 0
; MemoryBound: 0
; FloatMode: 240
; IeeeMode: 1
; LDSByteSize: 0 bytes/workgroup (compile time only)
; SGPRBlocks: 5
; VGPRBlocks: 11
; NumSGPRsForWavesPerEU: 43
; NumVGPRsForWavesPerEU: 94
; Occupancy: 16
; WaveLimiterHint : 1
; COMPUTE_PGM_RSRC2:SCRATCH_EN: 0
; COMPUTE_PGM_RSRC2:USER_SGPR: 14
; COMPUTE_PGM_RSRC2:TRAP_HANDLER: 0
; COMPUTE_PGM_RSRC2:TGID_X_EN: 1
; COMPUTE_PGM_RSRC2:TGID_Y_EN: 0
; COMPUTE_PGM_RSRC2:TGID_Z_EN: 1
; COMPUTE_PGM_RSRC2:TIDIG_COMP_CNT: 1
	.section	.text._ZL9moe_vec_qIN3c108BFloat16ELi256ELi8E13block_iq3_xxsLi1EXadL_ZL20vec_dot_iq3_xxs_q8_1PKvPK10block_q8_1RKiEEEvS4_S4_PT_PS8_iiii,"axG",@progbits,_ZL9moe_vec_qIN3c108BFloat16ELi256ELi8E13block_iq3_xxsLi1EXadL_ZL20vec_dot_iq3_xxs_q8_1PKvPK10block_q8_1RKiEEEvS4_S4_PT_PS8_iiii,comdat
	.globl	_ZL9moe_vec_qIN3c108BFloat16ELi256ELi8E13block_iq3_xxsLi1EXadL_ZL20vec_dot_iq3_xxs_q8_1PKvPK10block_q8_1RKiEEEvS4_S4_PT_PS8_iiii ; -- Begin function _ZL9moe_vec_qIN3c108BFloat16ELi256ELi8E13block_iq3_xxsLi1EXadL_ZL20vec_dot_iq3_xxs_q8_1PKvPK10block_q8_1RKiEEEvS4_S4_PT_PS8_iiii
	.p2align	8
	.type	_ZL9moe_vec_qIN3c108BFloat16ELi256ELi8E13block_iq3_xxsLi1EXadL_ZL20vec_dot_iq3_xxs_q8_1PKvPK10block_q8_1RKiEEEvS4_S4_PT_PS8_iiii,@function
_ZL9moe_vec_qIN3c108BFloat16ELi256ELi8E13block_iq3_xxsLi1EXadL_ZL20vec_dot_iq3_xxs_q8_1PKvPK10block_q8_1RKiEEEvS4_S4_PT_PS8_iiii: ; @_ZL9moe_vec_qIN3c108BFloat16ELi256ELi8E13block_iq3_xxsLi1EXadL_ZL20vec_dot_iq3_xxs_q8_1PKvPK10block_q8_1RKiEEEvS4_S4_PT_PS8_iiii
; %bb.0:
	s_clause 0x1
	s_load_b32 s2, s[0:1], 0x3c
	s_load_b128 s[4:7], s[0:1], 0x20
	v_bfe_u32 v3, v0, 10, 10
	s_waitcnt lgkmcnt(0)
	s_lshr_b32 s2, s2, 16
	s_delay_alu instid0(VALU_DEP_1) | instid1(SALU_CYCLE_1)
	v_mad_u64_u32 v[1:2], null, s14, s2, v[3:4]
	s_mov_b32 s2, exec_lo
	s_delay_alu instid0(VALU_DEP_1)
	v_cmpx_gt_u32_e64 s6, v1
	s_cbranch_execz .LBB287_9
; %bb.1:
	s_load_b64 s[10:11], s[0:1], 0x10
	v_dual_mov_b32 v15, 0 :: v_dual_and_b32 v0, 0x3ff, v0
	s_ashr_i32 s2, s5, 31
	s_mov_b32 s8, s15
	s_lshr_b32 s2, s2, 24
	s_delay_alu instid0(VALU_DEP_1)
	v_lshrrev_b32_e32 v14, 3, v0
	s_add_i32 s2, s5, s2
	s_mov_b32 s5, exec_lo
	s_ashr_i32 s12, s2, 8
	s_delay_alu instid0(VALU_DEP_1) | instid1(SALU_CYCLE_1)
	v_cmpx_gt_u32_e64 s12, v14
	s_cbranch_execz .LBB287_7
; %bb.2:
	s_load_b64 s[2:3], s[0:1], 0x18
	s_mov_b32 s9, 0
	v_cvt_f32_u32_e32 v2, s4
	s_lshl_b64 s[14:15], s[8:9], 2
	v_and_b32_e32 v4, 7, v0
	v_mul_lo_u32 v16, v1, s12
	v_lshlrev_b32_e32 v17, 3, v14
	v_rcp_iflag_f32_e32 v2, v2
	v_mov_b32_e32 v15, 0
	v_lshlrev_b32_e32 v5, 3, v4
	v_lshlrev_b32_e32 v8, 1, v4
	v_add_nc_u32_e32 v18, v14, v16
	s_waitcnt_depctr 0xfff
	v_dual_mul_f32 v2, 0x4f7ffffe, v2 :: v_dual_lshlrev_b32 v19, 1, v8
	s_waitcnt lgkmcnt(0)
	s_add_u32 s2, s2, s14
	s_addc_u32 s3, s3, s15
	s_delay_alu instid0(VALU_DEP_1)
	v_cvt_u32_f32_e32 v2, v2
	s_load_b32 s13, s[2:3], 0x0
	s_load_b128 s[0:3], s[0:1], 0x0
	s_mul_i32 s14, s12, s6
	s_waitcnt lgkmcnt(0)
	s_mul_i32 s13, s14, s13
	v_readfirstlane_b32 s14, v2
	s_mul_i32 s15, s13, 0x62
	s_mul_hi_i32 s13, s13, 0x62
	s_add_u32 s0, s0, s15
	s_addc_u32 s1, s1, s13
	s_sub_i32 s13, 0, s4
	s_delay_alu instid0(SALU_CYCLE_1) | instskip(NEXT) | instid1(SALU_CYCLE_1)
	s_mul_i32 s13, s13, s14
	s_mul_hi_u32 s13, s14, s13
	s_delay_alu instid0(SALU_CYCLE_1) | instskip(NEXT) | instid1(SALU_CYCLE_1)
	s_add_i32 s14, s14, s13
	s_mul_hi_u32 s13, s8, s14
	s_delay_alu instid0(SALU_CYCLE_1) | instskip(SKIP_2) | instid1(SALU_CYCLE_1)
	s_mul_i32 s14, s13, s4
	s_add_i32 s15, s13, 1
	s_sub_i32 s14, s8, s14
	s_sub_i32 s16, s14, s4
	s_cmp_ge_u32 s14, s4
	s_cselect_b32 s13, s15, s13
	s_cselect_b32 s14, s16, s14
	s_add_i32 s15, s13, 1
	s_cmp_ge_u32 s14, s4
	s_cselect_b32 s4, s15, s13
	s_mov_b32 s15, s9
	s_mul_i32 s14, s4, s7
	s_delay_alu instid0(SALU_CYCLE_1) | instskip(NEXT) | instid1(SALU_CYCLE_1)
	s_lshl_b64 s[14:15], s[14:15], 2
	s_add_u32 s2, s2, s14
	s_addc_u32 s3, s3, s15
	s_getpc_b64 s[14:15]
	s_add_u32 s14, s14, _ZL11iq3xxs_grid@rel32@lo+4
	s_addc_u32 s15, s15, _ZL11iq3xxs_grid@rel32@hi+12
	v_mad_u64_u32 v[2:3], null, v4, 36, s[2:3]
	v_add_co_u32 v4, s2, s0, v5
	s_delay_alu instid0(VALU_DEP_1)
	v_add_co_ci_u32_e64 v5, null, s1, 0, s2
	s_getpc_b64 s[16:17]
	s_add_u32 s16, s16, _ZL8ksigns64@rel32@lo+4
	s_addc_u32 s17, s17, _ZL8ksigns64@rel32@hi+12
	v_add_co_u32 v4, vcc_lo, v4, 2
	v_add_co_ci_u32_e32 v5, vcc_lo, 0, v5, vcc_lo
	v_add_co_u32 v6, vcc_lo, v2, 4
	v_add_co_ci_u32_e32 v7, vcc_lo, 0, v3, vcc_lo
.LBB287_3:                              ; =>This Loop Header: Depth=1
                                        ;     Child Loop BB287_4 Depth 2
	v_dual_mov_b32 v21, 0 :: v_dual_add_nc_u32 v10, v14, v16
	s_delay_alu instid0(VALU_DEP_4) | instskip(SKIP_1) | instid1(VALU_DEP_2)
	v_mad_i64_i32 v[12:13], null, 0x62, v18, v[4:5]
	s_mov_b64 s[2:3], 0
	v_mad_i64_i32 v[8:9], null, 0x62, v10, s[0:1]
	s_delay_alu instid0(VALU_DEP_1) | instskip(NEXT) | instid1(VALU_DEP_2)
	v_add_co_u32 v10, vcc_lo, v8, v19
	v_add_co_ci_u32_e32 v11, vcc_lo, 0, v9, vcc_lo
	global_load_b32 v20, v[10:11], off offset:66
	v_mad_i64_i32 v[10:11], null, v17, 36, v[6:7]
.LBB287_4:                              ;   Parent Loop BB287_3 Depth=1
                                        ; =>  This Inner Loop Header: Depth=2
	global_load_u16 v26, v[12:13], off
	s_waitcnt vmcnt(1)
	v_and_b32_e32 v24, 0x7f, v20
	v_add_co_u32 v22, vcc_lo, v10, s2
	v_add_co_ci_u32_e32 v23, vcc_lo, s3, v11, vcc_lo
	s_delay_alu instid0(VALU_DEP_3)
	v_lshlrev_b32_e32 v24, 3, v24
	v_add_co_u32 v12, vcc_lo, v12, 2
	v_lshrrev_b32_e32 v20, 7, v20
	v_add_co_ci_u32_e32 v13, vcc_lo, 0, v13, vcc_lo
	global_load_b64 v[24:25], v24, s[16:17]
	s_add_u32 s2, s2, 8
	s_addc_u32 s3, s3, 0
	s_cmp_lg_u32 s2, 32
	s_waitcnt vmcnt(1)
	v_lshrrev_b16 v27, 8, v26
	v_and_b32_e32 v26, 0xff, v26
	s_delay_alu instid0(VALU_DEP_2) | instskip(NEXT) | instid1(VALU_DEP_2)
	v_and_b32_e32 v27, 0xffff, v27
	v_lshlrev_b32_e32 v26, 2, v26
	s_delay_alu instid0(VALU_DEP_2)
	v_lshlrev_b32_e32 v27, 2, v27
	s_clause 0x1
	global_load_b32 v26, v26, s[14:15]
	global_load_b32 v27, v27, s[14:15]
	global_load_b64 v[22:23], v[22:23], off
	s_waitcnt vmcnt(3)
	v_and_b32_e32 v32, 0xff0000, v24
	v_and_b32_e32 v33, 0xff00, v24
	;; [unrolled: 1-line block ×6, first 2 shown]
	s_waitcnt vmcnt(2)
	v_xor_b32_e32 v26, v24, v26
	s_waitcnt vmcnt(1)
	v_xor_b32_e32 v27, v25, v27
	s_waitcnt vmcnt(0)
	v_bfe_i32 v28, v22, 0, 8
	v_bfe_i32 v29, v23, 0, 8
	v_perm_b32 v30, v22, v22, 0xc0c0201
	v_sub_nc_u32_e32 v32, v26, v32
	v_sub_nc_u32_e32 v33, v26, v33
	;; [unrolled: 1-line block ×5, first 2 shown]
	v_perm_b32 v22, v23, v22, 0x7060503
	v_perm_b32 v26, v32, v33, 0xc06010c
	v_sub_nc_u32_e32 v32, v27, v35
	v_sub_nc_u32_e32 v35, v27, v36
	v_bfe_i32 v24, v24, 0, 8
	v_bfe_i32 v25, v25, 0, 8
	v_sub_nc_u32_e32 v27, v27, v34
	v_perm_b32 v26, v26, v33, 0xc0c0601
	v_perm_b32 v32, v32, v35, 0xc06010c
	v_mul_i32_i24_e32 v24, v28, v24
	v_mul_i32_i24_e32 v25, v29, v25
	v_perm_b32 v28, v35, v31, 0xc0c0503
	s_delay_alu instid0(VALU_DEP_4) | instskip(NEXT) | instid1(VALU_DEP_3)
	v_perm_b32 v27, v27, v32, 0x7020c0c
	v_add3_u32 v21, v24, v21, v25
	s_delay_alu instid0(VALU_DEP_2) | instskip(NEXT) | instid1(VALU_DEP_2)
	v_or_b32_e32 v23, v27, v28
	v_dot4_i32_iu8 v21, v26, v30, v21 neg_lo:[1,1,0]
	s_delay_alu instid0(VALU_DEP_1)
	v_dot4_i32_iu8 v21, v23, v22, v21 neg_lo:[1,1,0]
	s_cbranch_scc1 .LBB287_4
; %bb.5:                                ;   in Loop: Header=BB287_3 Depth=1
	v_lshlrev_b32_e32 v12, 3, v14
	v_add_nc_u32_e32 v14, 4, v14
	v_add_nc_u32_e32 v18, 4, v18
	;; [unrolled: 1-line block ×3, first 2 shown]
	s_delay_alu instid0(VALU_DEP_4) | instskip(SKIP_4) | instid1(VALU_DEP_2)
	v_mad_i64_i32 v[10:11], null, v12, 36, v[2:3]
	global_load_u16 v8, v[8:9], off
	global_load_b32 v9, v[10:11], off
	v_cvt_f32_u32_e32 v10, v20
	v_cmp_le_u32_e32 vcc_lo, s12, v14
	v_add_f32_e32 v10, 0.5, v10
	s_or_b32 s9, vcc_lo, s9
	s_waitcnt vmcnt(1)
	v_cvt_f32_f16_e32 v8, v8
	s_waitcnt vmcnt(0)
	v_cvt_f32_f16_e32 v9, v9
	s_delay_alu instid0(VALU_DEP_2) | instskip(NEXT) | instid1(VALU_DEP_1)
	v_mul_f32_e32 v8, v10, v8
	v_mul_f32_e32 v8, v8, v9
	v_cvt_f32_i32_e32 v9, v21
	s_delay_alu instid0(VALU_DEP_2) | instskip(NEXT) | instid1(VALU_DEP_1)
	v_mul_f32_e32 v8, 0.5, v8
	v_fmac_f32_e32 v15, v8, v9
	s_and_not1_b32 exec_lo, exec_lo, s9
	s_cbranch_execnz .LBB287_3
; %bb.6:
	s_or_b32 exec_lo, exec_lo, s9
.LBB287_7:
	s_delay_alu instid0(SALU_CYCLE_1) | instskip(SKIP_1) | instid1(VALU_DEP_1)
	s_or_b32 exec_lo, exec_lo, s5
	v_mbcnt_lo_u32_b32 v2, -1, 0
	v_xor_b32_e32 v3, 16, v2
	v_xor_b32_e32 v4, 8, v2
	;; [unrolled: 1-line block ×3, first 2 shown]
	s_delay_alu instid0(VALU_DEP_3) | instskip(SKIP_1) | instid1(VALU_DEP_4)
	v_cmp_gt_i32_e32 vcc_lo, 32, v3
	v_cndmask_b32_e32 v3, v2, v3, vcc_lo
	v_cmp_gt_i32_e32 vcc_lo, 32, v4
	v_cndmask_b32_e32 v4, v2, v4, vcc_lo
	v_cmp_gt_i32_e32 vcc_lo, 32, v5
	s_delay_alu instid0(VALU_DEP_2)
	v_lshlrev_b32_e32 v4, 2, v4
	v_lshlrev_b32_e32 v3, 2, v3
	v_cndmask_b32_e32 v5, v2, v5, vcc_lo
	ds_bpermute_b32 v3, v3, v15
	v_lshlrev_b32_e32 v5, 2, v5
	s_waitcnt lgkmcnt(0)
	v_add_f32_e32 v3, v15, v3
	ds_bpermute_b32 v4, v4, v3
	s_waitcnt lgkmcnt(0)
	v_add_f32_e32 v3, v3, v4
	ds_bpermute_b32 v4, v5, v3
	v_xor_b32_e32 v5, 2, v2
	s_delay_alu instid0(VALU_DEP_1) | instskip(SKIP_1) | instid1(VALU_DEP_1)
	v_cmp_gt_i32_e32 vcc_lo, 32, v5
	v_cndmask_b32_e32 v5, v2, v5, vcc_lo
	v_lshlrev_b32_e32 v5, 2, v5
	s_waitcnt lgkmcnt(0)
	v_add_f32_e32 v3, v3, v4
	ds_bpermute_b32 v4, v5, v3
	v_xor_b32_e32 v5, 1, v2
	s_delay_alu instid0(VALU_DEP_1) | instskip(SKIP_3) | instid1(VALU_DEP_2)
	v_cmp_gt_i32_e32 vcc_lo, 32, v5
	v_cndmask_b32_e32 v5, v2, v5, vcc_lo
	v_cmp_eq_u32_e32 vcc_lo, 0, v0
	s_waitcnt lgkmcnt(0)
	v_dual_add_f32 v2, v3, v4 :: v_dual_lshlrev_b32 v3, 2, v5
	ds_bpermute_b32 v3, v3, v2
	s_and_b32 exec_lo, exec_lo, vcc_lo
	s_cbranch_execz .LBB287_9
; %bb.8:
	s_waitcnt lgkmcnt(0)
	v_add_f32_e32 v4, v2, v3
	v_mad_u64_u32 v[2:3], null, s8, s6, v[1:2]
	v_mov_b32_e32 v3, 0
	s_delay_alu instid0(VALU_DEP_3) | instskip(SKIP_1) | instid1(VALU_DEP_2)
	v_bfe_u32 v0, v4, 16, 1
	v_cmp_o_f32_e32 vcc_lo, v4, v4
	v_add3_u32 v0, v4, v0, 0x7fff
	s_delay_alu instid0(VALU_DEP_1) | instskip(SKIP_1) | instid1(VALU_DEP_2)
	v_lshrrev_b32_e32 v5, 16, v0
	v_lshlrev_b64 v[0:1], 1, v[2:3]
	v_cndmask_b32_e32 v2, 0x7fc0, v5, vcc_lo
	s_delay_alu instid0(VALU_DEP_2) | instskip(NEXT) | instid1(VALU_DEP_3)
	v_add_co_u32 v0, vcc_lo, s10, v0
	v_add_co_ci_u32_e32 v1, vcc_lo, s11, v1, vcc_lo
	global_store_b16 v[0:1], v2, off
.LBB287_9:
	s_nop 0
	s_sendmsg sendmsg(MSG_DEALLOC_VGPRS)
	s_endpgm
	.section	.rodata,"a",@progbits
	.p2align	6, 0x0
	.amdhsa_kernel _ZL9moe_vec_qIN3c108BFloat16ELi256ELi8E13block_iq3_xxsLi1EXadL_ZL20vec_dot_iq3_xxs_q8_1PKvPK10block_q8_1RKiEEEvS4_S4_PT_PS8_iiii
		.amdhsa_group_segment_fixed_size 0
		.amdhsa_private_segment_fixed_size 0
		.amdhsa_kernarg_size 304
		.amdhsa_user_sgpr_count 14
		.amdhsa_user_sgpr_dispatch_ptr 0
		.amdhsa_user_sgpr_queue_ptr 0
		.amdhsa_user_sgpr_kernarg_segment_ptr 1
		.amdhsa_user_sgpr_dispatch_id 0
		.amdhsa_user_sgpr_private_segment_size 0
		.amdhsa_wavefront_size32 1
		.amdhsa_uses_dynamic_stack 0
		.amdhsa_enable_private_segment 0
		.amdhsa_system_sgpr_workgroup_id_x 1
		.amdhsa_system_sgpr_workgroup_id_y 0
		.amdhsa_system_sgpr_workgroup_id_z 1
		.amdhsa_system_sgpr_workgroup_info 0
		.amdhsa_system_vgpr_workitem_id 1
		.amdhsa_next_free_vgpr 37
		.amdhsa_next_free_sgpr 18
		.amdhsa_reserve_vcc 1
		.amdhsa_float_round_mode_32 0
		.amdhsa_float_round_mode_16_64 0
		.amdhsa_float_denorm_mode_32 3
		.amdhsa_float_denorm_mode_16_64 3
		.amdhsa_dx10_clamp 1
		.amdhsa_ieee_mode 1
		.amdhsa_fp16_overflow 0
		.amdhsa_workgroup_processor_mode 1
		.amdhsa_memory_ordered 1
		.amdhsa_forward_progress 0
		.amdhsa_shared_vgpr_count 0
		.amdhsa_exception_fp_ieee_invalid_op 0
		.amdhsa_exception_fp_denorm_src 0
		.amdhsa_exception_fp_ieee_div_zero 0
		.amdhsa_exception_fp_ieee_overflow 0
		.amdhsa_exception_fp_ieee_underflow 0
		.amdhsa_exception_fp_ieee_inexact 0
		.amdhsa_exception_int_div_zero 0
	.end_amdhsa_kernel
	.section	.text._ZL9moe_vec_qIN3c108BFloat16ELi256ELi8E13block_iq3_xxsLi1EXadL_ZL20vec_dot_iq3_xxs_q8_1PKvPK10block_q8_1RKiEEEvS4_S4_PT_PS8_iiii,"axG",@progbits,_ZL9moe_vec_qIN3c108BFloat16ELi256ELi8E13block_iq3_xxsLi1EXadL_ZL20vec_dot_iq3_xxs_q8_1PKvPK10block_q8_1RKiEEEvS4_S4_PT_PS8_iiii,comdat
.Lfunc_end287:
	.size	_ZL9moe_vec_qIN3c108BFloat16ELi256ELi8E13block_iq3_xxsLi1EXadL_ZL20vec_dot_iq3_xxs_q8_1PKvPK10block_q8_1RKiEEEvS4_S4_PT_PS8_iiii, .Lfunc_end287-_ZL9moe_vec_qIN3c108BFloat16ELi256ELi8E13block_iq3_xxsLi1EXadL_ZL20vec_dot_iq3_xxs_q8_1PKvPK10block_q8_1RKiEEEvS4_S4_PT_PS8_iiii
                                        ; -- End function
	.section	.AMDGPU.csdata,"",@progbits
; Kernel info:
; codeLenInByte = 1384
; NumSgprs: 20
; NumVgprs: 37
; ScratchSize: 0
; MemoryBound: 0
; FloatMode: 240
; IeeeMode: 1
; LDSByteSize: 0 bytes/workgroup (compile time only)
; SGPRBlocks: 2
; VGPRBlocks: 4
; NumSGPRsForWavesPerEU: 20
; NumVGPRsForWavesPerEU: 37
; Occupancy: 16
; WaveLimiterHint : 1
; COMPUTE_PGM_RSRC2:SCRATCH_EN: 0
; COMPUTE_PGM_RSRC2:USER_SGPR: 14
; COMPUTE_PGM_RSRC2:TRAP_HANDLER: 0
; COMPUTE_PGM_RSRC2:TGID_X_EN: 1
; COMPUTE_PGM_RSRC2:TGID_Y_EN: 0
; COMPUTE_PGM_RSRC2:TGID_Z_EN: 1
; COMPUTE_PGM_RSRC2:TIDIG_COMP_CNT: 1
	.section	.text._ZL9moe_vec_qIN3c108BFloat16ELi256ELi8E11block_iq1_sLi1EXadL_ZL18vec_dot_iq1_s_q8_1PKvPK10block_q8_1RKiEEEvS4_S4_PT_PS8_iiii,"axG",@progbits,_ZL9moe_vec_qIN3c108BFloat16ELi256ELi8E11block_iq1_sLi1EXadL_ZL18vec_dot_iq1_s_q8_1PKvPK10block_q8_1RKiEEEvS4_S4_PT_PS8_iiii,comdat
	.globl	_ZL9moe_vec_qIN3c108BFloat16ELi256ELi8E11block_iq1_sLi1EXadL_ZL18vec_dot_iq1_s_q8_1PKvPK10block_q8_1RKiEEEvS4_S4_PT_PS8_iiii ; -- Begin function _ZL9moe_vec_qIN3c108BFloat16ELi256ELi8E11block_iq1_sLi1EXadL_ZL18vec_dot_iq1_s_q8_1PKvPK10block_q8_1RKiEEEvS4_S4_PT_PS8_iiii
	.p2align	8
	.type	_ZL9moe_vec_qIN3c108BFloat16ELi256ELi8E11block_iq1_sLi1EXadL_ZL18vec_dot_iq1_s_q8_1PKvPK10block_q8_1RKiEEEvS4_S4_PT_PS8_iiii,@function
_ZL9moe_vec_qIN3c108BFloat16ELi256ELi8E11block_iq1_sLi1EXadL_ZL18vec_dot_iq1_s_q8_1PKvPK10block_q8_1RKiEEEvS4_S4_PT_PS8_iiii: ; @_ZL9moe_vec_qIN3c108BFloat16ELi256ELi8E11block_iq1_sLi1EXadL_ZL18vec_dot_iq1_s_q8_1PKvPK10block_q8_1RKiEEEvS4_S4_PT_PS8_iiii
; %bb.0:
	s_clause 0x1
	s_load_b32 s2, s[0:1], 0x3c
	s_load_b128 s[4:7], s[0:1], 0x20
	v_bfe_u32 v3, v0, 10, 10
	s_waitcnt lgkmcnt(0)
	s_lshr_b32 s2, s2, 16
	s_delay_alu instid0(VALU_DEP_1) | instid1(SALU_CYCLE_1)
	v_mad_u64_u32 v[1:2], null, s14, s2, v[3:4]
	s_mov_b32 s2, exec_lo
	s_delay_alu instid0(VALU_DEP_1)
	v_cmpx_gt_u32_e64 s6, v1
	s_cbranch_execz .LBB288_7
; %bb.1:
	v_cvt_f32_u32_e32 v2, s4
	s_load_b64 s[10:11], s[0:1], 0x10
	s_ashr_i32 s2, s5, 31
	v_and_b32_e32 v0, 0x3ff, v0
	s_lshr_b32 s2, s2, 24
	v_rcp_iflag_f32_e32 v2, v2
	s_add_i32 s2, s5, s2
	s_mov_b32 s8, s15
	s_ashr_i32 s13, s2, 8
	s_mov_b32 s12, exec_lo
	s_waitcnt_depctr 0xfff
	v_mul_f32_e32 v3, 0x4f7ffffe, v2
	s_delay_alu instid0(VALU_DEP_1) | instskip(NEXT) | instid1(VALU_DEP_1)
	v_cvt_u32_f32_e32 v3, v3
	v_readfirstlane_b32 s2, v3
	v_mov_b32_e32 v3, 0
	v_lshrrev_b32_e32 v2, 3, v0
	s_delay_alu instid0(VALU_DEP_1)
	v_cmpx_gt_u32_e64 s13, v2
	s_cbranch_execz .LBB288_5
; %bb.2:
	s_load_b64 s[14:15], s[0:1], 0x18
	s_sub_i32 s3, 0, s4
	s_mov_b32 s9, 0
	s_mul_i32 s3, s3, s2
	s_lshl_b64 s[16:17], s[8:9], 2
	s_mul_hi_u32 s3, s2, s3
	v_and_b32_e32 v5, 7, v0
	s_add_i32 s5, s2, s3
	v_mul_lo_u32 v4, v1, s13
	v_dual_mov_b32 v3, 0 :: v_dual_lshlrev_b32 v6, 3, v2
	s_delay_alu instid0(VALU_DEP_3) | instskip(SKIP_1) | instid1(VALU_DEP_2)
	v_lshlrev_b32_e32 v8, 1, v5
	v_lshlrev_b32_e32 v7, 1, v5
	;; [unrolled: 1-line block ×3, first 2 shown]
	s_waitcnt lgkmcnt(0)
	s_add_u32 s14, s14, s16
	s_addc_u32 s15, s15, s17
	s_load_b128 s[0:3], s[0:1], 0x0
	s_load_b32 s14, s[14:15], 0x0
	s_mul_hi_u32 s16, s8, s5
	s_mul_i32 s15, s13, s6
	s_mul_i32 s17, s16, s4
	s_add_i32 s18, s16, 1
	s_sub_i32 s17, s8, s17
	s_mov_b32 s5, s9
	s_sub_i32 s19, s17, s4
	s_cmp_ge_u32 s17, s4
	s_cselect_b32 s16, s18, s16
	s_cselect_b32 s17, s19, s17
	s_add_i32 s18, s16, 1
	s_cmp_ge_u32 s17, s4
	s_cselect_b32 s4, s18, s16
	s_delay_alu instid0(SALU_CYCLE_1) | instskip(SKIP_2) | instid1(SALU_CYCLE_1)
	s_mul_i32 s4, s4, s7
	s_waitcnt lgkmcnt(0)
	s_mul_i32 s14, s15, s14
	s_mul_i32 s7, s14, 50
	s_mul_hi_i32 s14, s14, 50
	s_add_u32 s0, s0, s7
	s_addc_u32 s1, s1, s14
	s_lshl_b64 s[4:5], s[4:5], 2
	s_mov_b32 s7, 0xb7000000
	s_add_u32 s2, s2, s4
	s_addc_u32 s3, s3, s5
.LBB288_3:                              ; =>This Inner Loop Header: Depth=1
	v_add_nc_u32_e32 v9, v4, v2
	s_getpc_b64 s[4:5]
	s_add_u32 s4, s4, _ZL13iq1s_grid_gpu@rel32@lo+4
	s_addc_u32 s5, s5, _ZL13iq1s_grid_gpu@rel32@hi+12
	v_add_nc_u32_e32 v2, 4, v2
	v_mad_i64_i32 v[17:18], null, v9, 50, s[0:1]
	s_delay_alu instid0(VALU_DEP_1) | instskip(NEXT) | instid1(VALU_DEP_2)
	v_add_co_u32 v9, vcc_lo, v17, v8
	v_add_co_ci_u32_e32 v10, vcc_lo, 0, v18, vcc_lo
	v_add_co_u32 v11, vcc_lo, v17, v7
	v_add_co_ci_u32_e32 v12, vcc_lo, 0, v18, vcc_lo
	v_cmp_le_u32_e32 vcc_lo, s13, v2
	s_clause 0x1
	global_load_b32 v21, v[9:10], off offset:2
	global_load_u16 v22, v[11:12], off offset:34
	v_mad_i64_i32 v[9:10], null, v6, 36, s[2:3]
	v_add_nc_u32_e32 v6, 32, v6
	s_or_b32 s9, vcc_lo, s9
	s_delay_alu instid0(VALU_DEP_2)
	v_mad_u64_u32 v[19:20], null, v5, 36, v[9:10]
	s_clause 0x1
	global_load_b128 v[9:12], v[19:20], off
	global_load_b128 v[13:16], v[19:20], off offset:16
	global_load_u16 v17, v[17:18], off
	global_load_b32 v19, v[19:20], off offset:32
	s_waitcnt vmcnt(5)
	v_and_b32_e32 v18, 0xff, v21
	s_waitcnt vmcnt(4)
	v_lshlrev_b32_e32 v23, 8, v22
	v_lshrrev_b16 v24, 8, v21
	v_lshlrev_b32_e32 v25, 5, v22
	v_bfe_u32 v20, v21, 16, 8
	v_lshrrev_b32_e32 v21, 24, v21
	v_and_or_b32 v18, 0x700, v23, v18
	v_and_b32_e32 v23, 0xffff, v24
	v_lshlrev_b32_e32 v24, 2, v22
	s_delay_alu instid0(VALU_DEP_3) | instskip(NEXT) | instid1(VALU_DEP_3)
	v_lshlrev_b32_e32 v18, 3, v18
	v_and_or_b32 v23, 0x700, v25, v23
	s_delay_alu instid0(VALU_DEP_3)
	v_and_or_b32 v20, 0x700, v24, v20
	v_lshrrev_b32_e32 v24, 1, v22
	global_load_b32 v18, v18, s[4:5]
	v_lshlrev_b32_e32 v23, 3, v23
	v_lshlrev_b32_e32 v20, 3, v20
	v_and_or_b32 v21, 0x700, v24, v21
	s_waitcnt vmcnt(4)
	v_bfe_i32 v24, v10, 0, 8
	v_bfe_i32 v25, v10, 8, 8
	s_clause 0x1
	global_load_b32 v23, v23, s[4:5]
	global_load_b32 v20, v20, s[4:5]
	v_lshlrev_b32_e32 v21, 3, v21
	v_bfe_i32 v26, v10, 16, 8
	v_bfe_i32 v27, v11, 0, 8
	v_ashrrev_i32_e32 v10, 24, v10
	v_bfe_i32 v28, v11, 8, 8
	global_load_b32 v21, v21, s[4:5]
	v_bfe_i32 v29, v11, 16, 8
	v_ashrrev_i32_e32 v11, 24, v11
	v_bfe_i32 v30, v12, 0, 8
	s_waitcnt vmcnt(6)
	v_bfe_i32 v33, v13, 0, 8
	v_bfe_i32 v31, v12, 8, 8
	;; [unrolled: 1-line block ×3, first 2 shown]
	v_ashrrev_i32_e32 v12, 24, v12
	v_bfe_i32 v34, v13, 8, 8
	v_bfe_i32 v35, v13, 16, 8
	v_ashrrev_i32_e32 v13, 24, v13
	v_bfe_i32 v36, v14, 0, 8
	v_bfe_i32 v39, v15, 0, 8
	;; [unrolled: 1-line block ×4, first 2 shown]
	v_ashrrev_i32_e32 v14, 24, v14
	v_bfe_i32 v40, v15, 8, 8
	v_bfe_i32 v41, v15, 16, 8
	v_ashrrev_i32_e32 v15, 24, v15
	v_bfe_i32 v42, v16, 0, 8
	s_waitcnt vmcnt(4)
	v_bfe_i32 v45, v19, 0, 8
	v_bfe_i32 v43, v16, 8, 8
	;; [unrolled: 1-line block ×3, first 2 shown]
	v_ashrrev_i32_e32 v16, 24, v16
	v_bfe_i32 v46, v19, 8, 8
	v_bfe_i32 v47, v19, 16, 8
	v_ashrrev_i32_e32 v19, 24, v19
	s_waitcnt vmcnt(3)
	v_and_b32_e32 v48, 15, v18
	v_bfe_u32 v49, v18, 8, 4
	v_bfe_u32 v50, v18, 16, 4
	;; [unrolled: 1-line block ×4, first 2 shown]
	v_mul_i32_i24_e32 v24, v24, v48
	v_bfe_u32 v48, v18, 24, 4
	v_mul_i32_i24_e32 v25, v49, v25
	v_mul_i32_i24_e32 v26, v50, v26
	v_mul_i32_i24_e32 v28, v52, v28
	v_mad_i32_i24 v24, v27, v51, v24
	v_bfe_u32 v27, v18, 20, 4
	v_lshrrev_b32_e32 v18, 28, v18
	v_mul_i32_i24_e32 v10, v48, v10
	s_delay_alu instid0(VALU_DEP_4) | instskip(NEXT) | instid1(VALU_DEP_4)
	v_add3_u32 v24, v24, v25, v26
	v_mul_i32_i24_e32 v25, v27, v29
	s_delay_alu instid0(VALU_DEP_4)
	v_mul_i32_i24_e32 v11, v18, v11
	s_waitcnt vmcnt(2)
	v_and_b32_e32 v18, 15, v23
	v_bfe_u32 v26, v23, 4, 4
	v_add3_u32 v10, v24, v10, v28
	v_bfe_u32 v24, v23, 8, 4
	v_bfe_u32 v27, v23, 16, 4
	v_mul_i32_i24_e32 v18, v30, v18
	v_mul_i32_i24_e32 v26, v33, v26
	v_add3_u32 v10, v10, v25, v11
	v_bfe_u32 v11, v23, 24, 4
	v_bfe_u32 v25, v23, 12, 4
	v_mul_i32_i24_e32 v24, v24, v31
	v_mul_i32_i24_e32 v27, v27, v32
	v_add3_u32 v10, v10, v18, v26
	v_bfe_u32 v18, v23, 20, 4
	v_lshrrev_b32_e32 v23, 28, v23
	v_mul_i32_i24_e32 v11, v11, v12
	v_mul_i32_i24_e32 v12, v25, v34
	v_add3_u32 v10, v10, v24, v27
	s_waitcnt vmcnt(1)
	v_and_b32_e32 v24, 15, v20
	v_bfe_u32 v25, v20, 4, 4
	v_mul_i32_i24_e32 v18, v18, v35
	v_mul_i32_i24_e32 v13, v23, v13
	v_add3_u32 v10, v10, v11, v12
	v_bfe_u32 v11, v20, 8, 4
	v_bfe_u32 v12, v20, 16, 4
	v_mul_i32_i24_e32 v23, v36, v24
	v_mul_i32_i24_e32 v24, v39, v25
	v_add3_u32 v10, v10, v18, v13
	v_bfe_u32 v13, v20, 24, 4
	;; [unrolled: 5-line block ×3, first 2 shown]
	v_lshrrev_b32_e32 v20, 28, v20
	v_mul_i32_i24_e32 v13, v13, v14
	v_mul_i32_i24_e32 v14, v18, v40
	v_add3_u32 v10, v10, v11, v12
	s_waitcnt vmcnt(0)
	v_and_b32_e32 v11, 15, v21
	v_bfe_u32 v12, v21, 4, 4
	v_mul_i32_i24_e32 v18, v23, v41
	v_mul_i32_i24_e32 v15, v20, v15
	v_add3_u32 v10, v10, v13, v14
	v_bfe_u32 v13, v21, 8, 4
	v_bfe_u32 v14, v21, 16, 4
	v_mul_i32_i24_e32 v11, v42, v11
	v_mul_i32_i24_e32 v12, v45, v12
	v_add3_u32 v10, v10, v18, v15
	v_bfe_u32 v15, v21, 24, 4
	;; [unrolled: 5-line block ×3, first 2 shown]
	v_lshrrev_b32_e32 v12, 28, v21
	v_mul_i32_i24_e32 v15, v15, v16
	v_mul_i32_i24_e32 v16, v18, v46
	v_add3_u32 v10, v10, v13, v14
	v_mul_i32_i24_e32 v11, v11, v47
	v_mul_i32_i24_e32 v12, v12, v19
	v_lshrrev_b32_e32 v13, 11, v22
	v_and_b32_e32 v14, 0x8000, v22
	v_add3_u32 v10, v10, v15, v16
	s_delay_alu instid0(VALU_DEP_1)
	v_add3_u32 v10, v10, v11, v12
	v_cvt_f32_f16_e32 v11, v9
	v_and_or_b32 v12, v13, 14, 1
	v_cvt_f32_u32_e32 v13, v14
	v_cvt_f32_f16_e32 v14, v17
	v_cvt_f32_i32_e32 v10, v10
	s_delay_alu instid0(VALU_DEP_4) | instskip(NEXT) | instid1(VALU_DEP_2)
	v_cvt_f32_ubyte0_e32 v12, v12
	v_dual_fmaak_f32 v13, s7, v13, 0xbf600000 :: v_dual_mul_f32 v10, v11, v10
	s_delay_alu instid0(VALU_DEP_2) | instskip(NEXT) | instid1(VALU_DEP_2)
	v_mul_f32_e32 v11, v12, v14
	v_fma_mix_f32 v9, v13, v9, v10 op_sel:[0,1,0] op_sel_hi:[0,1,0]
	s_delay_alu instid0(VALU_DEP_1)
	v_fmac_f32_e32 v3, v11, v9
	s_and_not1_b32 exec_lo, exec_lo, s9
	s_cbranch_execnz .LBB288_3
; %bb.4:
	s_or_b32 exec_lo, exec_lo, s9
.LBB288_5:
	s_delay_alu instid0(SALU_CYCLE_1) | instskip(SKIP_1) | instid1(VALU_DEP_1)
	s_or_b32 exec_lo, exec_lo, s12
	v_mbcnt_lo_u32_b32 v2, -1, 0
	v_xor_b32_e32 v4, 16, v2
	v_xor_b32_e32 v5, 8, v2
	s_delay_alu instid0(VALU_DEP_2) | instskip(SKIP_1) | instid1(VALU_DEP_3)
	v_cmp_gt_i32_e32 vcc_lo, 32, v4
	v_cndmask_b32_e32 v4, v2, v4, vcc_lo
	v_cmp_gt_i32_e32 vcc_lo, 32, v5
	v_cndmask_b32_e32 v5, v2, v5, vcc_lo
	s_delay_alu instid0(VALU_DEP_1) | instskip(NEXT) | instid1(VALU_DEP_4)
	v_lshlrev_b32_e32 v5, 2, v5
	v_lshlrev_b32_e32 v4, 2, v4
	ds_bpermute_b32 v4, v4, v3
	s_waitcnt lgkmcnt(0)
	v_add_f32_e32 v3, v3, v4
	ds_bpermute_b32 v4, v5, v3
	v_xor_b32_e32 v5, 4, v2
	s_delay_alu instid0(VALU_DEP_1) | instskip(SKIP_1) | instid1(VALU_DEP_1)
	v_cmp_gt_i32_e32 vcc_lo, 32, v5
	v_cndmask_b32_e32 v5, v2, v5, vcc_lo
	v_lshlrev_b32_e32 v5, 2, v5
	s_waitcnt lgkmcnt(0)
	v_add_f32_e32 v3, v3, v4
	ds_bpermute_b32 v4, v5, v3
	v_xor_b32_e32 v5, 2, v2
	s_delay_alu instid0(VALU_DEP_1) | instskip(SKIP_1) | instid1(VALU_DEP_1)
	v_cmp_gt_i32_e32 vcc_lo, 32, v5
	v_cndmask_b32_e32 v5, v2, v5, vcc_lo
	v_lshlrev_b32_e32 v5, 2, v5
	s_waitcnt lgkmcnt(0)
	v_add_f32_e32 v3, v3, v4
	ds_bpermute_b32 v4, v5, v3
	v_xor_b32_e32 v5, 1, v2
	s_delay_alu instid0(VALU_DEP_1) | instskip(SKIP_3) | instid1(VALU_DEP_2)
	v_cmp_gt_i32_e32 vcc_lo, 32, v5
	v_cndmask_b32_e32 v5, v2, v5, vcc_lo
	v_cmp_eq_u32_e32 vcc_lo, 0, v0
	s_waitcnt lgkmcnt(0)
	v_dual_add_f32 v2, v3, v4 :: v_dual_lshlrev_b32 v3, 2, v5
	ds_bpermute_b32 v3, v3, v2
	s_and_b32 exec_lo, exec_lo, vcc_lo
	s_cbranch_execz .LBB288_7
; %bb.6:
	s_waitcnt lgkmcnt(0)
	v_add_f32_e32 v4, v2, v3
	v_mad_u64_u32 v[2:3], null, s8, s6, v[1:2]
	v_mov_b32_e32 v3, 0
	s_delay_alu instid0(VALU_DEP_3) | instskip(SKIP_1) | instid1(VALU_DEP_2)
	v_bfe_u32 v0, v4, 16, 1
	v_cmp_o_f32_e32 vcc_lo, v4, v4
	v_add3_u32 v0, v4, v0, 0x7fff
	s_delay_alu instid0(VALU_DEP_1) | instskip(SKIP_1) | instid1(VALU_DEP_2)
	v_lshrrev_b32_e32 v5, 16, v0
	v_lshlrev_b64 v[0:1], 1, v[2:3]
	v_cndmask_b32_e32 v2, 0x7fc0, v5, vcc_lo
	s_delay_alu instid0(VALU_DEP_2) | instskip(NEXT) | instid1(VALU_DEP_3)
	v_add_co_u32 v0, vcc_lo, s10, v0
	v_add_co_ci_u32_e32 v1, vcc_lo, s11, v1, vcc_lo
	global_store_b16 v[0:1], v2, off
.LBB288_7:
	s_nop 0
	s_sendmsg sendmsg(MSG_DEALLOC_VGPRS)
	s_endpgm
	.section	.rodata,"a",@progbits
	.p2align	6, 0x0
	.amdhsa_kernel _ZL9moe_vec_qIN3c108BFloat16ELi256ELi8E11block_iq1_sLi1EXadL_ZL18vec_dot_iq1_s_q8_1PKvPK10block_q8_1RKiEEEvS4_S4_PT_PS8_iiii
		.amdhsa_group_segment_fixed_size 0
		.amdhsa_private_segment_fixed_size 0
		.amdhsa_kernarg_size 304
		.amdhsa_user_sgpr_count 14
		.amdhsa_user_sgpr_dispatch_ptr 0
		.amdhsa_user_sgpr_queue_ptr 0
		.amdhsa_user_sgpr_kernarg_segment_ptr 1
		.amdhsa_user_sgpr_dispatch_id 0
		.amdhsa_user_sgpr_private_segment_size 0
		.amdhsa_wavefront_size32 1
		.amdhsa_uses_dynamic_stack 0
		.amdhsa_enable_private_segment 0
		.amdhsa_system_sgpr_workgroup_id_x 1
		.amdhsa_system_sgpr_workgroup_id_y 0
		.amdhsa_system_sgpr_workgroup_id_z 1
		.amdhsa_system_sgpr_workgroup_info 0
		.amdhsa_system_vgpr_workitem_id 1
		.amdhsa_next_free_vgpr 53
		.amdhsa_next_free_sgpr 20
		.amdhsa_reserve_vcc 1
		.amdhsa_float_round_mode_32 0
		.amdhsa_float_round_mode_16_64 0
		.amdhsa_float_denorm_mode_32 3
		.amdhsa_float_denorm_mode_16_64 3
		.amdhsa_dx10_clamp 1
		.amdhsa_ieee_mode 1
		.amdhsa_fp16_overflow 0
		.amdhsa_workgroup_processor_mode 1
		.amdhsa_memory_ordered 1
		.amdhsa_forward_progress 0
		.amdhsa_shared_vgpr_count 0
		.amdhsa_exception_fp_ieee_invalid_op 0
		.amdhsa_exception_fp_denorm_src 0
		.amdhsa_exception_fp_ieee_div_zero 0
		.amdhsa_exception_fp_ieee_overflow 0
		.amdhsa_exception_fp_ieee_underflow 0
		.amdhsa_exception_fp_ieee_inexact 0
		.amdhsa_exception_int_div_zero 0
	.end_amdhsa_kernel
	.section	.text._ZL9moe_vec_qIN3c108BFloat16ELi256ELi8E11block_iq1_sLi1EXadL_ZL18vec_dot_iq1_s_q8_1PKvPK10block_q8_1RKiEEEvS4_S4_PT_PS8_iiii,"axG",@progbits,_ZL9moe_vec_qIN3c108BFloat16ELi256ELi8E11block_iq1_sLi1EXadL_ZL18vec_dot_iq1_s_q8_1PKvPK10block_q8_1RKiEEEvS4_S4_PT_PS8_iiii,comdat
.Lfunc_end288:
	.size	_ZL9moe_vec_qIN3c108BFloat16ELi256ELi8E11block_iq1_sLi1EXadL_ZL18vec_dot_iq1_s_q8_1PKvPK10block_q8_1RKiEEEvS4_S4_PT_PS8_iiii, .Lfunc_end288-_ZL9moe_vec_qIN3c108BFloat16ELi256ELi8E11block_iq1_sLi1EXadL_ZL18vec_dot_iq1_s_q8_1PKvPK10block_q8_1RKiEEEvS4_S4_PT_PS8_iiii
                                        ; -- End function
	.section	.AMDGPU.csdata,"",@progbits
; Kernel info:
; codeLenInByte = 1824
; NumSgprs: 22
; NumVgprs: 53
; ScratchSize: 0
; MemoryBound: 0
; FloatMode: 240
; IeeeMode: 1
; LDSByteSize: 0 bytes/workgroup (compile time only)
; SGPRBlocks: 2
; VGPRBlocks: 6
; NumSGPRsForWavesPerEU: 22
; NumVGPRsForWavesPerEU: 53
; Occupancy: 16
; WaveLimiterHint : 1
; COMPUTE_PGM_RSRC2:SCRATCH_EN: 0
; COMPUTE_PGM_RSRC2:USER_SGPR: 14
; COMPUTE_PGM_RSRC2:TRAP_HANDLER: 0
; COMPUTE_PGM_RSRC2:TGID_X_EN: 1
; COMPUTE_PGM_RSRC2:TGID_Y_EN: 0
; COMPUTE_PGM_RSRC2:TGID_Z_EN: 1
; COMPUTE_PGM_RSRC2:TIDIG_COMP_CNT: 1
	.section	.text._ZL9moe_vec_qIN3c108BFloat16ELi32ELi4E12block_iq4_nlLi2EXadL_ZL19vec_dot_iq4_nl_q8_1PKvPK10block_q8_1RKiEEEvS4_S4_PT_PS8_iiii,"axG",@progbits,_ZL9moe_vec_qIN3c108BFloat16ELi32ELi4E12block_iq4_nlLi2EXadL_ZL19vec_dot_iq4_nl_q8_1PKvPK10block_q8_1RKiEEEvS4_S4_PT_PS8_iiii,comdat
	.globl	_ZL9moe_vec_qIN3c108BFloat16ELi32ELi4E12block_iq4_nlLi2EXadL_ZL19vec_dot_iq4_nl_q8_1PKvPK10block_q8_1RKiEEEvS4_S4_PT_PS8_iiii ; -- Begin function _ZL9moe_vec_qIN3c108BFloat16ELi32ELi4E12block_iq4_nlLi2EXadL_ZL19vec_dot_iq4_nl_q8_1PKvPK10block_q8_1RKiEEEvS4_S4_PT_PS8_iiii
	.p2align	8
	.type	_ZL9moe_vec_qIN3c108BFloat16ELi32ELi4E12block_iq4_nlLi2EXadL_ZL19vec_dot_iq4_nl_q8_1PKvPK10block_q8_1RKiEEEvS4_S4_PT_PS8_iiii,@function
_ZL9moe_vec_qIN3c108BFloat16ELi32ELi4E12block_iq4_nlLi2EXadL_ZL19vec_dot_iq4_nl_q8_1PKvPK10block_q8_1RKiEEEvS4_S4_PT_PS8_iiii: ; @_ZL9moe_vec_qIN3c108BFloat16ELi32ELi4E12block_iq4_nlLi2EXadL_ZL19vec_dot_iq4_nl_q8_1PKvPK10block_q8_1RKiEEEvS4_S4_PT_PS8_iiii
; %bb.0:
	s_clause 0x1
	s_load_b32 s2, s[0:1], 0x3c
	s_load_b128 s[4:7], s[0:1], 0x20
	v_bfe_u32 v3, v0, 10, 10
	s_waitcnt lgkmcnt(0)
	s_lshr_b32 s2, s2, 16
	s_delay_alu instid0(VALU_DEP_1) | instid1(SALU_CYCLE_1)
	v_mad_u64_u32 v[1:2], null, s14, s2, v[3:4]
	s_mov_b32 s2, exec_lo
	s_delay_alu instid0(VALU_DEP_1)
	v_cmpx_gt_u32_e64 s6, v1
	s_cbranch_execz .LBB289_7
; %bb.1:
	v_cvt_f32_u32_e32 v2, s4
	s_load_b64 s[10:11], s[0:1], 0x10
	s_ashr_i32 s2, s5, 31
	v_and_b32_e32 v0, 0x3ff, v0
	s_lshr_b32 s2, s2, 27
	v_rcp_iflag_f32_e32 v2, v2
	s_add_i32 s2, s5, s2
	s_mov_b32 s8, s15
	s_ashr_i32 s12, s2, 5
	s_mov_b32 s5, exec_lo
	s_waitcnt_depctr 0xfff
	v_mul_f32_e32 v3, 0x4f7ffffe, v2
	s_delay_alu instid0(VALU_DEP_1) | instskip(NEXT) | instid1(VALU_DEP_1)
	v_cvt_u32_f32_e32 v3, v3
	v_readfirstlane_b32 s2, v3
	v_mov_b32_e32 v3, 0
	v_lshrrev_b32_e32 v2, 1, v0
	s_delay_alu instid0(VALU_DEP_1)
	v_cmpx_gt_u32_e64 s12, v2
	s_cbranch_execz .LBB289_5
; %bb.2:
	s_load_b64 s[14:15], s[0:1], 0x18
	s_sub_i32 s3, 0, s4
	s_mov_b32 s9, 0
	s_mul_i32 s3, s3, s2
	s_lshl_b64 s[16:17], s[8:9], 2
	s_mul_hi_u32 s3, s2, s3
	v_lshlrev_b32_e32 v5, 1, v0
	s_add_i32 s13, s2, s3
	v_mov_b32_e32 v3, 0
	s_mul_hi_u32 s13, s8, s13
	v_mul_lo_u32 v4, v1, s12
	v_and_b32_e32 v6, 2, v5
	s_delay_alu instid0(VALU_DEP_1)
	v_lshlrev_b32_e32 v5, 1, v6
	v_lshlrev_b32_e32 v6, 2, v6
	s_waitcnt lgkmcnt(0)
	s_add_u32 s14, s14, s16
	s_addc_u32 s15, s15, s17
	s_load_b128 s[0:3], s[0:1], 0x0
	s_load_b32 s14, s[14:15], 0x0
	s_mul_i32 s17, s13, s4
	s_add_i32 s18, s13, 1
	s_sub_i32 s17, s8, s17
	s_mul_i32 s16, s12, s6
	s_sub_i32 s19, s17, s4
	s_cmp_ge_u32 s17, s4
	s_mov_b32 s15, s9
	s_cselect_b32 s13, s18, s13
	s_cselect_b32 s17, s19, s17
	s_add_i32 s18, s13, 1
	s_cmp_ge_u32 s17, s4
	v_lshlrev_b32_e32 v5, 1, v5
	s_cselect_b32 s4, s18, s13
	s_waitcnt lgkmcnt(0)
	s_mul_i32 s13, s16, s14
	s_mul_i32 s14, s4, s7
	;; [unrolled: 1-line block ×3, first 2 shown]
	s_mul_hi_i32 s7, s13, 18
	s_add_u32 s0, s0, s4
	s_addc_u32 s1, s1, s7
	s_lshl_b64 s[14:15], s[14:15], 2
	s_delay_alu instid0(SALU_CYCLE_1)
	s_add_u32 s2, s2, s14
	s_addc_u32 s3, s3, s15
	s_getpc_b64 s[14:15]
	s_add_u32 s14, s14, _ZL13kvalues_iq4nl@rel32@lo+4
	s_addc_u32 s15, s15, _ZL13kvalues_iq4nl@rel32@hi+12
.LBB289_3:                              ; =>This Inner Loop Header: Depth=1
	v_add_nc_u32_e32 v9, v4, v2
	v_mad_i64_i32 v[11:12], null, v2, 36, s[2:3]
	s_delay_alu instid0(VALU_DEP_2) | instskip(NEXT) | instid1(VALU_DEP_1)
	v_mad_i64_i32 v[7:8], null, v9, 18, s[0:1]
	v_add_co_u32 v9, vcc_lo, v7, v5
	s_delay_alu instid0(VALU_DEP_2) | instskip(NEXT) | instid1(VALU_DEP_4)
	v_add_co_ci_u32_e32 v10, vcc_lo, 0, v8, vcc_lo
	v_add_co_u32 v13, vcc_lo, v11, v6
	v_add_co_ci_u32_e32 v14, vcc_lo, 0, v12, vcc_lo
	global_load_b64 v[9:10], v[9:10], off offset:2
	global_load_b64 v[15:16], v[13:14], off offset:4
	s_waitcnt vmcnt(1)
	v_bfe_u32 v19, v9, 8, 4
	v_bfe_u32 v20, v9, 16, 4
	;; [unrolled: 1-line block ×5, first 2 shown]
	v_and_b32_e32 v18, 15, v9
	v_lshrrev_b32_e32 v23, 28, v9
	v_bfe_u32 v9, v9, 4, 4
	s_clause 0x7
	global_load_i8 v19, v19, s[14:15]
	global_load_i8 v20, v20, s[14:15]
	;; [unrolled: 1-line block ×8, first 2 shown]
	v_bfe_u32 v26, v10, 8, 4
	v_bfe_u32 v27, v10, 16, 4
	;; [unrolled: 1-line block ×5, first 2 shown]
	v_and_b32_e32 v25, 15, v10
	v_lshrrev_b32_e32 v30, 28, v10
	v_bfe_u32 v9, v10, 4, 4
	s_clause 0x7
	global_load_i8 v26, v26, s[14:15]
	global_load_i8 v27, v27, s[14:15]
	;; [unrolled: 1-line block ×8, first 2 shown]
	s_clause 0x1
	global_load_b64 v[9:10], v[13:14], off offset:20
	global_load_b32 v11, v[11:12], off
	global_load_u16 v7, v[7:8], off
	s_waitcnt vmcnt(14)
	v_perm_b32 v13, v21, v31, 0xc0c0400
	s_waitcnt vmcnt(13)
	v_perm_b32 v14, v23, v22, 0x4000c0c
	;; [unrolled: 2-line block ×4, first 2 shown]
	v_or_b32_e32 v13, v14, v13
	s_delay_alu instid0(VALU_DEP_2)
	v_or_b32_e32 v8, v12, v8
	s_waitcnt vmcnt(5)
	v_perm_b32 v12, v26, v25, 0xc0c0400
	s_waitcnt vmcnt(4)
	v_perm_b32 v17, v24, v27, 0x4000c0c
	;; [unrolled: 2-line block ×3, first 2 shown]
	s_waitcnt vmcnt(1)
	v_cvt_f32_f16_e32 v11, v11
	v_dot4_i32_iu8 v8, v15, v8, 0 neg_lo:[1,1,0]
	v_perm_b32 v15, v30, v29, 0x4000c0c
	v_or_b32_e32 v12, v17, v12
	s_waitcnt vmcnt(0)
	v_cvt_f32_f16_e32 v7, v7
	v_dot4_i32_iu8 v8, v9, v13, v8 neg_lo:[1,1,0]
	v_or_b32_e32 v9, v15, v14
	s_delay_alu instid0(VALU_DEP_3) | instskip(NEXT) | instid1(VALU_DEP_3)
	v_mul_f32_e32 v7, v7, v11
	v_dot4_i32_iu8 v8, v16, v12, v8 neg_lo:[1,1,0]
	s_delay_alu instid0(VALU_DEP_1) | instskip(NEXT) | instid1(VALU_DEP_1)
	v_dot4_i32_iu8 v8, v10, v9, v8 neg_lo:[1,1,0]
	v_cvt_f32_i32_e32 v8, v8
	s_delay_alu instid0(VALU_DEP_1) | instskip(NEXT) | instid1(VALU_DEP_1)
	v_dual_fmac_f32 v3, v7, v8 :: v_dual_add_nc_u32 v2, 16, v2
	v_cmp_le_u32_e32 vcc_lo, s12, v2
	s_or_b32 s9, vcc_lo, s9
	s_delay_alu instid0(SALU_CYCLE_1)
	s_and_not1_b32 exec_lo, exec_lo, s9
	s_cbranch_execnz .LBB289_3
; %bb.4:
	s_or_b32 exec_lo, exec_lo, s9
.LBB289_5:
	s_delay_alu instid0(SALU_CYCLE_1) | instskip(SKIP_1) | instid1(VALU_DEP_1)
	s_or_b32 exec_lo, exec_lo, s5
	v_mbcnt_lo_u32_b32 v2, -1, 0
	v_xor_b32_e32 v4, 16, v2
	v_xor_b32_e32 v5, 8, v2
	s_delay_alu instid0(VALU_DEP_2) | instskip(SKIP_1) | instid1(VALU_DEP_3)
	v_cmp_gt_i32_e32 vcc_lo, 32, v4
	v_cndmask_b32_e32 v4, v2, v4, vcc_lo
	v_cmp_gt_i32_e32 vcc_lo, 32, v5
	v_cndmask_b32_e32 v5, v2, v5, vcc_lo
	s_delay_alu instid0(VALU_DEP_1) | instskip(NEXT) | instid1(VALU_DEP_4)
	v_lshlrev_b32_e32 v5, 2, v5
	v_lshlrev_b32_e32 v4, 2, v4
	ds_bpermute_b32 v4, v4, v3
	s_waitcnt lgkmcnt(0)
	v_add_f32_e32 v3, v3, v4
	ds_bpermute_b32 v4, v5, v3
	v_xor_b32_e32 v5, 4, v2
	s_delay_alu instid0(VALU_DEP_1) | instskip(SKIP_1) | instid1(VALU_DEP_1)
	v_cmp_gt_i32_e32 vcc_lo, 32, v5
	v_cndmask_b32_e32 v5, v2, v5, vcc_lo
	v_lshlrev_b32_e32 v5, 2, v5
	s_waitcnt lgkmcnt(0)
	v_add_f32_e32 v3, v3, v4
	ds_bpermute_b32 v4, v5, v3
	v_xor_b32_e32 v5, 2, v2
	s_delay_alu instid0(VALU_DEP_1) | instskip(SKIP_1) | instid1(VALU_DEP_1)
	v_cmp_gt_i32_e32 vcc_lo, 32, v5
	v_cndmask_b32_e32 v5, v2, v5, vcc_lo
	v_lshlrev_b32_e32 v5, 2, v5
	s_waitcnt lgkmcnt(0)
	v_add_f32_e32 v3, v3, v4
	ds_bpermute_b32 v4, v5, v3
	v_xor_b32_e32 v5, 1, v2
	s_delay_alu instid0(VALU_DEP_1) | instskip(SKIP_3) | instid1(VALU_DEP_2)
	v_cmp_gt_i32_e32 vcc_lo, 32, v5
	v_cndmask_b32_e32 v5, v2, v5, vcc_lo
	v_cmp_eq_u32_e32 vcc_lo, 0, v0
	s_waitcnt lgkmcnt(0)
	v_dual_add_f32 v2, v3, v4 :: v_dual_lshlrev_b32 v3, 2, v5
	ds_bpermute_b32 v3, v3, v2
	s_and_b32 exec_lo, exec_lo, vcc_lo
	s_cbranch_execz .LBB289_7
; %bb.6:
	s_waitcnt lgkmcnt(0)
	v_add_f32_e32 v4, v2, v3
	v_mad_u64_u32 v[2:3], null, s8, s6, v[1:2]
	v_mov_b32_e32 v3, 0
	s_delay_alu instid0(VALU_DEP_3) | instskip(SKIP_1) | instid1(VALU_DEP_2)
	v_bfe_u32 v0, v4, 16, 1
	v_cmp_o_f32_e32 vcc_lo, v4, v4
	v_add3_u32 v0, v4, v0, 0x7fff
	s_delay_alu instid0(VALU_DEP_1) | instskip(SKIP_1) | instid1(VALU_DEP_2)
	v_lshrrev_b32_e32 v5, 16, v0
	v_lshlrev_b64 v[0:1], 1, v[2:3]
	v_cndmask_b32_e32 v2, 0x7fc0, v5, vcc_lo
	s_delay_alu instid0(VALU_DEP_2) | instskip(NEXT) | instid1(VALU_DEP_3)
	v_add_co_u32 v0, vcc_lo, s10, v0
	v_add_co_ci_u32_e32 v1, vcc_lo, s11, v1, vcc_lo
	global_store_b16 v[0:1], v2, off
.LBB289_7:
	s_nop 0
	s_sendmsg sendmsg(MSG_DEALLOC_VGPRS)
	s_endpgm
	.section	.rodata,"a",@progbits
	.p2align	6, 0x0
	.amdhsa_kernel _ZL9moe_vec_qIN3c108BFloat16ELi32ELi4E12block_iq4_nlLi2EXadL_ZL19vec_dot_iq4_nl_q8_1PKvPK10block_q8_1RKiEEEvS4_S4_PT_PS8_iiii
		.amdhsa_group_segment_fixed_size 0
		.amdhsa_private_segment_fixed_size 0
		.amdhsa_kernarg_size 304
		.amdhsa_user_sgpr_count 14
		.amdhsa_user_sgpr_dispatch_ptr 0
		.amdhsa_user_sgpr_queue_ptr 0
		.amdhsa_user_sgpr_kernarg_segment_ptr 1
		.amdhsa_user_sgpr_dispatch_id 0
		.amdhsa_user_sgpr_private_segment_size 0
		.amdhsa_wavefront_size32 1
		.amdhsa_uses_dynamic_stack 0
		.amdhsa_enable_private_segment 0
		.amdhsa_system_sgpr_workgroup_id_x 1
		.amdhsa_system_sgpr_workgroup_id_y 0
		.amdhsa_system_sgpr_workgroup_id_z 1
		.amdhsa_system_sgpr_workgroup_info 0
		.amdhsa_system_vgpr_workitem_id 1
		.amdhsa_next_free_vgpr 33
		.amdhsa_next_free_sgpr 20
		.amdhsa_reserve_vcc 1
		.amdhsa_float_round_mode_32 0
		.amdhsa_float_round_mode_16_64 0
		.amdhsa_float_denorm_mode_32 3
		.amdhsa_float_denorm_mode_16_64 3
		.amdhsa_dx10_clamp 1
		.amdhsa_ieee_mode 1
		.amdhsa_fp16_overflow 0
		.amdhsa_workgroup_processor_mode 1
		.amdhsa_memory_ordered 1
		.amdhsa_forward_progress 0
		.amdhsa_shared_vgpr_count 0
		.amdhsa_exception_fp_ieee_invalid_op 0
		.amdhsa_exception_fp_denorm_src 0
		.amdhsa_exception_fp_ieee_div_zero 0
		.amdhsa_exception_fp_ieee_overflow 0
		.amdhsa_exception_fp_ieee_underflow 0
		.amdhsa_exception_fp_ieee_inexact 0
		.amdhsa_exception_int_div_zero 0
	.end_amdhsa_kernel
	.section	.text._ZL9moe_vec_qIN3c108BFloat16ELi32ELi4E12block_iq4_nlLi2EXadL_ZL19vec_dot_iq4_nl_q8_1PKvPK10block_q8_1RKiEEEvS4_S4_PT_PS8_iiii,"axG",@progbits,_ZL9moe_vec_qIN3c108BFloat16ELi32ELi4E12block_iq4_nlLi2EXadL_ZL19vec_dot_iq4_nl_q8_1PKvPK10block_q8_1RKiEEEvS4_S4_PT_PS8_iiii,comdat
.Lfunc_end289:
	.size	_ZL9moe_vec_qIN3c108BFloat16ELi32ELi4E12block_iq4_nlLi2EXadL_ZL19vec_dot_iq4_nl_q8_1PKvPK10block_q8_1RKiEEEvS4_S4_PT_PS8_iiii, .Lfunc_end289-_ZL9moe_vec_qIN3c108BFloat16ELi32ELi4E12block_iq4_nlLi2EXadL_ZL19vec_dot_iq4_nl_q8_1PKvPK10block_q8_1RKiEEEvS4_S4_PT_PS8_iiii
                                        ; -- End function
	.section	.AMDGPU.csdata,"",@progbits
; Kernel info:
; codeLenInByte = 1276
; NumSgprs: 22
; NumVgprs: 33
; ScratchSize: 0
; MemoryBound: 0
; FloatMode: 240
; IeeeMode: 1
; LDSByteSize: 0 bytes/workgroup (compile time only)
; SGPRBlocks: 2
; VGPRBlocks: 4
; NumSGPRsForWavesPerEU: 22
; NumVGPRsForWavesPerEU: 33
; Occupancy: 16
; WaveLimiterHint : 1
; COMPUTE_PGM_RSRC2:SCRATCH_EN: 0
; COMPUTE_PGM_RSRC2:USER_SGPR: 14
; COMPUTE_PGM_RSRC2:TRAP_HANDLER: 0
; COMPUTE_PGM_RSRC2:TGID_X_EN: 1
; COMPUTE_PGM_RSRC2:TGID_Y_EN: 0
; COMPUTE_PGM_RSRC2:TGID_Z_EN: 1
; COMPUTE_PGM_RSRC2:TIDIG_COMP_CNT: 1
	.section	.text._ZL9moe_vec_qIN3c108BFloat16ELi256ELi8E11block_iq3_sLi1EXadL_ZL18vec_dot_iq3_s_q8_1PKvPK10block_q8_1RKiEEEvS4_S4_PT_PS8_iiii,"axG",@progbits,_ZL9moe_vec_qIN3c108BFloat16ELi256ELi8E11block_iq3_sLi1EXadL_ZL18vec_dot_iq3_s_q8_1PKvPK10block_q8_1RKiEEEvS4_S4_PT_PS8_iiii,comdat
	.globl	_ZL9moe_vec_qIN3c108BFloat16ELi256ELi8E11block_iq3_sLi1EXadL_ZL18vec_dot_iq3_s_q8_1PKvPK10block_q8_1RKiEEEvS4_S4_PT_PS8_iiii ; -- Begin function _ZL9moe_vec_qIN3c108BFloat16ELi256ELi8E11block_iq3_sLi1EXadL_ZL18vec_dot_iq3_s_q8_1PKvPK10block_q8_1RKiEEEvS4_S4_PT_PS8_iiii
	.p2align	8
	.type	_ZL9moe_vec_qIN3c108BFloat16ELi256ELi8E11block_iq3_sLi1EXadL_ZL18vec_dot_iq3_s_q8_1PKvPK10block_q8_1RKiEEEvS4_S4_PT_PS8_iiii,@function
_ZL9moe_vec_qIN3c108BFloat16ELi256ELi8E11block_iq3_sLi1EXadL_ZL18vec_dot_iq3_s_q8_1PKvPK10block_q8_1RKiEEEvS4_S4_PT_PS8_iiii: ; @_ZL9moe_vec_qIN3c108BFloat16ELi256ELi8E11block_iq3_sLi1EXadL_ZL18vec_dot_iq3_s_q8_1PKvPK10block_q8_1RKiEEEvS4_S4_PT_PS8_iiii
; %bb.0:
	s_clause 0x1
	s_load_b32 s2, s[0:1], 0x3c
	s_load_b128 s[4:7], s[0:1], 0x20
	v_bfe_u32 v3, v0, 10, 10
	s_waitcnt lgkmcnt(0)
	s_lshr_b32 s2, s2, 16
	s_delay_alu instid0(VALU_DEP_1) | instid1(SALU_CYCLE_1)
	v_mad_u64_u32 v[1:2], null, s14, s2, v[3:4]
	s_mov_b32 s2, exec_lo
	s_delay_alu instid0(VALU_DEP_1)
	v_cmpx_gt_u32_e64 s6, v1
	s_cbranch_execz .LBB290_9
; %bb.1:
	s_load_b64 s[10:11], s[0:1], 0x10
	v_dual_mov_b32 v19, 0 :: v_dual_and_b32 v0, 0x3ff, v0
	s_ashr_i32 s2, s5, 31
	s_mov_b32 s8, s15
	s_lshr_b32 s2, s2, 24
	s_delay_alu instid0(VALU_DEP_1)
	v_lshrrev_b32_e32 v18, 3, v0
	s_add_i32 s2, s5, s2
	s_mov_b32 s5, exec_lo
	s_ashr_i32 s12, s2, 8
	s_delay_alu instid0(VALU_DEP_1) | instid1(SALU_CYCLE_1)
	v_cmpx_gt_u32_e64 s12, v18
	s_cbranch_execz .LBB290_7
; %bb.2:
	s_load_b64 s[2:3], s[0:1], 0x18
	s_mov_b32 s9, 0
	v_cvt_f32_u32_e32 v2, s4
	s_lshl_b64 s[14:15], s[8:9], 2
	v_mov_b32_e32 v19, 0
	v_mul_lo_u32 v20, v1, s12
	v_bfe_u32 v22, v0, 1, 2
	v_rcp_iflag_f32_e32 v2, v2
	v_and_b32_e32 v21, 7, v0
	s_delay_alu instid0(VALU_DEP_3)
	v_add_nc_u32_e32 v24, v18, v20
	s_waitcnt_depctr 0xfff
	v_dual_mul_f32 v2, 0x4f7ffffe, v2 :: v_dual_lshlrev_b32 v3, 3, v21
	s_waitcnt lgkmcnt(0)
	s_add_u32 s2, s2, s14
	s_addc_u32 s3, s3, s15
	s_delay_alu instid0(VALU_DEP_1)
	v_cvt_u32_f32_e32 v2, v2
	s_load_b32 s13, s[2:3], 0x0
	s_load_b128 s[0:3], s[0:1], 0x0
	s_mul_i32 s14, s12, s6
	s_waitcnt lgkmcnt(0)
	s_mul_i32 s13, s14, s13
	v_readfirstlane_b32 s14, v2
	s_mul_i32 s15, s13, 0x6e
	s_mul_hi_i32 s13, s13, 0x6e
	s_add_u32 s0, s0, s15
	s_addc_u32 s1, s1, s13
	s_sub_i32 s13, 0, s4
	v_lshlrev_b32_e32 v2, 2, v0
	s_mul_i32 s13, s13, s14
	s_mov_b32 s15, s9
	s_mul_hi_u32 s13, s14, s13
	s_delay_alu instid0(SALU_CYCLE_1)
	s_add_i32 s14, s14, s13
	v_and_b32_e32 v23, 4, v2
	s_mul_hi_u32 s13, s8, s14
	v_lshlrev_b32_e32 v2, 2, v21
	s_mul_i32 s14, s13, s4
	s_add_i32 s16, s13, 1
	s_sub_i32 s14, s8, s14
	s_delay_alu instid0(SALU_CYCLE_1)
	s_sub_i32 s17, s14, s4
	s_cmp_ge_u32 s14, s4
	s_cselect_b32 s13, s16, s13
	s_cselect_b32 s14, s17, s14
	s_add_i32 s16, s13, 1
	s_cmp_ge_u32 s14, s4
	s_cselect_b32 s4, s16, s13
	v_add_co_u32 v2, s13, s0, v2
	s_mul_i32 s14, s4, s7
	v_add_co_ci_u32_e64 v4, null, s1, 0, s13
	s_lshl_b64 s[14:15], s[14:15], 2
	v_add_co_u32 v6, s4, s0, v3
	s_add_u32 s2, s2, s14
	v_add_co_ci_u32_e64 v7, null, s1, 0, s4
	v_add_co_u32 v2, vcc_lo, 0x4a, v2
	s_addc_u32 s3, s3, s15
	v_add_co_ci_u32_e32 v3, vcc_lo, 0, v4, vcc_lo
	v_mad_u64_u32 v[4:5], null, v21, 36, s[2:3]
	v_add_co_u32 v6, vcc_lo, v6, 2
	v_add_co_ci_u32_e32 v7, vcc_lo, 0, v7, vcc_lo
	s_getpc_b64 s[14:15]
	s_add_u32 s14, s14, _ZL10iq3xs_grid@rel32@lo+4
	s_addc_u32 s15, s15, _ZL10iq3xs_grid@rel32@hi+12
.LBB290_3:                              ; =>This Loop Header: Depth=1
                                        ;     Child Loop BB290_4 Depth 2
	v_dual_mov_b32 v25, 0 :: v_dual_add_nc_u32 v10, v18, v20
	v_lshlrev_b32_e32 v12, 3, v18
	v_mad_i64_i32 v[14:15], null, 0x6e, v24, v[6:7]
	s_delay_alu instid0(VALU_DEP_3) | instskip(SKIP_1) | instid1(VALU_DEP_1)
	v_mad_i64_i32 v[8:9], null, 0x6e, v10, s[0:1]
	s_mov_b32 s2, 7
	v_add_co_u32 v10, vcc_lo, v8, v21
	s_delay_alu instid0(VALU_DEP_2) | instskip(SKIP_3) | instid1(VALU_DEP_2)
	v_add_co_ci_u32_e32 v11, vcc_lo, 0, v9, vcc_lo
	global_load_u8 v26, v[10:11], off offset:66
	v_mad_i64_i32 v[10:11], null, v12, 36, v[4:5]
	v_mad_i64_i32 v[12:13], null, 0x6e, v24, v[2:3]
	v_add_co_u32 v16, vcc_lo, v10, 4
	s_delay_alu instid0(VALU_DEP_3)
	v_add_co_ci_u32_e32 v17, vcc_lo, 0, v11, vcc_lo
.LBB290_4:                              ;   Parent Loop BB290_3 Depth=1
                                        ; =>  This Inner Loop Header: Depth=2
	global_load_u16 v27, v[14:15], off
	global_load_u8 v29, v[12:13], off
	s_add_i32 s3, s2, 1
	s_waitcnt vmcnt(2)
	v_lshlrev_b32_e32 v28, s2, v26
	v_lshlrev_b32_e32 v30, s3, v26
	s_add_i32 s2, s2, -2
	s_delay_alu instid0(SALU_CYCLE_1)
	s_cmp_lg_u32 s2, -1
	s_waitcnt vmcnt(1)
	v_lshrrev_b16 v31, 8, v27
	v_and_b32_e32 v27, 0xff, v27
	s_waitcnt vmcnt(0)
	v_and_b32_e32 v32, 15, v29
	v_lshrrev_b16 v29, 4, v29
	v_and_b32_e32 v31, 0xffff, v31
	v_and_or_b32 v27, 0x100, v30, v27
	s_delay_alu instid0(VALU_DEP_4) | instskip(NEXT) | instid1(VALU_DEP_4)
	v_and_b32_e32 v32, 0xffff, v32
	v_and_b32_e32 v29, 0xffff, v29
	s_delay_alu instid0(VALU_DEP_4) | instskip(NEXT) | instid1(VALU_DEP_4)
	v_and_or_b32 v28, 0x100, v28, v31
	v_lshlrev_b32_e32 v27, 2, v27
	s_delay_alu instid0(VALU_DEP_4) | instskip(NEXT) | instid1(VALU_DEP_4)
	v_mul_lo_u32 v32, 0x1010101, v32
	v_mul_lo_u32 v29, 0x1010101, v29
	s_delay_alu instid0(VALU_DEP_4)
	v_lshlrev_b32_e32 v28, 2, v28
	s_clause 0x1
	global_load_b32 v30, v27, s[14:15]
	global_load_b32 v31, v28, s[14:15]
	global_load_b64 v[27:28], v[16:17], off
	v_not_b32_e32 v32, v32
	v_add_co_u32 v16, vcc_lo, v16, 8
	v_add_co_ci_u32_e32 v17, vcc_lo, 0, v17, vcc_lo
	s_delay_alu instid0(VALU_DEP_3)
	v_and_b32_e32 v33, 0x8040201, v32
	v_and_b32_e32 v34, 0x40000, v32
	;; [unrolled: 1-line block ×3, first 2 shown]
	v_not_b32_e32 v29, v29
	v_and_b32_e32 v32, 1, v32
	v_cmp_gt_u32_e32 vcc_lo, 0x1000000, v33
	s_delay_alu instid0(VALU_DEP_3)
	v_and_b32_e32 v36, 0x8040201, v29
	v_and_b32_e32 v38, 0x200, v29
	v_cndmask_b32_e64 v33, 0, -1, vcc_lo
	v_cmp_eq_u32_e32 vcc_lo, 0, v34
	v_and_b32_e32 v37, 0x40000, v29
	v_and_b32_e32 v29, 1, v29
	s_delay_alu instid0(VALU_DEP_4)
	v_lshlrev_b32_e32 v33, 24, v33
	v_cndmask_b32_e64 v34, 0, 0xff0000, vcc_lo
	v_cmp_eq_u32_e32 vcc_lo, 0, v35
	v_cndmask_b32_e64 v35, 0, 0xff00, vcc_lo
	v_cmp_eq_u32_e32 vcc_lo, 0, v32
	v_cndmask_b32_e64 v32, 0, 0xff, vcc_lo
	v_cmp_gt_u32_e32 vcc_lo, 0x1000000, v36
	s_delay_alu instid0(VALU_DEP_2) | instskip(SKIP_2) | instid1(VALU_DEP_3)
	v_or_b32_e32 v39, v35, v32
	v_cndmask_b32_e64 v36, 0, -1, vcc_lo
	v_cmp_eq_u32_e32 vcc_lo, 0, v38
	v_or3_b32 v39, v39, v34, v33
	s_delay_alu instid0(VALU_DEP_3) | instskip(SKIP_4) | instid1(VALU_DEP_2)
	v_lshlrev_b32_e32 v36, 24, v36
	v_cndmask_b32_e64 v38, 0, 0xff00, vcc_lo
	v_cmp_eq_u32_e32 vcc_lo, 0, v29
	v_cndmask_b32_e64 v29, 0, 0xff, vcc_lo
	v_cmp_eq_u32_e32 vcc_lo, 0, v37
	v_or_b32_e32 v40, v38, v29
	v_cndmask_b32_e64 v37, 0, 0xff0000, vcc_lo
	v_add_co_u32 v12, vcc_lo, v12, 1
	v_add_co_ci_u32_e32 v13, vcc_lo, 0, v13, vcc_lo
	s_delay_alu instid0(VALU_DEP_3)
	v_or3_b32 v40, v40, v37, v36
	v_add_co_u32 v14, vcc_lo, v14, 2
	v_add_co_ci_u32_e32 v15, vcc_lo, 0, v15, vcc_lo
	s_waitcnt vmcnt(2)
	v_xor_b32_e32 v30, v39, v30
	s_waitcnt vmcnt(1)
	v_xor_b32_e32 v31, v40, v31
	s_waitcnt vmcnt(0)
	v_bfe_i32 v41, v27, 0, 8
	v_bfe_i32 v39, v28, 0, 8
	v_sub_nc_u32_e32 v32, v30, v32
	v_sub_nc_u32_e32 v29, v31, v29
	;; [unrolled: 1-line block ×7, first 2 shown]
	v_bfe_i32 v32, v32, 0, 8
	v_bfe_i32 v29, v29, 0, 8
	v_perm_b32 v34, v34, v30, 0xc06010c
	v_sub_nc_u32_e32 v31, v31, v36
	v_perm_b32 v35, v35, v37, 0xc06010c
	v_mul_i32_i24_e32 v32, v32, v41
	v_mul_i32_i24_e32 v29, v29, v39
	v_perm_b32 v36, v27, v27, 0xc0c0201
	v_perm_b32 v30, v34, v30, 0xc0c0601
	;; [unrolled: 1-line block ×4, first 2 shown]
	v_add3_u32 v25, v32, v25, v29
	v_perm_b32 v27, v28, v27, 0x7060503
	s_delay_alu instid0(VALU_DEP_3) | instskip(NEXT) | instid1(VALU_DEP_3)
	v_or_b32_e32 v28, v31, v33
	v_dot4_i32_iu8 v25, v30, v36, v25 neg_lo:[1,1,0]
	s_delay_alu instid0(VALU_DEP_1)
	v_dot4_i32_iu8 v25, v28, v27, v25 neg_lo:[1,1,0]
	s_cbranch_scc1 .LBB290_4
; %bb.5:                                ;   in Loop: Header=BB290_3 Depth=1
	v_add_co_u32 v12, vcc_lo, v8, v22
	v_add_co_ci_u32_e32 v13, vcc_lo, 0, v9, vcc_lo
	v_add_nc_u32_e32 v18, 4, v18
	v_add_nc_u32_e32 v24, 4, v24
	s_clause 0x1
	global_load_u8 v12, v[12:13], off offset:106
	global_load_u16 v8, v[8:9], off
	global_load_b32 v9, v[10:11], off
	v_cmp_le_u32_e32 vcc_lo, s12, v18
	s_or_b32 s9, vcc_lo, s9
	s_waitcnt vmcnt(2)
	v_bfe_u32 v10, v12, v23, 4
	s_waitcnt vmcnt(1)
	v_cvt_f32_f16_e32 v8, v8
	s_waitcnt vmcnt(0)
	v_cvt_f32_f16_e32 v9, v9
	v_cvt_f32_ubyte0_e32 v10, v10
	s_delay_alu instid0(VALU_DEP_1) | instskip(NEXT) | instid1(VALU_DEP_1)
	v_add_f32_e32 v10, 0.5, v10
	v_mul_f32_e32 v8, v10, v8
	s_delay_alu instid0(VALU_DEP_1) | instskip(SKIP_1) | instid1(VALU_DEP_2)
	v_mul_f32_e32 v8, v8, v9
	v_cvt_f32_i32_e32 v9, v25
	v_mul_f32_e32 v8, 0.5, v8
	s_delay_alu instid0(VALU_DEP_1)
	v_fmac_f32_e32 v19, v8, v9
	s_and_not1_b32 exec_lo, exec_lo, s9
	s_cbranch_execnz .LBB290_3
; %bb.6:
	s_or_b32 exec_lo, exec_lo, s9
.LBB290_7:
	s_delay_alu instid0(SALU_CYCLE_1) | instskip(SKIP_1) | instid1(VALU_DEP_1)
	s_or_b32 exec_lo, exec_lo, s5
	v_mbcnt_lo_u32_b32 v2, -1, 0
	v_xor_b32_e32 v3, 16, v2
	v_xor_b32_e32 v4, 8, v2
	;; [unrolled: 1-line block ×3, first 2 shown]
	s_delay_alu instid0(VALU_DEP_3) | instskip(SKIP_1) | instid1(VALU_DEP_4)
	v_cmp_gt_i32_e32 vcc_lo, 32, v3
	v_cndmask_b32_e32 v3, v2, v3, vcc_lo
	v_cmp_gt_i32_e32 vcc_lo, 32, v4
	v_cndmask_b32_e32 v4, v2, v4, vcc_lo
	v_cmp_gt_i32_e32 vcc_lo, 32, v5
	s_delay_alu instid0(VALU_DEP_2)
	v_lshlrev_b32_e32 v4, 2, v4
	v_lshlrev_b32_e32 v3, 2, v3
	v_cndmask_b32_e32 v5, v2, v5, vcc_lo
	ds_bpermute_b32 v3, v3, v19
	v_lshlrev_b32_e32 v5, 2, v5
	s_waitcnt lgkmcnt(0)
	v_add_f32_e32 v3, v19, v3
	ds_bpermute_b32 v4, v4, v3
	s_waitcnt lgkmcnt(0)
	v_add_f32_e32 v3, v3, v4
	ds_bpermute_b32 v4, v5, v3
	v_xor_b32_e32 v5, 2, v2
	s_delay_alu instid0(VALU_DEP_1) | instskip(SKIP_1) | instid1(VALU_DEP_1)
	v_cmp_gt_i32_e32 vcc_lo, 32, v5
	v_cndmask_b32_e32 v5, v2, v5, vcc_lo
	v_lshlrev_b32_e32 v5, 2, v5
	s_waitcnt lgkmcnt(0)
	v_add_f32_e32 v3, v3, v4
	ds_bpermute_b32 v4, v5, v3
	v_xor_b32_e32 v5, 1, v2
	s_delay_alu instid0(VALU_DEP_1) | instskip(SKIP_3) | instid1(VALU_DEP_2)
	v_cmp_gt_i32_e32 vcc_lo, 32, v5
	v_cndmask_b32_e32 v5, v2, v5, vcc_lo
	v_cmp_eq_u32_e32 vcc_lo, 0, v0
	s_waitcnt lgkmcnt(0)
	v_dual_add_f32 v2, v3, v4 :: v_dual_lshlrev_b32 v3, 2, v5
	ds_bpermute_b32 v3, v3, v2
	s_and_b32 exec_lo, exec_lo, vcc_lo
	s_cbranch_execz .LBB290_9
; %bb.8:
	s_waitcnt lgkmcnt(0)
	v_add_f32_e32 v4, v2, v3
	v_mad_u64_u32 v[2:3], null, s8, s6, v[1:2]
	v_mov_b32_e32 v3, 0
	s_delay_alu instid0(VALU_DEP_3) | instskip(SKIP_1) | instid1(VALU_DEP_2)
	v_bfe_u32 v0, v4, 16, 1
	v_cmp_o_f32_e32 vcc_lo, v4, v4
	v_add3_u32 v0, v4, v0, 0x7fff
	s_delay_alu instid0(VALU_DEP_1) | instskip(SKIP_1) | instid1(VALU_DEP_2)
	v_lshrrev_b32_e32 v5, 16, v0
	v_lshlrev_b64 v[0:1], 1, v[2:3]
	v_cndmask_b32_e32 v2, 0x7fc0, v5, vcc_lo
	s_delay_alu instid0(VALU_DEP_2) | instskip(NEXT) | instid1(VALU_DEP_3)
	v_add_co_u32 v0, vcc_lo, s10, v0
	v_add_co_ci_u32_e32 v1, vcc_lo, s11, v1, vcc_lo
	global_store_b16 v[0:1], v2, off
.LBB290_9:
	s_nop 0
	s_sendmsg sendmsg(MSG_DEALLOC_VGPRS)
	s_endpgm
	.section	.rodata,"a",@progbits
	.p2align	6, 0x0
	.amdhsa_kernel _ZL9moe_vec_qIN3c108BFloat16ELi256ELi8E11block_iq3_sLi1EXadL_ZL18vec_dot_iq3_s_q8_1PKvPK10block_q8_1RKiEEEvS4_S4_PT_PS8_iiii
		.amdhsa_group_segment_fixed_size 0
		.amdhsa_private_segment_fixed_size 0
		.amdhsa_kernarg_size 304
		.amdhsa_user_sgpr_count 14
		.amdhsa_user_sgpr_dispatch_ptr 0
		.amdhsa_user_sgpr_queue_ptr 0
		.amdhsa_user_sgpr_kernarg_segment_ptr 1
		.amdhsa_user_sgpr_dispatch_id 0
		.amdhsa_user_sgpr_private_segment_size 0
		.amdhsa_wavefront_size32 1
		.amdhsa_uses_dynamic_stack 0
		.amdhsa_enable_private_segment 0
		.amdhsa_system_sgpr_workgroup_id_x 1
		.amdhsa_system_sgpr_workgroup_id_y 0
		.amdhsa_system_sgpr_workgroup_id_z 1
		.amdhsa_system_sgpr_workgroup_info 0
		.amdhsa_system_vgpr_workitem_id 1
		.amdhsa_next_free_vgpr 42
		.amdhsa_next_free_sgpr 18
		.amdhsa_reserve_vcc 1
		.amdhsa_float_round_mode_32 0
		.amdhsa_float_round_mode_16_64 0
		.amdhsa_float_denorm_mode_32 3
		.amdhsa_float_denorm_mode_16_64 3
		.amdhsa_dx10_clamp 1
		.amdhsa_ieee_mode 1
		.amdhsa_fp16_overflow 0
		.amdhsa_workgroup_processor_mode 1
		.amdhsa_memory_ordered 1
		.amdhsa_forward_progress 0
		.amdhsa_shared_vgpr_count 0
		.amdhsa_exception_fp_ieee_invalid_op 0
		.amdhsa_exception_fp_denorm_src 0
		.amdhsa_exception_fp_ieee_div_zero 0
		.amdhsa_exception_fp_ieee_overflow 0
		.amdhsa_exception_fp_ieee_underflow 0
		.amdhsa_exception_fp_ieee_inexact 0
		.amdhsa_exception_int_div_zero 0
	.end_amdhsa_kernel
	.section	.text._ZL9moe_vec_qIN3c108BFloat16ELi256ELi8E11block_iq3_sLi1EXadL_ZL18vec_dot_iq3_s_q8_1PKvPK10block_q8_1RKiEEEvS4_S4_PT_PS8_iiii,"axG",@progbits,_ZL9moe_vec_qIN3c108BFloat16ELi256ELi8E11block_iq3_sLi1EXadL_ZL18vec_dot_iq3_s_q8_1PKvPK10block_q8_1RKiEEEvS4_S4_PT_PS8_iiii,comdat
.Lfunc_end290:
	.size	_ZL9moe_vec_qIN3c108BFloat16ELi256ELi8E11block_iq3_sLi1EXadL_ZL18vec_dot_iq3_s_q8_1PKvPK10block_q8_1RKiEEEvS4_S4_PT_PS8_iiii, .Lfunc_end290-_ZL9moe_vec_qIN3c108BFloat16ELi256ELi8E11block_iq3_sLi1EXadL_ZL18vec_dot_iq3_s_q8_1PKvPK10block_q8_1RKiEEEvS4_S4_PT_PS8_iiii
                                        ; -- End function
	.section	.AMDGPU.csdata,"",@progbits
; Kernel info:
; codeLenInByte = 1720
; NumSgprs: 20
; NumVgprs: 42
; ScratchSize: 0
; MemoryBound: 0
; FloatMode: 240
; IeeeMode: 1
; LDSByteSize: 0 bytes/workgroup (compile time only)
; SGPRBlocks: 2
; VGPRBlocks: 5
; NumSGPRsForWavesPerEU: 20
; NumVGPRsForWavesPerEU: 42
; Occupancy: 16
; WaveLimiterHint : 1
; COMPUTE_PGM_RSRC2:SCRATCH_EN: 0
; COMPUTE_PGM_RSRC2:USER_SGPR: 14
; COMPUTE_PGM_RSRC2:TRAP_HANDLER: 0
; COMPUTE_PGM_RSRC2:TGID_X_EN: 1
; COMPUTE_PGM_RSRC2:TGID_Y_EN: 0
; COMPUTE_PGM_RSRC2:TGID_Z_EN: 1
; COMPUTE_PGM_RSRC2:TIDIG_COMP_CNT: 1
	.section	.text._ZL9moe_vec_qIN3c108BFloat16ELi256ELi8E11block_iq2_sLi1EXadL_ZL18vec_dot_iq2_s_q8_1PKvPK10block_q8_1RKiEEEvS4_S4_PT_PS8_iiii,"axG",@progbits,_ZL9moe_vec_qIN3c108BFloat16ELi256ELi8E11block_iq2_sLi1EXadL_ZL18vec_dot_iq2_s_q8_1PKvPK10block_q8_1RKiEEEvS4_S4_PT_PS8_iiii,comdat
	.globl	_ZL9moe_vec_qIN3c108BFloat16ELi256ELi8E11block_iq2_sLi1EXadL_ZL18vec_dot_iq2_s_q8_1PKvPK10block_q8_1RKiEEEvS4_S4_PT_PS8_iiii ; -- Begin function _ZL9moe_vec_qIN3c108BFloat16ELi256ELi8E11block_iq2_sLi1EXadL_ZL18vec_dot_iq2_s_q8_1PKvPK10block_q8_1RKiEEEvS4_S4_PT_PS8_iiii
	.p2align	8
	.type	_ZL9moe_vec_qIN3c108BFloat16ELi256ELi8E11block_iq2_sLi1EXadL_ZL18vec_dot_iq2_s_q8_1PKvPK10block_q8_1RKiEEEvS4_S4_PT_PS8_iiii,@function
_ZL9moe_vec_qIN3c108BFloat16ELi256ELi8E11block_iq2_sLi1EXadL_ZL18vec_dot_iq2_s_q8_1PKvPK10block_q8_1RKiEEEvS4_S4_PT_PS8_iiii: ; @_ZL9moe_vec_qIN3c108BFloat16ELi256ELi8E11block_iq2_sLi1EXadL_ZL18vec_dot_iq2_s_q8_1PKvPK10block_q8_1RKiEEEvS4_S4_PT_PS8_iiii
; %bb.0:
	s_clause 0x1
	s_load_b32 s2, s[0:1], 0x3c
	s_load_b128 s[4:7], s[0:1], 0x20
	v_bfe_u32 v3, v0, 10, 10
	s_waitcnt lgkmcnt(0)
	s_lshr_b32 s2, s2, 16
	s_delay_alu instid0(VALU_DEP_1) | instid1(SALU_CYCLE_1)
	v_mad_u64_u32 v[1:2], null, s14, s2, v[3:4]
	s_mov_b32 s2, exec_lo
	s_delay_alu instid0(VALU_DEP_1)
	v_cmpx_gt_u32_e64 s6, v1
	s_cbranch_execz .LBB291_11
; %bb.1:
	s_load_b64 s[10:11], s[0:1], 0x10
	v_dual_mov_b32 v15, 0 :: v_dual_and_b32 v0, 0x3ff, v0
	s_ashr_i32 s2, s5, 31
	s_mov_b32 s8, s15
	s_lshr_b32 s2, s2, 24
	s_delay_alu instid0(VALU_DEP_1)
	v_lshrrev_b32_e32 v14, 3, v0
	s_add_i32 s2, s5, s2
	s_mov_b32 s5, exec_lo
	s_ashr_i32 s14, s2, 8
	s_delay_alu instid0(VALU_DEP_1) | instid1(SALU_CYCLE_1)
	v_cmpx_gt_u32_e64 s14, v14
	s_cbranch_execz .LBB291_9
; %bb.2:
	s_load_b64 s[2:3], s[0:1], 0x18
	s_mov_b32 s9, 0
	v_cvt_f32_u32_e32 v2, s4
	s_lshl_b64 s[12:13], s[8:9], 2
	v_mul_lo_u32 v16, v1, s14
	v_and_b32_e32 v17, 7, v0
	v_mov_b32_e32 v15, 0
	v_rcp_iflag_f32_e32 v2, v2
	s_delay_alu instid0(VALU_DEP_2)
	v_lshlrev_b32_e32 v18, 2, v17
	s_waitcnt_depctr 0xfff
	v_dual_mul_f32 v2, 0x4f7ffffe, v2 :: v_dual_add_nc_u32 v19, v14, v16
	s_waitcnt lgkmcnt(0)
	s_add_u32 s2, s2, s12
	s_addc_u32 s3, s3, s13
	s_delay_alu instid0(VALU_DEP_1) | instskip(SKIP_3) | instid1(VALU_DEP_1)
	v_cvt_u32_f32_e32 v2, v2
	s_load_b32 s12, s[2:3], 0x0
	s_load_b128 s[0:3], s[0:1], 0x0
	s_mul_i32 s13, s14, s6
	v_readfirstlane_b32 s15, v2
	s_waitcnt lgkmcnt(0)
	s_mul_i32 s12, s13, s12
	s_delay_alu instid0(SALU_CYCLE_1) | instskip(SKIP_4) | instid1(SALU_CYCLE_1)
	s_mul_i32 s13, s12, 0x52
	s_mul_hi_i32 s16, s12, 0x52
	s_add_u32 s12, s0, s13
	s_addc_u32 s13, s1, s16
	s_sub_i32 s0, 0, s4
	s_mul_i32 s0, s0, s15
	s_delay_alu instid0(SALU_CYCLE_1) | instskip(NEXT) | instid1(SALU_CYCLE_1)
	s_mul_hi_u32 s0, s15, s0
	s_add_i32 s15, s15, s0
	s_delay_alu instid0(SALU_CYCLE_1) | instskip(NEXT) | instid1(SALU_CYCLE_1)
	s_mul_hi_u32 s0, s8, s15
	s_mul_i32 s1, s0, s4
	s_add_i32 s15, s0, 1
	s_sub_i32 s1, s8, s1
	s_delay_alu instid0(SALU_CYCLE_1)
	s_sub_i32 s16, s1, s4
	s_cmp_ge_u32 s1, s4
	s_cselect_b32 s0, s15, s0
	s_cselect_b32 s1, s16, s1
	s_add_i32 s15, s0, 1
	s_cmp_ge_u32 s1, s4
	s_mov_b32 s1, s9
	s_cselect_b32 s0, s15, s0
	v_add_co_u32 v4, s4, s12, v18
	s_mul_i32 s0, s0, s7
	v_add_co_ci_u32_e64 v5, null, s13, 0, s4
	s_lshl_b64 s[0:1], s[0:1], 2
	s_delay_alu instid0(VALU_DEP_2)
	v_add_co_u32 v4, vcc_lo, v4, 36
	s_add_u32 s0, s2, s0
	s_addc_u32 s1, s3, s1
	v_add_co_ci_u32_e32 v5, vcc_lo, 0, v5, vcc_lo
	v_mad_u64_u32 v[2:3], null, v17, 36, s[0:1]
.LBB291_3:                              ; =>This Loop Header: Depth=1
                                        ;     Child Loop BB291_4 Depth 2
                                        ;     Child Loop BB291_6 Depth 2
	v_add_nc_u32_e32 v8, v14, v16
	v_lshlrev_b32_e32 v10, 3, v14
	s_mov_b32 s0, -1
	s_mov_b32 s1, 0
	s_delay_alu instid0(VALU_DEP_2) | instskip(NEXT) | instid1(VALU_DEP_1)
	v_mad_i64_i32 v[6:7], null, 0x52, v8, s[12:13]
	v_add_co_u32 v8, vcc_lo, v6, v17
	s_delay_alu instid0(VALU_DEP_2) | instskip(SKIP_4) | instid1(VALU_DEP_1)
	v_add_co_ci_u32_e32 v9, vcc_lo, 0, v7, vcc_lo
	s_clause 0x1
	global_load_u8 v20, v[8:9], off offset:74
	global_load_u8 v21, v[8:9], off offset:66
	v_mad_i64_i32 v[8:9], null, v10, 36, v[2:3]
	v_add_co_u32 v10, vcc_lo, v8, 4
	s_delay_alu instid0(VALU_DEP_2) | instskip(SKIP_4) | instid1(VALU_DEP_4)
	v_add_co_ci_u32_e32 v11, vcc_lo, 0, v9, vcc_lo
	v_add_co_u32 v22, vcc_lo, v6, v18
	v_add_co_ci_u32_e32 v24, vcc_lo, 0, v7, vcc_lo
	v_add_co_u32 v12, vcc_lo, v6, 2
	;; [unrolled: 2-line block ×3, first 2 shown]
	s_delay_alu instid0(VALU_DEP_4)
	v_add_co_ci_u32_e32 v24, vcc_lo, 0, v24, vcc_lo
	v_mov_b32_e32 v22, 0
.LBB291_4:                              ;   Parent Loop BB291_3 Depth=1
                                        ; =>  This Inner Loop Header: Depth=2
	v_or_b32_e32 v25, s1, v18
	s_delay_alu instid0(VALU_DEP_1)
	v_add_co_u32 v25, vcc_lo, v12, v25
	v_add_co_ci_u32_e32 v26, vcc_lo, 0, v13, vcc_lo
	global_load_u8 v27, v[25:26], off
	v_add_co_u32 v25, vcc_lo, v23, s1
	v_add_co_ci_u32_e32 v26, vcc_lo, 0, v24, vcc_lo
	s_lshl_b32 s1, s1, 1
	s_getpc_b64 s[2:3]
	s_add_u32 s2, s2, _ZL9iq2s_grid@rel32@lo+4
	s_addc_u32 s3, s3, _ZL9iq2s_grid@rel32@hi+12
	s_sub_i32 s1, 8, s1
	global_load_u8 v29, v[25:26], off
	s_waitcnt vmcnt(2)
	v_lshlrev_b32_e32 v25, s1, v21
	s_mov_b32 s1, 1
	s_waitcnt vmcnt(1)
	s_delay_alu instid0(VALU_DEP_1) | instskip(NEXT) | instid1(VALU_DEP_1)
	v_and_or_b32 v25, 0x300, v25, v27
	v_lshlrev_b32_e32 v25, 3, v25
	global_load_b64 v[25:26], v25, s[2:3]
	global_load_b64 v[27:28], v[10:11], off
	s_waitcnt vmcnt(2)
	v_and_b32_e32 v30, 15, v29
	v_lshrrev_b16 v29, 4, v29
	s_delay_alu instid0(VALU_DEP_2) | instskip(NEXT) | instid1(VALU_DEP_2)
	v_and_b32_e32 v30, 0xffff, v30
	v_and_b32_e32 v29, 0xffff, v29
	s_delay_alu instid0(VALU_DEP_2) | instskip(NEXT) | instid1(VALU_DEP_2)
	v_mul_lo_u32 v30, 0x1010101, v30
	v_mul_lo_u32 v29, 0x1010101, v29
	s_delay_alu instid0(VALU_DEP_2) | instskip(NEXT) | instid1(VALU_DEP_2)
	v_not_b32_e32 v30, v30
	v_not_b32_e32 v29, v29
	s_delay_alu instid0(VALU_DEP_2)
	v_and_b32_e32 v31, 0x8040201, v30
	v_and_b32_e32 v32, 0x40000, v30
	;; [unrolled: 1-line block ×5, first 2 shown]
	v_cmp_gt_u32_e32 vcc_lo, 0x1000000, v31
	v_and_b32_e32 v35, 0x40000, v29
	v_and_b32_e32 v36, 0x200, v29
	;; [unrolled: 1-line block ×3, first 2 shown]
	v_cndmask_b32_e64 v31, 0, -1, vcc_lo
	v_cmp_eq_u32_e32 vcc_lo, 0, v32
	s_delay_alu instid0(VALU_DEP_2)
	v_lshlrev_b32_e32 v31, 24, v31
	v_cndmask_b32_e64 v32, 0, 0xff0000, vcc_lo
	v_cmp_eq_u32_e32 vcc_lo, 0, v33
	v_cndmask_b32_e64 v33, 0, 0xff00, vcc_lo
	v_cmp_eq_u32_e32 vcc_lo, 0, v30
	v_cndmask_b32_e64 v30, 0, 0xff, vcc_lo
	v_cmp_gt_u32_e32 vcc_lo, 0x1000000, v34
	s_delay_alu instid0(VALU_DEP_2) | instskip(SKIP_2) | instid1(VALU_DEP_3)
	v_or_b32_e32 v37, v33, v30
	v_cndmask_b32_e64 v34, 0, -1, vcc_lo
	v_cmp_eq_u32_e32 vcc_lo, 0, v35
	v_or3_b32 v37, v37, v32, v31
	s_delay_alu instid0(VALU_DEP_3)
	v_lshlrev_b32_e32 v34, 24, v34
	v_cndmask_b32_e64 v35, 0, 0xff0000, vcc_lo
	v_cmp_eq_u32_e32 vcc_lo, 0, v36
	v_cndmask_b32_e64 v36, 0, 0xff00, vcc_lo
	v_cmp_eq_u32_e32 vcc_lo, 0, v29
	v_cndmask_b32_e64 v29, 0, 0xff, vcc_lo
	v_add_co_u32 v10, vcc_lo, v10, 8
	v_add_co_ci_u32_e32 v11, vcc_lo, 0, v11, vcc_lo
	s_delay_alu instid0(VALU_DEP_3) | instskip(SKIP_2) | instid1(VALU_DEP_1)
	v_or_b32_e32 v38, v36, v29
	s_and_b32 vcc_lo, exec_lo, s0
	s_mov_b32 s0, 0
	v_or3_b32 v38, v38, v35, v34
	s_waitcnt vmcnt(1)
	v_xor_b32_e32 v25, v37, v25
	s_delay_alu instid0(VALU_DEP_2)
	v_xor_b32_e32 v26, v38, v26
	s_waitcnt vmcnt(0)
	v_bfe_i32 v39, v27, 0, 8
	v_bfe_i32 v37, v28, 0, 8
	v_sub_nc_u32_e32 v30, v25, v30
	v_sub_nc_u32_e32 v29, v26, v29
	;; [unrolled: 1-line block ×7, first 2 shown]
	v_bfe_i32 v30, v30, 0, 8
	v_bfe_i32 v29, v29, 0, 8
	v_sub_nc_u32_e32 v26, v26, v34
	v_perm_b32 v32, v32, v25, 0xc06010c
	v_perm_b32 v33, v33, v35, 0xc06010c
	v_mul_i32_i24_e32 v30, v30, v39
	v_mul_i32_i24_e32 v29, v29, v37
	v_perm_b32 v34, v27, v27, 0xc0c0201
	v_perm_b32 v31, v35, v31, 0xc0c0503
	;; [unrolled: 1-line block ×4, first 2 shown]
	v_add3_u32 v22, v30, v22, v29
	v_perm_b32 v27, v28, v27, 0x7060503
	s_delay_alu instid0(VALU_DEP_3) | instskip(NEXT) | instid1(VALU_DEP_3)
	v_or_b32_e32 v26, v26, v31
	v_dot4_i32_iu8 v22, v25, v34, v22 neg_lo:[1,1,0]
	s_delay_alu instid0(VALU_DEP_1)
	v_dot4_i32_iu8 v22, v26, v27, v22 neg_lo:[1,1,0]
	s_cbranch_vccnz .LBB291_4
; %bb.5:                                ;   in Loop: Header=BB291_3 Depth=1
	v_mad_i64_i32 v[12:13], null, 0x52, v19, v[4:5]
	v_mov_b32_e32 v23, 0
	s_mov_b32 s1, 4
.LBB291_6:                              ;   Parent Loop BB291_3 Depth=1
                                        ; =>  This Inner Loop Header: Depth=2
	s_clause 0x1
	global_load_u8 v24, v[12:13], off offset:-32
	global_load_u8 v28, v[12:13], off
	v_lshlrev_b32_e32 v25, s1, v21
	s_getpc_b64 s[2:3]
	s_add_u32 s2, s2, _ZL9iq2s_grid@rel32@lo+4
	s_addc_u32 s3, s3, _ZL9iq2s_grid@rel32@hi+12
	s_add_i32 s1, s1, -2
	s_delay_alu instid0(SALU_CYCLE_1)
	s_cmp_lg_u32 s1, 0
	s_waitcnt vmcnt(1)
	v_and_or_b32 v24, 0x300, v25, v24
	s_waitcnt vmcnt(0)
	v_and_b32_e32 v29, 15, v28
	v_lshrrev_b16 v28, 4, v28
	s_delay_alu instid0(VALU_DEP_3) | instskip(NEXT) | instid1(VALU_DEP_3)
	v_lshlrev_b32_e32 v24, 3, v24
	v_and_b32_e32 v29, 0xffff, v29
	s_delay_alu instid0(VALU_DEP_3)
	v_and_b32_e32 v28, 0xffff, v28
	global_load_b64 v[24:25], v24, s[2:3]
	global_load_b64 v[26:27], v[10:11], off
	v_mul_lo_u32 v29, 0x1010101, v29
	v_mul_lo_u32 v28, 0x1010101, v28
	v_add_co_u32 v10, vcc_lo, v10, 8
	v_add_co_ci_u32_e32 v11, vcc_lo, 0, v11, vcc_lo
	v_add_co_u32 v12, vcc_lo, v12, 1
	v_not_b32_e32 v29, v29
	v_not_b32_e32 v28, v28
	v_add_co_ci_u32_e32 v13, vcc_lo, 0, v13, vcc_lo
	s_delay_alu instid0(VALU_DEP_3)
	v_and_b32_e32 v33, 0x8040201, v29
	v_and_b32_e32 v34, 0x40000, v29
	;; [unrolled: 1-line block ×5, first 2 shown]
	v_cmp_gt_u32_e64 s0, 0x1000000, v33
	v_and_b32_e32 v37, 0x40000, v28
	v_and_b32_e32 v38, 0x200, v28
	;; [unrolled: 1-line block ×3, first 2 shown]
	s_delay_alu instid0(VALU_DEP_4) | instskip(SKIP_1) | instid1(VALU_DEP_2)
	v_cndmask_b32_e64 v33, 0, -1, s0
	v_cmp_eq_u32_e64 s0, 0, v34
	v_lshlrev_b32_e32 v33, 24, v33
	s_delay_alu instid0(VALU_DEP_2) | instskip(SKIP_1) | instid1(VALU_DEP_1)
	v_cndmask_b32_e64 v34, 0, 0xff0000, s0
	v_cmp_eq_u32_e64 s0, 0, v35
	v_cndmask_b32_e64 v35, 0, 0xff00, s0
	v_cmp_eq_u32_e64 s0, 0, v29
	s_delay_alu instid0(VALU_DEP_1) | instskip(SKIP_1) | instid1(VALU_DEP_2)
	v_cndmask_b32_e64 v29, 0, 0xff, s0
	v_cmp_gt_u32_e64 s0, 0x1000000, v36
	v_or_b32_e32 v39, v35, v29
	s_delay_alu instid0(VALU_DEP_2) | instskip(SKIP_1) | instid1(VALU_DEP_3)
	v_cndmask_b32_e64 v36, 0, -1, s0
	v_cmp_eq_u32_e64 s0, 0, v37
	v_or3_b32 v39, v39, v34, v33
	s_delay_alu instid0(VALU_DEP_3) | instskip(NEXT) | instid1(VALU_DEP_3)
	v_lshlrev_b32_e32 v36, 24, v36
	v_cndmask_b32_e64 v37, 0, 0xff0000, s0
	v_cmp_eq_u32_e64 s0, 0, v38
	s_delay_alu instid0(VALU_DEP_1) | instskip(SKIP_1) | instid1(VALU_DEP_1)
	v_cndmask_b32_e64 v38, 0, 0xff00, s0
	v_cmp_eq_u32_e64 s0, 0, v28
	v_cndmask_b32_e64 v28, 0, 0xff, s0
	s_delay_alu instid0(VALU_DEP_1) | instskip(NEXT) | instid1(VALU_DEP_1)
	v_or_b32_e32 v40, v38, v28
	v_or3_b32 v40, v40, v37, v36
	s_waitcnt vmcnt(1)
	v_xor_b32_e32 v24, v39, v24
	s_delay_alu instid0(VALU_DEP_2)
	v_xor_b32_e32 v25, v40, v25
	s_waitcnt vmcnt(0)
	v_bfe_i32 v30, v26, 0, 8
	v_bfe_i32 v31, v27, 0, 8
	v_perm_b32 v32, v26, v26, 0xc0c0201
	v_sub_nc_u32_e32 v33, v24, v33
	v_sub_nc_u32_e32 v34, v24, v34
	;; [unrolled: 1-line block ×8, first 2 shown]
	v_bfe_i32 v24, v24, 0, 8
	v_bfe_i32 v28, v28, 0, 8
	v_perm_b32 v34, v34, v35, 0xc06010c
	s_delay_alu instid0(VALU_DEP_4) | instskip(NEXT) | instid1(VALU_DEP_4)
	v_perm_b32 v36, v36, v25, 0xc06010c
	v_mul_i32_i24_e32 v24, v24, v30
	s_delay_alu instid0(VALU_DEP_4) | instskip(SKIP_3) | instid1(VALU_DEP_4)
	v_mul_i32_i24_e32 v28, v28, v31
	v_perm_b32 v25, v25, v33, 0xc0c0503
	v_perm_b32 v30, v34, v35, 0xc0c0601
	v_perm_b32 v29, v29, v36, 0x7020c0c
	v_add3_u32 v23, v24, v23, v28
	v_perm_b32 v24, v27, v26, 0x7060503
	s_delay_alu instid0(VALU_DEP_3) | instskip(NEXT) | instid1(VALU_DEP_3)
	v_or_b32_e32 v25, v29, v25
	v_dot4_i32_iu8 v23, v30, v32, v23 neg_lo:[1,1,0]
	s_delay_alu instid0(VALU_DEP_1)
	v_dot4_i32_iu8 v23, v25, v24, v23 neg_lo:[1,1,0]
	s_cbranch_scc1 .LBB291_6
; %bb.7:                                ;   in Loop: Header=BB291_3 Depth=1
	global_load_u16 v6, v[6:7], off
	global_load_b32 v7, v[8:9], off
	v_lshrrev_b16 v8, 4, v20
	v_cvt_f32_i32_e32 v10, v23
	v_and_b32_e32 v9, 15, v20
	v_cvt_f32_i32_e32 v11, v22
	v_add_nc_u32_e32 v14, 4, v14
	v_add_nc_u32_e32 v19, 4, v19
	s_delay_alu instid0(VALU_DEP_4) | instskip(SKIP_1) | instid1(VALU_DEP_4)
	v_cvt_f32_ubyte0_e32 v9, v9
	v_and_b32_e32 v8, 15, v8
	v_cmp_le_u32_e32 vcc_lo, s14, v14
	s_delay_alu instid0(VALU_DEP_3) | instskip(NEXT) | instid1(VALU_DEP_3)
	v_add_f32_e32 v9, 0.5, v9
	v_cvt_f32_ubyte0_e32 v8, v8
	s_or_b32 s9, vcc_lo, s9
	s_delay_alu instid0(VALU_DEP_1) | instskip(NEXT) | instid1(VALU_DEP_1)
	v_add_f32_e32 v8, 0.5, v8
	v_mul_f32_e32 v8, v8, v10
	s_delay_alu instid0(VALU_DEP_1) | instskip(SKIP_4) | instid1(VALU_DEP_1)
	v_fmac_f32_e32 v8, v9, v11
	s_waitcnt vmcnt(1)
	v_cvt_f32_f16_e32 v6, v6
	s_waitcnt vmcnt(0)
	v_cvt_f32_f16_e32 v7, v7
	v_mul_f32_e32 v6, v6, v7
	s_delay_alu instid0(VALU_DEP_1) | instskip(NEXT) | instid1(VALU_DEP_1)
	v_mul_f32_e32 v6, 0x3e800000, v6
	v_fmac_f32_e32 v15, v8, v6
	s_and_not1_b32 exec_lo, exec_lo, s9
	s_cbranch_execnz .LBB291_3
; %bb.8:
	s_or_b32 exec_lo, exec_lo, s9
.LBB291_9:
	s_delay_alu instid0(SALU_CYCLE_1) | instskip(SKIP_1) | instid1(VALU_DEP_1)
	s_or_b32 exec_lo, exec_lo, s5
	v_mbcnt_lo_u32_b32 v2, -1, 0
	v_xor_b32_e32 v3, 16, v2
	v_xor_b32_e32 v4, 8, v2
	;; [unrolled: 1-line block ×3, first 2 shown]
	s_delay_alu instid0(VALU_DEP_3) | instskip(SKIP_1) | instid1(VALU_DEP_4)
	v_cmp_gt_i32_e32 vcc_lo, 32, v3
	v_cndmask_b32_e32 v3, v2, v3, vcc_lo
	v_cmp_gt_i32_e32 vcc_lo, 32, v4
	v_cndmask_b32_e32 v4, v2, v4, vcc_lo
	v_cmp_gt_i32_e32 vcc_lo, 32, v5
	s_delay_alu instid0(VALU_DEP_2)
	v_lshlrev_b32_e32 v4, 2, v4
	v_lshlrev_b32_e32 v3, 2, v3
	v_cndmask_b32_e32 v5, v2, v5, vcc_lo
	ds_bpermute_b32 v3, v3, v15
	v_lshlrev_b32_e32 v5, 2, v5
	s_waitcnt lgkmcnt(0)
	v_add_f32_e32 v3, v15, v3
	ds_bpermute_b32 v4, v4, v3
	s_waitcnt lgkmcnt(0)
	v_add_f32_e32 v3, v3, v4
	ds_bpermute_b32 v4, v5, v3
	v_xor_b32_e32 v5, 2, v2
	s_delay_alu instid0(VALU_DEP_1) | instskip(SKIP_1) | instid1(VALU_DEP_1)
	v_cmp_gt_i32_e32 vcc_lo, 32, v5
	v_cndmask_b32_e32 v5, v2, v5, vcc_lo
	v_lshlrev_b32_e32 v5, 2, v5
	s_waitcnt lgkmcnt(0)
	v_add_f32_e32 v3, v3, v4
	ds_bpermute_b32 v4, v5, v3
	v_xor_b32_e32 v5, 1, v2
	s_delay_alu instid0(VALU_DEP_1) | instskip(SKIP_3) | instid1(VALU_DEP_2)
	v_cmp_gt_i32_e32 vcc_lo, 32, v5
	v_cndmask_b32_e32 v5, v2, v5, vcc_lo
	v_cmp_eq_u32_e32 vcc_lo, 0, v0
	s_waitcnt lgkmcnt(0)
	v_dual_add_f32 v2, v3, v4 :: v_dual_lshlrev_b32 v3, 2, v5
	ds_bpermute_b32 v3, v3, v2
	s_and_b32 exec_lo, exec_lo, vcc_lo
	s_cbranch_execz .LBB291_11
; %bb.10:
	s_waitcnt lgkmcnt(0)
	v_add_f32_e32 v4, v2, v3
	v_mad_u64_u32 v[2:3], null, s8, s6, v[1:2]
	v_mov_b32_e32 v3, 0
	s_delay_alu instid0(VALU_DEP_3) | instskip(SKIP_1) | instid1(VALU_DEP_2)
	v_bfe_u32 v0, v4, 16, 1
	v_cmp_o_f32_e32 vcc_lo, v4, v4
	v_add3_u32 v0, v4, v0, 0x7fff
	s_delay_alu instid0(VALU_DEP_1) | instskip(SKIP_1) | instid1(VALU_DEP_2)
	v_lshrrev_b32_e32 v5, 16, v0
	v_lshlrev_b64 v[0:1], 1, v[2:3]
	v_cndmask_b32_e32 v2, 0x7fc0, v5, vcc_lo
	s_delay_alu instid0(VALU_DEP_2) | instskip(NEXT) | instid1(VALU_DEP_3)
	v_add_co_u32 v0, vcc_lo, s10, v0
	v_add_co_ci_u32_e32 v1, vcc_lo, s11, v1, vcc_lo
	global_store_b16 v[0:1], v2, off
.LBB291_11:
	s_nop 0
	s_sendmsg sendmsg(MSG_DEALLOC_VGPRS)
	s_endpgm
	.section	.rodata,"a",@progbits
	.p2align	6, 0x0
	.amdhsa_kernel _ZL9moe_vec_qIN3c108BFloat16ELi256ELi8E11block_iq2_sLi1EXadL_ZL18vec_dot_iq2_s_q8_1PKvPK10block_q8_1RKiEEEvS4_S4_PT_PS8_iiii
		.amdhsa_group_segment_fixed_size 0
		.amdhsa_private_segment_fixed_size 0
		.amdhsa_kernarg_size 304
		.amdhsa_user_sgpr_count 14
		.amdhsa_user_sgpr_dispatch_ptr 0
		.amdhsa_user_sgpr_queue_ptr 0
		.amdhsa_user_sgpr_kernarg_segment_ptr 1
		.amdhsa_user_sgpr_dispatch_id 0
		.amdhsa_user_sgpr_private_segment_size 0
		.amdhsa_wavefront_size32 1
		.amdhsa_uses_dynamic_stack 0
		.amdhsa_enable_private_segment 0
		.amdhsa_system_sgpr_workgroup_id_x 1
		.amdhsa_system_sgpr_workgroup_id_y 0
		.amdhsa_system_sgpr_workgroup_id_z 1
		.amdhsa_system_sgpr_workgroup_info 0
		.amdhsa_system_vgpr_workitem_id 1
		.amdhsa_next_free_vgpr 41
		.amdhsa_next_free_sgpr 17
		.amdhsa_reserve_vcc 1
		.amdhsa_float_round_mode_32 0
		.amdhsa_float_round_mode_16_64 0
		.amdhsa_float_denorm_mode_32 3
		.amdhsa_float_denorm_mode_16_64 3
		.amdhsa_dx10_clamp 1
		.amdhsa_ieee_mode 1
		.amdhsa_fp16_overflow 0
		.amdhsa_workgroup_processor_mode 1
		.amdhsa_memory_ordered 1
		.amdhsa_forward_progress 0
		.amdhsa_shared_vgpr_count 0
		.amdhsa_exception_fp_ieee_invalid_op 0
		.amdhsa_exception_fp_denorm_src 0
		.amdhsa_exception_fp_ieee_div_zero 0
		.amdhsa_exception_fp_ieee_overflow 0
		.amdhsa_exception_fp_ieee_underflow 0
		.amdhsa_exception_fp_ieee_inexact 0
		.amdhsa_exception_int_div_zero 0
	.end_amdhsa_kernel
	.section	.text._ZL9moe_vec_qIN3c108BFloat16ELi256ELi8E11block_iq2_sLi1EXadL_ZL18vec_dot_iq2_s_q8_1PKvPK10block_q8_1RKiEEEvS4_S4_PT_PS8_iiii,"axG",@progbits,_ZL9moe_vec_qIN3c108BFloat16ELi256ELi8E11block_iq2_sLi1EXadL_ZL18vec_dot_iq2_s_q8_1PKvPK10block_q8_1RKiEEEvS4_S4_PT_PS8_iiii,comdat
.Lfunc_end291:
	.size	_ZL9moe_vec_qIN3c108BFloat16ELi256ELi8E11block_iq2_sLi1EXadL_ZL18vec_dot_iq2_s_q8_1PKvPK10block_q8_1RKiEEEvS4_S4_PT_PS8_iiii, .Lfunc_end291-_ZL9moe_vec_qIN3c108BFloat16ELi256ELi8E11block_iq2_sLi1EXadL_ZL18vec_dot_iq2_s_q8_1PKvPK10block_q8_1RKiEEEvS4_S4_PT_PS8_iiii
                                        ; -- End function
	.section	.AMDGPU.csdata,"",@progbits
; Kernel info:
; codeLenInByte = 2384
; NumSgprs: 19
; NumVgprs: 41
; ScratchSize: 0
; MemoryBound: 0
; FloatMode: 240
; IeeeMode: 1
; LDSByteSize: 0 bytes/workgroup (compile time only)
; SGPRBlocks: 2
; VGPRBlocks: 5
; NumSGPRsForWavesPerEU: 19
; NumVGPRsForWavesPerEU: 41
; Occupancy: 16
; WaveLimiterHint : 1
; COMPUTE_PGM_RSRC2:SCRATCH_EN: 0
; COMPUTE_PGM_RSRC2:USER_SGPR: 14
; COMPUTE_PGM_RSRC2:TRAP_HANDLER: 0
; COMPUTE_PGM_RSRC2:TGID_X_EN: 1
; COMPUTE_PGM_RSRC2:TGID_Y_EN: 0
; COMPUTE_PGM_RSRC2:TGID_Z_EN: 1
; COMPUTE_PGM_RSRC2:TIDIG_COMP_CNT: 1
	.section	.text._ZL9moe_vec_qIN3c108BFloat16ELi256ELi8E12block_iq4_xsLi1EXadL_ZL19vec_dot_iq4_xs_q8_1PKvPK10block_q8_1RKiEEEvS4_S4_PT_PS8_iiii,"axG",@progbits,_ZL9moe_vec_qIN3c108BFloat16ELi256ELi8E12block_iq4_xsLi1EXadL_ZL19vec_dot_iq4_xs_q8_1PKvPK10block_q8_1RKiEEEvS4_S4_PT_PS8_iiii,comdat
	.globl	_ZL9moe_vec_qIN3c108BFloat16ELi256ELi8E12block_iq4_xsLi1EXadL_ZL19vec_dot_iq4_xs_q8_1PKvPK10block_q8_1RKiEEEvS4_S4_PT_PS8_iiii ; -- Begin function _ZL9moe_vec_qIN3c108BFloat16ELi256ELi8E12block_iq4_xsLi1EXadL_ZL19vec_dot_iq4_xs_q8_1PKvPK10block_q8_1RKiEEEvS4_S4_PT_PS8_iiii
	.p2align	8
	.type	_ZL9moe_vec_qIN3c108BFloat16ELi256ELi8E12block_iq4_xsLi1EXadL_ZL19vec_dot_iq4_xs_q8_1PKvPK10block_q8_1RKiEEEvS4_S4_PT_PS8_iiii,@function
_ZL9moe_vec_qIN3c108BFloat16ELi256ELi8E12block_iq4_xsLi1EXadL_ZL19vec_dot_iq4_xs_q8_1PKvPK10block_q8_1RKiEEEvS4_S4_PT_PS8_iiii: ; @_ZL9moe_vec_qIN3c108BFloat16ELi256ELi8E12block_iq4_xsLi1EXadL_ZL19vec_dot_iq4_xs_q8_1PKvPK10block_q8_1RKiEEEvS4_S4_PT_PS8_iiii
; %bb.0:
	s_clause 0x1
	s_load_b32 s2, s[0:1], 0x3c
	s_load_b128 s[4:7], s[0:1], 0x20
	v_bfe_u32 v3, v0, 10, 10
	s_waitcnt lgkmcnt(0)
	s_lshr_b32 s2, s2, 16
	s_delay_alu instid0(VALU_DEP_1) | instid1(SALU_CYCLE_1)
	v_mad_u64_u32 v[1:2], null, s14, s2, v[3:4]
	s_mov_b32 s2, exec_lo
	s_delay_alu instid0(VALU_DEP_1)
	v_cmpx_gt_u32_e64 s6, v1
	s_cbranch_execz .LBB292_9
; %bb.1:
	s_load_b64 s[10:11], s[0:1], 0x10
	v_dual_mov_b32 v11, 0 :: v_dual_and_b32 v0, 0x3ff, v0
	s_ashr_i32 s2, s5, 31
	s_mov_b32 s8, s15
	s_lshr_b32 s2, s2, 24
	s_delay_alu instid0(VALU_DEP_1)
	v_lshrrev_b32_e32 v10, 3, v0
	s_add_i32 s2, s5, s2
	s_mov_b32 s5, exec_lo
	s_ashr_i32 s12, s2, 8
	s_delay_alu instid0(VALU_DEP_1) | instid1(SALU_CYCLE_1)
	v_cmpx_gt_u32_e64 s12, v10
	s_cbranch_execz .LBB292_7
; %bb.2:
	s_load_b64 s[2:3], s[0:1], 0x18
	s_mov_b32 s9, 0
	v_cvt_f32_u32_e32 v2, s4
	s_lshl_b64 s[14:15], s[8:9], 2
	v_and_b32_e32 v4, 7, v0
	v_mul_lo_u32 v12, v1, s12
	v_bfe_u32 v13, v0, 1, 2
	v_rcp_iflag_f32_e32 v2, v2
	v_lshlrev_b32_e32 v14, 3, v10
	v_dual_mov_b32 v11, 0 :: v_dual_lshlrev_b32 v16, 1, v4
	s_waitcnt_depctr 0xfff
	v_dual_mul_f32 v2, 0x4f7ffffe, v2 :: v_dual_add_nc_u32 v17, v10, v12
	s_waitcnt lgkmcnt(0)
	s_add_u32 s2, s2, s14
	s_addc_u32 s3, s3, s15
	s_delay_alu instid0(VALU_DEP_1)
	v_cvt_u32_f32_e32 v2, v2
	s_load_b32 s13, s[2:3], 0x0
	s_load_b128 s[0:3], s[0:1], 0x0
	s_mul_i32 s14, s12, s6
	s_waitcnt lgkmcnt(0)
	s_mul_i32 s13, s14, s13
	v_readfirstlane_b32 s14, v2
	s_mul_i32 s15, s13, 0x88
	s_mul_hi_i32 s13, s13, 0x88
	s_add_u32 s0, s0, s15
	s_addc_u32 s1, s1, s13
	s_sub_i32 s13, 0, s4
	v_lshlrev_b32_e32 v2, 2, v0
	s_mul_i32 s13, s13, s14
	s_mov_b32 s15, s9
	s_mul_hi_u32 s13, s14, s13
	s_delay_alu instid0(SALU_CYCLE_1)
	s_add_i32 s14, s14, s13
	v_and_b32_e32 v15, 4, v2
	s_mul_hi_u32 s13, s8, s14
	v_lshlrev_b32_e32 v2, 4, v4
	s_mul_i32 s14, s13, s4
	s_add_i32 s16, s13, 1
	s_sub_i32 s14, s8, s14
	s_delay_alu instid0(SALU_CYCLE_1)
	s_sub_i32 s17, s14, s4
	s_cmp_ge_u32 s14, s4
	s_cselect_b32 s13, s16, s13
	s_cselect_b32 s14, s17, s14
	s_add_i32 s16, s13, 1
	s_cmp_ge_u32 s14, s4
	s_cselect_b32 s4, s16, s13
	s_delay_alu instid0(SALU_CYCLE_1)
	s_mul_i32 s14, s4, s7
	v_add_co_u32 v5, s4, s0, v2
	s_lshl_b64 s[14:15], s[14:15], 2
	v_add_co_ci_u32_e64 v6, null, s1, 0, s4
	s_add_u32 s2, s2, s14
	s_addc_u32 s3, s3, s15
	s_getpc_b64 s[14:15]
	s_add_u32 s14, s14, _ZL13kvalues_iq4nl@rel32@lo+4
	s_addc_u32 s15, s15, _ZL13kvalues_iq4nl@rel32@hi+12
	v_mad_u64_u32 v[2:3], null, v4, 36, s[2:3]
	v_add_co_u32 v4, vcc_lo, v5, 8
	v_add_co_ci_u32_e32 v5, vcc_lo, 0, v6, vcc_lo
.LBB292_3:                              ; =>This Loop Header: Depth=1
                                        ;     Child Loop BB292_4 Depth 2
	v_dual_mov_b32 v21, 0 :: v_dual_add_nc_u32 v8, v10, v12
	v_lshlrev_b32_e32 v18, 3, v10
	s_mov_b64 s[2:3], 0
	s_delay_alu instid0(VALU_DEP_2) | instskip(NEXT) | instid1(VALU_DEP_2)
	v_mad_i64_i32 v[6:7], null, 0x88, v8, s[0:1]
	v_mad_i64_i32 v[8:9], null, v18, 36, v[2:3]
	s_delay_alu instid0(VALU_DEP_2) | instskip(NEXT) | instid1(VALU_DEP_3)
	v_add_co_u32 v19, vcc_lo, v6, v13
	v_add_co_ci_u32_e32 v20, vcc_lo, 0, v7, vcc_lo
	s_clause 0x1
	global_load_b32 v18, v[6:7], off
	global_load_u8 v22, v[19:20], off offset:4
	global_load_b32 v19, v[8:9], off
	v_mad_i64_i32 v[6:7], null, v14, 36, v[2:3]
	v_mad_i64_i32 v[8:9], null, 0x88, v17, v[4:5]
	v_mov_b32_e32 v20, 0
.LBB292_4:                              ;   Parent Loop BB292_3 Depth=1
                                        ; =>  This Inner Loop Header: Depth=2
	s_delay_alu instid0(VALU_DEP_2) | instskip(NEXT) | instid1(VALU_DEP_3)
	v_add_co_u32 v23, vcc_lo, v8, s2
	v_add_co_ci_u32_e32 v24, vcc_lo, s3, v9, vcc_lo
	global_load_b32 v23, v[23:24], off
	s_waitcnt vmcnt(0)
	v_bfe_u32 v27, v23, 12, 4
	v_bfe_u32 v26, v23, 8, 4
	v_bfe_u32 v28, v23, 16, 4
	v_bfe_u32 v29, v23, 20, 4
	v_and_b32_e32 v25, 15, v23
	v_lshrrev_b32_e32 v30, 28, v23
	v_bfe_u32 v24, v23, 24, 4
	v_bfe_u32 v23, v23, 4, 4
	s_clause 0x7
	global_load_i8 v27, v27, s[14:15]
	global_load_i8 v26, v26, s[14:15]
	;; [unrolled: 1-line block ×8, first 2 shown]
	v_add_co_u32 v23, vcc_lo, v6, s2
	v_add_co_ci_u32_e32 v24, vcc_lo, s3, v7, vcc_lo
	s_clause 0x1
	global_load_b32 v33, v[23:24], off offset:4
	global_load_b32 v23, v[23:24], off offset:20
	s_add_u32 s2, s2, 4
	s_addc_u32 s3, s3, 0
	s_cmp_lg_u32 s2, 16
	s_waitcnt vmcnt(4)
	v_perm_b32 v24, v26, v25, 0xc0c0400
	s_waitcnt vmcnt(3)
	v_perm_b32 v25, v31, v28, 0x4000c0c
	;; [unrolled: 2-line block ×3, first 2 shown]
	v_perm_b32 v27, v30, v29, 0x4000c0c
	s_delay_alu instid0(VALU_DEP_3) | instskip(NEXT) | instid1(VALU_DEP_2)
	v_or_b32_e32 v24, v25, v24
	v_or_b32_e32 v25, v27, v26
	s_waitcnt vmcnt(1)
	s_delay_alu instid0(VALU_DEP_2) | instskip(SKIP_1) | instid1(VALU_DEP_2)
	v_dot4_i32_iu8 v21, v33, v24, v21 neg_lo:[1,1,0]
	s_waitcnt vmcnt(0)
	v_dot4_i32_iu8 v20, v23, v25, v20 neg_lo:[1,1,0]
	s_cbranch_scc1 .LBB292_4
; %bb.5:                                ;   in Loop: Header=BB292_3 Depth=1
	v_lshrrev_b32_e32 v6, 16, v18
	v_cvt_f32_f16_e32 v8, v19
	v_and_b32_e32 v7, 0xff, v22
	v_add_nc_u32_e32 v14, 32, v14
	v_add_nc_u32_e32 v17, 4, v17
	v_lshrrev_b32_e32 v6, v16, v6
	s_delay_alu instid0(VALU_DEP_4) | instskip(NEXT) | instid1(VALU_DEP_2)
	v_bfe_u32 v7, v7, v15, 4
	v_lshlrev_b32_e32 v6, 4, v6
	s_delay_alu instid0(VALU_DEP_1) | instskip(SKIP_1) | instid1(VALU_DEP_2)
	v_and_or_b32 v6, v6, 48, v7
	v_cvt_f32_f16_e32 v7, v18
	v_subrev_nc_u32_e32 v6, 32, v6
	s_delay_alu instid0(VALU_DEP_1) | instskip(NEXT) | instid1(VALU_DEP_1)
	v_cvt_f32_i32_e32 v6, v6
	v_dual_mul_f32 v6, v7, v6 :: v_dual_add_nc_u32 v9, v20, v21
	s_delay_alu instid0(VALU_DEP_1) | instskip(NEXT) | instid1(VALU_DEP_2)
	v_cvt_f32_i32_e32 v7, v9
	v_mul_f32_e32 v6, v6, v8
	s_delay_alu instid0(VALU_DEP_1) | instskip(NEXT) | instid1(VALU_DEP_1)
	v_dual_fmac_f32 v11, v6, v7 :: v_dual_add_nc_u32 v10, 4, v10
	v_cmp_le_u32_e32 vcc_lo, s12, v10
	s_or_b32 s9, vcc_lo, s9
	s_delay_alu instid0(SALU_CYCLE_1)
	s_and_not1_b32 exec_lo, exec_lo, s9
	s_cbranch_execnz .LBB292_3
; %bb.6:
	s_or_b32 exec_lo, exec_lo, s9
.LBB292_7:
	s_delay_alu instid0(SALU_CYCLE_1) | instskip(SKIP_1) | instid1(VALU_DEP_1)
	s_or_b32 exec_lo, exec_lo, s5
	v_mbcnt_lo_u32_b32 v2, -1, 0
	v_xor_b32_e32 v3, 16, v2
	v_xor_b32_e32 v4, 8, v2
	;; [unrolled: 1-line block ×3, first 2 shown]
	s_delay_alu instid0(VALU_DEP_3) | instskip(SKIP_1) | instid1(VALU_DEP_4)
	v_cmp_gt_i32_e32 vcc_lo, 32, v3
	v_cndmask_b32_e32 v3, v2, v3, vcc_lo
	v_cmp_gt_i32_e32 vcc_lo, 32, v4
	v_cndmask_b32_e32 v4, v2, v4, vcc_lo
	v_cmp_gt_i32_e32 vcc_lo, 32, v5
	s_delay_alu instid0(VALU_DEP_2)
	v_lshlrev_b32_e32 v4, 2, v4
	v_lshlrev_b32_e32 v3, 2, v3
	v_cndmask_b32_e32 v5, v2, v5, vcc_lo
	ds_bpermute_b32 v3, v3, v11
	v_lshlrev_b32_e32 v5, 2, v5
	s_waitcnt lgkmcnt(0)
	v_add_f32_e32 v3, v11, v3
	ds_bpermute_b32 v4, v4, v3
	s_waitcnt lgkmcnt(0)
	v_add_f32_e32 v3, v3, v4
	ds_bpermute_b32 v4, v5, v3
	v_xor_b32_e32 v5, 2, v2
	s_delay_alu instid0(VALU_DEP_1) | instskip(SKIP_1) | instid1(VALU_DEP_1)
	v_cmp_gt_i32_e32 vcc_lo, 32, v5
	v_cndmask_b32_e32 v5, v2, v5, vcc_lo
	v_lshlrev_b32_e32 v5, 2, v5
	s_waitcnt lgkmcnt(0)
	v_add_f32_e32 v3, v3, v4
	ds_bpermute_b32 v4, v5, v3
	v_xor_b32_e32 v5, 1, v2
	s_delay_alu instid0(VALU_DEP_1) | instskip(SKIP_3) | instid1(VALU_DEP_2)
	v_cmp_gt_i32_e32 vcc_lo, 32, v5
	v_cndmask_b32_e32 v5, v2, v5, vcc_lo
	v_cmp_eq_u32_e32 vcc_lo, 0, v0
	s_waitcnt lgkmcnt(0)
	v_dual_add_f32 v2, v3, v4 :: v_dual_lshlrev_b32 v3, 2, v5
	ds_bpermute_b32 v3, v3, v2
	s_and_b32 exec_lo, exec_lo, vcc_lo
	s_cbranch_execz .LBB292_9
; %bb.8:
	s_waitcnt lgkmcnt(0)
	v_add_f32_e32 v4, v2, v3
	v_mad_u64_u32 v[2:3], null, s8, s6, v[1:2]
	v_mov_b32_e32 v3, 0
	s_delay_alu instid0(VALU_DEP_3) | instskip(SKIP_1) | instid1(VALU_DEP_2)
	v_bfe_u32 v0, v4, 16, 1
	v_cmp_o_f32_e32 vcc_lo, v4, v4
	v_add3_u32 v0, v4, v0, 0x7fff
	s_delay_alu instid0(VALU_DEP_1) | instskip(SKIP_1) | instid1(VALU_DEP_2)
	v_lshrrev_b32_e32 v5, 16, v0
	v_lshlrev_b64 v[0:1], 1, v[2:3]
	v_cndmask_b32_e32 v2, 0x7fc0, v5, vcc_lo
	s_delay_alu instid0(VALU_DEP_2) | instskip(NEXT) | instid1(VALU_DEP_3)
	v_add_co_u32 v0, vcc_lo, s10, v0
	v_add_co_ci_u32_e32 v1, vcc_lo, s11, v1, vcc_lo
	global_store_b16 v[0:1], v2, off
.LBB292_9:
	s_nop 0
	s_sendmsg sendmsg(MSG_DEALLOC_VGPRS)
	s_endpgm
	.section	.rodata,"a",@progbits
	.p2align	6, 0x0
	.amdhsa_kernel _ZL9moe_vec_qIN3c108BFloat16ELi256ELi8E12block_iq4_xsLi1EXadL_ZL19vec_dot_iq4_xs_q8_1PKvPK10block_q8_1RKiEEEvS4_S4_PT_PS8_iiii
		.amdhsa_group_segment_fixed_size 0
		.amdhsa_private_segment_fixed_size 0
		.amdhsa_kernarg_size 304
		.amdhsa_user_sgpr_count 14
		.amdhsa_user_sgpr_dispatch_ptr 0
		.amdhsa_user_sgpr_queue_ptr 0
		.amdhsa_user_sgpr_kernarg_segment_ptr 1
		.amdhsa_user_sgpr_dispatch_id 0
		.amdhsa_user_sgpr_private_segment_size 0
		.amdhsa_wavefront_size32 1
		.amdhsa_uses_dynamic_stack 0
		.amdhsa_enable_private_segment 0
		.amdhsa_system_sgpr_workgroup_id_x 1
		.amdhsa_system_sgpr_workgroup_id_y 0
		.amdhsa_system_sgpr_workgroup_id_z 1
		.amdhsa_system_sgpr_workgroup_info 0
		.amdhsa_system_vgpr_workitem_id 1
		.amdhsa_next_free_vgpr 34
		.amdhsa_next_free_sgpr 18
		.amdhsa_reserve_vcc 1
		.amdhsa_float_round_mode_32 0
		.amdhsa_float_round_mode_16_64 0
		.amdhsa_float_denorm_mode_32 3
		.amdhsa_float_denorm_mode_16_64 3
		.amdhsa_dx10_clamp 1
		.amdhsa_ieee_mode 1
		.amdhsa_fp16_overflow 0
		.amdhsa_workgroup_processor_mode 1
		.amdhsa_memory_ordered 1
		.amdhsa_forward_progress 0
		.amdhsa_shared_vgpr_count 0
		.amdhsa_exception_fp_ieee_invalid_op 0
		.amdhsa_exception_fp_denorm_src 0
		.amdhsa_exception_fp_ieee_div_zero 0
		.amdhsa_exception_fp_ieee_overflow 0
		.amdhsa_exception_fp_ieee_underflow 0
		.amdhsa_exception_fp_ieee_inexact 0
		.amdhsa_exception_int_div_zero 0
	.end_amdhsa_kernel
	.section	.text._ZL9moe_vec_qIN3c108BFloat16ELi256ELi8E12block_iq4_xsLi1EXadL_ZL19vec_dot_iq4_xs_q8_1PKvPK10block_q8_1RKiEEEvS4_S4_PT_PS8_iiii,"axG",@progbits,_ZL9moe_vec_qIN3c108BFloat16ELi256ELi8E12block_iq4_xsLi1EXadL_ZL19vec_dot_iq4_xs_q8_1PKvPK10block_q8_1RKiEEEvS4_S4_PT_PS8_iiii,comdat
.Lfunc_end292:
	.size	_ZL9moe_vec_qIN3c108BFloat16ELi256ELi8E12block_iq4_xsLi1EXadL_ZL19vec_dot_iq4_xs_q8_1PKvPK10block_q8_1RKiEEEvS4_S4_PT_PS8_iiii, .Lfunc_end292-_ZL9moe_vec_qIN3c108BFloat16ELi256ELi8E12block_iq4_xsLi1EXadL_ZL19vec_dot_iq4_xs_q8_1PKvPK10block_q8_1RKiEEEvS4_S4_PT_PS8_iiii
                                        ; -- End function
	.section	.AMDGPU.csdata,"",@progbits
; Kernel info:
; codeLenInByte = 1284
; NumSgprs: 20
; NumVgprs: 34
; ScratchSize: 0
; MemoryBound: 0
; FloatMode: 240
; IeeeMode: 1
; LDSByteSize: 0 bytes/workgroup (compile time only)
; SGPRBlocks: 2
; VGPRBlocks: 4
; NumSGPRsForWavesPerEU: 20
; NumVGPRsForWavesPerEU: 34
; Occupancy: 16
; WaveLimiterHint : 1
; COMPUTE_PGM_RSRC2:SCRATCH_EN: 0
; COMPUTE_PGM_RSRC2:USER_SGPR: 14
; COMPUTE_PGM_RSRC2:TRAP_HANDLER: 0
; COMPUTE_PGM_RSRC2:TGID_X_EN: 1
; COMPUTE_PGM_RSRC2:TGID_Y_EN: 0
; COMPUTE_PGM_RSRC2:TGID_Z_EN: 1
; COMPUTE_PGM_RSRC2:TIDIG_COMP_CNT: 1
	.section	.text._ZL9moe_vec_qIN3c108BFloat16ELi256ELi8E11block_iq1_mLi1EXadL_ZL18vec_dot_iq1_m_q8_1PKvPK10block_q8_1RKiEEEvS4_S4_PT_PS8_iiii,"axG",@progbits,_ZL9moe_vec_qIN3c108BFloat16ELi256ELi8E11block_iq1_mLi1EXadL_ZL18vec_dot_iq1_m_q8_1PKvPK10block_q8_1RKiEEEvS4_S4_PT_PS8_iiii,comdat
	.globl	_ZL9moe_vec_qIN3c108BFloat16ELi256ELi8E11block_iq1_mLi1EXadL_ZL18vec_dot_iq1_m_q8_1PKvPK10block_q8_1RKiEEEvS4_S4_PT_PS8_iiii ; -- Begin function _ZL9moe_vec_qIN3c108BFloat16ELi256ELi8E11block_iq1_mLi1EXadL_ZL18vec_dot_iq1_m_q8_1PKvPK10block_q8_1RKiEEEvS4_S4_PT_PS8_iiii
	.p2align	8
	.type	_ZL9moe_vec_qIN3c108BFloat16ELi256ELi8E11block_iq1_mLi1EXadL_ZL18vec_dot_iq1_m_q8_1PKvPK10block_q8_1RKiEEEvS4_S4_PT_PS8_iiii,@function
_ZL9moe_vec_qIN3c108BFloat16ELi256ELi8E11block_iq1_mLi1EXadL_ZL18vec_dot_iq1_m_q8_1PKvPK10block_q8_1RKiEEEvS4_S4_PT_PS8_iiii: ; @_ZL9moe_vec_qIN3c108BFloat16ELi256ELi8E11block_iq1_mLi1EXadL_ZL18vec_dot_iq1_m_q8_1PKvPK10block_q8_1RKiEEEvS4_S4_PT_PS8_iiii
; %bb.0:
	s_clause 0x1
	s_load_b32 s2, s[0:1], 0x3c
	s_load_b128 s[4:7], s[0:1], 0x20
	v_bfe_u32 v3, v0, 10, 10
	s_waitcnt lgkmcnt(0)
	s_lshr_b32 s2, s2, 16
	s_delay_alu instid0(VALU_DEP_1) | instid1(SALU_CYCLE_1)
	v_mad_u64_u32 v[1:2], null, s14, s2, v[3:4]
	s_mov_b32 s2, exec_lo
	s_delay_alu instid0(VALU_DEP_1)
	v_cmpx_gt_u32_e64 s6, v1
	s_cbranch_execz .LBB293_7
; %bb.1:
	v_cvt_f32_u32_e32 v2, s4
	s_load_b64 s[10:11], s[0:1], 0x10
	v_and_b32_e32 v0, 0x3ff, v0
	s_ashr_i32 s2, s5, 31
	s_mov_b32 s8, s15
	v_rcp_iflag_f32_e32 v2, v2
	s_lshr_b32 s2, s2, 24
	s_mov_b32 s12, exec_lo
	s_add_i32 s2, s5, s2
	s_delay_alu instid0(SALU_CYCLE_1) | instskip(SKIP_2) | instid1(VALU_DEP_1)
	s_ashr_i32 s13, s2, 8
	s_waitcnt_depctr 0xfff
	v_mul_f32_e32 v3, 0x4f7ffffe, v2
	v_cvt_u32_f32_e32 v3, v3
	s_delay_alu instid0(VALU_DEP_1) | instskip(SKIP_2) | instid1(VALU_DEP_1)
	v_readfirstlane_b32 s5, v3
	v_mov_b32_e32 v3, 0
	v_lshrrev_b32_e32 v2, 3, v0
	v_cmpx_gt_u32_e64 s13, v2
	s_cbranch_execz .LBB293_5
; %bb.2:
	s_clause 0x1
	s_load_b64 s[14:15], s[0:1], 0x18
	s_load_b128 s[0:3], s[0:1], 0x0
	s_sub_i32 s16, 0, s4
	s_mov_b32 s9, 0
	s_mul_i32 s16, s16, s5
	v_dual_mov_b32 v3, 0 :: v_dual_and_b32 v8, 1, v0
	s_mul_hi_u32 s19, s5, s16
	s_lshl_b64 s[16:17], s[8:9], 2
	s_add_i32 s5, s5, s19
	s_mul_i32 s18, s13, s6
	v_and_b32_e32 v5, 7, v0
	v_bfe_u32 v10, v0, 1, 2
	v_cmp_eq_u32_e32 vcc_lo, 1, v8
	v_mul_lo_u32 v4, v1, s13
	v_lshlrev_b32_e32 v6, 3, v2
	v_lshlrev_b32_e32 v7, 1, v5
	;; [unrolled: 1-line block ×3, first 2 shown]
	v_cndmask_b32_e64 v8, 0, 6, vcc_lo
	v_lshlrev_b32_e32 v10, 1, v10
	s_waitcnt lgkmcnt(0)
	s_add_u32 s14, s14, s16
	s_addc_u32 s15, s15, s17
	s_load_b32 s14, s[14:15], 0x0
	s_mul_hi_u32 s15, s8, s5
	s_mov_b32 s5, s9
	s_mul_i32 s16, s15, s4
	s_add_i32 s17, s15, 1
	s_sub_i32 s16, s8, s16
	s_delay_alu instid0(SALU_CYCLE_1)
	s_sub_i32 s19, s16, s4
	s_cmp_ge_u32 s16, s4
	s_cselect_b32 s15, s17, s15
	s_cselect_b32 s16, s19, s16
	s_add_i32 s17, s15, 1
	s_cmp_ge_u32 s16, s4
	s_cselect_b32 s4, s17, s15
	s_delay_alu instid0(SALU_CYCLE_1) | instskip(SKIP_2) | instid1(SALU_CYCLE_1)
	s_mul_i32 s4, s4, s7
	s_waitcnt lgkmcnt(0)
	s_mul_i32 s14, s18, s14
	s_mul_i32 s7, s14, 56
	s_mul_hi_i32 s14, s14, 56
	s_add_u32 s0, s0, s7
	s_addc_u32 s1, s1, s14
	s_lshl_b64 s[4:5], s[4:5], 2
	s_mov_b32 s7, 0xbd000000
	s_add_u32 s2, s2, s4
	s_addc_u32 s3, s3, s5
.LBB293_3:                              ; =>This Inner Loop Header: Depth=1
	v_add_nc_u32_e32 v11, v4, v2
	s_getpc_b64 s[4:5]
	s_add_u32 s4, s4, _ZL13iq1s_grid_gpu@rel32@lo+4
	s_addc_u32 s5, s5, _ZL13iq1s_grid_gpu@rel32@hi+12
	v_add_nc_u32_e32 v2, 4, v2
	v_mad_i64_i32 v[19:20], null, v11, 56, s[0:1]
	s_delay_alu instid0(VALU_DEP_1) | instskip(NEXT) | instid1(VALU_DEP_2)
	v_add_co_u32 v11, vcc_lo, v19, v9
	v_add_co_ci_u32_e32 v12, vcc_lo, 0, v20, vcc_lo
	v_add_co_u32 v13, vcc_lo, v19, v7
	v_add_co_ci_u32_e32 v14, vcc_lo, 0, v20, vcc_lo
	v_add_co_u32 v21, vcc_lo, v19, v10
	s_clause 0x1
	global_load_b32 v23, v[11:12], off
	global_load_u16 v24, v[13:14], off offset:32
	v_mad_i64_i32 v[11:12], null, v6, 36, s[2:3]
	v_add_co_ci_u32_e32 v22, vcc_lo, 0, v20, vcc_lo
	v_cmp_le_u32_e32 vcc_lo, s13, v2
	v_add_nc_u32_e32 v6, 32, v6
	s_delay_alu instid0(VALU_DEP_4)
	v_mad_u64_u32 v[15:16], null, v5, 36, v[11:12]
	s_or_b32 s9, vcc_lo, s9
	s_clause 0x2
	global_load_b128 v[11:14], v[15:16], off
	global_load_b32 v25, v[15:16], off offset:32
	global_load_b128 v[15:18], v[15:16], off offset:16
	global_load_b64 v[19:20], v[19:20], off offset:48
	s_waitcnt vmcnt(5)
	v_and_b32_e32 v28, 0xff, v23
	s_waitcnt vmcnt(4)
	v_lshrrev_b16 v27, 8, v24
	v_lshlrev_b32_e32 v29, 8, v24
	v_bfe_u32 v30, v23, 8, 8
	v_lshlrev_b32_e32 v31, 4, v24
	v_and_b32_e32 v53, 8, v24
	v_and_b32_e32 v27, 0xffff, v27
	v_lshrrev_b32_e32 v26, 24, v23
	v_bfe_u32 v23, v23, 16, 8
	v_and_or_b32 v28, 0x700, v29, v28
	v_and_or_b32 v29, 0x700, v31, v30
	v_cvt_f32_ubyte0_e32 v53, v53
	v_lshlrev_b32_e32 v30, 8, v27
	v_lshlrev_b32_e32 v31, 4, v27
	;; [unrolled: 1-line block ×4, first 2 shown]
	v_fmaak_f32 v53, s7, v53, 0xbf600000
	v_and_or_b32 v23, 0x700, v30, v23
	v_and_or_b32 v26, 0x700, v31, v26
	s_clause 0x1
	global_load_b32 v28, v28, s[4:5]
	global_load_b32 v29, v29, s[4:5]
	s_waitcnt vmcnt(5)
	v_bfe_i32 v30, v12, 8, 8
	v_bfe_i32 v35, v14, 0, 8
	v_lshlrev_b32_e32 v23, 3, v23
	v_lshlrev_b32_e32 v26, 3, v26
	v_bfe_i32 v36, v14, 8, 8
	s_clause 0x1
	global_load_b32 v23, v23, s[4:5]
	global_load_b32 v26, v26, s[4:5]
	global_load_u16 v21, v[21:22], off offset:48
	v_bfe_i32 v22, v12, 0, 8
	s_waitcnt vmcnt(6)
	v_bfe_i32 v41, v16, 0, 8
	v_bfe_i32 v42, v16, 8, 8
	v_bfe_i32 v47, v18, 0, 8
	v_bfe_i32 v48, v18, 8, 8
	v_bfe_i32 v31, v12, 16, 8
	v_ashrrev_i32_e32 v12, 24, v12
	v_bfe_i32 v37, v14, 16, 8
	v_ashrrev_i32_e32 v14, 24, v14
	v_bfe_i32 v43, v16, 16, 8
	;; [unrolled: 2-line block ×3, first 2 shown]
	v_ashrrev_i32_e32 v18, 24, v18
	s_waitcnt vmcnt(5)
	v_lshrrev_b16 v55, 12, v19
	v_lshrrev_b32_e32 v19, 24, v19
	v_add_nc_u32_e32 v56, v22, v30
	v_add_nc_u32_e32 v57, v35, v36
	;; [unrolled: 1-line block ×3, first 2 shown]
	v_cvt_f32_f16_e32 v11, v11
	v_add_nc_u32_e32 v58, v41, v42
	v_bfe_i32 v32, v13, 0, 8
	v_bfe_i32 v33, v13, 8, 8
	;; [unrolled: 1-line block ×8, first 2 shown]
	v_lshrrev_b32_e32 v54, 16, v20
	v_lshrrev_b16 v20, 4, v20
	v_and_b32_e32 v19, 0xf0, v19
	v_add3_u32 v56, v56, v31, v12
	v_add3_u32 v57, v57, v37, v14
	v_add3_u32 v58, v58, v43, v16
	v_add3_u32 v59, v59, v49, v18
	v_and_b32_e32 v61, 8, v27
	v_bfe_i32 v34, v13, 16, 8
	v_ashrrev_i32_e32 v13, 24, v13
	v_bfe_i32 v40, v15, 16, 8
	v_ashrrev_i32_e32 v15, 24, v15
	;; [unrolled: 2-line block ×4, first 2 shown]
	v_and_b32_e32 v20, 0xf00, v20
	v_or_b32_e32 v19, v19, v55
	v_add3_u32 v56, v56, v32, v33
	v_add3_u32 v57, v57, v38, v39
	;; [unrolled: 1-line block ×4, first 2 shown]
	v_or_b32_e32 v19, v19, v20
	v_add3_u32 v20, v56, v34, v13
	v_add3_u32 v56, v57, v40, v15
	;; [unrolled: 1-line block ×4, first 2 shown]
	v_lshrrev_b32_e32 v24, 4, v24
	v_cvt_f32_i32_e32 v20, v20
	s_delay_alu instid0(VALU_DEP_4) | instskip(NEXT) | instid1(VALU_DEP_4)
	v_cvt_f32_i32_e32 v57, v57
	v_cvt_f32_i32_e32 v58, v58
	s_waitcnt vmcnt(4)
	v_bfe_u32 v62, v28, 8, 4
	v_bfe_u32 v63, v28, 16, 4
	v_bfe_u32 v64, v28, 24, 4
	v_bfe_u32 v65, v28, 4, 4
	v_bfe_u32 v66, v28, 12, 4
	s_waitcnt vmcnt(3)
	v_and_b32_e32 v68, 15, v29
	v_bfe_u32 v69, v29, 8, 4
	v_bfe_u32 v70, v29, 16, 4
	;; [unrolled: 1-line block ×3, first 2 shown]
	s_waitcnt vmcnt(0)
	v_lshrrev_b32_e32 v21, v8, v21
	v_mul_i32_i24_e32 v31, v63, v31
	v_bfe_u32 v63, v23, 4, 4
	v_mul_i32_i24_e32 v30, v62, v30
	v_mul_i32_i24_e32 v12, v64, v12
	v_lshlrev_b32_e32 v60, 1, v21
	v_bfe_u32 v62, v23, 24, 4
	v_bfe_u32 v64, v23, 12, 4
	v_mul_i32_i24_e32 v33, v66, v33
	v_bfe_u32 v71, v29, 24, 4
	v_and_or_b32 v55, v60, 14, 1
	v_cvt_f32_ubyte0_e32 v60, v61
	v_and_b32_e32 v61, 15, v28
	v_mul_i32_i24_e32 v16, v62, v16
	v_mul_i32_i24_e32 v45, v64, v45
	v_bfe_u32 v73, v29, 12, 4
	v_fmaak_f32 v59, s7, v60, 0xbf600000
	v_bfe_u32 v60, v28, 20, 4
	v_lshrrev_b32_e32 v28, 28, v28
	v_mul_i32_i24_e32 v22, v22, v61
	v_bfe_u32 v61, v23, 16, 4
	v_lshrrev_b32_e32 v21, 2, v21
	v_mul_i32_i24_e32 v34, v60, v34
	v_mul_i32_i24_e32 v13, v28, v13
	;; [unrolled: 1-line block ×6, first 2 shown]
	v_and_b32_e32 v38, 15, v23
	v_bfe_u32 v60, v23, 8, 4
	v_mad_i32_i24 v22, v32, v65, v22
	v_mul_i32_i24_e32 v43, v61, v43
	v_bfe_u32 v32, v23, 20, 4
	v_mul_i32_i24_e32 v38, v41, v38
	v_mul_i32_i24_e32 v42, v60, v42
	v_lshrrev_b32_e32 v23, 28, v23
	v_add3_u32 v22, v22, v30, v31
	v_and_b32_e32 v65, 15, v26
	v_mad_i32_i24 v38, v44, v63, v38
	v_mul_i32_i24_e32 v30, v32, v46
	v_mul_i32_i24_e32 v17, v23, v17
	v_add3_u32 v12, v22, v12, v33
	v_bfe_u32 v44, v26, 8, 4
	v_add3_u32 v38, v38, v42, v43
	v_bfe_u32 v42, v26, 4, 4
	v_bfe_u32 v60, v26, 16, 4
	v_mul_i32_i24_e32 v31, v47, v65
	v_add3_u32 v12, v12, v34, v13
	v_add3_u32 v16, v38, v16, v45
	v_mul_i32_i24_e32 v32, v50, v42
	v_bfe_u32 v23, v26, 24, 4
	v_mul_i32_i24_e32 v22, v44, v48
	v_add3_u32 v12, v12, v28, v37
	v_add3_u32 v16, v16, v30, v17
	v_bfe_u32 v17, v26, 12, 4
	v_mul_i32_i24_e32 v30, v60, v49
	v_bfe_u32 v67, v29, 20, 4
	v_lshrrev_b32_e32 v29, 28, v29
	v_add3_u32 v13, v16, v31, v32
	v_mul_i32_i24_e32 v14, v71, v14
	v_mul_i32_i24_e32 v18, v23, v18
	;; [unrolled: 1-line block ×3, first 2 shown]
	v_add3_u32 v12, v12, v35, v36
	v_add3_u32 v13, v13, v22, v30
	v_mul_i32_i24_e32 v22, v73, v39
	v_and_or_b32 v21, v21, 14, 1
	v_mul_i32_i24_e32 v15, v29, v15
	v_bfe_u32 v41, v26, 20, 4
	v_add3_u32 v13, v13, v18, v17
	v_mul_i32_i24_e32 v18, v67, v40
	v_add3_u32 v12, v12, v14, v22
	v_lshrrev_b32_e32 v16, 28, v26
	v_mul_i32_i24_e32 v23, v41, v52
	v_cvt_f32_i32_e32 v14, v56
	v_fma_f32 v17, v59, v57, 0
	v_add3_u32 v12, v12, v18, v15
	v_cvt_f32_ubyte0_e32 v15, v21
	v_and_b32_e32 v24, 8, v24
	v_mul_i32_i24_e32 v16, v16, v25
	s_delay_alu instid0(VALU_DEP_4) | instskip(NEXT) | instid1(VALU_DEP_3)
	v_cvt_f32_i32_e32 v12, v12
	v_cvt_f32_ubyte0_e32 v24, v24
	s_delay_alu instid0(VALU_DEP_3) | instskip(SKIP_1) | instid1(VALU_DEP_3)
	v_add3_u32 v13, v13, v23, v16
	v_fma_f32 v16, v53, v20, 0
	v_fmaak_f32 v24, s7, v24, 0xbf600000
	s_delay_alu instid0(VALU_DEP_3) | instskip(NEXT) | instid1(VALU_DEP_2)
	v_cvt_f32_i32_e32 v13, v13
	v_fmac_f32_e32 v16, v24, v14
	v_cvt_f32_ubyte0_e32 v14, v55
	s_delay_alu instid0(VALU_DEP_2) | instskip(SKIP_1) | instid1(VALU_DEP_1)
	v_add_f32_e32 v12, v16, v12
	v_lshrrev_b32_e32 v27, 4, v27
	v_and_b32_e32 v27, 8, v27
	s_delay_alu instid0(VALU_DEP_1) | instskip(NEXT) | instid1(VALU_DEP_1)
	v_cvt_f32_ubyte0_e32 v27, v27
	v_fmaak_f32 v27, s7, v27, 0xbf600000
	s_delay_alu instid0(VALU_DEP_1) | instskip(NEXT) | instid1(VALU_DEP_1)
	v_fmac_f32_e32 v17, v27, v58
	v_add_f32_e32 v13, v17, v13
	s_delay_alu instid0(VALU_DEP_1) | instskip(NEXT) | instid1(VALU_DEP_1)
	v_mul_f32_e32 v13, v13, v15
	v_fmac_f32_e32 v13, v12, v14
	v_and_b32_e32 v54, 0xfffff000, v54
	s_delay_alu instid0(VALU_DEP_1) | instskip(NEXT) | instid1(VALU_DEP_1)
	v_or_b32_e32 v18, v19, v54
	v_cvt_f32_f16_e32 v17, v18
	s_delay_alu instid0(VALU_DEP_1) | instskip(NEXT) | instid1(VALU_DEP_1)
	v_mul_f32_e32 v11, v11, v17
	v_fmac_f32_e32 v3, v11, v13
	s_and_not1_b32 exec_lo, exec_lo, s9
	s_cbranch_execnz .LBB293_3
; %bb.4:
	s_or_b32 exec_lo, exec_lo, s9
.LBB293_5:
	s_delay_alu instid0(SALU_CYCLE_1) | instskip(SKIP_1) | instid1(VALU_DEP_1)
	s_or_b32 exec_lo, exec_lo, s12
	v_mbcnt_lo_u32_b32 v2, -1, 0
	v_xor_b32_e32 v4, 16, v2
	v_xor_b32_e32 v5, 8, v2
	s_delay_alu instid0(VALU_DEP_2) | instskip(SKIP_1) | instid1(VALU_DEP_3)
	v_cmp_gt_i32_e32 vcc_lo, 32, v4
	v_cndmask_b32_e32 v4, v2, v4, vcc_lo
	v_cmp_gt_i32_e32 vcc_lo, 32, v5
	v_cndmask_b32_e32 v5, v2, v5, vcc_lo
	s_delay_alu instid0(VALU_DEP_1) | instskip(NEXT) | instid1(VALU_DEP_4)
	v_lshlrev_b32_e32 v5, 2, v5
	v_lshlrev_b32_e32 v4, 2, v4
	ds_bpermute_b32 v4, v4, v3
	s_waitcnt lgkmcnt(0)
	v_add_f32_e32 v3, v3, v4
	ds_bpermute_b32 v4, v5, v3
	v_xor_b32_e32 v5, 4, v2
	s_delay_alu instid0(VALU_DEP_1) | instskip(SKIP_1) | instid1(VALU_DEP_1)
	v_cmp_gt_i32_e32 vcc_lo, 32, v5
	v_cndmask_b32_e32 v5, v2, v5, vcc_lo
	v_lshlrev_b32_e32 v5, 2, v5
	s_waitcnt lgkmcnt(0)
	v_add_f32_e32 v3, v3, v4
	ds_bpermute_b32 v4, v5, v3
	v_xor_b32_e32 v5, 2, v2
	s_delay_alu instid0(VALU_DEP_1) | instskip(SKIP_1) | instid1(VALU_DEP_1)
	v_cmp_gt_i32_e32 vcc_lo, 32, v5
	v_cndmask_b32_e32 v5, v2, v5, vcc_lo
	v_lshlrev_b32_e32 v5, 2, v5
	s_waitcnt lgkmcnt(0)
	v_add_f32_e32 v3, v3, v4
	ds_bpermute_b32 v4, v5, v3
	v_xor_b32_e32 v5, 1, v2
	s_delay_alu instid0(VALU_DEP_1) | instskip(SKIP_3) | instid1(VALU_DEP_2)
	v_cmp_gt_i32_e32 vcc_lo, 32, v5
	v_cndmask_b32_e32 v5, v2, v5, vcc_lo
	v_cmp_eq_u32_e32 vcc_lo, 0, v0
	s_waitcnt lgkmcnt(0)
	v_dual_add_f32 v2, v3, v4 :: v_dual_lshlrev_b32 v3, 2, v5
	ds_bpermute_b32 v3, v3, v2
	s_and_b32 exec_lo, exec_lo, vcc_lo
	s_cbranch_execz .LBB293_7
; %bb.6:
	s_waitcnt lgkmcnt(0)
	v_add_f32_e32 v4, v2, v3
	v_mad_u64_u32 v[2:3], null, s8, s6, v[1:2]
	v_mov_b32_e32 v3, 0
	s_delay_alu instid0(VALU_DEP_3) | instskip(SKIP_1) | instid1(VALU_DEP_2)
	v_bfe_u32 v0, v4, 16, 1
	v_cmp_o_f32_e32 vcc_lo, v4, v4
	v_add3_u32 v0, v4, v0, 0x7fff
	s_delay_alu instid0(VALU_DEP_1) | instskip(SKIP_1) | instid1(VALU_DEP_2)
	v_lshrrev_b32_e32 v5, 16, v0
	v_lshlrev_b64 v[0:1], 1, v[2:3]
	v_cndmask_b32_e32 v2, 0x7fc0, v5, vcc_lo
	s_delay_alu instid0(VALU_DEP_2) | instskip(NEXT) | instid1(VALU_DEP_3)
	v_add_co_u32 v0, vcc_lo, s10, v0
	v_add_co_ci_u32_e32 v1, vcc_lo, s11, v1, vcc_lo
	global_store_b16 v[0:1], v2, off
.LBB293_7:
	s_nop 0
	s_sendmsg sendmsg(MSG_DEALLOC_VGPRS)
	s_endpgm
	.section	.rodata,"a",@progbits
	.p2align	6, 0x0
	.amdhsa_kernel _ZL9moe_vec_qIN3c108BFloat16ELi256ELi8E11block_iq1_mLi1EXadL_ZL18vec_dot_iq1_m_q8_1PKvPK10block_q8_1RKiEEEvS4_S4_PT_PS8_iiii
		.amdhsa_group_segment_fixed_size 0
		.amdhsa_private_segment_fixed_size 0
		.amdhsa_kernarg_size 304
		.amdhsa_user_sgpr_count 14
		.amdhsa_user_sgpr_dispatch_ptr 0
		.amdhsa_user_sgpr_queue_ptr 0
		.amdhsa_user_sgpr_kernarg_segment_ptr 1
		.amdhsa_user_sgpr_dispatch_id 0
		.amdhsa_user_sgpr_private_segment_size 0
		.amdhsa_wavefront_size32 1
		.amdhsa_uses_dynamic_stack 0
		.amdhsa_enable_private_segment 0
		.amdhsa_system_sgpr_workgroup_id_x 1
		.amdhsa_system_sgpr_workgroup_id_y 0
		.amdhsa_system_sgpr_workgroup_id_z 1
		.amdhsa_system_sgpr_workgroup_info 0
		.amdhsa_system_vgpr_workitem_id 1
		.amdhsa_next_free_vgpr 74
		.amdhsa_next_free_sgpr 20
		.amdhsa_reserve_vcc 1
		.amdhsa_float_round_mode_32 0
		.amdhsa_float_round_mode_16_64 0
		.amdhsa_float_denorm_mode_32 3
		.amdhsa_float_denorm_mode_16_64 3
		.amdhsa_dx10_clamp 1
		.amdhsa_ieee_mode 1
		.amdhsa_fp16_overflow 0
		.amdhsa_workgroup_processor_mode 1
		.amdhsa_memory_ordered 1
		.amdhsa_forward_progress 0
		.amdhsa_shared_vgpr_count 0
		.amdhsa_exception_fp_ieee_invalid_op 0
		.amdhsa_exception_fp_denorm_src 0
		.amdhsa_exception_fp_ieee_div_zero 0
		.amdhsa_exception_fp_ieee_overflow 0
		.amdhsa_exception_fp_ieee_underflow 0
		.amdhsa_exception_fp_ieee_inexact 0
		.amdhsa_exception_int_div_zero 0
	.end_amdhsa_kernel
	.section	.text._ZL9moe_vec_qIN3c108BFloat16ELi256ELi8E11block_iq1_mLi1EXadL_ZL18vec_dot_iq1_m_q8_1PKvPK10block_q8_1RKiEEEvS4_S4_PT_PS8_iiii,"axG",@progbits,_ZL9moe_vec_qIN3c108BFloat16ELi256ELi8E11block_iq1_mLi1EXadL_ZL18vec_dot_iq1_m_q8_1PKvPK10block_q8_1RKiEEEvS4_S4_PT_PS8_iiii,comdat
.Lfunc_end293:
	.size	_ZL9moe_vec_qIN3c108BFloat16ELi256ELi8E11block_iq1_mLi1EXadL_ZL18vec_dot_iq1_m_q8_1PKvPK10block_q8_1RKiEEEvS4_S4_PT_PS8_iiii, .Lfunc_end293-_ZL9moe_vec_qIN3c108BFloat16ELi256ELi8E11block_iq1_mLi1EXadL_ZL18vec_dot_iq1_m_q8_1PKvPK10block_q8_1RKiEEEvS4_S4_PT_PS8_iiii
                                        ; -- End function
	.section	.AMDGPU.csdata,"",@progbits
; Kernel info:
; codeLenInByte = 2176
; NumSgprs: 22
; NumVgprs: 74
; ScratchSize: 0
; MemoryBound: 0
; FloatMode: 240
; IeeeMode: 1
; LDSByteSize: 0 bytes/workgroup (compile time only)
; SGPRBlocks: 2
; VGPRBlocks: 9
; NumSGPRsForWavesPerEU: 22
; NumVGPRsForWavesPerEU: 74
; Occupancy: 16
; WaveLimiterHint : 1
; COMPUTE_PGM_RSRC2:SCRATCH_EN: 0
; COMPUTE_PGM_RSRC2:USER_SGPR: 14
; COMPUTE_PGM_RSRC2:TRAP_HANDLER: 0
; COMPUTE_PGM_RSRC2:TGID_X_EN: 1
; COMPUTE_PGM_RSRC2:TGID_Y_EN: 0
; COMPUTE_PGM_RSRC2:TGID_Z_EN: 1
; COMPUTE_PGM_RSRC2:TIDIG_COMP_CNT: 1
	.text
	.p2alignl 7, 3214868480
	.fill 96, 4, 3214868480
	.type	_ZL11iq2xxs_grid,@object        ; @_ZL11iq2xxs_grid
	.section	.rodata,"a",@progbits
	.p2align	4, 0x0
_ZL11iq2xxs_grid:
	.quad	578721382704613384              ; 0x808080808080808
	.quad	578721382704613419              ; 0x80808080808082b
	;; [unrolled: 1-line block ×132, first 2 shown]
	.quad	1803700481349388313             ; 0x1908080808080819
	.quad	1803700481349392648             ; 0x1908080808081908
	;; [unrolled: 1-line block ×124, first 2 shown]
	.size	_ZL11iq2xxs_grid, 2048

	.type	_ZL12ksigns_iq2xs,@object       ; @_ZL12ksigns_iq2xs
	.p2align	4, 0x0
_ZL12ksigns_iq2xs:
	.ascii	"\000\201\202\003\204\005\006\207\210\t\n\213\f\215\216\017\220\021\022\223\024\225\226\027\030\231\232\033\234\035\036\237\240!\"\243$\245\246'(\251\252+\254-.\2570\261\2623\26456\267\2709:\273<\275\276?\300AB\303D\305\306GH\311\312K\314MN\317P\321\322S\324UV\327\330YZ\333\\\335\336_`\341\342c\344ef\347\350ij\353l\355\356o\360qr\363t\365\366wx\371\372{\374}~\377"
	.size	_ZL12ksigns_iq2xs, 128

	.type	_ZL10iq2xs_grid,@object         ; @_ZL10iq2xs_grid
	.p2align	4, 0x0
_ZL10iq2xs_grid:
	.quad	578721382704613384              ; 0x808080808080808
	.quad	578721382704613419              ; 0x80808080808082b
	;; [unrolled: 1-line block ×254, first 2 shown]
	.quad	1803700481349388313             ; 0x1908080808080819
	.quad	1803700481349392648             ; 0x1908080808081908
	.quad	1803700481349392683             ; 0x190808080808192b
	.quad	1803700481349397273             ; 0x1908080808082b19
	.quad	1803700481350502408             ; 0x1908080808190808
	.quad	1803700481350502443             ; 0x190808080819082b
	.quad	1803700481350506777             ; 0x1908080808191919
	.quad	1803700481350511368             ; 0x1908080808192b08
	.quad	1803700481351682073             ; 0x19080808082b0819
	.quad	1803700481351686408             ; 0x19080808082b1908
	.quad	1803700481634600968             ; 0x1908080819080808
	.quad	1803700481634601003             ; 0x190808081908082b
	.quad	1803700481634605337             ; 0x1908080819081919
	.quad	1803700481634609928             ; 0x1908080819082b08
	.quad	1803700481634609963             ; 0x1908080819082b2b
	.quad	1803700481635715097             ; 0x1908080819190819
	.quad	1803700481635719432             ; 0x1908080819191908
	.quad	1803700481636894728             ; 0x19080808192b0808
	.quad	1803700481636899097             ; 0x19080808192b1919
	.quad	1803700481936590873             ; 0x190808082b080819
	.quad	1803700481936595208             ; 0x190808082b081908
	.quad	1803700481937704968             ; 0x190808082b190808
	.quad	1803700554363832328             ; 0x1908081908080808
	.quad	1803700554363832363             ; 0x190808190808082b
	.quad	1803700554363836697             ; 0x1908081908081919
	.quad	1803700554363841288             ; 0x1908081908082b08
	.quad	1803700554364946457             ; 0x1908081908190819
	.quad	1803700554364950792             ; 0x1908081908191908
	.quad	1803700554366126088             ; 0x19080819082b0808
	.quad	1803700554649045017             ; 0x1908081919080819
	.quad	1803700554649049352             ; 0x1908081919081908
	.quad	1803700554650159112             ; 0x1908081919190808
	.quad	1803700554951034888             ; 0x190808192b080808
	.quad	1803700554951039257             ; 0x190808192b081919
	.quad	1803700554953328683             ; 0x190808192b2b082b
	.quad	1803700631673243673             ; 0x1908082b08080819
	.quad	1803700631673248008             ; 0x1908082b08081908
	.quad	1803700631674357768             ; 0x1908082b08190808
	.quad	1803700631674357803             ; 0x1908082b0819082b
	.quad	1803700631675546393             ; 0x1908082b082b2b19
	.quad	1803700631958456328             ; 0x1908082b19080808
	.quad	1803719173047060488             ; 0x1908190808080808
	.quad	1803719173047060523             ; 0x190819080808082b
	.quad	1803719173047064857             ; 0x1908190808081919
	.quad	1803719173047069448             ; 0x1908190808082b08
	.quad	1803719173048174617             ; 0x1908190808190819
	.quad	1803719173048178952             ; 0x1908190808191908
	.quad	1803719173048183577             ; 0x1908190808192b19
	.quad	1803719173049354248             ; 0x19081908082b0808
	.quad	1803719173332273177             ; 0x1908190819080819
	.quad	1803719173332277512             ; 0x1908190819081908
	.quad	1803719173333387272             ; 0x1908190819190808
	.quad	1803719173634263048             ; 0x190819082b080808
	.quad	1803719173635381512             ; 0x190819082b191908
	.quad	1803719246061504537             ; 0x1908191908080819
	.quad	1803719246061508872             ; 0x1908191908081908
	.quad	1803719246062618632             ; 0x1908191908190808
	.quad	1803719246063802632             ; 0x19081919082b1908
	.quad	1803719246346717192             ; 0x1908191919080808
	.quad	1803719246649830187             ; 0x190819192b192b2b
	.quad	1803719323370915848             ; 0x1908192b08080808
	.quad	1803719323370924843             ; 0x1908192b08082b2b
	.quad	1803719323656132872             ; 0x1908192b19081908
	.quad	1803719323657242632             ; 0x1908192b19190808
	.quad	1803738964256360473             ; 0x19082b0808080819
	.quad	1803738964256364808             ; 0x19082b0808081908
	.quad	1803738964257474568             ; 0x19082b0808190808
	.quad	1803738964541573128             ; 0x19082b0819080808
	.quad	1803738964541577497             ; 0x19082b0819081919
	.quad	1803738964542691592             ; 0x19082b0819191908
	.quad	1803738964543866923             ; 0x19082b08192b082b
	.quad	1803739037270804488             ; 0x19082b1908080808
	.quad	1803739037271918617             ; 0x19082b1908190819
	.quad	1803739037556021512             ; 0x19082b1919081908
	.quad	1803739037557131272             ; 0x19082b1919190808
	.quad	1803739037558319897             ; 0x19082b19192b2b19
	.quad	1803739114580220168             ; 0x19082b2b08081908
	.quad	1808485555953469448             ; 0x1919080808080808
	.quad	1808485555953469483             ; 0x191908080808082b
	.quad	1808485555953473817             ; 0x1919080808081919
	.quad	1808485555953478408             ; 0x1919080808082b08
	.quad	1808485555954583577             ; 0x1919080808190819
	.quad	1808485555954587912             ; 0x1919080808191908
	.quad	1808485555955763208             ; 0x19190808082b0808
	.quad	1808485555955772168             ; 0x19190808082b2b08
	.quad	1808485556238682137             ; 0x1919080819080819
	.quad	1808485556238686472             ; 0x1919080819081908
	.quad	1808485556239796232             ; 0x1919080819190808
	.quad	1808485556540672008             ; 0x191908082b080808
	.quad	1808485628967913497             ; 0x1919081908080819
	.quad	1808485628967917832             ; 0x1919081908081908
	.quad	1808485628969027592             ; 0x1919081908190808
	.quad	1808485628969031961             ; 0x1919081908191919
	.quad	1808485629253126152             ; 0x1919081919080808
	.quad	1808485629253126187             ; 0x191908191908082b
	.quad	1808485706277324808             ; 0x1919082b08080808
	.quad	1808485706562541832             ; 0x1919082b19081908
	.quad	1808485706866830123             ; 0x1919082b2b2b2b2b
	.quad	1808504247651141657             ; 0x1919190808080819
	.quad	1808504247651145992             ; 0x1919190808081908
	.quad	1808504247652255752             ; 0x1919190808190808
	.quad	1808504247653435417             ; 0x19191908082b0819
	.quad	1808504247936354312             ; 0x1919190819080808
	.quad	1808504247938648072             ; 0x19191908192b0808
	.quad	1808504248238344217             ; 0x191919082b080819
	.quad	1808504248240637977             ; 0x191919082b2b0819
	.quad	1808504320665585672             ; 0x1919191908080808
	.quad	1808504320665594632             ; 0x1919191908082b08
	.quad	1808504321252788232             ; 0x191919192b080808
	.quad	1808504321252797192             ; 0x191919192b082b08
	.quad	1808504397977290777             ; 0x1919192b082b0819
	.quad	1808504398262512392             ; 0x1919192b192b2b08
	.quad	1808504398564493337             ; 0x1919192b2b2b0819
	.quad	1808524038860441608             ; 0x19192b0808080808
	.quad	1808524038861560072             ; 0x19192b0808191908
	.quad	1808524039145654297             ; 0x19192b0819080819
	.quad	1808524039146768392             ; 0x19192b0819190808
	.quad	1808524039448767257             ; 0x19192b082b192b19
	.quad	1808524111876008747             ; 0x19192b1908192b2b
	.quad	1808524112160098312             ; 0x19192b1919080808
	.quad	1808524112160098347             ; 0x19192b191908082b
	.quad	1808524189771503897             ; 0x19192b2b2b081919
	.quad	1813552105534261273             ; 0x192b080808080819
	.quad	1813552105534265608             ; 0x192b080808081908
	.quad	1813552105535375368             ; 0x192b080808190808
	.quad	1813552105819473928             ; 0x192b080819080808
	.quad	1813552105820592392             ; 0x192b080819191908
	.quad	1813552105821767723             ; 0x192b0808192b082b
	.quad	1813552106121468203             ; 0x192b08082b08192b
	.quad	1813552106123766553             ; 0x192b08082b2b2b19
	.quad	1813552178548705288             ; 0x192b081908080808
	.quad	1813552255860414728             ; 0x192b082b082b1908
	.quad	1813552256143338283             ; 0x192b082b19082b2b
	.quad	1813552256446433323             ; 0x192b082b2b19082b
	.quad	1813570797231933448             ; 0x192b190808080808
	.quad	1813570797233051947             ; 0x192b19080819192b
	.quad	1813570870247491592             ; 0x192b191908190808
	.quad	1813570870531590152             ; 0x192b191919080808
	.quad	1813570870531594521             ; 0x192b191919081919
	.quad	1813570870835878152             ; 0x192b19192b2b1908
	.quad	1813590588441233433             ; 0x192b2b0808080819
	.quad	1813590588728748843             ; 0x192b2b08192b2b2b
	.quad	1813590661457975577             ; 0x192b2b19082b1919
	.quad	1813590738765093163             ; 0x192b2b2b0808192b
	.quad	1813590739051419912             ; 0x192b2b2b19191908
	.quad	1813590739052595243             ; 0x192b2b2b192b082b
	.quad	3100737174032091144             ; 0x2b08080808080808
	.quad	3100737174032091179             ; 0x2b0808080808082b
	.quad	3100737174032095513             ; 0x2b08080808081919
	.quad	3100737174032100104             ; 0x2b08080808082b08
	.quad	3100737174033205273             ; 0x2b08080808190819
	.quad	3100737174033209608             ; 0x2b08080808191908
	.quad	3100737174034384904             ; 0x2b080808082b0808
	.quad	3100737174034393899             ; 0x2b080808082b2b2b
	.quad	3100737174317303833             ; 0x2b08080819080819
	.quad	3100737174317308168             ; 0x2b08080819081908
	.quad	3100737174318417928             ; 0x2b08080819190808
	.quad	3100737174619293704             ; 0x2b0808082b080808
	.quad	3100737174619293739             ; 0x2b0808082b08082b
	.quad	3100737174621596424             ; 0x2b0808082b2b2b08
	.quad	3100737174621596459             ; 0x2b0808082b2b2b2b
	.quad	3100737247046535193             ; 0x2b08081908080819
	.quad	3100737247046539528             ; 0x2b08081908081908
	.quad	3100737247046539563             ; 0x2b0808190808192b
	.quad	3100737247047649288             ; 0x2b08081908190808
	.quad	3100737247331747848             ; 0x2b08081919080808
	.quad	3100737247332861977             ; 0x2b08081919190819
	.quad	3100737247332870937             ; 0x2b08081919192b19
	.quad	3100737324355946504             ; 0x2b08082b08080808
	.quad	3100737324358240264             ; 0x2b08082b082b0808
	.quad	3100737324943149064             ; 0x2b08082b2b080808
	.quad	3100737324943149099             ; 0x2b08082b2b08082b
	.quad	3100737324945442824             ; 0x2b08082b2b2b0808
	.quad	3100737324945451784             ; 0x2b08082b2b2b2b08
	.quad	3100755865729763353             ; 0x2b08190808080819
	.quad	3100755865729767688             ; 0x2b08190808081908
	.quad	3100755865730877448             ; 0x2b08190808190808
	.quad	3100755865730877483             ; 0x2b0819080819082b
	.quad	3100755865730881817             ; 0x2b08190808191919
	.quad	3100755866014976008             ; 0x2b08190819080808
	.quad	3100755866017269768             ; 0x2b081908192b0808
	.quad	3100755866316974873             ; 0x2b0819082b082b19
	.quad	3100755938744207368             ; 0x2b08191908080808
	.quad	3100755939029424392             ; 0x2b08191919081908
	.quad	3100755939333708057             ; 0x2b0819192b2b1919
	.quad	3100756016054741768             ; 0x2b08192b08192b08
	.quad	3100756016341134123             ; 0x2b08192b192b2b2b
	.quad	3100775656939063304             ; 0x2b082b0808080808
	.quad	3100775656939072264             ; 0x2b082b0808082b08
	.quad	3100775656941361433             ; 0x2b082b08082b1919
	.quad	3100775657225399083             ; 0x2b082b0819192b2b
	.quad	3100775657526265864             ; 0x2b082b082b080808
	.quad	3100775657526265899             ; 0x2b082b082b08082b
	.quad	3100775657528568584             ; 0x2b082b082b2b2b08
	.quad	3100775729953511723             ; 0x2b082b190808192b
	.quad	3100775807265212459             ; 0x2b082b2b082b082b
	.quad	3100775807850121224             ; 0x2b082b2b2b080808
	.quad	3100775807850130184             ; 0x2b082b2b2b082b08
	.quad	3100775807851239723             ; 0x2b082b2b2b19192b
	.quad	3100775807852423944             ; 0x2b082b2b2b2b2b08
	.quad	3105522248636172313             ; 0x2b19080808080819
	.quad	3105522248636176648             ; 0x2b19080808081908
	.quad	3105522248637286408             ; 0x2b19080808190808
	.quad	3105522248921384968             ; 0x2b19080819080808
	.quad	3105522248922503467             ; 0x2b1908081919192b
	.quad	3105522249223379208             ; 0x2b1908082b081908
	.quad	3105522321650616328             ; 0x2b19081908080808
	.quad	3105522321652910123             ; 0x2b190819082b082b
	.quad	3105522321938127112             ; 0x2b190819192b1908
	.quad	3105522399246358827             ; 0x2b19082b1919192b
	.quad	3105522399547239193             ; 0x2b19082b2b082b19
	.quad	3105540940333844488             ; 0x2b19190808080808
	.quad	3105540940333848857             ; 0x2b19190808081919
	.quad	3105540940619061512             ; 0x2b19190819081908
	.quad	3105540940620171272             ; 0x2b19190819190808
	.quad	3105540940620180232             ; 0x2b19190819192b08
	.quad	3105541013350591257             ; 0x2b191919082b2b19
	.quad	3105541013936605192             ; 0x2b1919192b190808
	.quad	3105541013936605227             ; 0x2b1919192b19082b
	.quad	3105541090942912537             ; 0x2b19192b19080819
	.quad	3105560731829471257             ; 0x2b192b0819190819
	.quad	3105560732132645163             ; 0x2b192b082b2b192b
	.quad	3105560804842810137             ; 0x2b192b1919082b19
	.quad	3105560881868118297             ; 0x2b192b2b08191919
	.quad	3105560882154506248             ; 0x2b192b2b192b0808
	.quad	3110588798216964104             ; 0x2b2b080808080808
	.quad	3110588798216964139             ; 0x2b2b08080808082b
	.quad	3110588798216973064             ; 0x2b2b080808082b08
	.quad	3110588798216973099             ; 0x2b2b080808082b2b
	.quad	3110588798219257864             ; 0x2b2b0808082b0808
	.quad	3110588798219266859             ; 0x2b2b0808082b2b2b
	.quad	3110588798806460424             ; 0x2b2b08082b2b0808
	.quad	3110588871517734937             ; 0x2b2b081919190819
	.quad	3110588871517743897             ; 0x2b2b081919192b19
	.quad	3110588871820908843             ; 0x2b2b08192b2b192b
	.quad	3110588948540819464             ; 0x2b2b082b08080808
	.quad	3110588948540819499             ; 0x2b2b082b0808082b
	.quad	3110588948540828424             ; 0x2b2b082b08082b08
	.quad	3110588948543122219             ; 0x2b2b082b082b2b2b
	.quad	3110588949128022024             ; 0x2b2b082b2b080808
	.quad	3110588949130315784             ; 0x2b2b082b2b2b0808
	.quad	3110607490199848968             ; 0x2b2b190819080808
	.quad	3110607490502957337             ; 0x2b2b19082b191919
	.quad	3110607640526002457             ; 0x2b2b192b192b1919
	.quad	3110607640826817288             ; 0x2b2b192b2b192b08
	.quad	3110627281123945259             ; 0x2b2b2b0808082b2b
	.quad	3110627281126230024             ; 0x2b2b2b08082b0808
	.quad	3110627281126230059             ; 0x2b2b2b08082b082b
	.quad	3110627281126238984             ; 0x2b2b2b08082b2b08
	.quad	3110627281713432584             ; 0x2b2b2b082b2b0808
	.quad	3110627281713441544             ; 0x2b2b2b082b2b2b08
	.quad	3110627354138384648             ; 0x2b2b2b1908081908
	.quad	3110627354725587208             ; 0x2b2b2b192b081908
	.quad	3110627354725587243             ; 0x2b2b2b192b08192b
	.quad	3110627431450094344             ; 0x2b2b2b2b082b2b08
	.quad	3110627431450094379             ; 0x2b2b2b2b082b2b2b
	.quad	3110627432036108313             ; 0x2b2b2b2b2b190819
	.quad	3110627432037296939             ; 0x2b2b2b2b2b2b2b2b
	.size	_ZL10iq2xs_grid, 4096

	.type	_ZL11iq3xxs_grid,@object        ; @_ZL11iq3xxs_grid
	.p2align	4, 0x0
_ZL11iq3xxs_grid:
	.long	67372036                        ; 0x4040404
	.long	67372052                        ; 0x4040414
	.long	67372068                        ; 0x4040424
	.long	67374092                        ; 0x4040c0c
	.long	67374108                        ; 0x4040c1c
	.long	67374142                        ; 0x4040c3e
	.long	67376132                        ; 0x4041404
	.long	67376148                        ; 0x4041414
	.long	67378188                        ; 0x4041c0c
	.long	67380244                        ; 0x4042414
	.long	67386908                        ; 0x4043e1c
	.long	67386924                        ; 0x4043e2c
	.long	67896332                        ; 0x40c040c
	.long	67896348                        ; 0x40c041c
	.long	67898372                        ; 0x40c0c04
	.long	67898388                        ; 0x40c0c14
	.long	67900428                        ; 0x40c140c
	.long	67900460                        ; 0x40c142c
	.long	67902468                        ; 0x40c1c04
	.long	67902484                        ; 0x40c1c14
	.long	67904524                        ; 0x40c240c
	.long	67906596                        ; 0x40c2c24
	.long	67911172                        ; 0x40c3e04
	.long	68420612                        ; 0x4140404
	.long	68420628                        ; 0x4140414
	.long	68420644                        ; 0x4140424
	.long	68422668                        ; 0x4140c0c
	.long	68424708                        ; 0x4141404
	.long	68424724                        ; 0x4141414
	.long	68426764                        ; 0x4141c0c
	.long	68426780                        ; 0x4141c1c
	.long	68426814                        ; 0x4141c3e
	.long	68430860                        ; 0x4142c0c
	.long	68430910                        ; 0x4142c3e
	.long	68435500                        ; 0x4143e2c
	.long	68944908                        ; 0x41c040c
	.long	68944958                        ; 0x41c043e
	.long	68946948                        ; 0x41c0c04
	.long	68946964                        ; 0x41c0c14
	.long	68949036                        ; 0x41c142c
	.long	68959748                        ; 0x41c3e04
	.long	69471260                        ; 0x4240c1c
	.long	69475390                        ; 0x4241c3e
	.long	69477412                        ; 0x4242424
	.long	69479486                        ; 0x4242c3e
	.long	69484060                        ; 0x4243e1c
	.long	69484076                        ; 0x4243e2c
	.long	69993484                        ; 0x42c040c
	.long	69993534                        ; 0x42c043e
	.long	69999636                        ; 0x42c1c14
	.long	70003732                        ; 0x42c2c14
	.long	70523948                        ; 0x4341c2c
	.long	70530084                        ; 0x4343424
	.long	71175172                        ; 0x43e0c04
	.long	71175204                        ; 0x43e0c24
	.long	71175220                        ; 0x43e0c34
	.long	71181340                        ; 0x43e241c
	.long	71185420                        ; 0x43e340c
	.long	201589772                       ; 0xc04040c
	.long	201589788                       ; 0xc04041c
	.long	201591812                       ; 0xc040c04
	.long	201591828                       ; 0xc040c14
	.long	201593868                       ; 0xc04140c
	.long	201593884                       ; 0xc04141c
	.long	201595908                       ; 0xc041c04
	.long	201595924                       ; 0xc041c14
	.long	201595940                       ; 0xc041c24
	.long	201598014                       ; 0xc04243e
	.long	201600004                       ; 0xc042c04
	.long	202114052                       ; 0xc0c0404
	.long	202114068                       ; 0xc0c0414
	.long	202116108                       ; 0xc0c0c0c
	.long	202118148                       ; 0xc0c1404
	.long	202118164                       ; 0xc0c1414
	.long	202638348                       ; 0xc14040c
	.long	202638364                       ; 0xc14041c
	.long	202640388                       ; 0xc140c04
	.long	202640404                       ; 0xc140c14
	.long	202642444                       ; 0xc14140c
	.long	202644484                       ; 0xc141c04
	.long	202653204                       ; 0xc143e14
	.long	203162628                       ; 0xc1c0404
	.long	203162644                       ; 0xc1c0414
	.long	203166724                       ; 0xc1c1404
	.long	203168780                       ; 0xc1c1c0c
	.long	203170868                       ; 0xc1c2434
	.long	203174964                       ; 0xc1c3434
	.long	203686924                       ; 0xc24040c
	.long	203686956                       ; 0xc24042c
	.long	203697156                       ; 0xc242c04
	.long	204215300                       ; 0xc2c1404
	.long	204215332                       ; 0xc2c1424
	.long	204219444                       ; 0xc2c2434
	.long	204226060                       ; 0xc2c3e0c
	.long	204735532                       ; 0xc34042c
	.long	205394964                       ; 0xc3e1414
	.long	205399044                       ; 0xc3e2404
	.long	335807492                       ; 0x14040404
	.long	335807508                       ; 0x14040414
	.long	335809548                       ; 0x14040c0c
	.long	335809564                       ; 0x14040c1c
	.long	335811588                       ; 0x14041404
	.long	335811604                       ; 0x14041414
	.long	335811636                       ; 0x14041434
	.long	335813644                       ; 0x14041c0c
	.long	335815700                       ; 0x14042414
	.long	336331788                       ; 0x140c040c
	.long	336331804                       ; 0x140c041c
	.long	336331820                       ; 0x140c042c
	.long	336333828                       ; 0x140c0c04
	.long	336333844                       ; 0x140c0c14
	.long	336335884                       ; 0x140c140c
	.long	336337924                       ; 0x140c1c04
	.long	336344092                       ; 0x140c341c
	.long	336344126                       ; 0x140c343e
	.long	336346628                       ; 0x140c3e04
	.long	336856068                       ; 0x14140404
	.long	336856084                       ; 0x14140414
	.long	336858124                       ; 0x14140c0c
	.long	336858174                       ; 0x14140c3e
	.long	336860164                       ; 0x14141404
	.long	336860180                       ; 0x14141414
	.long	336862270                       ; 0x14141c3e
	.long	336864260                       ; 0x14142404
	.long	336866348                       ; 0x14142c2c
	.long	337380364                       ; 0x141c040c
	.long	337382404                       ; 0x141c0c04
	.long	337382436                       ; 0x141c0c24
	.long	337395204                       ; 0x141c3e04
	.long	337395236                       ; 0x141c3e24
	.long	337910828                       ; 0x14241c2c
	.long	337914908                       ; 0x14242c1c
	.long	338428956                       ; 0x142c041c
	.long	338433086                       ; 0x142c143e
	.long	338437132                       ; 0x142c240c
	.long	338443812                       ; 0x142c3e24
	.long	339608588                       ; 0x143e040c
	.long	339608604                       ; 0x143e041c
	.long	339610676                       ; 0x143e0c34
	.long	339616812                       ; 0x143e242c
	.long	470025228                       ; 0x1c04040c
	.long	470027268                       ; 0x1c040c04
	.long	470027284                       ; 0x1c040c14
	.long	470029324                       ; 0x1c04140c
	.long	470029340                       ; 0x1c04141c
	.long	470035460                       ; 0x1c042c04
	.long	470037548                       ; 0x1c04342c
	.long	470040084                       ; 0x1c043e14
	.long	470549508                       ; 0x1c0c0404
	.long	470549524                       ; 0x1c0c0414
	.long	470553604                       ; 0x1c0c1404
	.long	470555660                       ; 0x1c0c1c0c
	.long	470557732                       ; 0x1c0c2424
	.long	470557748                       ; 0x1c0c2434
	.long	471073804                       ; 0x1c14040c
	.long	471073820                       ; 0x1c14041c
	.long	471075844                       ; 0x1c140c04
	.long	471077932                       ; 0x1c14142c
	.long	471084052                       ; 0x1c142c14
	.long	471088660                       ; 0x1c143e14
	.long	471600140                       ; 0x1c1c0c0c
	.long	471604252                       ; 0x1c1c1c1c
	.long	472128516                       ; 0x1c241c04
	.long	472130622                       ; 0x1c24243e
	.long	472137236                       ; 0x1c243e14
	.long	472646660                       ; 0x1c2c0404
	.long	472646708                       ; 0x1c2c0434
	.long	472650772                       ; 0x1c2c1414
	.long	472656940                       ; 0x1c2c2c2c
	.long	473173028                       ; 0x1c340c24
	.long	473177140                       ; 0x1c341c34
	.long	473183260                       ; 0x1c34341c
	.long	473832476                       ; 0x1c3e1c1c
	.long	473838596                       ; 0x1c3e3404
	.long	604242980                       ; 0x24040424
	.long	604245054                       ; 0x24040c3e
	.long	604249132                       ; 0x24041c2c
	.long	604249150                       ; 0x24041c3e
	.long	604253212                       ; 0x24042c1c
	.long	604253246                       ; 0x24042c3e
	.long	604782116                       ; 0x240c3e24
	.long	605295620                       ; 0x24141404
	.long	605297726                       ; 0x24141c3e
	.long	605299716                       ; 0x24142404
	.long	605303812                       ; 0x24143404
	.long	605303860                       ; 0x24143434
	.long	605815870                       ; 0x241c043e
	.long	605824044                       ; 0x241c242c
	.long	606340132                       ; 0x24240424
	.long	606350348                       ; 0x24242c0c
	.long	606352420                       ; 0x24243424
	.long	606868524                       ; 0x242c142c
	.long	606872604                       ; 0x242c241c
	.long	606879236                       ; 0x242c3e04
	.long	608044076                       ; 0x243e042c
	.long	608046084                       ; 0x243e0c04
	.long	608046100                       ; 0x243e0c14
	.long	608050180                       ; 0x243e1c04
	.long	738462740                       ; 0x2c040c14
	.long	738468876                       ; 0x2c04240c
	.long	738475524                       ; 0x2c043e04
	.long	738984964                       ; 0x2c0c0404
	.long	738985012                       ; 0x2c0c0434
	.long	738989108                       ; 0x2c0c1434
	.long	738995244                       ; 0x2c0c2c2c
	.long	739511332                       ; 0x2c140c24
	.long	739515412                       ; 0x2c141c14
	.long	739524116                       ; 0x2c143e14
	.long	740033556                       ; 0x2c1c0414
	.long	740043804                       ; 0x2c1c2c1c
	.long	740559876                       ; 0x2c240c04
	.long	740561948                       ; 0x2c24141c
	.long	740561982                       ; 0x2c24143e
	.long	740572692                       ; 0x2c243e14
	.long	741082132                       ; 0x2c2c0414
	.long	741088268                       ; 0x2c2c1c0c
	.long	741616644                       ; 0x2c342c04
	.long	742265892                       ; 0x2c3e1424
	.long	742269972                       ; 0x2c3e2414
	.long	872682532                       ; 0x34041424
	.long	872686628                       ; 0x34042424
	.long	872686644                       ; 0x34042434
	.long	872690724                       ; 0x34043424
	.long	873206796                       ; 0x340c140c
	.long	873214988                       ; 0x340c340c
	.long	873729086                       ; 0x34140c3e
	.long	873739300                       ; 0x34143424
	.long	874257412                       ; 0x341c1c04
	.long	874257460                       ; 0x341c1c34
	.long	874783780                       ; 0x34242424
	.long	875299884                       ; 0x342c042c
	.long	875310100                       ; 0x342c2c14
	.long	875830300                       ; 0x34341c1c
	.long	876479516                       ; 0x343e041c
	.long	876483596                       ; 0x343e140c
	.long	1040450588                      ; 0x3e04041c
	.long	1040450604                      ; 0x3e04042c
	;; [unrolled: 1-line block ×21, first 2 shown]
	.size	_ZL11iq3xxs_grid, 1024

	.type	_ZL13iq1s_grid_gpu,@object      ; @_ZL13iq1s_grid_gpu
	.p2align	4, 0x0
_ZL13iq1s_grid_gpu:
	.quad	0                               ; 0x0
	.quad	2                               ; 0x2
	.quad	257                             ; 0x101
	.quad	512                             ; 0x200
	;; [unrolled: 1-line block ×3, first 2 shown]
	.quad	65537                           ; 0x10001
	.quad	65793                           ; 0x10101
	.quad	131072                          ; 0x20000
	.quad	131074                          ; 0x20002
	.quad	131584                          ; 0x20200
	.quad	131586                          ; 0x20202
	.quad	16777473                        ; 0x1000101
	.quad	16842753                        ; 0x1010001
	;; [unrolled: 1-line block ×14, first 2 shown]
	.quad	272                             ; 0x110
	.quad	273                             ; 0x111
	.quad	65553                           ; 0x10011
	.quad	65808                           ; 0x10110
	;; [unrolled: 1-line block ×5, first 2 shown]
	.quad	131345                          ; 0x20111
	.quad	16777233                        ; 0x1000011
	.quad	16777490                        ; 0x1000112
	;; [unrolled: 1-line block ×15, first 2 shown]
	.quad	32                              ; 0x20
	.quad	34                              ; 0x22
	.quad	544                             ; 0x220
	.quad	546                             ; 0x222
	.quad	65825                           ; 0x10121
	.quad	131104                          ; 0x20020
	.quad	131106                          ; 0x20022
	;; [unrolled: 1-line block ×4, first 2 shown]
	.quad	16777505                        ; 0x1000121
	.quad	16842785                        ; 0x1010021
	;; [unrolled: 1-line block ×16, first 2 shown]
	.quad	69633                           ; 0x11001
	.quad	69888                           ; 0x11100
	;; [unrolled: 1-line block ×3, first 2 shown]
	.quad	135425                          ; 0x21101
	.quad	16781313                        ; 0x1001001
	.quad	16781825                        ; 0x1001201
	;; [unrolled: 1-line block ×9, first 2 shown]
	.quad	4113                            ; 0x1011
	.quad	4368                            ; 0x1110
	;; [unrolled: 1-line block ×4, first 2 shown]
	.quad	69905                           ; 0x11111
	.quad	70160                           ; 0x11210
	;; [unrolled: 1-line block ×3, first 2 shown]
	.quad	135697                          ; 0x21211
	.quad	16781328                        ; 0x1001010
	.quad	16781585                        ; 0x1001111
	;; [unrolled: 1-line block ×24, first 2 shown]
	.quad	69920                           ; 0x11120
	.quad	70177                           ; 0x11221
	.quad	16781345                        ; 0x1001021
	.quad	16781600                        ; 0x1001120
	;; [unrolled: 1-line block ×14, first 2 shown]
	.quad	8192                            ; 0x2000
	.quad	8194                            ; 0x2002
	.quad	8704                            ; 0x2200
	.quad	8706                            ; 0x2202
	.quad	73985                           ; 0x12101
	.quad	139264                          ; 0x22000
	.quad	139266                          ; 0x22002
	;; [unrolled: 1-line block ×4, first 2 shown]
	.quad	16785665                        ; 0x1002101
	.quad	16850945                        ; 0x1012001
	;; [unrolled: 1-line block ×13, first 2 shown]
	.quad	8465                            ; 0x2111
	.quad	73745                           ; 0x12011
	.quad	74000                           ; 0x12110
	;; [unrolled: 1-line block ×3, first 2 shown]
	.quad	139536                          ; 0x22110
	.quad	139537                          ; 0x22111
	.quad	16785425                        ; 0x1002011
	.quad	16850960                        ; 0x1012010
	;; [unrolled: 1-line block ×12, first 2 shown]
	.quad	8224                            ; 0x2020
	.quad	8226                            ; 0x2022
	;; [unrolled: 1-line block ×4, first 2 shown]
	.quad	74017                           ; 0x12121
	.quad	139296                          ; 0x22020
	.quad	139298                          ; 0x22022
	;; [unrolled: 1-line block ×4, first 2 shown]
	.quad	16785697                        ; 0x1002121
	.quad	16850977                        ; 0x1012021
	;; [unrolled: 1-line block ×15, first 2 shown]
	.quad	1114112                         ; 0x110000
	.quad	1114113                         ; 0x110001
	;; [unrolled: 1-line block ×6, first 2 shown]
	.quad	17825793                        ; 0x1100001
	.quad	17826048                        ; 0x1100100
	;; [unrolled: 1-line block ×14, first 2 shown]
	.quad	1048593                         ; 0x100011
	.quad	1048848                         ; 0x100110
	.quad	1048850                         ; 0x100112
	.quad	1049105                         ; 0x100211
	.quad	1114128                         ; 0x110010
	.quad	1114130                         ; 0x110012
	.quad	1114385                         ; 0x110111
	.quad	1114640                         ; 0x110210
	.quad	1179665                         ; 0x120011
	.quad	1179920                         ; 0x120110
	.quad	1180177                         ; 0x120211
	.quad	17826065                        ; 0x1100111
	.quad	17826322                        ; 0x1100212
	;; [unrolled: 1-line block ×16, first 2 shown]
	.quad	1114145                         ; 0x110021
	.quad	1114400                         ; 0x110120
	;; [unrolled: 1-line block ×4, first 2 shown]
	.quad	17825824                        ; 0x1100020
	.quad	17826082                        ; 0x1100122
	;; [unrolled: 1-line block ×14, first 2 shown]
	.quad	1052673                         ; 0x101001
	.quad	1052930                         ; 0x101102
	;; [unrolled: 1-line block ×9, first 2 shown]
	.quad	17829889                        ; 0x1101001
	.quad	17830145                        ; 0x1101101
	;; [unrolled: 1-line block ×25, first 2 shown]
	.quad	1052690                         ; 0x101012
	.quad	1052945                         ; 0x101111
	;; [unrolled: 1-line block ×13, first 2 shown]
	.quad	17829905                        ; 0x1101011
	.quad	17830160                        ; 0x1101110
	.quad	17830161                        ; 0x1101111
	.quad	17830162                        ; 0x1101112
	.quad	17895441                        ; 0x1111011
	.quad	17895442                        ; 0x1111012
	.quad	17895696                        ; 0x1111110
	.quad	17895697                        ; 0x1111111
	.quad	17895698                        ; 0x1111112
	.quad	17895953                        ; 0x1111211
	.quad	17895954                        ; 0x1111212
	.quad	17960977                        ; 0x1121011
	.quad	17961232                        ; 0x1121110
	.quad	17961233                        ; 0x1121111
	.quad	17961234                        ; 0x1121112
	.quad	17961489                        ; 0x1121211
	.quad	34607120                        ; 0x2101010
	.quad	34607122                        ; 0x2101012
	.quad	34607376                        ; 0x2101110
	.quad	34607377                        ; 0x2101111
	.quad	34607632                        ; 0x2101210
	.quad	34607634                        ; 0x2101212
	.quad	34672656                        ; 0x2111010
	.quad	34672657                        ; 0x2111011
	.quad	34672912                        ; 0x2111110
	.quad	34672913                        ; 0x2111111
	.quad	34672914                        ; 0x2111112
	.quad	34673169                        ; 0x2111211
	.quad	34673170                        ; 0x2111212
	.quad	34738192                        ; 0x2121010
	.quad	34738194                        ; 0x2121012
	.quad	34738449                        ; 0x2121111
	.quad	1052705                         ; 0x101021
	.quad	1052960                         ; 0x101120
	;; [unrolled: 1-line block ×10, first 2 shown]
	.quad	17829920                        ; 0x1101020
	.quad	17829922                        ; 0x1101022
	;; [unrolled: 1-line block ×23, first 2 shown]
	.quad	1122305                         ; 0x112001
	.quad	1122562                         ; 0x112102
	;; [unrolled: 1-line block ×3, first 2 shown]
	.quad	17833985                        ; 0x1102001
	.quad	17834240                        ; 0x1102100
	;; [unrolled: 1-line block ×17, first 2 shown]
	.quad	1122320                         ; 0x112010
	.quad	1122322                         ; 0x112012
	;; [unrolled: 1-line block ×6, first 2 shown]
	.quad	17834002                        ; 0x1102012
	.quad	17834256                        ; 0x1102110
	;; [unrolled: 1-line block ×21, first 2 shown]
	.quad	1057313                         ; 0x102221
	.quad	1122594                         ; 0x112122
	;; [unrolled: 1-line block ×4, first 2 shown]
	.quad	17834272                        ; 0x1102120
	.quad	17834274                        ; 0x1102122
	.quad	17834529                        ; 0x1102221
	.quad	17899552                        ; 0x1112020
	.quad	17899554                        ; 0x1112022
	.quad	17899809                        ; 0x1112121
	.quad	17900064                        ; 0x1112220
	.quad	17965089                        ; 0x1122021
	.quad	17965346                        ; 0x1122122
	.quad	17965601                        ; 0x1122221
	.quad	34611489                        ; 0x2102121
	.quad	34676769                        ; 0x2112021
	.quad	34677026                        ; 0x2112122
	.quad	34677282                        ; 0x2112222
	.quad	2097152                         ; 0x200000
	.quad	2097154                         ; 0x200002
	;; [unrolled: 1-line block ×10, first 2 shown]
	.quad	18874625                        ; 0x1200101
	.quad	18939905                        ; 0x1210001
	;; [unrolled: 1-line block ×15, first 2 shown]
	.quad	2097425                         ; 0x200111
	.quad	2162705                         ; 0x210011
	;; [unrolled: 1-line block ×5, first 2 shown]
	.quad	18874386                        ; 0x1200012
	.quad	18874640                        ; 0x1200110
	;; [unrolled: 1-line block ×15, first 2 shown]
	.quad	2097185                         ; 0x200021
	.quad	2097696                         ; 0x200220
	.quad	2097698                         ; 0x200222
	.quad	2162721                         ; 0x210021
	.quad	2162977                         ; 0x210121
	.quad	2228256                         ; 0x220020
	.quad	2228258                         ; 0x220022
	.quad	2228768                         ; 0x220220
	.quad	2228770                         ; 0x220222
	.quad	18874657                        ; 0x1200121
	.quad	18939937                        ; 0x1210021
	;; [unrolled: 1-line block ×14, first 2 shown]
	.quad	2101505                         ; 0x201101
	.quad	2167040                         ; 0x211100
	;; [unrolled: 1-line block ×5, first 2 shown]
	.quad	18878720                        ; 0x1201100
	.quad	18878721                        ; 0x1201101
	;; [unrolled: 1-line block ×15, first 2 shown]
	.quad	2101777                         ; 0x201211
	.quad	2167057                         ; 0x211111
	;; [unrolled: 1-line block ×4, first 2 shown]
	.quad	18878480                        ; 0x1201010
	.quad	18878737                        ; 0x1201111
	;; [unrolled: 1-line block ×20, first 2 shown]
	.quad	2101537                         ; 0x201121
	.quad	2166816                         ; 0x211020
	;; [unrolled: 1-line block ×5, first 2 shown]
	.quad	18878497                        ; 0x1201021
	.quad	18879009                        ; 0x1201221
	;; [unrolled: 1-line block ×10, first 2 shown]
	.quad	2105344                         ; 0x202000
	.quad	2105346                         ; 0x202002
	;; [unrolled: 1-line block ×9, first 2 shown]
	.quad	18882817                        ; 0x1202101
	.quad	18948097                        ; 0x1212001
	;; [unrolled: 1-line block ×12, first 2 shown]
	.quad	2105873                         ; 0x202211
	.quad	2170897                         ; 0x212011
	;; [unrolled: 1-line block ×5, first 2 shown]
	.quad	18882834                        ; 0x1202112
	.quad	18883089                        ; 0x1202211
	;; [unrolled: 1-line block ×14, first 2 shown]
	.quad	2105376                         ; 0x202020
	.quad	2105378                         ; 0x202022
	;; [unrolled: 1-line block ×8, first 2 shown]
	.quad	18882849                        ; 0x1202121
	.quad	18948129                        ; 0x1212021
	;; [unrolled: 1-line block ×14, first 2 shown]
	.quad	268435713                       ; 0x10000101
	.quad	268500993                       ; 0x10010001
	;; [unrolled: 1-line block ×1419, first 2 shown]
	.size	_ZL13iq1s_grid_gpu, 16384

	.type	_ZL13kvalues_iq4nl,@object      ; @_ZL13kvalues_iq4nl
	.section	.rodata.cst16,"aM",@progbits,16
	.p2align	4, 0x0
_ZL13kvalues_iq4nl:
	.ascii	"\201\230\255\277\317\335\352\366\001\r\031&5EYq"
	.size	_ZL13kvalues_iq4nl, 16

	.type	_ZL10iq3xs_grid,@object         ; @_ZL10iq3xs_grid
	.section	.rodata,"a",@progbits
	.p2align	4, 0x0
_ZL10iq3xs_grid:
	.long	67372036                        ; 0x4040404
	.long	67372044                        ; 0x404040c
	.long	67372052                        ; 0x4040414
	.long	67372076                        ; 0x404042c
	.long	67372094                        ; 0x404043e
	.long	67374084                        ; 0x4040c04
	.long	67374092                        ; 0x4040c0c
	.long	67374100                        ; 0x4040c14
	.long	67374116                        ; 0x4040c24
	.long	67374132                        ; 0x4040c34
	.long	67376132                        ; 0x4041404
	.long	67376140                        ; 0x404140c
	.long	67376172                        ; 0x404142c
	.long	67378204                        ; 0x4041c1c
	.long	67380228                        ; 0x4042404
	.long	67380244                        ; 0x4042414
	.long	67380268                        ; 0x404242c
	.long	67380286                        ; 0x404243e
	.long	67382284                        ; 0x4042c0c
	.long	67382300                        ; 0x4042c1c
	.long	67384324                        ; 0x4043404
	.long	67384340                        ; 0x4043414
	.long	67386892                        ; 0x4043e0c
	.long	67386916                        ; 0x4043e24
	.long	67386942                        ; 0x4043e3e
	.long	67896324                        ; 0x40c0404
	.long	67896332                        ; 0x40c040c
	.long	67896340                        ; 0x40c0414
	.long	67896356                        ; 0x40c0424
	.long	67898372                        ; 0x40c0c04
	.long	67898380                        ; 0x40c0c0c
	.long	67898412                        ; 0x40c0c2c
	.long	67900420                        ; 0x40c1404
	.long	67900444                        ; 0x40c141c
	.long	67900478                        ; 0x40c143e
	.long	67902476                        ; 0x40c1c0c
	.long	67902508                        ; 0x40c1c2c
	.long	67904548                        ; 0x40c2424
	.long	67908620                        ; 0x40c340c
	.long	67908652                        ; 0x40c342c
	.long	67911188                        ; 0x40c3e14
	.long	68420612                        ; 0x4140404
	.long	68420620                        ; 0x414040c
	.long	68420652                        ; 0x414042c
	.long	68420670                        ; 0x414043e
	.long	68422660                        ; 0x4140c04
	.long	68422684                        ; 0x4140c1c
	.long	68422708                        ; 0x4140c34
	.long	68424716                        ; 0x414140c
	.long	68424748                        ; 0x414142c
	.long	68426756                        ; 0x4141c04
	.long	68426788                        ; 0x4141c24
	.long	68428820                        ; 0x4142414
	.long	68428844                        ; 0x414242c
	.long	68428862                        ; 0x414243e
	.long	68430860                        ; 0x4142c0c
	.long	68430876                        ; 0x4142c1c
	.long	68435460                        ; 0x4143e04
	.long	68435484                        ; 0x4143e1c
	.long	68944924                        ; 0x41c041c
	.long	68946956                        ; 0x41c0c0c
	.long	68946988                        ; 0x41c0c2c
	.long	68948996                        ; 0x41c1404
	.long	68949012                        ; 0x41c1414
	.long	68951052                        ; 0x41c1c0c
	.long	68951068                        ; 0x41c1c1c
	.long	68951092                        ; 0x41c1c34
	.long	68953124                        ; 0x41c2424
	.long	68955140                        ; 0x41c2c04
	.long	68955156                        ; 0x41c2c14
	.long	68957246                        ; 0x41c343e
	.long	68959756                        ; 0x41c3e0c
	.long	68959788                        ; 0x41c3e2c
	.long	69469188                        ; 0x4240404
	.long	69471260                        ; 0x4240c1c
	.long	69471294                        ; 0x4240c3e
	.long	69473292                        ; 0x424140c
	.long	69473316                        ; 0x4241424
	.long	69475348                        ; 0x4241c14
	.long	69477380                        ; 0x4242404
	.long	69477404                        ; 0x424241c
	.long	69479436                        ; 0x4242c0c
	.long	69484036                        ; 0x4243e04
	.long	69993492                        ; 0x42c0414
	.long	69993508                        ; 0x42c0424
	.long	69997572                        ; 0x42c1404
	.long	69997588                        ; 0x42c1414
	.long	69997620                        ; 0x42c1434
	.long	69999644                        ; 0x42c1c1c
	.long	70001676                        ; 0x42c240c
	.long	70001708                        ; 0x42c242c
	.long	70001726                        ; 0x42c243e
	.long	70005812                        ; 0x42c3434
	.long	70008348                        ; 0x42c3e1c
	.long	70517812                        ; 0x4340434
	.long	70519820                        ; 0x4340c0c
	.long	70519836                        ; 0x4340c1c
	.long	70523916                        ; 0x4341c0c
	.long	70528020                        ; 0x4342c14
	.long	70532620                        ; 0x4343e0c
	.long	71173124                        ; 0x43e0404
	.long	71173140                        ; 0x43e0414
	.long	71173156                        ; 0x43e0424
	.long	71177220                        ; 0x43e1404
	.long	71177236                        ; 0x43e1414
	.long	71177268                        ; 0x43e1434
	.long	71179292                        ; 0x43e1c1c
	.long	71183364                        ; 0x43e2c04
	.long	71183396                        ; 0x43e2c24
	.long	201589764                       ; 0xc040404
	.long	201589772                       ; 0xc04040c
	;; [unrolled: 1-line block ×368, first 2 shown]
	.long	1040450564                      ; 0x3e040404
	.long	1040450596                      ; 0x3e040424
	;; [unrolled: 1-line block ×35, first 2 shown]
	.size	_ZL10iq3xs_grid, 2048

	.type	_ZL9iq2s_grid,@object           ; @_ZL9iq2s_grid
	.p2align	4, 0x0
_ZL9iq2s_grid:
	.quad	578721382704613384              ; 0x808080808080808
	.quad	578721382704613419              ; 0x80808080808082b
	;; [unrolled: 1-line block ×471, first 2 shown]
	.quad	1803700481349388313             ; 0x1908080808080819
	.quad	1803700481349392648             ; 0x1908080808081908
	;; [unrolled: 1-line block ×553, first 2 shown]
	.size	_ZL9iq2s_grid, 8192

	.type	_ZL8ksigns64,@object            ; @_ZL8ksigns64
	.p2align	4, 0x0
_ZL8ksigns64:
	.quad	0                               ; 0x0
	.quad	-72057594037927681              ; 0xff000000000000ff
	.quad	-72057594037862656              ; 0xff0000000000ff00
	.quad	65535                           ; 0xffff
	.quad	-72057594021216256              ; 0xff00000000ff0000
	.quad	16711935                        ; 0xff00ff
	.quad	16776960                        ; 0xffff00
	.quad	-72057594021150721              ; 0xff00000000ffffff
	.quad	-72057589759737856              ; 0xff000000ff000000
	.quad	4278190335                      ; 0xff0000ff
	.quad	4278255360                      ; 0xff00ff00
	.quad	-72057589759672321              ; 0xff000000ff00ffff
	.quad	4294901760                      ; 0xffff0000
	.quad	-72057589743025921              ; 0xff000000ffff00ff
	.quad	-72057589742960896              ; 0xff000000ffffff00
	.quad	4294967295                      ; 0xffffffff
	.quad	-72056498821267456              ; 0xff0000ff00000000
	.quad	1095216660735                   ; 0xff000000ff
	.quad	1095216725760                   ; 0xff0000ff00
	.quad	-72056498821201921              ; 0xff0000ff0000ffff
	.quad	1095233372160                   ; 0xff00ff0000
	.quad	-72056498804555521              ; 0xff0000ff00ff00ff
	.quad	-72056498804490496              ; 0xff0000ff00ffff00
	.quad	1095233437695                   ; 0xff00ffffff
	.quad	1099494850560                   ; 0xffff000000
	.quad	-72056494543077121              ; 0xff0000ffff0000ff
	.quad	-72056494543012096              ; 0xff0000ffff00ff00
	.quad	1099494916095                   ; 0xffff00ffff
	.quad	-72056494526365696              ; 0xff0000ffffff0000
	.quad	1099511562495                   ; 0xffffff00ff
	.quad	1099511627520                   ; 0xffffffff00
	.quad	-72056494526300161              ; 0xff0000ffffffffff
	.quad	-71777218572845056              ; 0xff00ff0000000000
	.quad	280375465083135                 ; 0xff00000000ff
	.quad	280375465148160                 ; 0xff000000ff00
	.quad	-71777218572779521              ; 0xff00ff000000ffff
	.quad	280375481794560                 ; 0xff0000ff0000
	.quad	-71777218556133121              ; 0xff00ff0000ff00ff
	.quad	-71777218556068096              ; 0xff00ff0000ffff00
	.quad	280375481860095                 ; 0xff0000ffffff
	.quad	280379743272960                 ; 0xff00ff000000
	.quad	-71777214294654721              ; 0xff00ff00ff0000ff
	.quad	-71777214294589696              ; 0xff00ff00ff00ff00
	.quad	280379743338495                 ; 0xff00ff00ffff
	.quad	-71777214277943296              ; 0xff00ff00ffff0000
	.quad	280379759984895                 ; 0xff00ffff00ff
	.quad	280379760049920                 ; 0xff00ffffff00
	.quad	-71777214277877761              ; 0xff00ff00ffffffff
	.quad	281470681743360                 ; 0xffff00000000
	.quad	-71776123356184321              ; 0xff00ffff000000ff
	.quad	-71776123356119296              ; 0xff00ffff0000ff00
	.quad	281470681808895                 ; 0xffff0000ffff
	.quad	-71776123339472896              ; 0xff00ffff00ff0000
	.quad	281470698455295                 ; 0xffff00ff00ff
	.quad	281470698520320                 ; 0xffff00ffff00
	.quad	-71776123339407361              ; 0xff00ffff00ffffff
	.quad	-71776119077994496              ; 0xff00ffffff000000
	.quad	281474959933695                 ; 0xffffff0000ff
	.quad	281474959998720                 ; 0xffffff00ff00
	.quad	-71776119077928961              ; 0xff00ffffff00ffff
	.quad	281474976645120                 ; 0xffffffff0000
	.quad	-71776119061282561              ; 0xff00ffffffff00ff
	.quad	-71776119061217536              ; 0xff00ffffffffff00
	.quad	281474976710655                 ; 0xffffffffffff
	.quad	-281474976710656                ; 0xffff000000000000
	.quad	71776119061217535               ; 0xff0000000000ff
	.quad	71776119061282560               ; 0xff00000000ff00
	.quad	-281474976645121                ; 0xffff00000000ffff
	.quad	71776119077928960               ; 0xff000000ff0000
	.quad	-281474959998721                ; 0xffff000000ff00ff
	.quad	-281474959933696                ; 0xffff000000ffff00
	.quad	71776119077994495               ; 0xff000000ffffff
	.quad	71776123339407360               ; 0xff0000ff000000
	.quad	-281470698520321                ; 0xffff0000ff0000ff
	.quad	-281470698455296                ; 0xffff0000ff00ff00
	.quad	71776123339472895               ; 0xff0000ff00ffff
	.quad	-281470681808896                ; 0xffff0000ffff0000
	.quad	71776123356119295               ; 0xff0000ffff00ff
	.quad	71776123356184320               ; 0xff0000ffffff00
	.quad	-281470681743361                ; 0xffff0000ffffffff
	.quad	71777214277877760               ; 0xff00ff00000000
	.quad	-280379760049921                ; 0xffff00ff000000ff
	.quad	-280379759984896                ; 0xffff00ff0000ff00
	.quad	71777214277943295               ; 0xff00ff0000ffff
	.quad	-280379743338496                ; 0xffff00ff00ff0000
	.quad	71777214294589695               ; 0xff00ff00ff00ff
	.quad	71777214294654720               ; 0xff00ff00ffff00
	.quad	-280379743272961                ; 0xffff00ff00ffffff
	.quad	-280375481860096                ; 0xffff00ffff000000
	.quad	71777218556068095               ; 0xff00ffff0000ff
	.quad	71777218556133120               ; 0xff00ffff00ff00
	.quad	-280375481794561                ; 0xffff00ffff00ffff
	.quad	71777218572779520               ; 0xff00ffffff0000
	.quad	-280375465148161                ; 0xffff00ffffff00ff
	.quad	-280375465083136                ; 0xffff00ffffffff00
	.quad	71777218572845055               ; 0xff00ffffffffff
	.quad	72056494526300160               ; 0xffff0000000000
	.quad	-1099511627521                  ; 0xffffff00000000ff
	.quad	-1099511562496                  ; 0xffffff000000ff00
	.quad	72056494526365695               ; 0xffff000000ffff
	.quad	-1099494916096                  ; 0xffffff0000ff0000
	.quad	72056494543012095               ; 0xffff0000ff00ff
	.quad	72056494543077120               ; 0xffff0000ffff00
	.quad	-1099494850561                  ; 0xffffff0000ffffff
	.quad	-1095233437696                  ; 0xffffff00ff000000
	.quad	72056498804490495               ; 0xffff00ff0000ff
	.quad	72056498804555520               ; 0xffff00ff00ff00
	.quad	-1095233372161                  ; 0xffffff00ff00ffff
	.quad	72056498821201920               ; 0xffff00ffff0000
	.quad	-1095216725761                  ; 0xffffff00ffff00ff
	.quad	-1095216660736                  ; 0xffffff00ffffff00
	.quad	72056498821267455               ; 0xffff00ffffffff
	.quad	-4294967296                     ; 0xffffffff00000000
	.quad	72057589742960895               ; 0xffffff000000ff
	.quad	72057589743025920               ; 0xffffff0000ff00
	.quad	-4294901761                     ; 0xffffffff0000ffff
	.quad	72057589759672320               ; 0xffffff00ff0000
	.quad	-4278255361                     ; 0xffffffff00ff00ff
	.quad	-4278190336                     ; 0xffffffff00ffff00
	.quad	72057589759737855               ; 0xffffff00ffffff
	.quad	72057594021150720               ; 0xffffffff000000
	.quad	-16776961                       ; 0xffffffffff0000ff
	.quad	-16711936                       ; 0xffffffffff00ff00
	.quad	72057594021216255               ; 0xffffffff00ffff
	.quad	-65536                          ; 0xffffffffffff0000
	.quad	72057594037862655               ; 0xffffffffff00ff
	.quad	72057594037927680               ; 0xffffffffffff00
	.quad	-1                              ; 0xffffffffffffffff
	.size	_ZL8ksigns64, 1024

	.type	__hip_cuid_781a581e6b909da7,@object ; @__hip_cuid_781a581e6b909da7
	.section	.bss,"aw",@nobits
	.globl	__hip_cuid_781a581e6b909da7
__hip_cuid_781a581e6b909da7:
	.byte	0                               ; 0x0
	.size	__hip_cuid_781a581e6b909da7, 1

	.ident	"AMD clang version 19.0.0git (https://github.com/RadeonOpenCompute/llvm-project roc-6.4.0 25133 c7fe45cf4b819c5991fe208aaa96edf142730f1d)"
	.section	".note.GNU-stack","",@progbits
	.addrsig
	.addrsig_sym __hip_cuid_781a581e6b909da7
	.amdgpu_metadata
---
amdhsa.kernels:
  - .args:
      - .actual_access:  read_only
        .address_space:  global
        .offset:         0
        .size:           8
        .value_kind:     global_buffer
      - .actual_access:  write_only
        .address_space:  global
        .offset:         8
        .size:           8
        .value_kind:     global_buffer
      - .offset:         16
        .size:           8
        .value_kind:     by_value
      - .offset:         24
        .size:           4
        .value_kind:     hidden_block_count_x
      - .offset:         28
        .size:           4
        .value_kind:     hidden_block_count_y
      - .offset:         32
        .size:           4
        .value_kind:     hidden_block_count_z
      - .offset:         36
        .size:           2
        .value_kind:     hidden_group_size_x
      - .offset:         38
        .size:           2
        .value_kind:     hidden_group_size_y
      - .offset:         40
        .size:           2
        .value_kind:     hidden_group_size_z
      - .offset:         42
        .size:           2
        .value_kind:     hidden_remainder_x
      - .offset:         44
        .size:           2
        .value_kind:     hidden_remainder_y
      - .offset:         46
        .size:           2
        .value_kind:     hidden_remainder_z
      - .offset:         64
        .size:           8
        .value_kind:     hidden_global_offset_x
      - .offset:         72
        .size:           8
        .value_kind:     hidden_global_offset_y
      - .offset:         80
        .size:           8
        .value_kind:     hidden_global_offset_z
      - .offset:         88
        .size:           2
        .value_kind:     hidden_grid_dims
    .group_segment_fixed_size: 0
    .kernarg_segment_align: 8
    .kernarg_segment_size: 280
    .language:       OpenCL C
    .language_version:
      - 2
      - 0
    .max_flat_workgroup_size: 1024
    .name:           _ZL16dequantize_blockILi32ELi2EXadL_ZL15dequantize_q4_0PKviiR7__half2EEfEvS1_PT2_l
    .private_segment_fixed_size: 0
    .sgpr_count:     18
    .sgpr_spill_count: 0
    .symbol:         _ZL16dequantize_blockILi32ELi2EXadL_ZL15dequantize_q4_0PKviiR7__half2EEfEvS1_PT2_l.kd
    .uniform_work_group_size: 1
    .uses_dynamic_stack: false
    .vgpr_count:     6
    .vgpr_spill_count: 0
    .wavefront_size: 32
    .workgroup_processor_mode: 1
  - .args:
      - .actual_access:  read_only
        .address_space:  global
        .offset:         0
        .size:           8
        .value_kind:     global_buffer
      - .actual_access:  write_only
        .address_space:  global
        .offset:         8
        .size:           8
        .value_kind:     global_buffer
      - .offset:         16
        .size:           8
        .value_kind:     by_value
      - .offset:         24
        .size:           4
        .value_kind:     hidden_block_count_x
      - .offset:         28
        .size:           4
        .value_kind:     hidden_block_count_y
      - .offset:         32
        .size:           4
        .value_kind:     hidden_block_count_z
      - .offset:         36
        .size:           2
        .value_kind:     hidden_group_size_x
      - .offset:         38
        .size:           2
        .value_kind:     hidden_group_size_y
      - .offset:         40
        .size:           2
        .value_kind:     hidden_group_size_z
      - .offset:         42
        .size:           2
        .value_kind:     hidden_remainder_x
      - .offset:         44
        .size:           2
        .value_kind:     hidden_remainder_y
      - .offset:         46
        .size:           2
        .value_kind:     hidden_remainder_z
      - .offset:         64
        .size:           8
        .value_kind:     hidden_global_offset_x
      - .offset:         72
        .size:           8
        .value_kind:     hidden_global_offset_y
      - .offset:         80
        .size:           8
        .value_kind:     hidden_global_offset_z
      - .offset:         88
        .size:           2
        .value_kind:     hidden_grid_dims
    .group_segment_fixed_size: 0
    .kernarg_segment_align: 8
    .kernarg_segment_size: 280
    .language:       OpenCL C
    .language_version:
      - 2
      - 0
    .max_flat_workgroup_size: 1024
    .name:           _ZL16dequantize_blockILi32ELi2EXadL_ZL15dequantize_q4_1PKviiR7__half2EEfEvS1_PT2_l
    .private_segment_fixed_size: 0
    .sgpr_count:     18
    .sgpr_spill_count: 0
    .symbol:         _ZL16dequantize_blockILi32ELi2EXadL_ZL15dequantize_q4_1PKviiR7__half2EEfEvS1_PT2_l.kd
    .uniform_work_group_size: 1
    .uses_dynamic_stack: false
    .vgpr_count:     6
    .vgpr_spill_count: 0
    .wavefront_size: 32
    .workgroup_processor_mode: 1
  - .args:
      - .actual_access:  read_only
        .address_space:  global
        .offset:         0
        .size:           8
        .value_kind:     global_buffer
      - .actual_access:  write_only
        .address_space:  global
        .offset:         8
        .size:           8
        .value_kind:     global_buffer
      - .offset:         16
        .size:           8
        .value_kind:     by_value
      - .offset:         24
        .size:           4
        .value_kind:     hidden_block_count_x
      - .offset:         28
        .size:           4
        .value_kind:     hidden_block_count_y
      - .offset:         32
        .size:           4
        .value_kind:     hidden_block_count_z
      - .offset:         36
        .size:           2
        .value_kind:     hidden_group_size_x
      - .offset:         38
        .size:           2
        .value_kind:     hidden_group_size_y
      - .offset:         40
        .size:           2
        .value_kind:     hidden_group_size_z
      - .offset:         42
        .size:           2
        .value_kind:     hidden_remainder_x
      - .offset:         44
        .size:           2
        .value_kind:     hidden_remainder_y
      - .offset:         46
        .size:           2
        .value_kind:     hidden_remainder_z
      - .offset:         64
        .size:           8
        .value_kind:     hidden_global_offset_x
      - .offset:         72
        .size:           8
        .value_kind:     hidden_global_offset_y
      - .offset:         80
        .size:           8
        .value_kind:     hidden_global_offset_z
      - .offset:         88
        .size:           2
        .value_kind:     hidden_grid_dims
    .group_segment_fixed_size: 0
    .kernarg_segment_align: 8
    .kernarg_segment_size: 280
    .language:       OpenCL C
    .language_version:
      - 2
      - 0
    .max_flat_workgroup_size: 1024
    .name:           _ZL16dequantize_blockILi32ELi2EXadL_ZL15dequantize_q5_0PKviiR7__half2EEfEvS1_PT2_l
    .private_segment_fixed_size: 0
    .sgpr_count:     18
    .sgpr_spill_count: 0
    .symbol:         _ZL16dequantize_blockILi32ELi2EXadL_ZL15dequantize_q5_0PKviiR7__half2EEfEvS1_PT2_l.kd
    .uniform_work_group_size: 1
    .uses_dynamic_stack: false
    .vgpr_count:     8
    .vgpr_spill_count: 0
    .wavefront_size: 32
    .workgroup_processor_mode: 1
  - .args:
      - .actual_access:  read_only
        .address_space:  global
        .offset:         0
        .size:           8
        .value_kind:     global_buffer
      - .actual_access:  write_only
        .address_space:  global
        .offset:         8
        .size:           8
        .value_kind:     global_buffer
      - .offset:         16
        .size:           8
        .value_kind:     by_value
      - .offset:         24
        .size:           4
        .value_kind:     hidden_block_count_x
      - .offset:         28
        .size:           4
        .value_kind:     hidden_block_count_y
      - .offset:         32
        .size:           4
        .value_kind:     hidden_block_count_z
      - .offset:         36
        .size:           2
        .value_kind:     hidden_group_size_x
      - .offset:         38
        .size:           2
        .value_kind:     hidden_group_size_y
      - .offset:         40
        .size:           2
        .value_kind:     hidden_group_size_z
      - .offset:         42
        .size:           2
        .value_kind:     hidden_remainder_x
      - .offset:         44
        .size:           2
        .value_kind:     hidden_remainder_y
      - .offset:         46
        .size:           2
        .value_kind:     hidden_remainder_z
      - .offset:         64
        .size:           8
        .value_kind:     hidden_global_offset_x
      - .offset:         72
        .size:           8
        .value_kind:     hidden_global_offset_y
      - .offset:         80
        .size:           8
        .value_kind:     hidden_global_offset_z
      - .offset:         88
        .size:           2
        .value_kind:     hidden_grid_dims
    .group_segment_fixed_size: 0
    .kernarg_segment_align: 8
    .kernarg_segment_size: 280
    .language:       OpenCL C
    .language_version:
      - 2
      - 0
    .max_flat_workgroup_size: 1024
    .name:           _ZL16dequantize_blockILi32ELi2EXadL_ZL15dequantize_q5_1PKviiR7__half2EEfEvS1_PT2_l
    .private_segment_fixed_size: 0
    .sgpr_count:     18
    .sgpr_spill_count: 0
    .symbol:         _ZL16dequantize_blockILi32ELi2EXadL_ZL15dequantize_q5_1PKviiR7__half2EEfEvS1_PT2_l.kd
    .uniform_work_group_size: 1
    .uses_dynamic_stack: false
    .vgpr_count:     8
    .vgpr_spill_count: 0
    .wavefront_size: 32
    .workgroup_processor_mode: 1
  - .args:
      - .actual_access:  read_only
        .address_space:  global
        .offset:         0
        .size:           8
        .value_kind:     global_buffer
      - .actual_access:  write_only
        .address_space:  global
        .offset:         8
        .size:           8
        .value_kind:     global_buffer
      - .offset:         16
        .size:           8
        .value_kind:     by_value
      - .offset:         24
        .size:           4
        .value_kind:     hidden_block_count_x
      - .offset:         28
        .size:           4
        .value_kind:     hidden_block_count_y
      - .offset:         32
        .size:           4
        .value_kind:     hidden_block_count_z
      - .offset:         36
        .size:           2
        .value_kind:     hidden_group_size_x
      - .offset:         38
        .size:           2
        .value_kind:     hidden_group_size_y
      - .offset:         40
        .size:           2
        .value_kind:     hidden_group_size_z
      - .offset:         42
        .size:           2
        .value_kind:     hidden_remainder_x
      - .offset:         44
        .size:           2
        .value_kind:     hidden_remainder_y
      - .offset:         46
        .size:           2
        .value_kind:     hidden_remainder_z
      - .offset:         64
        .size:           8
        .value_kind:     hidden_global_offset_x
      - .offset:         72
        .size:           8
        .value_kind:     hidden_global_offset_y
      - .offset:         80
        .size:           8
        .value_kind:     hidden_global_offset_z
      - .offset:         88
        .size:           2
        .value_kind:     hidden_grid_dims
    .group_segment_fixed_size: 0
    .kernarg_segment_align: 8
    .kernarg_segment_size: 280
    .language:       OpenCL C
    .language_version:
      - 2
      - 0
    .max_flat_workgroup_size: 1024
    .name:           _ZL16dequantize_blockILi32ELi1EXadL_ZL15dequantize_q8_0PKviiR7__half2EEfEvS1_PT2_l
    .private_segment_fixed_size: 0
    .sgpr_count:     18
    .sgpr_spill_count: 0
    .symbol:         _ZL16dequantize_blockILi32ELi1EXadL_ZL15dequantize_q8_0PKviiR7__half2EEfEvS1_PT2_l.kd
    .uniform_work_group_size: 1
    .uses_dynamic_stack: false
    .vgpr_count:     7
    .vgpr_spill_count: 0
    .wavefront_size: 32
    .workgroup_processor_mode: 1
  - .args:
      - .actual_access:  read_only
        .address_space:  global
        .offset:         0
        .size:           8
        .value_kind:     global_buffer
      - .actual_access:  write_only
        .address_space:  global
        .offset:         8
        .size:           8
        .value_kind:     global_buffer
    .group_segment_fixed_size: 0
    .kernarg_segment_align: 8
    .kernarg_segment_size: 16
    .language:       OpenCL C
    .language_version:
      - 2
      - 0
    .max_flat_workgroup_size: 1024
    .name:           _ZL21dequantize_block_q2_KIfEvPKvPT_
    .private_segment_fixed_size: 0
    .sgpr_count:     18
    .sgpr_spill_count: 0
    .symbol:         _ZL21dequantize_block_q2_KIfEvPKvPT_.kd
    .uniform_work_group_size: 1
    .uses_dynamic_stack: false
    .vgpr_count:     14
    .vgpr_spill_count: 0
    .wavefront_size: 32
    .workgroup_processor_mode: 1
  - .args:
      - .actual_access:  read_only
        .address_space:  global
        .offset:         0
        .size:           8
        .value_kind:     global_buffer
      - .actual_access:  write_only
        .address_space:  global
        .offset:         8
        .size:           8
        .value_kind:     global_buffer
    .group_segment_fixed_size: 0
    .kernarg_segment_align: 8
    .kernarg_segment_size: 16
    .language:       OpenCL C
    .language_version:
      - 2
      - 0
    .max_flat_workgroup_size: 1024
    .name:           _ZL21dequantize_block_q3_KIfEvPKvPT_
    .private_segment_fixed_size: 0
    .sgpr_count:     18
    .sgpr_spill_count: 0
    .symbol:         _ZL21dequantize_block_q3_KIfEvPKvPT_.kd
    .uniform_work_group_size: 1
    .uses_dynamic_stack: false
    .vgpr_count:     17
    .vgpr_spill_count: 0
    .wavefront_size: 32
    .workgroup_processor_mode: 1
  - .args:
      - .actual_access:  read_only
        .address_space:  global
        .offset:         0
        .size:           8
        .value_kind:     global_buffer
      - .actual_access:  write_only
        .address_space:  global
        .offset:         8
        .size:           8
        .value_kind:     global_buffer
    .group_segment_fixed_size: 0
    .kernarg_segment_align: 8
    .kernarg_segment_size: 16
    .language:       OpenCL C
    .language_version:
      - 2
      - 0
    .max_flat_workgroup_size: 1024
    .name:           _ZL21dequantize_block_q4_KIfEvPKvPT_
    .private_segment_fixed_size: 0
    .sgpr_count:     18
    .sgpr_spill_count: 0
    .symbol:         _ZL21dequantize_block_q4_KIfEvPKvPT_.kd
    .uniform_work_group_size: 1
    .uses_dynamic_stack: false
    .vgpr_count:     15
    .vgpr_spill_count: 0
    .wavefront_size: 32
    .workgroup_processor_mode: 1
  - .args:
      - .actual_access:  read_only
        .address_space:  global
        .offset:         0
        .size:           8
        .value_kind:     global_buffer
      - .actual_access:  write_only
        .address_space:  global
        .offset:         8
        .size:           8
        .value_kind:     global_buffer
    .group_segment_fixed_size: 0
    .kernarg_segment_align: 8
    .kernarg_segment_size: 16
    .language:       OpenCL C
    .language_version:
      - 2
      - 0
    .max_flat_workgroup_size: 1024
    .name:           _ZL21dequantize_block_q5_KIfEvPKvPT_
    .private_segment_fixed_size: 0
    .sgpr_count:     18
    .sgpr_spill_count: 0
    .symbol:         _ZL21dequantize_block_q5_KIfEvPKvPT_.kd
    .uniform_work_group_size: 1
    .uses_dynamic_stack: false
    .vgpr_count:     16
    .vgpr_spill_count: 0
    .wavefront_size: 32
    .workgroup_processor_mode: 1
  - .args:
      - .actual_access:  read_only
        .address_space:  global
        .offset:         0
        .size:           8
        .value_kind:     global_buffer
      - .actual_access:  write_only
        .address_space:  global
        .offset:         8
        .size:           8
        .value_kind:     global_buffer
    .group_segment_fixed_size: 0
    .kernarg_segment_align: 8
    .kernarg_segment_size: 16
    .language:       OpenCL C
    .language_version:
      - 2
      - 0
    .max_flat_workgroup_size: 1024
    .name:           _ZL21dequantize_block_q6_KIfEvPKvPT_
    .private_segment_fixed_size: 0
    .sgpr_count:     18
    .sgpr_spill_count: 0
    .symbol:         _ZL21dequantize_block_q6_KIfEvPKvPT_.kd
    .uniform_work_group_size: 1
    .uses_dynamic_stack: false
    .vgpr_count:     15
    .vgpr_spill_count: 0
    .wavefront_size: 32
    .workgroup_processor_mode: 1
  - .args:
      - .actual_access:  read_only
        .address_space:  global
        .offset:         0
        .size:           8
        .value_kind:     global_buffer
      - .actual_access:  write_only
        .address_space:  global
        .offset:         8
        .size:           8
        .value_kind:     global_buffer
    .group_segment_fixed_size: 0
    .kernarg_segment_align: 8
    .kernarg_segment_size: 16
    .language:       OpenCL C
    .language_version:
      - 2
      - 0
    .max_flat_workgroup_size: 1024
    .name:           _ZL24dequantize_block_iq2_xxsIfEvPKvPT_
    .private_segment_fixed_size: 0
    .sgpr_count:     18
    .sgpr_spill_count: 0
    .symbol:         _ZL24dequantize_block_iq2_xxsIfEvPKvPT_.kd
    .uniform_work_group_size: 1
    .uses_dynamic_stack: false
    .vgpr_count:     21
    .vgpr_spill_count: 0
    .wavefront_size: 32
    .workgroup_processor_mode: 1
  - .args:
      - .actual_access:  read_only
        .address_space:  global
        .offset:         0
        .size:           8
        .value_kind:     global_buffer
      - .actual_access:  write_only
        .address_space:  global
        .offset:         8
        .size:           8
        .value_kind:     global_buffer
    .group_segment_fixed_size: 0
    .kernarg_segment_align: 8
    .kernarg_segment_size: 16
    .language:       OpenCL C
    .language_version:
      - 2
      - 0
    .max_flat_workgroup_size: 1024
    .name:           _ZL23dequantize_block_iq2_xsIfEvPKvPT_
    .private_segment_fixed_size: 0
    .sgpr_count:     18
    .sgpr_spill_count: 0
    .symbol:         _ZL23dequantize_block_iq2_xsIfEvPKvPT_.kd
    .uniform_work_group_size: 1
    .uses_dynamic_stack: false
    .vgpr_count:     20
    .vgpr_spill_count: 0
    .wavefront_size: 32
    .workgroup_processor_mode: 1
  - .args:
      - .actual_access:  read_only
        .address_space:  global
        .offset:         0
        .size:           8
        .value_kind:     global_buffer
      - .actual_access:  write_only
        .address_space:  global
        .offset:         8
        .size:           8
        .value_kind:     global_buffer
    .group_segment_fixed_size: 0
    .kernarg_segment_align: 8
    .kernarg_segment_size: 16
    .language:       OpenCL C
    .language_version:
      - 2
      - 0
    .max_flat_workgroup_size: 1024
    .name:           _ZL24dequantize_block_iq3_xxsIfEvPKvPT_
    .private_segment_fixed_size: 0
    .sgpr_count:     18
    .sgpr_spill_count: 0
    .symbol:         _ZL24dequantize_block_iq3_xxsIfEvPKvPT_.kd
    .uniform_work_group_size: 1
    .uses_dynamic_stack: false
    .vgpr_count:     20
    .vgpr_spill_count: 0
    .wavefront_size: 32
    .workgroup_processor_mode: 1
  - .args:
      - .actual_access:  read_only
        .address_space:  global
        .offset:         0
        .size:           8
        .value_kind:     global_buffer
      - .actual_access:  write_only
        .address_space:  global
        .offset:         8
        .size:           8
        .value_kind:     global_buffer
    .group_segment_fixed_size: 0
    .kernarg_segment_align: 8
    .kernarg_segment_size: 16
    .language:       OpenCL C
    .language_version:
      - 2
      - 0
    .max_flat_workgroup_size: 1024
    .name:           _ZL22dequantize_block_iq1_sIfEvPKvPT_
    .private_segment_fixed_size: 0
    .sgpr_count:     18
    .sgpr_spill_count: 0
    .symbol:         _ZL22dequantize_block_iq1_sIfEvPKvPT_.kd
    .uniform_work_group_size: 1
    .uses_dynamic_stack: false
    .vgpr_count:     14
    .vgpr_spill_count: 0
    .wavefront_size: 32
    .workgroup_processor_mode: 1
  - .args:
      - .actual_access:  read_only
        .address_space:  global
        .offset:         0
        .size:           8
        .value_kind:     global_buffer
      - .actual_access:  write_only
        .address_space:  global
        .offset:         8
        .size:           8
        .value_kind:     global_buffer
    .group_segment_fixed_size: 0
    .kernarg_segment_align: 8
    .kernarg_segment_size: 16
    .language:       OpenCL C
    .language_version:
      - 2
      - 0
    .max_flat_workgroup_size: 1024
    .name:           _ZL23dequantize_block_iq4_nlIfEvPKvPT_
    .private_segment_fixed_size: 0
    .sgpr_count:     18
    .sgpr_spill_count: 0
    .symbol:         _ZL23dequantize_block_iq4_nlIfEvPKvPT_.kd
    .uniform_work_group_size: 1
    .uses_dynamic_stack: false
    .vgpr_count:     16
    .vgpr_spill_count: 0
    .wavefront_size: 32
    .workgroup_processor_mode: 1
  - .args:
      - .actual_access:  read_only
        .address_space:  global
        .offset:         0
        .size:           8
        .value_kind:     global_buffer
      - .actual_access:  write_only
        .address_space:  global
        .offset:         8
        .size:           8
        .value_kind:     global_buffer
    .group_segment_fixed_size: 0
    .kernarg_segment_align: 8
    .kernarg_segment_size: 16
    .language:       OpenCL C
    .language_version:
      - 2
      - 0
    .max_flat_workgroup_size: 1024
    .name:           _ZL22dequantize_block_iq3_sIfEvPKvPT_
    .private_segment_fixed_size: 0
    .sgpr_count:     18
    .sgpr_spill_count: 0
    .symbol:         _ZL22dequantize_block_iq3_sIfEvPKvPT_.kd
    .uniform_work_group_size: 1
    .uses_dynamic_stack: false
    .vgpr_count:     20
    .vgpr_spill_count: 0
    .wavefront_size: 32
    .workgroup_processor_mode: 1
  - .args:
      - .actual_access:  read_only
        .address_space:  global
        .offset:         0
        .size:           8
        .value_kind:     global_buffer
      - .actual_access:  write_only
        .address_space:  global
        .offset:         8
        .size:           8
        .value_kind:     global_buffer
    .group_segment_fixed_size: 0
    .kernarg_segment_align: 8
    .kernarg_segment_size: 16
    .language:       OpenCL C
    .language_version:
      - 2
      - 0
    .max_flat_workgroup_size: 1024
    .name:           _ZL22dequantize_block_iq2_sIfEvPKvPT_
    .private_segment_fixed_size: 0
    .sgpr_count:     18
    .sgpr_spill_count: 0
    .symbol:         _ZL22dequantize_block_iq2_sIfEvPKvPT_.kd
    .uniform_work_group_size: 1
    .uses_dynamic_stack: false
    .vgpr_count:     21
    .vgpr_spill_count: 0
    .wavefront_size: 32
    .workgroup_processor_mode: 1
  - .args:
      - .actual_access:  read_only
        .address_space:  global
        .offset:         0
        .size:           8
        .value_kind:     global_buffer
      - .actual_access:  write_only
        .address_space:  global
        .offset:         8
        .size:           8
        .value_kind:     global_buffer
    .group_segment_fixed_size: 0
    .kernarg_segment_align: 8
    .kernarg_segment_size: 16
    .language:       OpenCL C
    .language_version:
      - 2
      - 0
    .max_flat_workgroup_size: 1024
    .name:           _ZL23dequantize_block_iq4_xsIfEvPKvPT_
    .private_segment_fixed_size: 0
    .sgpr_count:     18
    .sgpr_spill_count: 0
    .symbol:         _ZL23dequantize_block_iq4_xsIfEvPKvPT_.kd
    .uniform_work_group_size: 1
    .uses_dynamic_stack: false
    .vgpr_count:     15
    .vgpr_spill_count: 0
    .wavefront_size: 32
    .workgroup_processor_mode: 1
  - .args:
      - .actual_access:  read_only
        .address_space:  global
        .offset:         0
        .size:           8
        .value_kind:     global_buffer
      - .actual_access:  write_only
        .address_space:  global
        .offset:         8
        .size:           8
        .value_kind:     global_buffer
    .group_segment_fixed_size: 0
    .kernarg_segment_align: 8
    .kernarg_segment_size: 16
    .language:       OpenCL C
    .language_version:
      - 2
      - 0
    .max_flat_workgroup_size: 1024
    .name:           _ZL22dequantize_block_iq1_mIfEvPKvPT_
    .private_segment_fixed_size: 0
    .sgpr_count:     18
    .sgpr_spill_count: 0
    .symbol:         _ZL22dequantize_block_iq1_mIfEvPKvPT_.kd
    .uniform_work_group_size: 1
    .uses_dynamic_stack: false
    .vgpr_count:     14
    .vgpr_spill_count: 0
    .wavefront_size: 32
    .workgroup_processor_mode: 1
  - .args:
      - .actual_access:  read_only
        .address_space:  global
        .offset:         0
        .size:           8
        .value_kind:     global_buffer
      - .actual_access:  write_only
        .address_space:  global
        .offset:         8
        .size:           8
        .value_kind:     global_buffer
      - .offset:         16
        .size:           8
        .value_kind:     by_value
      - .offset:         24
        .size:           4
        .value_kind:     hidden_block_count_x
      - .offset:         28
        .size:           4
        .value_kind:     hidden_block_count_y
      - .offset:         32
        .size:           4
        .value_kind:     hidden_block_count_z
      - .offset:         36
        .size:           2
        .value_kind:     hidden_group_size_x
      - .offset:         38
        .size:           2
        .value_kind:     hidden_group_size_y
      - .offset:         40
        .size:           2
        .value_kind:     hidden_group_size_z
      - .offset:         42
        .size:           2
        .value_kind:     hidden_remainder_x
      - .offset:         44
        .size:           2
        .value_kind:     hidden_remainder_y
      - .offset:         46
        .size:           2
        .value_kind:     hidden_remainder_z
      - .offset:         64
        .size:           8
        .value_kind:     hidden_global_offset_x
      - .offset:         72
        .size:           8
        .value_kind:     hidden_global_offset_y
      - .offset:         80
        .size:           8
        .value_kind:     hidden_global_offset_z
      - .offset:         88
        .size:           2
        .value_kind:     hidden_grid_dims
    .group_segment_fixed_size: 0
    .kernarg_segment_align: 8
    .kernarg_segment_size: 280
    .language:       OpenCL C
    .language_version:
      - 2
      - 0
    .max_flat_workgroup_size: 1024
    .name:           _ZL16dequantize_blockILi32ELi2EXadL_ZL15dequantize_q4_0PKviiR7__half2EEN3c104HalfEEvS1_PT2_l
    .private_segment_fixed_size: 0
    .sgpr_count:     18
    .sgpr_spill_count: 0
    .symbol:         _ZL16dequantize_blockILi32ELi2EXadL_ZL15dequantize_q4_0PKviiR7__half2EEN3c104HalfEEvS1_PT2_l.kd
    .uniform_work_group_size: 1
    .uses_dynamic_stack: false
    .vgpr_count:     6
    .vgpr_spill_count: 0
    .wavefront_size: 32
    .workgroup_processor_mode: 1
  - .args:
      - .actual_access:  read_only
        .address_space:  global
        .offset:         0
        .size:           8
        .value_kind:     global_buffer
      - .actual_access:  write_only
        .address_space:  global
        .offset:         8
        .size:           8
        .value_kind:     global_buffer
      - .offset:         16
        .size:           8
        .value_kind:     by_value
      - .offset:         24
        .size:           4
        .value_kind:     hidden_block_count_x
      - .offset:         28
        .size:           4
        .value_kind:     hidden_block_count_y
      - .offset:         32
        .size:           4
        .value_kind:     hidden_block_count_z
      - .offset:         36
        .size:           2
        .value_kind:     hidden_group_size_x
      - .offset:         38
        .size:           2
        .value_kind:     hidden_group_size_y
      - .offset:         40
        .size:           2
        .value_kind:     hidden_group_size_z
      - .offset:         42
        .size:           2
        .value_kind:     hidden_remainder_x
      - .offset:         44
        .size:           2
        .value_kind:     hidden_remainder_y
      - .offset:         46
        .size:           2
        .value_kind:     hidden_remainder_z
      - .offset:         64
        .size:           8
        .value_kind:     hidden_global_offset_x
      - .offset:         72
        .size:           8
        .value_kind:     hidden_global_offset_y
      - .offset:         80
        .size:           8
        .value_kind:     hidden_global_offset_z
      - .offset:         88
        .size:           2
        .value_kind:     hidden_grid_dims
    .group_segment_fixed_size: 0
    .kernarg_segment_align: 8
    .kernarg_segment_size: 280
    .language:       OpenCL C
    .language_version:
      - 2
      - 0
    .max_flat_workgroup_size: 1024
    .name:           _ZL16dequantize_blockILi32ELi2EXadL_ZL15dequantize_q4_1PKviiR7__half2EEN3c104HalfEEvS1_PT2_l
    .private_segment_fixed_size: 0
    .sgpr_count:     18
    .sgpr_spill_count: 0
    .symbol:         _ZL16dequantize_blockILi32ELi2EXadL_ZL15dequantize_q4_1PKviiR7__half2EEN3c104HalfEEvS1_PT2_l.kd
    .uniform_work_group_size: 1
    .uses_dynamic_stack: false
    .vgpr_count:     6
    .vgpr_spill_count: 0
    .wavefront_size: 32
    .workgroup_processor_mode: 1
  - .args:
      - .actual_access:  read_only
        .address_space:  global
        .offset:         0
        .size:           8
        .value_kind:     global_buffer
      - .actual_access:  write_only
        .address_space:  global
        .offset:         8
        .size:           8
        .value_kind:     global_buffer
      - .offset:         16
        .size:           8
        .value_kind:     by_value
      - .offset:         24
        .size:           4
        .value_kind:     hidden_block_count_x
      - .offset:         28
        .size:           4
        .value_kind:     hidden_block_count_y
      - .offset:         32
        .size:           4
        .value_kind:     hidden_block_count_z
      - .offset:         36
        .size:           2
        .value_kind:     hidden_group_size_x
      - .offset:         38
        .size:           2
        .value_kind:     hidden_group_size_y
      - .offset:         40
        .size:           2
        .value_kind:     hidden_group_size_z
      - .offset:         42
        .size:           2
        .value_kind:     hidden_remainder_x
      - .offset:         44
        .size:           2
        .value_kind:     hidden_remainder_y
      - .offset:         46
        .size:           2
        .value_kind:     hidden_remainder_z
      - .offset:         64
        .size:           8
        .value_kind:     hidden_global_offset_x
      - .offset:         72
        .size:           8
        .value_kind:     hidden_global_offset_y
      - .offset:         80
        .size:           8
        .value_kind:     hidden_global_offset_z
      - .offset:         88
        .size:           2
        .value_kind:     hidden_grid_dims
    .group_segment_fixed_size: 0
    .kernarg_segment_align: 8
    .kernarg_segment_size: 280
    .language:       OpenCL C
    .language_version:
      - 2
      - 0
    .max_flat_workgroup_size: 1024
    .name:           _ZL16dequantize_blockILi32ELi2EXadL_ZL15dequantize_q5_0PKviiR7__half2EEN3c104HalfEEvS1_PT2_l
    .private_segment_fixed_size: 0
    .sgpr_count:     18
    .sgpr_spill_count: 0
    .symbol:         _ZL16dequantize_blockILi32ELi2EXadL_ZL15dequantize_q5_0PKviiR7__half2EEN3c104HalfEEvS1_PT2_l.kd
    .uniform_work_group_size: 1
    .uses_dynamic_stack: false
    .vgpr_count:     8
    .vgpr_spill_count: 0
    .wavefront_size: 32
    .workgroup_processor_mode: 1
  - .args:
      - .actual_access:  read_only
        .address_space:  global
        .offset:         0
        .size:           8
        .value_kind:     global_buffer
      - .actual_access:  write_only
        .address_space:  global
        .offset:         8
        .size:           8
        .value_kind:     global_buffer
      - .offset:         16
        .size:           8
        .value_kind:     by_value
      - .offset:         24
        .size:           4
        .value_kind:     hidden_block_count_x
      - .offset:         28
        .size:           4
        .value_kind:     hidden_block_count_y
      - .offset:         32
        .size:           4
        .value_kind:     hidden_block_count_z
      - .offset:         36
        .size:           2
        .value_kind:     hidden_group_size_x
      - .offset:         38
        .size:           2
        .value_kind:     hidden_group_size_y
      - .offset:         40
        .size:           2
        .value_kind:     hidden_group_size_z
      - .offset:         42
        .size:           2
        .value_kind:     hidden_remainder_x
      - .offset:         44
        .size:           2
        .value_kind:     hidden_remainder_y
      - .offset:         46
        .size:           2
        .value_kind:     hidden_remainder_z
      - .offset:         64
        .size:           8
        .value_kind:     hidden_global_offset_x
      - .offset:         72
        .size:           8
        .value_kind:     hidden_global_offset_y
      - .offset:         80
        .size:           8
        .value_kind:     hidden_global_offset_z
      - .offset:         88
        .size:           2
        .value_kind:     hidden_grid_dims
    .group_segment_fixed_size: 0
    .kernarg_segment_align: 8
    .kernarg_segment_size: 280
    .language:       OpenCL C
    .language_version:
      - 2
      - 0
    .max_flat_workgroup_size: 1024
    .name:           _ZL16dequantize_blockILi32ELi2EXadL_ZL15dequantize_q5_1PKviiR7__half2EEN3c104HalfEEvS1_PT2_l
    .private_segment_fixed_size: 0
    .sgpr_count:     18
    .sgpr_spill_count: 0
    .symbol:         _ZL16dequantize_blockILi32ELi2EXadL_ZL15dequantize_q5_1PKviiR7__half2EEN3c104HalfEEvS1_PT2_l.kd
    .uniform_work_group_size: 1
    .uses_dynamic_stack: false
    .vgpr_count:     8
    .vgpr_spill_count: 0
    .wavefront_size: 32
    .workgroup_processor_mode: 1
  - .args:
      - .actual_access:  read_only
        .address_space:  global
        .offset:         0
        .size:           8
        .value_kind:     global_buffer
      - .actual_access:  write_only
        .address_space:  global
        .offset:         8
        .size:           8
        .value_kind:     global_buffer
      - .offset:         16
        .size:           8
        .value_kind:     by_value
      - .offset:         24
        .size:           4
        .value_kind:     hidden_block_count_x
      - .offset:         28
        .size:           4
        .value_kind:     hidden_block_count_y
      - .offset:         32
        .size:           4
        .value_kind:     hidden_block_count_z
      - .offset:         36
        .size:           2
        .value_kind:     hidden_group_size_x
      - .offset:         38
        .size:           2
        .value_kind:     hidden_group_size_y
      - .offset:         40
        .size:           2
        .value_kind:     hidden_group_size_z
      - .offset:         42
        .size:           2
        .value_kind:     hidden_remainder_x
      - .offset:         44
        .size:           2
        .value_kind:     hidden_remainder_y
      - .offset:         46
        .size:           2
        .value_kind:     hidden_remainder_z
      - .offset:         64
        .size:           8
        .value_kind:     hidden_global_offset_x
      - .offset:         72
        .size:           8
        .value_kind:     hidden_global_offset_y
      - .offset:         80
        .size:           8
        .value_kind:     hidden_global_offset_z
      - .offset:         88
        .size:           2
        .value_kind:     hidden_grid_dims
    .group_segment_fixed_size: 0
    .kernarg_segment_align: 8
    .kernarg_segment_size: 280
    .language:       OpenCL C
    .language_version:
      - 2
      - 0
    .max_flat_workgroup_size: 1024
    .name:           _ZL16dequantize_blockILi32ELi1EXadL_ZL15dequantize_q8_0PKviiR7__half2EEN3c104HalfEEvS1_PT2_l
    .private_segment_fixed_size: 0
    .sgpr_count:     18
    .sgpr_spill_count: 0
    .symbol:         _ZL16dequantize_blockILi32ELi1EXadL_ZL15dequantize_q8_0PKviiR7__half2EEN3c104HalfEEvS1_PT2_l.kd
    .uniform_work_group_size: 1
    .uses_dynamic_stack: false
    .vgpr_count:     7
    .vgpr_spill_count: 0
    .wavefront_size: 32
    .workgroup_processor_mode: 1
  - .args:
      - .actual_access:  read_only
        .address_space:  global
        .offset:         0
        .size:           8
        .value_kind:     global_buffer
      - .actual_access:  write_only
        .address_space:  global
        .offset:         8
        .size:           8
        .value_kind:     global_buffer
    .group_segment_fixed_size: 0
    .kernarg_segment_align: 8
    .kernarg_segment_size: 16
    .language:       OpenCL C
    .language_version:
      - 2
      - 0
    .max_flat_workgroup_size: 1024
    .name:           _ZL21dequantize_block_q2_KIN3c104HalfEEvPKvPT_
    .private_segment_fixed_size: 0
    .sgpr_count:     18
    .sgpr_spill_count: 0
    .symbol:         _ZL21dequantize_block_q2_KIN3c104HalfEEvPKvPT_.kd
    .uniform_work_group_size: 1
    .uses_dynamic_stack: false
    .vgpr_count:     15
    .vgpr_spill_count: 0
    .wavefront_size: 32
    .workgroup_processor_mode: 1
  - .args:
      - .actual_access:  read_only
        .address_space:  global
        .offset:         0
        .size:           8
        .value_kind:     global_buffer
      - .actual_access:  write_only
        .address_space:  global
        .offset:         8
        .size:           8
        .value_kind:     global_buffer
    .group_segment_fixed_size: 0
    .kernarg_segment_align: 8
    .kernarg_segment_size: 16
    .language:       OpenCL C
    .language_version:
      - 2
      - 0
    .max_flat_workgroup_size: 1024
    .name:           _ZL21dequantize_block_q3_KIN3c104HalfEEvPKvPT_
    .private_segment_fixed_size: 0
    .sgpr_count:     18
    .sgpr_spill_count: 0
    .symbol:         _ZL21dequantize_block_q3_KIN3c104HalfEEvPKvPT_.kd
    .uniform_work_group_size: 1
    .uses_dynamic_stack: false
    .vgpr_count:     17
    .vgpr_spill_count: 0
    .wavefront_size: 32
    .workgroup_processor_mode: 1
  - .args:
      - .actual_access:  read_only
        .address_space:  global
        .offset:         0
        .size:           8
        .value_kind:     global_buffer
      - .actual_access:  write_only
        .address_space:  global
        .offset:         8
        .size:           8
        .value_kind:     global_buffer
    .group_segment_fixed_size: 0
    .kernarg_segment_align: 8
    .kernarg_segment_size: 16
    .language:       OpenCL C
    .language_version:
      - 2
      - 0
    .max_flat_workgroup_size: 1024
    .name:           _ZL21dequantize_block_q4_KIN3c104HalfEEvPKvPT_
    .private_segment_fixed_size: 0
    .sgpr_count:     18
    .sgpr_spill_count: 0
    .symbol:         _ZL21dequantize_block_q4_KIN3c104HalfEEvPKvPT_.kd
    .uniform_work_group_size: 1
    .uses_dynamic_stack: false
    .vgpr_count:     16
    .vgpr_spill_count: 0
    .wavefront_size: 32
    .workgroup_processor_mode: 1
  - .args:
      - .actual_access:  read_only
        .address_space:  global
        .offset:         0
        .size:           8
        .value_kind:     global_buffer
      - .actual_access:  write_only
        .address_space:  global
        .offset:         8
        .size:           8
        .value_kind:     global_buffer
    .group_segment_fixed_size: 0
    .kernarg_segment_align: 8
    .kernarg_segment_size: 16
    .language:       OpenCL C
    .language_version:
      - 2
      - 0
    .max_flat_workgroup_size: 1024
    .name:           _ZL21dequantize_block_q5_KIN3c104HalfEEvPKvPT_
    .private_segment_fixed_size: 0
    .sgpr_count:     18
    .sgpr_spill_count: 0
    .symbol:         _ZL21dequantize_block_q5_KIN3c104HalfEEvPKvPT_.kd
    .uniform_work_group_size: 1
    .uses_dynamic_stack: false
    .vgpr_count:     16
    .vgpr_spill_count: 0
    .wavefront_size: 32
    .workgroup_processor_mode: 1
  - .args:
      - .actual_access:  read_only
        .address_space:  global
        .offset:         0
        .size:           8
        .value_kind:     global_buffer
      - .actual_access:  write_only
        .address_space:  global
        .offset:         8
        .size:           8
        .value_kind:     global_buffer
    .group_segment_fixed_size: 0
    .kernarg_segment_align: 8
    .kernarg_segment_size: 16
    .language:       OpenCL C
    .language_version:
      - 2
      - 0
    .max_flat_workgroup_size: 1024
    .name:           _ZL21dequantize_block_q6_KIN3c104HalfEEvPKvPT_
    .private_segment_fixed_size: 0
    .sgpr_count:     18
    .sgpr_spill_count: 0
    .symbol:         _ZL21dequantize_block_q6_KIN3c104HalfEEvPKvPT_.kd
    .uniform_work_group_size: 1
    .uses_dynamic_stack: false
    .vgpr_count:     15
    .vgpr_spill_count: 0
    .wavefront_size: 32
    .workgroup_processor_mode: 1
  - .args:
      - .actual_access:  read_only
        .address_space:  global
        .offset:         0
        .size:           8
        .value_kind:     global_buffer
      - .actual_access:  write_only
        .address_space:  global
        .offset:         8
        .size:           8
        .value_kind:     global_buffer
    .group_segment_fixed_size: 0
    .kernarg_segment_align: 8
    .kernarg_segment_size: 16
    .language:       OpenCL C
    .language_version:
      - 2
      - 0
    .max_flat_workgroup_size: 1024
    .name:           _ZL24dequantize_block_iq2_xxsIN3c104HalfEEvPKvPT_
    .private_segment_fixed_size: 0
    .sgpr_count:     18
    .sgpr_spill_count: 0
    .symbol:         _ZL24dequantize_block_iq2_xxsIN3c104HalfEEvPKvPT_.kd
    .uniform_work_group_size: 1
    .uses_dynamic_stack: false
    .vgpr_count:     20
    .vgpr_spill_count: 0
    .wavefront_size: 32
    .workgroup_processor_mode: 1
  - .args:
      - .actual_access:  read_only
        .address_space:  global
        .offset:         0
        .size:           8
        .value_kind:     global_buffer
      - .actual_access:  write_only
        .address_space:  global
        .offset:         8
        .size:           8
        .value_kind:     global_buffer
    .group_segment_fixed_size: 0
    .kernarg_segment_align: 8
    .kernarg_segment_size: 16
    .language:       OpenCL C
    .language_version:
      - 2
      - 0
    .max_flat_workgroup_size: 1024
    .name:           _ZL23dequantize_block_iq2_xsIN3c104HalfEEvPKvPT_
    .private_segment_fixed_size: 0
    .sgpr_count:     18
    .sgpr_spill_count: 0
    .symbol:         _ZL23dequantize_block_iq2_xsIN3c104HalfEEvPKvPT_.kd
    .uniform_work_group_size: 1
    .uses_dynamic_stack: false
    .vgpr_count:     20
    .vgpr_spill_count: 0
    .wavefront_size: 32
    .workgroup_processor_mode: 1
  - .args:
      - .actual_access:  read_only
        .address_space:  global
        .offset:         0
        .size:           8
        .value_kind:     global_buffer
      - .actual_access:  write_only
        .address_space:  global
        .offset:         8
        .size:           8
        .value_kind:     global_buffer
    .group_segment_fixed_size: 0
    .kernarg_segment_align: 8
    .kernarg_segment_size: 16
    .language:       OpenCL C
    .language_version:
      - 2
      - 0
    .max_flat_workgroup_size: 1024
    .name:           _ZL24dequantize_block_iq3_xxsIN3c104HalfEEvPKvPT_
    .private_segment_fixed_size: 0
    .sgpr_count:     18
    .sgpr_spill_count: 0
    .symbol:         _ZL24dequantize_block_iq3_xxsIN3c104HalfEEvPKvPT_.kd
    .uniform_work_group_size: 1
    .uses_dynamic_stack: false
    .vgpr_count:     20
    .vgpr_spill_count: 0
    .wavefront_size: 32
    .workgroup_processor_mode: 1
  - .args:
      - .actual_access:  read_only
        .address_space:  global
        .offset:         0
        .size:           8
        .value_kind:     global_buffer
      - .actual_access:  write_only
        .address_space:  global
        .offset:         8
        .size:           8
        .value_kind:     global_buffer
    .group_segment_fixed_size: 0
    .kernarg_segment_align: 8
    .kernarg_segment_size: 16
    .language:       OpenCL C
    .language_version:
      - 2
      - 0
    .max_flat_workgroup_size: 1024
    .name:           _ZL22dequantize_block_iq1_sIN3c104HalfEEvPKvPT_
    .private_segment_fixed_size: 0
    .sgpr_count:     18
    .sgpr_spill_count: 0
    .symbol:         _ZL22dequantize_block_iq1_sIN3c104HalfEEvPKvPT_.kd
    .uniform_work_group_size: 1
    .uses_dynamic_stack: false
    .vgpr_count:     15
    .vgpr_spill_count: 0
    .wavefront_size: 32
    .workgroup_processor_mode: 1
  - .args:
      - .actual_access:  read_only
        .address_space:  global
        .offset:         0
        .size:           8
        .value_kind:     global_buffer
      - .actual_access:  write_only
        .address_space:  global
        .offset:         8
        .size:           8
        .value_kind:     global_buffer
    .group_segment_fixed_size: 0
    .kernarg_segment_align: 8
    .kernarg_segment_size: 16
    .language:       OpenCL C
    .language_version:
      - 2
      - 0
    .max_flat_workgroup_size: 1024
    .name:           _ZL23dequantize_block_iq4_nlIN3c104HalfEEvPKvPT_
    .private_segment_fixed_size: 0
    .sgpr_count:     18
    .sgpr_spill_count: 0
    .symbol:         _ZL23dequantize_block_iq4_nlIN3c104HalfEEvPKvPT_.kd
    .uniform_work_group_size: 1
    .uses_dynamic_stack: false
    .vgpr_count:     14
    .vgpr_spill_count: 0
    .wavefront_size: 32
    .workgroup_processor_mode: 1
  - .args:
      - .actual_access:  read_only
        .address_space:  global
        .offset:         0
        .size:           8
        .value_kind:     global_buffer
      - .actual_access:  write_only
        .address_space:  global
        .offset:         8
        .size:           8
        .value_kind:     global_buffer
    .group_segment_fixed_size: 0
    .kernarg_segment_align: 8
    .kernarg_segment_size: 16
    .language:       OpenCL C
    .language_version:
      - 2
      - 0
    .max_flat_workgroup_size: 1024
    .name:           _ZL22dequantize_block_iq3_sIN3c104HalfEEvPKvPT_
    .private_segment_fixed_size: 0
    .sgpr_count:     18
    .sgpr_spill_count: 0
    .symbol:         _ZL22dequantize_block_iq3_sIN3c104HalfEEvPKvPT_.kd
    .uniform_work_group_size: 1
    .uses_dynamic_stack: false
    .vgpr_count:     20
    .vgpr_spill_count: 0
    .wavefront_size: 32
    .workgroup_processor_mode: 1
  - .args:
      - .actual_access:  read_only
        .address_space:  global
        .offset:         0
        .size:           8
        .value_kind:     global_buffer
      - .actual_access:  write_only
        .address_space:  global
        .offset:         8
        .size:           8
        .value_kind:     global_buffer
    .group_segment_fixed_size: 0
    .kernarg_segment_align: 8
    .kernarg_segment_size: 16
    .language:       OpenCL C
    .language_version:
      - 2
      - 0
    .max_flat_workgroup_size: 1024
    .name:           _ZL22dequantize_block_iq2_sIN3c104HalfEEvPKvPT_
    .private_segment_fixed_size: 0
    .sgpr_count:     18
    .sgpr_spill_count: 0
    .symbol:         _ZL22dequantize_block_iq2_sIN3c104HalfEEvPKvPT_.kd
    .uniform_work_group_size: 1
    .uses_dynamic_stack: false
    .vgpr_count:     20
    .vgpr_spill_count: 0
    .wavefront_size: 32
    .workgroup_processor_mode: 1
  - .args:
      - .actual_access:  read_only
        .address_space:  global
        .offset:         0
        .size:           8
        .value_kind:     global_buffer
      - .actual_access:  write_only
        .address_space:  global
        .offset:         8
        .size:           8
        .value_kind:     global_buffer
    .group_segment_fixed_size: 0
    .kernarg_segment_align: 8
    .kernarg_segment_size: 16
    .language:       OpenCL C
    .language_version:
      - 2
      - 0
    .max_flat_workgroup_size: 1024
    .name:           _ZL23dequantize_block_iq4_xsIN3c104HalfEEvPKvPT_
    .private_segment_fixed_size: 0
    .sgpr_count:     18
    .sgpr_spill_count: 0
    .symbol:         _ZL23dequantize_block_iq4_xsIN3c104HalfEEvPKvPT_.kd
    .uniform_work_group_size: 1
    .uses_dynamic_stack: false
    .vgpr_count:     15
    .vgpr_spill_count: 0
    .wavefront_size: 32
    .workgroup_processor_mode: 1
  - .args:
      - .actual_access:  read_only
        .address_space:  global
        .offset:         0
        .size:           8
        .value_kind:     global_buffer
      - .actual_access:  write_only
        .address_space:  global
        .offset:         8
        .size:           8
        .value_kind:     global_buffer
    .group_segment_fixed_size: 0
    .kernarg_segment_align: 8
    .kernarg_segment_size: 16
    .language:       OpenCL C
    .language_version:
      - 2
      - 0
    .max_flat_workgroup_size: 1024
    .name:           _ZL22dequantize_block_iq1_mIN3c104HalfEEvPKvPT_
    .private_segment_fixed_size: 0
    .sgpr_count:     18
    .sgpr_spill_count: 0
    .symbol:         _ZL22dequantize_block_iq1_mIN3c104HalfEEvPKvPT_.kd
    .uniform_work_group_size: 1
    .uses_dynamic_stack: false
    .vgpr_count:     15
    .vgpr_spill_count: 0
    .wavefront_size: 32
    .workgroup_processor_mode: 1
  - .args:
      - .actual_access:  read_only
        .address_space:  global
        .offset:         0
        .size:           8
        .value_kind:     global_buffer
      - .actual_access:  write_only
        .address_space:  global
        .offset:         8
        .size:           8
        .value_kind:     global_buffer
      - .offset:         16
        .size:           8
        .value_kind:     by_value
      - .offset:         24
        .size:           4
        .value_kind:     hidden_block_count_x
      - .offset:         28
        .size:           4
        .value_kind:     hidden_block_count_y
      - .offset:         32
        .size:           4
        .value_kind:     hidden_block_count_z
      - .offset:         36
        .size:           2
        .value_kind:     hidden_group_size_x
      - .offset:         38
        .size:           2
        .value_kind:     hidden_group_size_y
      - .offset:         40
        .size:           2
        .value_kind:     hidden_group_size_z
      - .offset:         42
        .size:           2
        .value_kind:     hidden_remainder_x
      - .offset:         44
        .size:           2
        .value_kind:     hidden_remainder_y
      - .offset:         46
        .size:           2
        .value_kind:     hidden_remainder_z
      - .offset:         64
        .size:           8
        .value_kind:     hidden_global_offset_x
      - .offset:         72
        .size:           8
        .value_kind:     hidden_global_offset_y
      - .offset:         80
        .size:           8
        .value_kind:     hidden_global_offset_z
      - .offset:         88
        .size:           2
        .value_kind:     hidden_grid_dims
    .group_segment_fixed_size: 0
    .kernarg_segment_align: 8
    .kernarg_segment_size: 280
    .language:       OpenCL C
    .language_version:
      - 2
      - 0
    .max_flat_workgroup_size: 1024
    .name:           _ZL16dequantize_blockILi32ELi2EXadL_ZL15dequantize_q4_0PKviiR7__half2EEN3c108BFloat16EEvS1_PT2_l
    .private_segment_fixed_size: 0
    .sgpr_count:     18
    .sgpr_spill_count: 0
    .symbol:         _ZL16dequantize_blockILi32ELi2EXadL_ZL15dequantize_q4_0PKviiR7__half2EEN3c108BFloat16EEvS1_PT2_l.kd
    .uniform_work_group_size: 1
    .uses_dynamic_stack: false
    .vgpr_count:     7
    .vgpr_spill_count: 0
    .wavefront_size: 32
    .workgroup_processor_mode: 1
  - .args:
      - .actual_access:  read_only
        .address_space:  global
        .offset:         0
        .size:           8
        .value_kind:     global_buffer
      - .actual_access:  write_only
        .address_space:  global
        .offset:         8
        .size:           8
        .value_kind:     global_buffer
      - .offset:         16
        .size:           8
        .value_kind:     by_value
      - .offset:         24
        .size:           4
        .value_kind:     hidden_block_count_x
      - .offset:         28
        .size:           4
        .value_kind:     hidden_block_count_y
      - .offset:         32
        .size:           4
        .value_kind:     hidden_block_count_z
      - .offset:         36
        .size:           2
        .value_kind:     hidden_group_size_x
      - .offset:         38
        .size:           2
        .value_kind:     hidden_group_size_y
      - .offset:         40
        .size:           2
        .value_kind:     hidden_group_size_z
      - .offset:         42
        .size:           2
        .value_kind:     hidden_remainder_x
      - .offset:         44
        .size:           2
        .value_kind:     hidden_remainder_y
      - .offset:         46
        .size:           2
        .value_kind:     hidden_remainder_z
      - .offset:         64
        .size:           8
        .value_kind:     hidden_global_offset_x
      - .offset:         72
        .size:           8
        .value_kind:     hidden_global_offset_y
      - .offset:         80
        .size:           8
        .value_kind:     hidden_global_offset_z
      - .offset:         88
        .size:           2
        .value_kind:     hidden_grid_dims
    .group_segment_fixed_size: 0
    .kernarg_segment_align: 8
    .kernarg_segment_size: 280
    .language:       OpenCL C
    .language_version:
      - 2
      - 0
    .max_flat_workgroup_size: 1024
    .name:           _ZL16dequantize_blockILi32ELi2EXadL_ZL15dequantize_q4_1PKviiR7__half2EEN3c108BFloat16EEvS1_PT2_l
    .private_segment_fixed_size: 0
    .sgpr_count:     18
    .sgpr_spill_count: 0
    .symbol:         _ZL16dequantize_blockILi32ELi2EXadL_ZL15dequantize_q4_1PKviiR7__half2EEN3c108BFloat16EEvS1_PT2_l.kd
    .uniform_work_group_size: 1
    .uses_dynamic_stack: false
    .vgpr_count:     7
    .vgpr_spill_count: 0
    .wavefront_size: 32
    .workgroup_processor_mode: 1
  - .args:
      - .actual_access:  read_only
        .address_space:  global
        .offset:         0
        .size:           8
        .value_kind:     global_buffer
      - .actual_access:  write_only
        .address_space:  global
        .offset:         8
        .size:           8
        .value_kind:     global_buffer
      - .offset:         16
        .size:           8
        .value_kind:     by_value
      - .offset:         24
        .size:           4
        .value_kind:     hidden_block_count_x
      - .offset:         28
        .size:           4
        .value_kind:     hidden_block_count_y
      - .offset:         32
        .size:           4
        .value_kind:     hidden_block_count_z
      - .offset:         36
        .size:           2
        .value_kind:     hidden_group_size_x
      - .offset:         38
        .size:           2
        .value_kind:     hidden_group_size_y
      - .offset:         40
        .size:           2
        .value_kind:     hidden_group_size_z
      - .offset:         42
        .size:           2
        .value_kind:     hidden_remainder_x
      - .offset:         44
        .size:           2
        .value_kind:     hidden_remainder_y
      - .offset:         46
        .size:           2
        .value_kind:     hidden_remainder_z
      - .offset:         64
        .size:           8
        .value_kind:     hidden_global_offset_x
      - .offset:         72
        .size:           8
        .value_kind:     hidden_global_offset_y
      - .offset:         80
        .size:           8
        .value_kind:     hidden_global_offset_z
      - .offset:         88
        .size:           2
        .value_kind:     hidden_grid_dims
    .group_segment_fixed_size: 0
    .kernarg_segment_align: 8
    .kernarg_segment_size: 280
    .language:       OpenCL C
    .language_version:
      - 2
      - 0
    .max_flat_workgroup_size: 1024
    .name:           _ZL16dequantize_blockILi32ELi2EXadL_ZL15dequantize_q5_0PKviiR7__half2EEN3c108BFloat16EEvS1_PT2_l
    .private_segment_fixed_size: 0
    .sgpr_count:     18
    .sgpr_spill_count: 0
    .symbol:         _ZL16dequantize_blockILi32ELi2EXadL_ZL15dequantize_q5_0PKviiR7__half2EEN3c108BFloat16EEvS1_PT2_l.kd
    .uniform_work_group_size: 1
    .uses_dynamic_stack: false
    .vgpr_count:     8
    .vgpr_spill_count: 0
    .wavefront_size: 32
    .workgroup_processor_mode: 1
  - .args:
      - .actual_access:  read_only
        .address_space:  global
        .offset:         0
        .size:           8
        .value_kind:     global_buffer
      - .actual_access:  write_only
        .address_space:  global
        .offset:         8
        .size:           8
        .value_kind:     global_buffer
      - .offset:         16
        .size:           8
        .value_kind:     by_value
      - .offset:         24
        .size:           4
        .value_kind:     hidden_block_count_x
      - .offset:         28
        .size:           4
        .value_kind:     hidden_block_count_y
      - .offset:         32
        .size:           4
        .value_kind:     hidden_block_count_z
      - .offset:         36
        .size:           2
        .value_kind:     hidden_group_size_x
      - .offset:         38
        .size:           2
        .value_kind:     hidden_group_size_y
      - .offset:         40
        .size:           2
        .value_kind:     hidden_group_size_z
      - .offset:         42
        .size:           2
        .value_kind:     hidden_remainder_x
      - .offset:         44
        .size:           2
        .value_kind:     hidden_remainder_y
      - .offset:         46
        .size:           2
        .value_kind:     hidden_remainder_z
      - .offset:         64
        .size:           8
        .value_kind:     hidden_global_offset_x
      - .offset:         72
        .size:           8
        .value_kind:     hidden_global_offset_y
      - .offset:         80
        .size:           8
        .value_kind:     hidden_global_offset_z
      - .offset:         88
        .size:           2
        .value_kind:     hidden_grid_dims
    .group_segment_fixed_size: 0
    .kernarg_segment_align: 8
    .kernarg_segment_size: 280
    .language:       OpenCL C
    .language_version:
      - 2
      - 0
    .max_flat_workgroup_size: 1024
    .name:           _ZL16dequantize_blockILi32ELi2EXadL_ZL15dequantize_q5_1PKviiR7__half2EEN3c108BFloat16EEvS1_PT2_l
    .private_segment_fixed_size: 0
    .sgpr_count:     18
    .sgpr_spill_count: 0
    .symbol:         _ZL16dequantize_blockILi32ELi2EXadL_ZL15dequantize_q5_1PKviiR7__half2EEN3c108BFloat16EEvS1_PT2_l.kd
    .uniform_work_group_size: 1
    .uses_dynamic_stack: false
    .vgpr_count:     8
    .vgpr_spill_count: 0
    .wavefront_size: 32
    .workgroup_processor_mode: 1
  - .args:
      - .actual_access:  read_only
        .address_space:  global
        .offset:         0
        .size:           8
        .value_kind:     global_buffer
      - .actual_access:  write_only
        .address_space:  global
        .offset:         8
        .size:           8
        .value_kind:     global_buffer
      - .offset:         16
        .size:           8
        .value_kind:     by_value
      - .offset:         24
        .size:           4
        .value_kind:     hidden_block_count_x
      - .offset:         28
        .size:           4
        .value_kind:     hidden_block_count_y
      - .offset:         32
        .size:           4
        .value_kind:     hidden_block_count_z
      - .offset:         36
        .size:           2
        .value_kind:     hidden_group_size_x
      - .offset:         38
        .size:           2
        .value_kind:     hidden_group_size_y
      - .offset:         40
        .size:           2
        .value_kind:     hidden_group_size_z
      - .offset:         42
        .size:           2
        .value_kind:     hidden_remainder_x
      - .offset:         44
        .size:           2
        .value_kind:     hidden_remainder_y
      - .offset:         46
        .size:           2
        .value_kind:     hidden_remainder_z
      - .offset:         64
        .size:           8
        .value_kind:     hidden_global_offset_x
      - .offset:         72
        .size:           8
        .value_kind:     hidden_global_offset_y
      - .offset:         80
        .size:           8
        .value_kind:     hidden_global_offset_z
      - .offset:         88
        .size:           2
        .value_kind:     hidden_grid_dims
    .group_segment_fixed_size: 0
    .kernarg_segment_align: 8
    .kernarg_segment_size: 280
    .language:       OpenCL C
    .language_version:
      - 2
      - 0
    .max_flat_workgroup_size: 1024
    .name:           _ZL16dequantize_blockILi32ELi1EXadL_ZL15dequantize_q8_0PKviiR7__half2EEN3c108BFloat16EEvS1_PT2_l
    .private_segment_fixed_size: 0
    .sgpr_count:     18
    .sgpr_spill_count: 0
    .symbol:         _ZL16dequantize_blockILi32ELi1EXadL_ZL15dequantize_q8_0PKviiR7__half2EEN3c108BFloat16EEvS1_PT2_l.kd
    .uniform_work_group_size: 1
    .uses_dynamic_stack: false
    .vgpr_count:     8
    .vgpr_spill_count: 0
    .wavefront_size: 32
    .workgroup_processor_mode: 1
  - .args:
      - .actual_access:  read_only
        .address_space:  global
        .offset:         0
        .size:           8
        .value_kind:     global_buffer
      - .actual_access:  write_only
        .address_space:  global
        .offset:         8
        .size:           8
        .value_kind:     global_buffer
    .group_segment_fixed_size: 0
    .kernarg_segment_align: 8
    .kernarg_segment_size: 16
    .language:       OpenCL C
    .language_version:
      - 2
      - 0
    .max_flat_workgroup_size: 1024
    .name:           _ZL21dequantize_block_q2_KIN3c108BFloat16EEvPKvPT_
    .private_segment_fixed_size: 0
    .sgpr_count:     18
    .sgpr_spill_count: 0
    .symbol:         _ZL21dequantize_block_q2_KIN3c108BFloat16EEvPKvPT_.kd
    .uniform_work_group_size: 1
    .uses_dynamic_stack: false
    .vgpr_count:     15
    .vgpr_spill_count: 0
    .wavefront_size: 32
    .workgroup_processor_mode: 1
  - .args:
      - .actual_access:  read_only
        .address_space:  global
        .offset:         0
        .size:           8
        .value_kind:     global_buffer
      - .actual_access:  write_only
        .address_space:  global
        .offset:         8
        .size:           8
        .value_kind:     global_buffer
    .group_segment_fixed_size: 0
    .kernarg_segment_align: 8
    .kernarg_segment_size: 16
    .language:       OpenCL C
    .language_version:
      - 2
      - 0
    .max_flat_workgroup_size: 1024
    .name:           _ZL21dequantize_block_q3_KIN3c108BFloat16EEvPKvPT_
    .private_segment_fixed_size: 0
    .sgpr_count:     18
    .sgpr_spill_count: 0
    .symbol:         _ZL21dequantize_block_q3_KIN3c108BFloat16EEvPKvPT_.kd
    .uniform_work_group_size: 1
    .uses_dynamic_stack: false
    .vgpr_count:     16
    .vgpr_spill_count: 0
    .wavefront_size: 32
    .workgroup_processor_mode: 1
  - .args:
      - .actual_access:  read_only
        .address_space:  global
        .offset:         0
        .size:           8
        .value_kind:     global_buffer
      - .actual_access:  write_only
        .address_space:  global
        .offset:         8
        .size:           8
        .value_kind:     global_buffer
    .group_segment_fixed_size: 0
    .kernarg_segment_align: 8
    .kernarg_segment_size: 16
    .language:       OpenCL C
    .language_version:
      - 2
      - 0
    .max_flat_workgroup_size: 1024
    .name:           _ZL21dequantize_block_q4_KIN3c108BFloat16EEvPKvPT_
    .private_segment_fixed_size: 0
    .sgpr_count:     18
    .sgpr_spill_count: 0
    .symbol:         _ZL21dequantize_block_q4_KIN3c108BFloat16EEvPKvPT_.kd
    .uniform_work_group_size: 1
    .uses_dynamic_stack: false
    .vgpr_count:     24
    .vgpr_spill_count: 0
    .wavefront_size: 32
    .workgroup_processor_mode: 1
  - .args:
      - .actual_access:  read_only
        .address_space:  global
        .offset:         0
        .size:           8
        .value_kind:     global_buffer
      - .actual_access:  write_only
        .address_space:  global
        .offset:         8
        .size:           8
        .value_kind:     global_buffer
    .group_segment_fixed_size: 0
    .kernarg_segment_align: 8
    .kernarg_segment_size: 16
    .language:       OpenCL C
    .language_version:
      - 2
      - 0
    .max_flat_workgroup_size: 1024
    .name:           _ZL21dequantize_block_q5_KIN3c108BFloat16EEvPKvPT_
    .private_segment_fixed_size: 0
    .sgpr_count:     18
    .sgpr_spill_count: 0
    .symbol:         _ZL21dequantize_block_q5_KIN3c108BFloat16EEvPKvPT_.kd
    .uniform_work_group_size: 1
    .uses_dynamic_stack: false
    .vgpr_count:     15
    .vgpr_spill_count: 0
    .wavefront_size: 32
    .workgroup_processor_mode: 1
  - .args:
      - .actual_access:  read_only
        .address_space:  global
        .offset:         0
        .size:           8
        .value_kind:     global_buffer
      - .actual_access:  write_only
        .address_space:  global
        .offset:         8
        .size:           8
        .value_kind:     global_buffer
    .group_segment_fixed_size: 0
    .kernarg_segment_align: 8
    .kernarg_segment_size: 16
    .language:       OpenCL C
    .language_version:
      - 2
      - 0
    .max_flat_workgroup_size: 1024
    .name:           _ZL21dequantize_block_q6_KIN3c108BFloat16EEvPKvPT_
    .private_segment_fixed_size: 0
    .sgpr_count:     18
    .sgpr_spill_count: 0
    .symbol:         _ZL21dequantize_block_q6_KIN3c108BFloat16EEvPKvPT_.kd
    .uniform_work_group_size: 1
    .uses_dynamic_stack: false
    .vgpr_count:     15
    .vgpr_spill_count: 0
    .wavefront_size: 32
    .workgroup_processor_mode: 1
  - .args:
      - .actual_access:  read_only
        .address_space:  global
        .offset:         0
        .size:           8
        .value_kind:     global_buffer
      - .actual_access:  write_only
        .address_space:  global
        .offset:         8
        .size:           8
        .value_kind:     global_buffer
    .group_segment_fixed_size: 0
    .kernarg_segment_align: 8
    .kernarg_segment_size: 16
    .language:       OpenCL C
    .language_version:
      - 2
      - 0
    .max_flat_workgroup_size: 1024
    .name:           _ZL24dequantize_block_iq2_xxsIN3c108BFloat16EEvPKvPT_
    .private_segment_fixed_size: 0
    .sgpr_count:     18
    .sgpr_spill_count: 0
    .symbol:         _ZL24dequantize_block_iq2_xxsIN3c108BFloat16EEvPKvPT_.kd
    .uniform_work_group_size: 1
    .uses_dynamic_stack: false
    .vgpr_count:     20
    .vgpr_spill_count: 0
    .wavefront_size: 32
    .workgroup_processor_mode: 1
  - .args:
      - .actual_access:  read_only
        .address_space:  global
        .offset:         0
        .size:           8
        .value_kind:     global_buffer
      - .actual_access:  write_only
        .address_space:  global
        .offset:         8
        .size:           8
        .value_kind:     global_buffer
    .group_segment_fixed_size: 0
    .kernarg_segment_align: 8
    .kernarg_segment_size: 16
    .language:       OpenCL C
    .language_version:
      - 2
      - 0
    .max_flat_workgroup_size: 1024
    .name:           _ZL23dequantize_block_iq2_xsIN3c108BFloat16EEvPKvPT_
    .private_segment_fixed_size: 0
    .sgpr_count:     18
    .sgpr_spill_count: 0
    .symbol:         _ZL23dequantize_block_iq2_xsIN3c108BFloat16EEvPKvPT_.kd
    .uniform_work_group_size: 1
    .uses_dynamic_stack: false
    .vgpr_count:     20
    .vgpr_spill_count: 0
    .wavefront_size: 32
    .workgroup_processor_mode: 1
  - .args:
      - .actual_access:  read_only
        .address_space:  global
        .offset:         0
        .size:           8
        .value_kind:     global_buffer
      - .actual_access:  write_only
        .address_space:  global
        .offset:         8
        .size:           8
        .value_kind:     global_buffer
    .group_segment_fixed_size: 0
    .kernarg_segment_align: 8
    .kernarg_segment_size: 16
    .language:       OpenCL C
    .language_version:
      - 2
      - 0
    .max_flat_workgroup_size: 1024
    .name:           _ZL24dequantize_block_iq3_xxsIN3c108BFloat16EEvPKvPT_
    .private_segment_fixed_size: 0
    .sgpr_count:     18
    .sgpr_spill_count: 0
    .symbol:         _ZL24dequantize_block_iq3_xxsIN3c108BFloat16EEvPKvPT_.kd
    .uniform_work_group_size: 1
    .uses_dynamic_stack: false
    .vgpr_count:     20
    .vgpr_spill_count: 0
    .wavefront_size: 32
    .workgroup_processor_mode: 1
  - .args:
      - .actual_access:  read_only
        .address_space:  global
        .offset:         0
        .size:           8
        .value_kind:     global_buffer
      - .actual_access:  write_only
        .address_space:  global
        .offset:         8
        .size:           8
        .value_kind:     global_buffer
    .group_segment_fixed_size: 0
    .kernarg_segment_align: 8
    .kernarg_segment_size: 16
    .language:       OpenCL C
    .language_version:
      - 2
      - 0
    .max_flat_workgroup_size: 1024
    .name:           _ZL22dequantize_block_iq1_sIN3c108BFloat16EEvPKvPT_
    .private_segment_fixed_size: 0
    .sgpr_count:     18
    .sgpr_spill_count: 0
    .symbol:         _ZL22dequantize_block_iq1_sIN3c108BFloat16EEvPKvPT_.kd
    .uniform_work_group_size: 1
    .uses_dynamic_stack: false
    .vgpr_count:     19
    .vgpr_spill_count: 0
    .wavefront_size: 32
    .workgroup_processor_mode: 1
  - .args:
      - .actual_access:  read_only
        .address_space:  global
        .offset:         0
        .size:           8
        .value_kind:     global_buffer
      - .actual_access:  write_only
        .address_space:  global
        .offset:         8
        .size:           8
        .value_kind:     global_buffer
    .group_segment_fixed_size: 0
    .kernarg_segment_align: 8
    .kernarg_segment_size: 16
    .language:       OpenCL C
    .language_version:
      - 2
      - 0
    .max_flat_workgroup_size: 1024
    .name:           _ZL23dequantize_block_iq4_nlIN3c108BFloat16EEvPKvPT_
    .private_segment_fixed_size: 0
    .sgpr_count:     18
    .sgpr_spill_count: 0
    .symbol:         _ZL23dequantize_block_iq4_nlIN3c108BFloat16EEvPKvPT_.kd
    .uniform_work_group_size: 1
    .uses_dynamic_stack: false
    .vgpr_count:     18
    .vgpr_spill_count: 0
    .wavefront_size: 32
    .workgroup_processor_mode: 1
  - .args:
      - .actual_access:  read_only
        .address_space:  global
        .offset:         0
        .size:           8
        .value_kind:     global_buffer
      - .actual_access:  write_only
        .address_space:  global
        .offset:         8
        .size:           8
        .value_kind:     global_buffer
    .group_segment_fixed_size: 0
    .kernarg_segment_align: 8
    .kernarg_segment_size: 16
    .language:       OpenCL C
    .language_version:
      - 2
      - 0
    .max_flat_workgroup_size: 1024
    .name:           _ZL22dequantize_block_iq3_sIN3c108BFloat16EEvPKvPT_
    .private_segment_fixed_size: 0
    .sgpr_count:     18
    .sgpr_spill_count: 0
    .symbol:         _ZL22dequantize_block_iq3_sIN3c108BFloat16EEvPKvPT_.kd
    .uniform_work_group_size: 1
    .uses_dynamic_stack: false
    .vgpr_count:     20
    .vgpr_spill_count: 0
    .wavefront_size: 32
    .workgroup_processor_mode: 1
  - .args:
      - .actual_access:  read_only
        .address_space:  global
        .offset:         0
        .size:           8
        .value_kind:     global_buffer
      - .actual_access:  write_only
        .address_space:  global
        .offset:         8
        .size:           8
        .value_kind:     global_buffer
    .group_segment_fixed_size: 0
    .kernarg_segment_align: 8
    .kernarg_segment_size: 16
    .language:       OpenCL C
    .language_version:
      - 2
      - 0
    .max_flat_workgroup_size: 1024
    .name:           _ZL22dequantize_block_iq2_sIN3c108BFloat16EEvPKvPT_
    .private_segment_fixed_size: 0
    .sgpr_count:     18
    .sgpr_spill_count: 0
    .symbol:         _ZL22dequantize_block_iq2_sIN3c108BFloat16EEvPKvPT_.kd
    .uniform_work_group_size: 1
    .uses_dynamic_stack: false
    .vgpr_count:     20
    .vgpr_spill_count: 0
    .wavefront_size: 32
    .workgroup_processor_mode: 1
  - .args:
      - .actual_access:  read_only
        .address_space:  global
        .offset:         0
        .size:           8
        .value_kind:     global_buffer
      - .actual_access:  write_only
        .address_space:  global
        .offset:         8
        .size:           8
        .value_kind:     global_buffer
    .group_segment_fixed_size: 0
    .kernarg_segment_align: 8
    .kernarg_segment_size: 16
    .language:       OpenCL C
    .language_version:
      - 2
      - 0
    .max_flat_workgroup_size: 1024
    .name:           _ZL23dequantize_block_iq4_xsIN3c108BFloat16EEvPKvPT_
    .private_segment_fixed_size: 0
    .sgpr_count:     18
    .sgpr_spill_count: 0
    .symbol:         _ZL23dequantize_block_iq4_xsIN3c108BFloat16EEvPKvPT_.kd
    .uniform_work_group_size: 1
    .uses_dynamic_stack: false
    .vgpr_count:     18
    .vgpr_spill_count: 0
    .wavefront_size: 32
    .workgroup_processor_mode: 1
  - .args:
      - .actual_access:  read_only
        .address_space:  global
        .offset:         0
        .size:           8
        .value_kind:     global_buffer
      - .actual_access:  write_only
        .address_space:  global
        .offset:         8
        .size:           8
        .value_kind:     global_buffer
    .group_segment_fixed_size: 0
    .kernarg_segment_align: 8
    .kernarg_segment_size: 16
    .language:       OpenCL C
    .language_version:
      - 2
      - 0
    .max_flat_workgroup_size: 1024
    .name:           _ZL22dequantize_block_iq1_mIN3c108BFloat16EEvPKvPT_
    .private_segment_fixed_size: 0
    .sgpr_count:     18
    .sgpr_spill_count: 0
    .symbol:         _ZL22dequantize_block_iq1_mIN3c108BFloat16EEvPKvPT_.kd
    .uniform_work_group_size: 1
    .uses_dynamic_stack: false
    .vgpr_count:     19
    .vgpr_spill_count: 0
    .wavefront_size: 32
    .workgroup_processor_mode: 1
  - .args:
      - .actual_access:  read_only
        .address_space:  global
        .offset:         0
        .size:           8
        .value_kind:     global_buffer
      - .actual_access:  write_only
        .address_space:  global
        .offset:         8
        .size:           8
        .value_kind:     global_buffer
      - .offset:         16
        .size:           4
        .value_kind:     by_value
      - .offset:         20
        .size:           4
        .value_kind:     by_value
      - .offset:         24
        .size:           4
        .value_kind:     hidden_block_count_x
      - .offset:         28
        .size:           4
        .value_kind:     hidden_block_count_y
      - .offset:         32
        .size:           4
        .value_kind:     hidden_block_count_z
      - .offset:         36
        .size:           2
        .value_kind:     hidden_group_size_x
      - .offset:         38
        .size:           2
        .value_kind:     hidden_group_size_y
      - .offset:         40
        .size:           2
        .value_kind:     hidden_group_size_z
      - .offset:         42
        .size:           2
        .value_kind:     hidden_remainder_x
      - .offset:         44
        .size:           2
        .value_kind:     hidden_remainder_y
      - .offset:         46
        .size:           2
        .value_kind:     hidden_remainder_z
      - .offset:         64
        .size:           8
        .value_kind:     hidden_global_offset_x
      - .offset:         72
        .size:           8
        .value_kind:     hidden_global_offset_y
      - .offset:         80
        .size:           8
        .value_kind:     hidden_global_offset_z
      - .offset:         88
        .size:           2
        .value_kind:     hidden_grid_dims
    .group_segment_fixed_size: 0
    .kernarg_segment_align: 8
    .kernarg_segment_size: 280
    .language:       OpenCL C
    .language_version:
      - 2
      - 0
    .max_flat_workgroup_size: 1024
    .name:           _ZL13quantize_q8_1IfEvPKT_Pvii
    .private_segment_fixed_size: 0
    .sgpr_count:     18
    .sgpr_spill_count: 0
    .symbol:         _ZL13quantize_q8_1IfEvPKT_Pvii.kd
    .uniform_work_group_size: 1
    .uses_dynamic_stack: false
    .vgpr_count:     13
    .vgpr_spill_count: 0
    .wavefront_size: 32
    .workgroup_processor_mode: 1
  - .args:
      - .actual_access:  read_only
        .address_space:  global
        .offset:         0
        .size:           8
        .value_kind:     global_buffer
      - .actual_access:  read_only
        .address_space:  global
        .offset:         8
        .size:           8
        .value_kind:     global_buffer
      - .actual_access:  write_only
        .address_space:  global
        .offset:         16
        .size:           8
        .value_kind:     global_buffer
      - .offset:         24
        .size:           4
        .value_kind:     by_value
      - .offset:         28
        .size:           4
        .value_kind:     by_value
      - .offset:         32
        .size:           4
        .value_kind:     by_value
      - .offset:         40
        .size:           4
        .value_kind:     hidden_block_count_x
      - .offset:         44
        .size:           4
        .value_kind:     hidden_block_count_y
      - .offset:         48
        .size:           4
        .value_kind:     hidden_block_count_z
      - .offset:         52
        .size:           2
        .value_kind:     hidden_group_size_x
      - .offset:         54
        .size:           2
        .value_kind:     hidden_group_size_y
      - .offset:         56
        .size:           2
        .value_kind:     hidden_group_size_z
      - .offset:         58
        .size:           2
        .value_kind:     hidden_remainder_x
      - .offset:         60
        .size:           2
        .value_kind:     hidden_remainder_y
      - .offset:         62
        .size:           2
        .value_kind:     hidden_remainder_z
      - .offset:         80
        .size:           8
        .value_kind:     hidden_global_offset_x
      - .offset:         88
        .size:           8
        .value_kind:     hidden_global_offset_y
      - .offset:         96
        .size:           8
        .value_kind:     hidden_global_offset_z
      - .offset:         104
        .size:           2
        .value_kind:     hidden_grid_dims
    .group_segment_fixed_size: 0
    .kernarg_segment_align: 8
    .kernarg_segment_size: 296
    .language:       OpenCL C
    .language_version:
      - 2
      - 0
    .max_flat_workgroup_size: 1024
    .name:           _ZL13mul_mat_vec_qIfLi32ELi4E10block_q4_0Li2EXadL_ZL17vec_dot_q4_0_q8_1PKvPK10block_q8_1RKiEEEvS2_S2_PT_iii
    .private_segment_fixed_size: 0
    .sgpr_count:     18
    .sgpr_spill_count: 0
    .symbol:         _ZL13mul_mat_vec_qIfLi32ELi4E10block_q4_0Li2EXadL_ZL17vec_dot_q4_0_q8_1PKvPK10block_q8_1RKiEEEvS2_S2_PT_iii.kd
    .uniform_work_group_size: 1
    .uses_dynamic_stack: false
    .vgpr_count:     32
    .vgpr_spill_count: 0
    .wavefront_size: 32
    .workgroup_processor_mode: 1
  - .args:
      - .actual_access:  read_only
        .address_space:  global
        .offset:         0
        .size:           8
        .value_kind:     global_buffer
      - .actual_access:  read_only
        .address_space:  global
        .offset:         8
        .size:           8
        .value_kind:     global_buffer
      - .actual_access:  write_only
        .address_space:  global
        .offset:         16
        .size:           8
        .value_kind:     global_buffer
      - .offset:         24
        .size:           4
        .value_kind:     by_value
      - .offset:         28
        .size:           4
        .value_kind:     by_value
      - .offset:         32
        .size:           4
        .value_kind:     by_value
      - .offset:         40
        .size:           4
        .value_kind:     hidden_block_count_x
      - .offset:         44
        .size:           4
        .value_kind:     hidden_block_count_y
      - .offset:         48
        .size:           4
        .value_kind:     hidden_block_count_z
      - .offset:         52
        .size:           2
        .value_kind:     hidden_group_size_x
      - .offset:         54
        .size:           2
        .value_kind:     hidden_group_size_y
      - .offset:         56
        .size:           2
        .value_kind:     hidden_group_size_z
      - .offset:         58
        .size:           2
        .value_kind:     hidden_remainder_x
      - .offset:         60
        .size:           2
        .value_kind:     hidden_remainder_y
      - .offset:         62
        .size:           2
        .value_kind:     hidden_remainder_z
      - .offset:         80
        .size:           8
        .value_kind:     hidden_global_offset_x
      - .offset:         88
        .size:           8
        .value_kind:     hidden_global_offset_y
      - .offset:         96
        .size:           8
        .value_kind:     hidden_global_offset_z
      - .offset:         104
        .size:           2
        .value_kind:     hidden_grid_dims
    .group_segment_fixed_size: 0
    .kernarg_segment_align: 8
    .kernarg_segment_size: 296
    .language:       OpenCL C
    .language_version:
      - 2
      - 0
    .max_flat_workgroup_size: 1024
    .name:           _ZL13mul_mat_vec_qIfLi32ELi4E10block_q4_1Li2EXadL_ZL17vec_dot_q4_1_q8_1PKvPK10block_q8_1RKiEEEvS2_S2_PT_iii
    .private_segment_fixed_size: 0
    .sgpr_count:     18
    .sgpr_spill_count: 0
    .symbol:         _ZL13mul_mat_vec_qIfLi32ELi4E10block_q4_1Li2EXadL_ZL17vec_dot_q4_1_q8_1PKvPK10block_q8_1RKiEEEvS2_S2_PT_iii.kd
    .uniform_work_group_size: 1
    .uses_dynamic_stack: false
    .vgpr_count:     32
    .vgpr_spill_count: 0
    .wavefront_size: 32
    .workgroup_processor_mode: 1
  - .args:
      - .actual_access:  read_only
        .address_space:  global
        .offset:         0
        .size:           8
        .value_kind:     global_buffer
      - .actual_access:  read_only
        .address_space:  global
        .offset:         8
        .size:           8
        .value_kind:     global_buffer
      - .actual_access:  write_only
        .address_space:  global
        .offset:         16
        .size:           8
        .value_kind:     global_buffer
      - .offset:         24
        .size:           4
        .value_kind:     by_value
      - .offset:         28
        .size:           4
        .value_kind:     by_value
      - .offset:         32
        .size:           4
        .value_kind:     by_value
      - .offset:         40
        .size:           4
        .value_kind:     hidden_block_count_x
      - .offset:         44
        .size:           4
        .value_kind:     hidden_block_count_y
      - .offset:         48
        .size:           4
        .value_kind:     hidden_block_count_z
      - .offset:         52
        .size:           2
        .value_kind:     hidden_group_size_x
      - .offset:         54
        .size:           2
        .value_kind:     hidden_group_size_y
      - .offset:         56
        .size:           2
        .value_kind:     hidden_group_size_z
      - .offset:         58
        .size:           2
        .value_kind:     hidden_remainder_x
      - .offset:         60
        .size:           2
        .value_kind:     hidden_remainder_y
      - .offset:         62
        .size:           2
        .value_kind:     hidden_remainder_z
      - .offset:         80
        .size:           8
        .value_kind:     hidden_global_offset_x
      - .offset:         88
        .size:           8
        .value_kind:     hidden_global_offset_y
      - .offset:         96
        .size:           8
        .value_kind:     hidden_global_offset_z
      - .offset:         104
        .size:           2
        .value_kind:     hidden_grid_dims
    .group_segment_fixed_size: 0
    .kernarg_segment_align: 8
    .kernarg_segment_size: 296
    .language:       OpenCL C
    .language_version:
      - 2
      - 0
    .max_flat_workgroup_size: 1024
    .name:           _ZL13mul_mat_vec_qIfLi32ELi4E10block_q5_0Li2EXadL_ZL17vec_dot_q5_0_q8_1PKvPK10block_q8_1RKiEEEvS2_S2_PT_iii
    .private_segment_fixed_size: 0
    .sgpr_count:     18
    .sgpr_spill_count: 0
    .symbol:         _ZL13mul_mat_vec_qIfLi32ELi4E10block_q5_0Li2EXadL_ZL17vec_dot_q5_0_q8_1PKvPK10block_q8_1RKiEEEvS2_S2_PT_iii.kd
    .uniform_work_group_size: 1
    .uses_dynamic_stack: false
    .vgpr_count:     45
    .vgpr_spill_count: 0
    .wavefront_size: 32
    .workgroup_processor_mode: 1
  - .args:
      - .actual_access:  read_only
        .address_space:  global
        .offset:         0
        .size:           8
        .value_kind:     global_buffer
      - .actual_access:  read_only
        .address_space:  global
        .offset:         8
        .size:           8
        .value_kind:     global_buffer
      - .actual_access:  write_only
        .address_space:  global
        .offset:         16
        .size:           8
        .value_kind:     global_buffer
      - .offset:         24
        .size:           4
        .value_kind:     by_value
      - .offset:         28
        .size:           4
        .value_kind:     by_value
      - .offset:         32
        .size:           4
        .value_kind:     by_value
      - .offset:         40
        .size:           4
        .value_kind:     hidden_block_count_x
      - .offset:         44
        .size:           4
        .value_kind:     hidden_block_count_y
      - .offset:         48
        .size:           4
        .value_kind:     hidden_block_count_z
      - .offset:         52
        .size:           2
        .value_kind:     hidden_group_size_x
      - .offset:         54
        .size:           2
        .value_kind:     hidden_group_size_y
      - .offset:         56
        .size:           2
        .value_kind:     hidden_group_size_z
      - .offset:         58
        .size:           2
        .value_kind:     hidden_remainder_x
      - .offset:         60
        .size:           2
        .value_kind:     hidden_remainder_y
      - .offset:         62
        .size:           2
        .value_kind:     hidden_remainder_z
      - .offset:         80
        .size:           8
        .value_kind:     hidden_global_offset_x
      - .offset:         88
        .size:           8
        .value_kind:     hidden_global_offset_y
      - .offset:         96
        .size:           8
        .value_kind:     hidden_global_offset_z
      - .offset:         104
        .size:           2
        .value_kind:     hidden_grid_dims
    .group_segment_fixed_size: 0
    .kernarg_segment_align: 8
    .kernarg_segment_size: 296
    .language:       OpenCL C
    .language_version:
      - 2
      - 0
    .max_flat_workgroup_size: 1024
    .name:           _ZL13mul_mat_vec_qIfLi32ELi4E10block_q5_1Li2EXadL_ZL17vec_dot_q5_1_q8_1PKvPK10block_q8_1RKiEEEvS2_S2_PT_iii
    .private_segment_fixed_size: 0
    .sgpr_count:     18
    .sgpr_spill_count: 0
    .symbol:         _ZL13mul_mat_vec_qIfLi32ELi4E10block_q5_1Li2EXadL_ZL17vec_dot_q5_1_q8_1PKvPK10block_q8_1RKiEEEvS2_S2_PT_iii.kd
    .uniform_work_group_size: 1
    .uses_dynamic_stack: false
    .vgpr_count:     45
    .vgpr_spill_count: 0
    .wavefront_size: 32
    .workgroup_processor_mode: 1
  - .args:
      - .actual_access:  read_only
        .address_space:  global
        .offset:         0
        .size:           8
        .value_kind:     global_buffer
      - .actual_access:  read_only
        .address_space:  global
        .offset:         8
        .size:           8
        .value_kind:     global_buffer
      - .actual_access:  write_only
        .address_space:  global
        .offset:         16
        .size:           8
        .value_kind:     global_buffer
      - .offset:         24
        .size:           4
        .value_kind:     by_value
      - .offset:         28
        .size:           4
        .value_kind:     by_value
      - .offset:         32
        .size:           4
        .value_kind:     by_value
      - .offset:         40
        .size:           4
        .value_kind:     hidden_block_count_x
      - .offset:         44
        .size:           4
        .value_kind:     hidden_block_count_y
      - .offset:         48
        .size:           4
        .value_kind:     hidden_block_count_z
      - .offset:         52
        .size:           2
        .value_kind:     hidden_group_size_x
      - .offset:         54
        .size:           2
        .value_kind:     hidden_group_size_y
      - .offset:         56
        .size:           2
        .value_kind:     hidden_group_size_z
      - .offset:         58
        .size:           2
        .value_kind:     hidden_remainder_x
      - .offset:         60
        .size:           2
        .value_kind:     hidden_remainder_y
      - .offset:         62
        .size:           2
        .value_kind:     hidden_remainder_z
      - .offset:         80
        .size:           8
        .value_kind:     hidden_global_offset_x
      - .offset:         88
        .size:           8
        .value_kind:     hidden_global_offset_y
      - .offset:         96
        .size:           8
        .value_kind:     hidden_global_offset_z
      - .offset:         104
        .size:           2
        .value_kind:     hidden_grid_dims
    .group_segment_fixed_size: 0
    .kernarg_segment_align: 8
    .kernarg_segment_size: 296
    .language:       OpenCL C
    .language_version:
      - 2
      - 0
    .max_flat_workgroup_size: 1024
    .name:           _ZL13mul_mat_vec_qIfLi32ELi8E10block_q8_0Li2EXadL_ZL17vec_dot_q8_0_q8_1PKvPK10block_q8_1RKiEEEvS2_S2_PT_iii
    .private_segment_fixed_size: 0
    .sgpr_count:     18
    .sgpr_spill_count: 0
    .symbol:         _ZL13mul_mat_vec_qIfLi32ELi8E10block_q8_0Li2EXadL_ZL17vec_dot_q8_0_q8_1PKvPK10block_q8_1RKiEEEvS2_S2_PT_iii.kd
    .uniform_work_group_size: 1
    .uses_dynamic_stack: false
    .vgpr_count:     14
    .vgpr_spill_count: 0
    .wavefront_size: 32
    .workgroup_processor_mode: 1
  - .args:
      - .actual_access:  read_only
        .address_space:  global
        .offset:         0
        .size:           8
        .value_kind:     global_buffer
      - .actual_access:  read_only
        .address_space:  global
        .offset:         8
        .size:           8
        .value_kind:     global_buffer
      - .actual_access:  write_only
        .address_space:  global
        .offset:         16
        .size:           8
        .value_kind:     global_buffer
      - .offset:         24
        .size:           4
        .value_kind:     by_value
      - .offset:         28
        .size:           4
        .value_kind:     by_value
      - .offset:         32
        .size:           4
        .value_kind:     by_value
      - .offset:         40
        .size:           4
        .value_kind:     hidden_block_count_x
      - .offset:         44
        .size:           4
        .value_kind:     hidden_block_count_y
      - .offset:         48
        .size:           4
        .value_kind:     hidden_block_count_z
      - .offset:         52
        .size:           2
        .value_kind:     hidden_group_size_x
      - .offset:         54
        .size:           2
        .value_kind:     hidden_group_size_y
      - .offset:         56
        .size:           2
        .value_kind:     hidden_group_size_z
      - .offset:         58
        .size:           2
        .value_kind:     hidden_remainder_x
      - .offset:         60
        .size:           2
        .value_kind:     hidden_remainder_y
      - .offset:         62
        .size:           2
        .value_kind:     hidden_remainder_z
      - .offset:         80
        .size:           8
        .value_kind:     hidden_global_offset_x
      - .offset:         88
        .size:           8
        .value_kind:     hidden_global_offset_y
      - .offset:         96
        .size:           8
        .value_kind:     hidden_global_offset_z
      - .offset:         104
        .size:           2
        .value_kind:     hidden_grid_dims
    .group_segment_fixed_size: 0
    .kernarg_segment_align: 8
    .kernarg_segment_size: 296
    .language:       OpenCL C
    .language_version:
      - 2
      - 0
    .max_flat_workgroup_size: 1024
    .name:           _ZL13mul_mat_vec_qIfLi256ELi16E10block_q2_KLi1EXadL_ZL17vec_dot_q2_K_q8_1PKvPK10block_q8_1RKiEEEvS2_S2_PT_iii
    .private_segment_fixed_size: 0
    .sgpr_count:     18
    .sgpr_spill_count: 0
    .symbol:         _ZL13mul_mat_vec_qIfLi256ELi16E10block_q2_KLi1EXadL_ZL17vec_dot_q2_K_q8_1PKvPK10block_q8_1RKiEEEvS2_S2_PT_iii.kd
    .uniform_work_group_size: 1
    .uses_dynamic_stack: false
    .vgpr_count:     65
    .vgpr_spill_count: 0
    .wavefront_size: 32
    .workgroup_processor_mode: 1
  - .args:
      - .actual_access:  read_only
        .address_space:  global
        .offset:         0
        .size:           8
        .value_kind:     global_buffer
      - .actual_access:  read_only
        .address_space:  global
        .offset:         8
        .size:           8
        .value_kind:     global_buffer
      - .actual_access:  write_only
        .address_space:  global
        .offset:         16
        .size:           8
        .value_kind:     global_buffer
      - .offset:         24
        .size:           4
        .value_kind:     by_value
      - .offset:         28
        .size:           4
        .value_kind:     by_value
      - .offset:         32
        .size:           4
        .value_kind:     by_value
      - .offset:         40
        .size:           4
        .value_kind:     hidden_block_count_x
      - .offset:         44
        .size:           4
        .value_kind:     hidden_block_count_y
      - .offset:         48
        .size:           4
        .value_kind:     hidden_block_count_z
      - .offset:         52
        .size:           2
        .value_kind:     hidden_group_size_x
      - .offset:         54
        .size:           2
        .value_kind:     hidden_group_size_y
      - .offset:         56
        .size:           2
        .value_kind:     hidden_group_size_z
      - .offset:         58
        .size:           2
        .value_kind:     hidden_remainder_x
      - .offset:         60
        .size:           2
        .value_kind:     hidden_remainder_y
      - .offset:         62
        .size:           2
        .value_kind:     hidden_remainder_z
      - .offset:         80
        .size:           8
        .value_kind:     hidden_global_offset_x
      - .offset:         88
        .size:           8
        .value_kind:     hidden_global_offset_y
      - .offset:         96
        .size:           8
        .value_kind:     hidden_global_offset_z
      - .offset:         104
        .size:           2
        .value_kind:     hidden_grid_dims
    .group_segment_fixed_size: 0
    .kernarg_segment_align: 8
    .kernarg_segment_size: 296
    .language:       OpenCL C
    .language_version:
      - 2
      - 0
    .max_flat_workgroup_size: 1024
    .name:           _ZL13mul_mat_vec_qIfLi256ELi16E10block_q3_KLi1EXadL_ZL17vec_dot_q3_K_q8_1PKvPK10block_q8_1RKiEEEvS2_S2_PT_iii
    .private_segment_fixed_size: 0
    .sgpr_count:     18
    .sgpr_spill_count: 0
    .symbol:         _ZL13mul_mat_vec_qIfLi256ELi16E10block_q3_KLi1EXadL_ZL17vec_dot_q3_K_q8_1PKvPK10block_q8_1RKiEEEvS2_S2_PT_iii.kd
    .uniform_work_group_size: 1
    .uses_dynamic_stack: false
    .vgpr_count:     76
    .vgpr_spill_count: 0
    .wavefront_size: 32
    .workgroup_processor_mode: 1
  - .args:
      - .actual_access:  read_only
        .address_space:  global
        .offset:         0
        .size:           8
        .value_kind:     global_buffer
      - .actual_access:  read_only
        .address_space:  global
        .offset:         8
        .size:           8
        .value_kind:     global_buffer
      - .actual_access:  write_only
        .address_space:  global
        .offset:         16
        .size:           8
        .value_kind:     global_buffer
      - .offset:         24
        .size:           4
        .value_kind:     by_value
      - .offset:         28
        .size:           4
        .value_kind:     by_value
      - .offset:         32
        .size:           4
        .value_kind:     by_value
      - .offset:         40
        .size:           4
        .value_kind:     hidden_block_count_x
      - .offset:         44
        .size:           4
        .value_kind:     hidden_block_count_y
      - .offset:         48
        .size:           4
        .value_kind:     hidden_block_count_z
      - .offset:         52
        .size:           2
        .value_kind:     hidden_group_size_x
      - .offset:         54
        .size:           2
        .value_kind:     hidden_group_size_y
      - .offset:         56
        .size:           2
        .value_kind:     hidden_group_size_z
      - .offset:         58
        .size:           2
        .value_kind:     hidden_remainder_x
      - .offset:         60
        .size:           2
        .value_kind:     hidden_remainder_y
      - .offset:         62
        .size:           2
        .value_kind:     hidden_remainder_z
      - .offset:         80
        .size:           8
        .value_kind:     hidden_global_offset_x
      - .offset:         88
        .size:           8
        .value_kind:     hidden_global_offset_y
      - .offset:         96
        .size:           8
        .value_kind:     hidden_global_offset_z
      - .offset:         104
        .size:           2
        .value_kind:     hidden_grid_dims
    .group_segment_fixed_size: 0
    .kernarg_segment_align: 8
    .kernarg_segment_size: 296
    .language:       OpenCL C
    .language_version:
      - 2
      - 0
    .max_flat_workgroup_size: 1024
    .name:           _ZL13mul_mat_vec_qIfLi256ELi32E10block_q4_KLi2EXadL_ZL17vec_dot_q4_K_q8_1PKvPK10block_q8_1RKiEEEvS2_S2_PT_iii
    .private_segment_fixed_size: 0
    .sgpr_count:     18
    .sgpr_spill_count: 0
    .symbol:         _ZL13mul_mat_vec_qIfLi256ELi32E10block_q4_KLi2EXadL_ZL17vec_dot_q4_K_q8_1PKvPK10block_q8_1RKiEEEvS2_S2_PT_iii.kd
    .uniform_work_group_size: 1
    .uses_dynamic_stack: false
    .vgpr_count:     51
    .vgpr_spill_count: 0
    .wavefront_size: 32
    .workgroup_processor_mode: 1
  - .args:
      - .actual_access:  read_only
        .address_space:  global
        .offset:         0
        .size:           8
        .value_kind:     global_buffer
      - .actual_access:  read_only
        .address_space:  global
        .offset:         8
        .size:           8
        .value_kind:     global_buffer
      - .actual_access:  write_only
        .address_space:  global
        .offset:         16
        .size:           8
        .value_kind:     global_buffer
      - .offset:         24
        .size:           4
        .value_kind:     by_value
      - .offset:         28
        .size:           4
        .value_kind:     by_value
      - .offset:         32
        .size:           4
        .value_kind:     by_value
      - .offset:         40
        .size:           4
        .value_kind:     hidden_block_count_x
      - .offset:         44
        .size:           4
        .value_kind:     hidden_block_count_y
      - .offset:         48
        .size:           4
        .value_kind:     hidden_block_count_z
      - .offset:         52
        .size:           2
        .value_kind:     hidden_group_size_x
      - .offset:         54
        .size:           2
        .value_kind:     hidden_group_size_y
      - .offset:         56
        .size:           2
        .value_kind:     hidden_group_size_z
      - .offset:         58
        .size:           2
        .value_kind:     hidden_remainder_x
      - .offset:         60
        .size:           2
        .value_kind:     hidden_remainder_y
      - .offset:         62
        .size:           2
        .value_kind:     hidden_remainder_z
      - .offset:         80
        .size:           8
        .value_kind:     hidden_global_offset_x
      - .offset:         88
        .size:           8
        .value_kind:     hidden_global_offset_y
      - .offset:         96
        .size:           8
        .value_kind:     hidden_global_offset_z
      - .offset:         104
        .size:           2
        .value_kind:     hidden_grid_dims
    .group_segment_fixed_size: 0
    .kernarg_segment_align: 8
    .kernarg_segment_size: 296
    .language:       OpenCL C
    .language_version:
      - 2
      - 0
    .max_flat_workgroup_size: 1024
    .name:           _ZL13mul_mat_vec_qIfLi256ELi32E10block_q5_KLi2EXadL_ZL17vec_dot_q5_K_q8_1PKvPK10block_q8_1RKiEEEvS2_S2_PT_iii
    .private_segment_fixed_size: 0
    .sgpr_count:     18
    .sgpr_spill_count: 0
    .symbol:         _ZL13mul_mat_vec_qIfLi256ELi32E10block_q5_KLi2EXadL_ZL17vec_dot_q5_K_q8_1PKvPK10block_q8_1RKiEEEvS2_S2_PT_iii.kd
    .uniform_work_group_size: 1
    .uses_dynamic_stack: false
    .vgpr_count:     52
    .vgpr_spill_count: 0
    .wavefront_size: 32
    .workgroup_processor_mode: 1
  - .args:
      - .actual_access:  read_only
        .address_space:  global
        .offset:         0
        .size:           8
        .value_kind:     global_buffer
      - .actual_access:  read_only
        .address_space:  global
        .offset:         8
        .size:           8
        .value_kind:     global_buffer
      - .actual_access:  write_only
        .address_space:  global
        .offset:         16
        .size:           8
        .value_kind:     global_buffer
      - .offset:         24
        .size:           4
        .value_kind:     by_value
      - .offset:         28
        .size:           4
        .value_kind:     by_value
      - .offset:         32
        .size:           4
        .value_kind:     by_value
      - .offset:         40
        .size:           4
        .value_kind:     hidden_block_count_x
      - .offset:         44
        .size:           4
        .value_kind:     hidden_block_count_y
      - .offset:         48
        .size:           4
        .value_kind:     hidden_block_count_z
      - .offset:         52
        .size:           2
        .value_kind:     hidden_group_size_x
      - .offset:         54
        .size:           2
        .value_kind:     hidden_group_size_y
      - .offset:         56
        .size:           2
        .value_kind:     hidden_group_size_z
      - .offset:         58
        .size:           2
        .value_kind:     hidden_remainder_x
      - .offset:         60
        .size:           2
        .value_kind:     hidden_remainder_y
      - .offset:         62
        .size:           2
        .value_kind:     hidden_remainder_z
      - .offset:         80
        .size:           8
        .value_kind:     hidden_global_offset_x
      - .offset:         88
        .size:           8
        .value_kind:     hidden_global_offset_y
      - .offset:         96
        .size:           8
        .value_kind:     hidden_global_offset_z
      - .offset:         104
        .size:           2
        .value_kind:     hidden_grid_dims
    .group_segment_fixed_size: 0
    .kernarg_segment_align: 8
    .kernarg_segment_size: 296
    .language:       OpenCL C
    .language_version:
      - 2
      - 0
    .max_flat_workgroup_size: 1024
    .name:           _ZL13mul_mat_vec_qIfLi256ELi32E10block_q6_KLi1EXadL_ZL17vec_dot_q6_K_q8_1PKvPK10block_q8_1RKiEEEvS2_S2_PT_iii
    .private_segment_fixed_size: 0
    .sgpr_count:     18
    .sgpr_spill_count: 0
    .symbol:         _ZL13mul_mat_vec_qIfLi256ELi32E10block_q6_KLi1EXadL_ZL17vec_dot_q6_K_q8_1PKvPK10block_q8_1RKiEEEvS2_S2_PT_iii.kd
    .uniform_work_group_size: 1
    .uses_dynamic_stack: false
    .vgpr_count:     34
    .vgpr_spill_count: 0
    .wavefront_size: 32
    .workgroup_processor_mode: 1
  - .args:
      - .actual_access:  read_only
        .address_space:  global
        .offset:         0
        .size:           8
        .value_kind:     global_buffer
      - .actual_access:  read_only
        .address_space:  global
        .offset:         8
        .size:           8
        .value_kind:     global_buffer
      - .actual_access:  write_only
        .address_space:  global
        .offset:         16
        .size:           8
        .value_kind:     global_buffer
      - .offset:         24
        .size:           4
        .value_kind:     by_value
      - .offset:         28
        .size:           4
        .value_kind:     by_value
      - .offset:         32
        .size:           4
        .value_kind:     by_value
      - .offset:         40
        .size:           4
        .value_kind:     hidden_block_count_x
      - .offset:         44
        .size:           4
        .value_kind:     hidden_block_count_y
      - .offset:         48
        .size:           4
        .value_kind:     hidden_block_count_z
      - .offset:         52
        .size:           2
        .value_kind:     hidden_group_size_x
      - .offset:         54
        .size:           2
        .value_kind:     hidden_group_size_y
      - .offset:         56
        .size:           2
        .value_kind:     hidden_group_size_z
      - .offset:         58
        .size:           2
        .value_kind:     hidden_remainder_x
      - .offset:         60
        .size:           2
        .value_kind:     hidden_remainder_y
      - .offset:         62
        .size:           2
        .value_kind:     hidden_remainder_z
      - .offset:         80
        .size:           8
        .value_kind:     hidden_global_offset_x
      - .offset:         88
        .size:           8
        .value_kind:     hidden_global_offset_y
      - .offset:         96
        .size:           8
        .value_kind:     hidden_global_offset_z
      - .offset:         104
        .size:           2
        .value_kind:     hidden_grid_dims
    .group_segment_fixed_size: 0
    .kernarg_segment_align: 8
    .kernarg_segment_size: 296
    .language:       OpenCL C
    .language_version:
      - 2
      - 0
    .max_flat_workgroup_size: 1024
    .name:           _ZL13mul_mat_vec_qIfLi256ELi8E13block_iq2_xxsLi1EXadL_ZL20vec_dot_iq2_xxs_q8_1PKvPK10block_q8_1RKiEEEvS2_S2_PT_iii
    .private_segment_fixed_size: 0
    .sgpr_count:     26
    .sgpr_spill_count: 0
    .symbol:         _ZL13mul_mat_vec_qIfLi256ELi8E13block_iq2_xxsLi1EXadL_ZL20vec_dot_iq2_xxs_q8_1PKvPK10block_q8_1RKiEEEvS2_S2_PT_iii.kd
    .uniform_work_group_size: 1
    .uses_dynamic_stack: false
    .vgpr_count:     94
    .vgpr_spill_count: 0
    .wavefront_size: 32
    .workgroup_processor_mode: 1
  - .args:
      - .actual_access:  read_only
        .address_space:  global
        .offset:         0
        .size:           8
        .value_kind:     global_buffer
      - .actual_access:  read_only
        .address_space:  global
        .offset:         8
        .size:           8
        .value_kind:     global_buffer
      - .actual_access:  write_only
        .address_space:  global
        .offset:         16
        .size:           8
        .value_kind:     global_buffer
      - .offset:         24
        .size:           4
        .value_kind:     by_value
      - .offset:         28
        .size:           4
        .value_kind:     by_value
      - .offset:         32
        .size:           4
        .value_kind:     by_value
      - .offset:         40
        .size:           4
        .value_kind:     hidden_block_count_x
      - .offset:         44
        .size:           4
        .value_kind:     hidden_block_count_y
      - .offset:         48
        .size:           4
        .value_kind:     hidden_block_count_z
      - .offset:         52
        .size:           2
        .value_kind:     hidden_group_size_x
      - .offset:         54
        .size:           2
        .value_kind:     hidden_group_size_y
      - .offset:         56
        .size:           2
        .value_kind:     hidden_group_size_z
      - .offset:         58
        .size:           2
        .value_kind:     hidden_remainder_x
      - .offset:         60
        .size:           2
        .value_kind:     hidden_remainder_y
      - .offset:         62
        .size:           2
        .value_kind:     hidden_remainder_z
      - .offset:         80
        .size:           8
        .value_kind:     hidden_global_offset_x
      - .offset:         88
        .size:           8
        .value_kind:     hidden_global_offset_y
      - .offset:         96
        .size:           8
        .value_kind:     hidden_global_offset_z
      - .offset:         104
        .size:           2
        .value_kind:     hidden_grid_dims
    .group_segment_fixed_size: 0
    .kernarg_segment_align: 8
    .kernarg_segment_size: 296
    .language:       OpenCL C
    .language_version:
      - 2
      - 0
    .max_flat_workgroup_size: 1024
    .name:           _ZL13mul_mat_vec_qIfLi256ELi8E12block_iq2_xsLi1EXadL_ZL19vec_dot_iq2_xs_q8_1PKvPK10block_q8_1RKiEEEvS2_S2_PT_iii
    .private_segment_fixed_size: 0
    .sgpr_count:     46
    .sgpr_spill_count: 0
    .symbol:         _ZL13mul_mat_vec_qIfLi256ELi8E12block_iq2_xsLi1EXadL_ZL19vec_dot_iq2_xs_q8_1PKvPK10block_q8_1RKiEEEvS2_S2_PT_iii.kd
    .uniform_work_group_size: 1
    .uses_dynamic_stack: false
    .vgpr_count:     94
    .vgpr_spill_count: 0
    .wavefront_size: 32
    .workgroup_processor_mode: 1
  - .args:
      - .actual_access:  read_only
        .address_space:  global
        .offset:         0
        .size:           8
        .value_kind:     global_buffer
      - .actual_access:  read_only
        .address_space:  global
        .offset:         8
        .size:           8
        .value_kind:     global_buffer
      - .actual_access:  write_only
        .address_space:  global
        .offset:         16
        .size:           8
        .value_kind:     global_buffer
      - .offset:         24
        .size:           4
        .value_kind:     by_value
      - .offset:         28
        .size:           4
        .value_kind:     by_value
      - .offset:         32
        .size:           4
        .value_kind:     by_value
      - .offset:         40
        .size:           4
        .value_kind:     hidden_block_count_x
      - .offset:         44
        .size:           4
        .value_kind:     hidden_block_count_y
      - .offset:         48
        .size:           4
        .value_kind:     hidden_block_count_z
      - .offset:         52
        .size:           2
        .value_kind:     hidden_group_size_x
      - .offset:         54
        .size:           2
        .value_kind:     hidden_group_size_y
      - .offset:         56
        .size:           2
        .value_kind:     hidden_group_size_z
      - .offset:         58
        .size:           2
        .value_kind:     hidden_remainder_x
      - .offset:         60
        .size:           2
        .value_kind:     hidden_remainder_y
      - .offset:         62
        .size:           2
        .value_kind:     hidden_remainder_z
      - .offset:         80
        .size:           8
        .value_kind:     hidden_global_offset_x
      - .offset:         88
        .size:           8
        .value_kind:     hidden_global_offset_y
      - .offset:         96
        .size:           8
        .value_kind:     hidden_global_offset_z
      - .offset:         104
        .size:           2
        .value_kind:     hidden_grid_dims
    .group_segment_fixed_size: 0
    .kernarg_segment_align: 8
    .kernarg_segment_size: 296
    .language:       OpenCL C
    .language_version:
      - 2
      - 0
    .max_flat_workgroup_size: 1024
    .name:           _ZL13mul_mat_vec_qIfLi256ELi8E13block_iq3_xxsLi1EXadL_ZL20vec_dot_iq3_xxs_q8_1PKvPK10block_q8_1RKiEEEvS2_S2_PT_iii
    .private_segment_fixed_size: 0
    .sgpr_count:     20
    .sgpr_spill_count: 0
    .symbol:         _ZL13mul_mat_vec_qIfLi256ELi8E13block_iq3_xxsLi1EXadL_ZL20vec_dot_iq3_xxs_q8_1PKvPK10block_q8_1RKiEEEvS2_S2_PT_iii.kd
    .uniform_work_group_size: 1
    .uses_dynamic_stack: false
    .vgpr_count:     37
    .vgpr_spill_count: 0
    .wavefront_size: 32
    .workgroup_processor_mode: 1
  - .args:
      - .actual_access:  read_only
        .address_space:  global
        .offset:         0
        .size:           8
        .value_kind:     global_buffer
      - .actual_access:  read_only
        .address_space:  global
        .offset:         8
        .size:           8
        .value_kind:     global_buffer
      - .actual_access:  write_only
        .address_space:  global
        .offset:         16
        .size:           8
        .value_kind:     global_buffer
      - .offset:         24
        .size:           4
        .value_kind:     by_value
      - .offset:         28
        .size:           4
        .value_kind:     by_value
      - .offset:         32
        .size:           4
        .value_kind:     by_value
      - .offset:         40
        .size:           4
        .value_kind:     hidden_block_count_x
      - .offset:         44
        .size:           4
        .value_kind:     hidden_block_count_y
      - .offset:         48
        .size:           4
        .value_kind:     hidden_block_count_z
      - .offset:         52
        .size:           2
        .value_kind:     hidden_group_size_x
      - .offset:         54
        .size:           2
        .value_kind:     hidden_group_size_y
      - .offset:         56
        .size:           2
        .value_kind:     hidden_group_size_z
      - .offset:         58
        .size:           2
        .value_kind:     hidden_remainder_x
      - .offset:         60
        .size:           2
        .value_kind:     hidden_remainder_y
      - .offset:         62
        .size:           2
        .value_kind:     hidden_remainder_z
      - .offset:         80
        .size:           8
        .value_kind:     hidden_global_offset_x
      - .offset:         88
        .size:           8
        .value_kind:     hidden_global_offset_y
      - .offset:         96
        .size:           8
        .value_kind:     hidden_global_offset_z
      - .offset:         104
        .size:           2
        .value_kind:     hidden_grid_dims
    .group_segment_fixed_size: 0
    .kernarg_segment_align: 8
    .kernarg_segment_size: 296
    .language:       OpenCL C
    .language_version:
      - 2
      - 0
    .max_flat_workgroup_size: 1024
    .name:           _ZL13mul_mat_vec_qIfLi256ELi8E11block_iq1_sLi1EXadL_ZL18vec_dot_iq1_s_q8_1PKvPK10block_q8_1RKiEEEvS2_S2_PT_iii
    .private_segment_fixed_size: 0
    .sgpr_count:     18
    .sgpr_spill_count: 0
    .symbol:         _ZL13mul_mat_vec_qIfLi256ELi8E11block_iq1_sLi1EXadL_ZL18vec_dot_iq1_s_q8_1PKvPK10block_q8_1RKiEEEvS2_S2_PT_iii.kd
    .uniform_work_group_size: 1
    .uses_dynamic_stack: false
    .vgpr_count:     53
    .vgpr_spill_count: 0
    .wavefront_size: 32
    .workgroup_processor_mode: 1
  - .args:
      - .actual_access:  read_only
        .address_space:  global
        .offset:         0
        .size:           8
        .value_kind:     global_buffer
      - .actual_access:  read_only
        .address_space:  global
        .offset:         8
        .size:           8
        .value_kind:     global_buffer
      - .actual_access:  write_only
        .address_space:  global
        .offset:         16
        .size:           8
        .value_kind:     global_buffer
      - .offset:         24
        .size:           4
        .value_kind:     by_value
      - .offset:         28
        .size:           4
        .value_kind:     by_value
      - .offset:         32
        .size:           4
        .value_kind:     by_value
      - .offset:         40
        .size:           4
        .value_kind:     hidden_block_count_x
      - .offset:         44
        .size:           4
        .value_kind:     hidden_block_count_y
      - .offset:         48
        .size:           4
        .value_kind:     hidden_block_count_z
      - .offset:         52
        .size:           2
        .value_kind:     hidden_group_size_x
      - .offset:         54
        .size:           2
        .value_kind:     hidden_group_size_y
      - .offset:         56
        .size:           2
        .value_kind:     hidden_group_size_z
      - .offset:         58
        .size:           2
        .value_kind:     hidden_remainder_x
      - .offset:         60
        .size:           2
        .value_kind:     hidden_remainder_y
      - .offset:         62
        .size:           2
        .value_kind:     hidden_remainder_z
      - .offset:         80
        .size:           8
        .value_kind:     hidden_global_offset_x
      - .offset:         88
        .size:           8
        .value_kind:     hidden_global_offset_y
      - .offset:         96
        .size:           8
        .value_kind:     hidden_global_offset_z
      - .offset:         104
        .size:           2
        .value_kind:     hidden_grid_dims
    .group_segment_fixed_size: 0
    .kernarg_segment_align: 8
    .kernarg_segment_size: 296
    .language:       OpenCL C
    .language_version:
      - 2
      - 0
    .max_flat_workgroup_size: 1024
    .name:           _ZL13mul_mat_vec_qIfLi32ELi4E12block_iq4_nlLi2EXadL_ZL19vec_dot_iq4_nl_q8_1PKvPK10block_q8_1RKiEEEvS2_S2_PT_iii
    .private_segment_fixed_size: 0
    .sgpr_count:     18
    .sgpr_spill_count: 0
    .symbol:         _ZL13mul_mat_vec_qIfLi32ELi4E12block_iq4_nlLi2EXadL_ZL19vec_dot_iq4_nl_q8_1PKvPK10block_q8_1RKiEEEvS2_S2_PT_iii.kd
    .uniform_work_group_size: 1
    .uses_dynamic_stack: false
    .vgpr_count:     33
    .vgpr_spill_count: 0
    .wavefront_size: 32
    .workgroup_processor_mode: 1
  - .args:
      - .actual_access:  read_only
        .address_space:  global
        .offset:         0
        .size:           8
        .value_kind:     global_buffer
      - .actual_access:  read_only
        .address_space:  global
        .offset:         8
        .size:           8
        .value_kind:     global_buffer
      - .actual_access:  write_only
        .address_space:  global
        .offset:         16
        .size:           8
        .value_kind:     global_buffer
      - .offset:         24
        .size:           4
        .value_kind:     by_value
      - .offset:         28
        .size:           4
        .value_kind:     by_value
      - .offset:         32
        .size:           4
        .value_kind:     by_value
      - .offset:         40
        .size:           4
        .value_kind:     hidden_block_count_x
      - .offset:         44
        .size:           4
        .value_kind:     hidden_block_count_y
      - .offset:         48
        .size:           4
        .value_kind:     hidden_block_count_z
      - .offset:         52
        .size:           2
        .value_kind:     hidden_group_size_x
      - .offset:         54
        .size:           2
        .value_kind:     hidden_group_size_y
      - .offset:         56
        .size:           2
        .value_kind:     hidden_group_size_z
      - .offset:         58
        .size:           2
        .value_kind:     hidden_remainder_x
      - .offset:         60
        .size:           2
        .value_kind:     hidden_remainder_y
      - .offset:         62
        .size:           2
        .value_kind:     hidden_remainder_z
      - .offset:         80
        .size:           8
        .value_kind:     hidden_global_offset_x
      - .offset:         88
        .size:           8
        .value_kind:     hidden_global_offset_y
      - .offset:         96
        .size:           8
        .value_kind:     hidden_global_offset_z
      - .offset:         104
        .size:           2
        .value_kind:     hidden_grid_dims
    .group_segment_fixed_size: 0
    .kernarg_segment_align: 8
    .kernarg_segment_size: 296
    .language:       OpenCL C
    .language_version:
      - 2
      - 0
    .max_flat_workgroup_size: 1024
    .name:           _ZL13mul_mat_vec_qIfLi256ELi8E11block_iq3_sLi1EXadL_ZL18vec_dot_iq3_s_q8_1PKvPK10block_q8_1RKiEEEvS2_S2_PT_iii
    .private_segment_fixed_size: 0
    .sgpr_count:     18
    .sgpr_spill_count: 0
    .symbol:         _ZL13mul_mat_vec_qIfLi256ELi8E11block_iq3_sLi1EXadL_ZL18vec_dot_iq3_s_q8_1PKvPK10block_q8_1RKiEEEvS2_S2_PT_iii.kd
    .uniform_work_group_size: 1
    .uses_dynamic_stack: false
    .vgpr_count:     42
    .vgpr_spill_count: 0
    .wavefront_size: 32
    .workgroup_processor_mode: 1
  - .args:
      - .actual_access:  read_only
        .address_space:  global
        .offset:         0
        .size:           8
        .value_kind:     global_buffer
      - .actual_access:  read_only
        .address_space:  global
        .offset:         8
        .size:           8
        .value_kind:     global_buffer
      - .actual_access:  write_only
        .address_space:  global
        .offset:         16
        .size:           8
        .value_kind:     global_buffer
      - .offset:         24
        .size:           4
        .value_kind:     by_value
      - .offset:         28
        .size:           4
        .value_kind:     by_value
      - .offset:         32
        .size:           4
        .value_kind:     by_value
      - .offset:         40
        .size:           4
        .value_kind:     hidden_block_count_x
      - .offset:         44
        .size:           4
        .value_kind:     hidden_block_count_y
      - .offset:         48
        .size:           4
        .value_kind:     hidden_block_count_z
      - .offset:         52
        .size:           2
        .value_kind:     hidden_group_size_x
      - .offset:         54
        .size:           2
        .value_kind:     hidden_group_size_y
      - .offset:         56
        .size:           2
        .value_kind:     hidden_group_size_z
      - .offset:         58
        .size:           2
        .value_kind:     hidden_remainder_x
      - .offset:         60
        .size:           2
        .value_kind:     hidden_remainder_y
      - .offset:         62
        .size:           2
        .value_kind:     hidden_remainder_z
      - .offset:         80
        .size:           8
        .value_kind:     hidden_global_offset_x
      - .offset:         88
        .size:           8
        .value_kind:     hidden_global_offset_y
      - .offset:         96
        .size:           8
        .value_kind:     hidden_global_offset_z
      - .offset:         104
        .size:           2
        .value_kind:     hidden_grid_dims
    .group_segment_fixed_size: 0
    .kernarg_segment_align: 8
    .kernarg_segment_size: 296
    .language:       OpenCL C
    .language_version:
      - 2
      - 0
    .max_flat_workgroup_size: 1024
    .name:           _ZL13mul_mat_vec_qIfLi256ELi8E11block_iq2_sLi1EXadL_ZL18vec_dot_iq2_s_q8_1PKvPK10block_q8_1RKiEEEvS2_S2_PT_iii
    .private_segment_fixed_size: 0
    .sgpr_count:     18
    .sgpr_spill_count: 0
    .symbol:         _ZL13mul_mat_vec_qIfLi256ELi8E11block_iq2_sLi1EXadL_ZL18vec_dot_iq2_s_q8_1PKvPK10block_q8_1RKiEEEvS2_S2_PT_iii.kd
    .uniform_work_group_size: 1
    .uses_dynamic_stack: false
    .vgpr_count:     41
    .vgpr_spill_count: 0
    .wavefront_size: 32
    .workgroup_processor_mode: 1
  - .args:
      - .actual_access:  read_only
        .address_space:  global
        .offset:         0
        .size:           8
        .value_kind:     global_buffer
      - .actual_access:  read_only
        .address_space:  global
        .offset:         8
        .size:           8
        .value_kind:     global_buffer
      - .actual_access:  write_only
        .address_space:  global
        .offset:         16
        .size:           8
        .value_kind:     global_buffer
      - .offset:         24
        .size:           4
        .value_kind:     by_value
      - .offset:         28
        .size:           4
        .value_kind:     by_value
      - .offset:         32
        .size:           4
        .value_kind:     by_value
      - .offset:         40
        .size:           4
        .value_kind:     hidden_block_count_x
      - .offset:         44
        .size:           4
        .value_kind:     hidden_block_count_y
      - .offset:         48
        .size:           4
        .value_kind:     hidden_block_count_z
      - .offset:         52
        .size:           2
        .value_kind:     hidden_group_size_x
      - .offset:         54
        .size:           2
        .value_kind:     hidden_group_size_y
      - .offset:         56
        .size:           2
        .value_kind:     hidden_group_size_z
      - .offset:         58
        .size:           2
        .value_kind:     hidden_remainder_x
      - .offset:         60
        .size:           2
        .value_kind:     hidden_remainder_y
      - .offset:         62
        .size:           2
        .value_kind:     hidden_remainder_z
      - .offset:         80
        .size:           8
        .value_kind:     hidden_global_offset_x
      - .offset:         88
        .size:           8
        .value_kind:     hidden_global_offset_y
      - .offset:         96
        .size:           8
        .value_kind:     hidden_global_offset_z
      - .offset:         104
        .size:           2
        .value_kind:     hidden_grid_dims
    .group_segment_fixed_size: 0
    .kernarg_segment_align: 8
    .kernarg_segment_size: 296
    .language:       OpenCL C
    .language_version:
      - 2
      - 0
    .max_flat_workgroup_size: 1024
    .name:           _ZL13mul_mat_vec_qIfLi256ELi8E12block_iq4_xsLi1EXadL_ZL19vec_dot_iq4_xs_q8_1PKvPK10block_q8_1RKiEEEvS2_S2_PT_iii
    .private_segment_fixed_size: 0
    .sgpr_count:     18
    .sgpr_spill_count: 0
    .symbol:         _ZL13mul_mat_vec_qIfLi256ELi8E12block_iq4_xsLi1EXadL_ZL19vec_dot_iq4_xs_q8_1PKvPK10block_q8_1RKiEEEvS2_S2_PT_iii.kd
    .uniform_work_group_size: 1
    .uses_dynamic_stack: false
    .vgpr_count:     34
    .vgpr_spill_count: 0
    .wavefront_size: 32
    .workgroup_processor_mode: 1
  - .args:
      - .actual_access:  read_only
        .address_space:  global
        .offset:         0
        .size:           8
        .value_kind:     global_buffer
      - .actual_access:  read_only
        .address_space:  global
        .offset:         8
        .size:           8
        .value_kind:     global_buffer
      - .actual_access:  write_only
        .address_space:  global
        .offset:         16
        .size:           8
        .value_kind:     global_buffer
      - .offset:         24
        .size:           4
        .value_kind:     by_value
      - .offset:         28
        .size:           4
        .value_kind:     by_value
      - .offset:         32
        .size:           4
        .value_kind:     by_value
      - .offset:         40
        .size:           4
        .value_kind:     hidden_block_count_x
      - .offset:         44
        .size:           4
        .value_kind:     hidden_block_count_y
      - .offset:         48
        .size:           4
        .value_kind:     hidden_block_count_z
      - .offset:         52
        .size:           2
        .value_kind:     hidden_group_size_x
      - .offset:         54
        .size:           2
        .value_kind:     hidden_group_size_y
      - .offset:         56
        .size:           2
        .value_kind:     hidden_group_size_z
      - .offset:         58
        .size:           2
        .value_kind:     hidden_remainder_x
      - .offset:         60
        .size:           2
        .value_kind:     hidden_remainder_y
      - .offset:         62
        .size:           2
        .value_kind:     hidden_remainder_z
      - .offset:         80
        .size:           8
        .value_kind:     hidden_global_offset_x
      - .offset:         88
        .size:           8
        .value_kind:     hidden_global_offset_y
      - .offset:         96
        .size:           8
        .value_kind:     hidden_global_offset_z
      - .offset:         104
        .size:           2
        .value_kind:     hidden_grid_dims
    .group_segment_fixed_size: 0
    .kernarg_segment_align: 8
    .kernarg_segment_size: 296
    .language:       OpenCL C
    .language_version:
      - 2
      - 0
    .max_flat_workgroup_size: 1024
    .name:           _ZL13mul_mat_vec_qIfLi256ELi8E11block_iq1_mLi1EXadL_ZL18vec_dot_iq1_m_q8_1PKvPK10block_q8_1RKiEEEvS2_S2_PT_iii
    .private_segment_fixed_size: 0
    .sgpr_count:     18
    .sgpr_spill_count: 0
    .symbol:         _ZL13mul_mat_vec_qIfLi256ELi8E11block_iq1_mLi1EXadL_ZL18vec_dot_iq1_m_q8_1PKvPK10block_q8_1RKiEEEvS2_S2_PT_iii.kd
    .uniform_work_group_size: 1
    .uses_dynamic_stack: false
    .vgpr_count:     74
    .vgpr_spill_count: 0
    .wavefront_size: 32
    .workgroup_processor_mode: 1
  - .args:
      - .actual_access:  read_only
        .address_space:  global
        .offset:         0
        .size:           8
        .value_kind:     global_buffer
      - .actual_access:  write_only
        .address_space:  global
        .offset:         8
        .size:           8
        .value_kind:     global_buffer
      - .offset:         16
        .size:           4
        .value_kind:     by_value
      - .offset:         20
        .size:           4
        .value_kind:     by_value
      - .offset:         24
        .size:           4
        .value_kind:     hidden_block_count_x
      - .offset:         28
        .size:           4
        .value_kind:     hidden_block_count_y
      - .offset:         32
        .size:           4
        .value_kind:     hidden_block_count_z
      - .offset:         36
        .size:           2
        .value_kind:     hidden_group_size_x
      - .offset:         38
        .size:           2
        .value_kind:     hidden_group_size_y
      - .offset:         40
        .size:           2
        .value_kind:     hidden_group_size_z
      - .offset:         42
        .size:           2
        .value_kind:     hidden_remainder_x
      - .offset:         44
        .size:           2
        .value_kind:     hidden_remainder_y
      - .offset:         46
        .size:           2
        .value_kind:     hidden_remainder_z
      - .offset:         64
        .size:           8
        .value_kind:     hidden_global_offset_x
      - .offset:         72
        .size:           8
        .value_kind:     hidden_global_offset_y
      - .offset:         80
        .size:           8
        .value_kind:     hidden_global_offset_z
      - .offset:         88
        .size:           2
        .value_kind:     hidden_grid_dims
    .group_segment_fixed_size: 0
    .kernarg_segment_align: 8
    .kernarg_segment_size: 280
    .language:       OpenCL C
    .language_version:
      - 2
      - 0
    .max_flat_workgroup_size: 1024
    .name:           _ZL13quantize_q8_1IN3c104HalfEEvPKT_Pvii
    .private_segment_fixed_size: 0
    .sgpr_count:     18
    .sgpr_spill_count: 0
    .symbol:         _ZL13quantize_q8_1IN3c104HalfEEvPKT_Pvii.kd
    .uniform_work_group_size: 1
    .uses_dynamic_stack: false
    .vgpr_count:     13
    .vgpr_spill_count: 0
    .wavefront_size: 32
    .workgroup_processor_mode: 1
  - .args:
      - .actual_access:  read_only
        .address_space:  global
        .offset:         0
        .size:           8
        .value_kind:     global_buffer
      - .actual_access:  read_only
        .address_space:  global
        .offset:         8
        .size:           8
        .value_kind:     global_buffer
      - .actual_access:  write_only
        .address_space:  global
        .offset:         16
        .size:           8
        .value_kind:     global_buffer
      - .offset:         24
        .size:           4
        .value_kind:     by_value
      - .offset:         28
        .size:           4
        .value_kind:     by_value
      - .offset:         32
        .size:           4
        .value_kind:     by_value
      - .offset:         40
        .size:           4
        .value_kind:     hidden_block_count_x
      - .offset:         44
        .size:           4
        .value_kind:     hidden_block_count_y
      - .offset:         48
        .size:           4
        .value_kind:     hidden_block_count_z
      - .offset:         52
        .size:           2
        .value_kind:     hidden_group_size_x
      - .offset:         54
        .size:           2
        .value_kind:     hidden_group_size_y
      - .offset:         56
        .size:           2
        .value_kind:     hidden_group_size_z
      - .offset:         58
        .size:           2
        .value_kind:     hidden_remainder_x
      - .offset:         60
        .size:           2
        .value_kind:     hidden_remainder_y
      - .offset:         62
        .size:           2
        .value_kind:     hidden_remainder_z
      - .offset:         80
        .size:           8
        .value_kind:     hidden_global_offset_x
      - .offset:         88
        .size:           8
        .value_kind:     hidden_global_offset_y
      - .offset:         96
        .size:           8
        .value_kind:     hidden_global_offset_z
      - .offset:         104
        .size:           2
        .value_kind:     hidden_grid_dims
    .group_segment_fixed_size: 0
    .kernarg_segment_align: 8
    .kernarg_segment_size: 296
    .language:       OpenCL C
    .language_version:
      - 2
      - 0
    .max_flat_workgroup_size: 1024
    .name:           _ZL13mul_mat_vec_qIN3c104HalfELi32ELi4E10block_q4_0Li2EXadL_ZL17vec_dot_q4_0_q8_1PKvPK10block_q8_1RKiEEEvS4_S4_PT_iii
    .private_segment_fixed_size: 0
    .sgpr_count:     18
    .sgpr_spill_count: 0
    .symbol:         _ZL13mul_mat_vec_qIN3c104HalfELi32ELi4E10block_q4_0Li2EXadL_ZL17vec_dot_q4_0_q8_1PKvPK10block_q8_1RKiEEEvS4_S4_PT_iii.kd
    .uniform_work_group_size: 1
    .uses_dynamic_stack: false
    .vgpr_count:     32
    .vgpr_spill_count: 0
    .wavefront_size: 32
    .workgroup_processor_mode: 1
  - .args:
      - .actual_access:  read_only
        .address_space:  global
        .offset:         0
        .size:           8
        .value_kind:     global_buffer
      - .actual_access:  read_only
        .address_space:  global
        .offset:         8
        .size:           8
        .value_kind:     global_buffer
      - .actual_access:  write_only
        .address_space:  global
        .offset:         16
        .size:           8
        .value_kind:     global_buffer
      - .offset:         24
        .size:           4
        .value_kind:     by_value
      - .offset:         28
        .size:           4
        .value_kind:     by_value
      - .offset:         32
        .size:           4
        .value_kind:     by_value
      - .offset:         40
        .size:           4
        .value_kind:     hidden_block_count_x
      - .offset:         44
        .size:           4
        .value_kind:     hidden_block_count_y
      - .offset:         48
        .size:           4
        .value_kind:     hidden_block_count_z
      - .offset:         52
        .size:           2
        .value_kind:     hidden_group_size_x
      - .offset:         54
        .size:           2
        .value_kind:     hidden_group_size_y
      - .offset:         56
        .size:           2
        .value_kind:     hidden_group_size_z
      - .offset:         58
        .size:           2
        .value_kind:     hidden_remainder_x
      - .offset:         60
        .size:           2
        .value_kind:     hidden_remainder_y
      - .offset:         62
        .size:           2
        .value_kind:     hidden_remainder_z
      - .offset:         80
        .size:           8
        .value_kind:     hidden_global_offset_x
      - .offset:         88
        .size:           8
        .value_kind:     hidden_global_offset_y
      - .offset:         96
        .size:           8
        .value_kind:     hidden_global_offset_z
      - .offset:         104
        .size:           2
        .value_kind:     hidden_grid_dims
    .group_segment_fixed_size: 0
    .kernarg_segment_align: 8
    .kernarg_segment_size: 296
    .language:       OpenCL C
    .language_version:
      - 2
      - 0
    .max_flat_workgroup_size: 1024
    .name:           _ZL13mul_mat_vec_qIN3c104HalfELi32ELi4E10block_q4_1Li2EXadL_ZL17vec_dot_q4_1_q8_1PKvPK10block_q8_1RKiEEEvS4_S4_PT_iii
    .private_segment_fixed_size: 0
    .sgpr_count:     18
    .sgpr_spill_count: 0
    .symbol:         _ZL13mul_mat_vec_qIN3c104HalfELi32ELi4E10block_q4_1Li2EXadL_ZL17vec_dot_q4_1_q8_1PKvPK10block_q8_1RKiEEEvS4_S4_PT_iii.kd
    .uniform_work_group_size: 1
    .uses_dynamic_stack: false
    .vgpr_count:     32
    .vgpr_spill_count: 0
    .wavefront_size: 32
    .workgroup_processor_mode: 1
  - .args:
      - .actual_access:  read_only
        .address_space:  global
        .offset:         0
        .size:           8
        .value_kind:     global_buffer
      - .actual_access:  read_only
        .address_space:  global
        .offset:         8
        .size:           8
        .value_kind:     global_buffer
      - .actual_access:  write_only
        .address_space:  global
        .offset:         16
        .size:           8
        .value_kind:     global_buffer
      - .offset:         24
        .size:           4
        .value_kind:     by_value
      - .offset:         28
        .size:           4
        .value_kind:     by_value
      - .offset:         32
        .size:           4
        .value_kind:     by_value
      - .offset:         40
        .size:           4
        .value_kind:     hidden_block_count_x
      - .offset:         44
        .size:           4
        .value_kind:     hidden_block_count_y
      - .offset:         48
        .size:           4
        .value_kind:     hidden_block_count_z
      - .offset:         52
        .size:           2
        .value_kind:     hidden_group_size_x
      - .offset:         54
        .size:           2
        .value_kind:     hidden_group_size_y
      - .offset:         56
        .size:           2
        .value_kind:     hidden_group_size_z
      - .offset:         58
        .size:           2
        .value_kind:     hidden_remainder_x
      - .offset:         60
        .size:           2
        .value_kind:     hidden_remainder_y
      - .offset:         62
        .size:           2
        .value_kind:     hidden_remainder_z
      - .offset:         80
        .size:           8
        .value_kind:     hidden_global_offset_x
      - .offset:         88
        .size:           8
        .value_kind:     hidden_global_offset_y
      - .offset:         96
        .size:           8
        .value_kind:     hidden_global_offset_z
      - .offset:         104
        .size:           2
        .value_kind:     hidden_grid_dims
    .group_segment_fixed_size: 0
    .kernarg_segment_align: 8
    .kernarg_segment_size: 296
    .language:       OpenCL C
    .language_version:
      - 2
      - 0
    .max_flat_workgroup_size: 1024
    .name:           _ZL13mul_mat_vec_qIN3c104HalfELi32ELi4E10block_q5_0Li2EXadL_ZL17vec_dot_q5_0_q8_1PKvPK10block_q8_1RKiEEEvS4_S4_PT_iii
    .private_segment_fixed_size: 0
    .sgpr_count:     18
    .sgpr_spill_count: 0
    .symbol:         _ZL13mul_mat_vec_qIN3c104HalfELi32ELi4E10block_q5_0Li2EXadL_ZL17vec_dot_q5_0_q8_1PKvPK10block_q8_1RKiEEEvS4_S4_PT_iii.kd
    .uniform_work_group_size: 1
    .uses_dynamic_stack: false
    .vgpr_count:     45
    .vgpr_spill_count: 0
    .wavefront_size: 32
    .workgroup_processor_mode: 1
  - .args:
      - .actual_access:  read_only
        .address_space:  global
        .offset:         0
        .size:           8
        .value_kind:     global_buffer
      - .actual_access:  read_only
        .address_space:  global
        .offset:         8
        .size:           8
        .value_kind:     global_buffer
      - .actual_access:  write_only
        .address_space:  global
        .offset:         16
        .size:           8
        .value_kind:     global_buffer
      - .offset:         24
        .size:           4
        .value_kind:     by_value
      - .offset:         28
        .size:           4
        .value_kind:     by_value
      - .offset:         32
        .size:           4
        .value_kind:     by_value
      - .offset:         40
        .size:           4
        .value_kind:     hidden_block_count_x
      - .offset:         44
        .size:           4
        .value_kind:     hidden_block_count_y
      - .offset:         48
        .size:           4
        .value_kind:     hidden_block_count_z
      - .offset:         52
        .size:           2
        .value_kind:     hidden_group_size_x
      - .offset:         54
        .size:           2
        .value_kind:     hidden_group_size_y
      - .offset:         56
        .size:           2
        .value_kind:     hidden_group_size_z
      - .offset:         58
        .size:           2
        .value_kind:     hidden_remainder_x
      - .offset:         60
        .size:           2
        .value_kind:     hidden_remainder_y
      - .offset:         62
        .size:           2
        .value_kind:     hidden_remainder_z
      - .offset:         80
        .size:           8
        .value_kind:     hidden_global_offset_x
      - .offset:         88
        .size:           8
        .value_kind:     hidden_global_offset_y
      - .offset:         96
        .size:           8
        .value_kind:     hidden_global_offset_z
      - .offset:         104
        .size:           2
        .value_kind:     hidden_grid_dims
    .group_segment_fixed_size: 0
    .kernarg_segment_align: 8
    .kernarg_segment_size: 296
    .language:       OpenCL C
    .language_version:
      - 2
      - 0
    .max_flat_workgroup_size: 1024
    .name:           _ZL13mul_mat_vec_qIN3c104HalfELi32ELi4E10block_q5_1Li2EXadL_ZL17vec_dot_q5_1_q8_1PKvPK10block_q8_1RKiEEEvS4_S4_PT_iii
    .private_segment_fixed_size: 0
    .sgpr_count:     18
    .sgpr_spill_count: 0
    .symbol:         _ZL13mul_mat_vec_qIN3c104HalfELi32ELi4E10block_q5_1Li2EXadL_ZL17vec_dot_q5_1_q8_1PKvPK10block_q8_1RKiEEEvS4_S4_PT_iii.kd
    .uniform_work_group_size: 1
    .uses_dynamic_stack: false
    .vgpr_count:     45
    .vgpr_spill_count: 0
    .wavefront_size: 32
    .workgroup_processor_mode: 1
  - .args:
      - .actual_access:  read_only
        .address_space:  global
        .offset:         0
        .size:           8
        .value_kind:     global_buffer
      - .actual_access:  read_only
        .address_space:  global
        .offset:         8
        .size:           8
        .value_kind:     global_buffer
      - .actual_access:  write_only
        .address_space:  global
        .offset:         16
        .size:           8
        .value_kind:     global_buffer
      - .offset:         24
        .size:           4
        .value_kind:     by_value
      - .offset:         28
        .size:           4
        .value_kind:     by_value
      - .offset:         32
        .size:           4
        .value_kind:     by_value
      - .offset:         40
        .size:           4
        .value_kind:     hidden_block_count_x
      - .offset:         44
        .size:           4
        .value_kind:     hidden_block_count_y
      - .offset:         48
        .size:           4
        .value_kind:     hidden_block_count_z
      - .offset:         52
        .size:           2
        .value_kind:     hidden_group_size_x
      - .offset:         54
        .size:           2
        .value_kind:     hidden_group_size_y
      - .offset:         56
        .size:           2
        .value_kind:     hidden_group_size_z
      - .offset:         58
        .size:           2
        .value_kind:     hidden_remainder_x
      - .offset:         60
        .size:           2
        .value_kind:     hidden_remainder_y
      - .offset:         62
        .size:           2
        .value_kind:     hidden_remainder_z
      - .offset:         80
        .size:           8
        .value_kind:     hidden_global_offset_x
      - .offset:         88
        .size:           8
        .value_kind:     hidden_global_offset_y
      - .offset:         96
        .size:           8
        .value_kind:     hidden_global_offset_z
      - .offset:         104
        .size:           2
        .value_kind:     hidden_grid_dims
    .group_segment_fixed_size: 0
    .kernarg_segment_align: 8
    .kernarg_segment_size: 296
    .language:       OpenCL C
    .language_version:
      - 2
      - 0
    .max_flat_workgroup_size: 1024
    .name:           _ZL13mul_mat_vec_qIN3c104HalfELi32ELi8E10block_q8_0Li2EXadL_ZL17vec_dot_q8_0_q8_1PKvPK10block_q8_1RKiEEEvS4_S4_PT_iii
    .private_segment_fixed_size: 0
    .sgpr_count:     18
    .sgpr_spill_count: 0
    .symbol:         _ZL13mul_mat_vec_qIN3c104HalfELi32ELi8E10block_q8_0Li2EXadL_ZL17vec_dot_q8_0_q8_1PKvPK10block_q8_1RKiEEEvS4_S4_PT_iii.kd
    .uniform_work_group_size: 1
    .uses_dynamic_stack: false
    .vgpr_count:     14
    .vgpr_spill_count: 0
    .wavefront_size: 32
    .workgroup_processor_mode: 1
  - .args:
      - .actual_access:  read_only
        .address_space:  global
        .offset:         0
        .size:           8
        .value_kind:     global_buffer
      - .actual_access:  read_only
        .address_space:  global
        .offset:         8
        .size:           8
        .value_kind:     global_buffer
      - .actual_access:  write_only
        .address_space:  global
        .offset:         16
        .size:           8
        .value_kind:     global_buffer
      - .offset:         24
        .size:           4
        .value_kind:     by_value
      - .offset:         28
        .size:           4
        .value_kind:     by_value
      - .offset:         32
        .size:           4
        .value_kind:     by_value
      - .offset:         40
        .size:           4
        .value_kind:     hidden_block_count_x
      - .offset:         44
        .size:           4
        .value_kind:     hidden_block_count_y
      - .offset:         48
        .size:           4
        .value_kind:     hidden_block_count_z
      - .offset:         52
        .size:           2
        .value_kind:     hidden_group_size_x
      - .offset:         54
        .size:           2
        .value_kind:     hidden_group_size_y
      - .offset:         56
        .size:           2
        .value_kind:     hidden_group_size_z
      - .offset:         58
        .size:           2
        .value_kind:     hidden_remainder_x
      - .offset:         60
        .size:           2
        .value_kind:     hidden_remainder_y
      - .offset:         62
        .size:           2
        .value_kind:     hidden_remainder_z
      - .offset:         80
        .size:           8
        .value_kind:     hidden_global_offset_x
      - .offset:         88
        .size:           8
        .value_kind:     hidden_global_offset_y
      - .offset:         96
        .size:           8
        .value_kind:     hidden_global_offset_z
      - .offset:         104
        .size:           2
        .value_kind:     hidden_grid_dims
    .group_segment_fixed_size: 0
    .kernarg_segment_align: 8
    .kernarg_segment_size: 296
    .language:       OpenCL C
    .language_version:
      - 2
      - 0
    .max_flat_workgroup_size: 1024
    .name:           _ZL13mul_mat_vec_qIN3c104HalfELi256ELi16E10block_q2_KLi1EXadL_ZL17vec_dot_q2_K_q8_1PKvPK10block_q8_1RKiEEEvS4_S4_PT_iii
    .private_segment_fixed_size: 0
    .sgpr_count:     18
    .sgpr_spill_count: 0
    .symbol:         _ZL13mul_mat_vec_qIN3c104HalfELi256ELi16E10block_q2_KLi1EXadL_ZL17vec_dot_q2_K_q8_1PKvPK10block_q8_1RKiEEEvS4_S4_PT_iii.kd
    .uniform_work_group_size: 1
    .uses_dynamic_stack: false
    .vgpr_count:     65
    .vgpr_spill_count: 0
    .wavefront_size: 32
    .workgroup_processor_mode: 1
  - .args:
      - .actual_access:  read_only
        .address_space:  global
        .offset:         0
        .size:           8
        .value_kind:     global_buffer
      - .actual_access:  read_only
        .address_space:  global
        .offset:         8
        .size:           8
        .value_kind:     global_buffer
      - .actual_access:  write_only
        .address_space:  global
        .offset:         16
        .size:           8
        .value_kind:     global_buffer
      - .offset:         24
        .size:           4
        .value_kind:     by_value
      - .offset:         28
        .size:           4
        .value_kind:     by_value
      - .offset:         32
        .size:           4
        .value_kind:     by_value
      - .offset:         40
        .size:           4
        .value_kind:     hidden_block_count_x
      - .offset:         44
        .size:           4
        .value_kind:     hidden_block_count_y
      - .offset:         48
        .size:           4
        .value_kind:     hidden_block_count_z
      - .offset:         52
        .size:           2
        .value_kind:     hidden_group_size_x
      - .offset:         54
        .size:           2
        .value_kind:     hidden_group_size_y
      - .offset:         56
        .size:           2
        .value_kind:     hidden_group_size_z
      - .offset:         58
        .size:           2
        .value_kind:     hidden_remainder_x
      - .offset:         60
        .size:           2
        .value_kind:     hidden_remainder_y
      - .offset:         62
        .size:           2
        .value_kind:     hidden_remainder_z
      - .offset:         80
        .size:           8
        .value_kind:     hidden_global_offset_x
      - .offset:         88
        .size:           8
        .value_kind:     hidden_global_offset_y
      - .offset:         96
        .size:           8
        .value_kind:     hidden_global_offset_z
      - .offset:         104
        .size:           2
        .value_kind:     hidden_grid_dims
    .group_segment_fixed_size: 0
    .kernarg_segment_align: 8
    .kernarg_segment_size: 296
    .language:       OpenCL C
    .language_version:
      - 2
      - 0
    .max_flat_workgroup_size: 1024
    .name:           _ZL13mul_mat_vec_qIN3c104HalfELi256ELi16E10block_q3_KLi1EXadL_ZL17vec_dot_q3_K_q8_1PKvPK10block_q8_1RKiEEEvS4_S4_PT_iii
    .private_segment_fixed_size: 0
    .sgpr_count:     18
    .sgpr_spill_count: 0
    .symbol:         _ZL13mul_mat_vec_qIN3c104HalfELi256ELi16E10block_q3_KLi1EXadL_ZL17vec_dot_q3_K_q8_1PKvPK10block_q8_1RKiEEEvS4_S4_PT_iii.kd
    .uniform_work_group_size: 1
    .uses_dynamic_stack: false
    .vgpr_count:     76
    .vgpr_spill_count: 0
    .wavefront_size: 32
    .workgroup_processor_mode: 1
  - .args:
      - .actual_access:  read_only
        .address_space:  global
        .offset:         0
        .size:           8
        .value_kind:     global_buffer
      - .actual_access:  read_only
        .address_space:  global
        .offset:         8
        .size:           8
        .value_kind:     global_buffer
      - .actual_access:  write_only
        .address_space:  global
        .offset:         16
        .size:           8
        .value_kind:     global_buffer
      - .offset:         24
        .size:           4
        .value_kind:     by_value
      - .offset:         28
        .size:           4
        .value_kind:     by_value
      - .offset:         32
        .size:           4
        .value_kind:     by_value
      - .offset:         40
        .size:           4
        .value_kind:     hidden_block_count_x
      - .offset:         44
        .size:           4
        .value_kind:     hidden_block_count_y
      - .offset:         48
        .size:           4
        .value_kind:     hidden_block_count_z
      - .offset:         52
        .size:           2
        .value_kind:     hidden_group_size_x
      - .offset:         54
        .size:           2
        .value_kind:     hidden_group_size_y
      - .offset:         56
        .size:           2
        .value_kind:     hidden_group_size_z
      - .offset:         58
        .size:           2
        .value_kind:     hidden_remainder_x
      - .offset:         60
        .size:           2
        .value_kind:     hidden_remainder_y
      - .offset:         62
        .size:           2
        .value_kind:     hidden_remainder_z
      - .offset:         80
        .size:           8
        .value_kind:     hidden_global_offset_x
      - .offset:         88
        .size:           8
        .value_kind:     hidden_global_offset_y
      - .offset:         96
        .size:           8
        .value_kind:     hidden_global_offset_z
      - .offset:         104
        .size:           2
        .value_kind:     hidden_grid_dims
    .group_segment_fixed_size: 0
    .kernarg_segment_align: 8
    .kernarg_segment_size: 296
    .language:       OpenCL C
    .language_version:
      - 2
      - 0
    .max_flat_workgroup_size: 1024
    .name:           _ZL13mul_mat_vec_qIN3c104HalfELi256ELi32E10block_q4_KLi2EXadL_ZL17vec_dot_q4_K_q8_1PKvPK10block_q8_1RKiEEEvS4_S4_PT_iii
    .private_segment_fixed_size: 0
    .sgpr_count:     18
    .sgpr_spill_count: 0
    .symbol:         _ZL13mul_mat_vec_qIN3c104HalfELi256ELi32E10block_q4_KLi2EXadL_ZL17vec_dot_q4_K_q8_1PKvPK10block_q8_1RKiEEEvS4_S4_PT_iii.kd
    .uniform_work_group_size: 1
    .uses_dynamic_stack: false
    .vgpr_count:     51
    .vgpr_spill_count: 0
    .wavefront_size: 32
    .workgroup_processor_mode: 1
  - .args:
      - .actual_access:  read_only
        .address_space:  global
        .offset:         0
        .size:           8
        .value_kind:     global_buffer
      - .actual_access:  read_only
        .address_space:  global
        .offset:         8
        .size:           8
        .value_kind:     global_buffer
      - .actual_access:  write_only
        .address_space:  global
        .offset:         16
        .size:           8
        .value_kind:     global_buffer
      - .offset:         24
        .size:           4
        .value_kind:     by_value
      - .offset:         28
        .size:           4
        .value_kind:     by_value
      - .offset:         32
        .size:           4
        .value_kind:     by_value
      - .offset:         40
        .size:           4
        .value_kind:     hidden_block_count_x
      - .offset:         44
        .size:           4
        .value_kind:     hidden_block_count_y
      - .offset:         48
        .size:           4
        .value_kind:     hidden_block_count_z
      - .offset:         52
        .size:           2
        .value_kind:     hidden_group_size_x
      - .offset:         54
        .size:           2
        .value_kind:     hidden_group_size_y
      - .offset:         56
        .size:           2
        .value_kind:     hidden_group_size_z
      - .offset:         58
        .size:           2
        .value_kind:     hidden_remainder_x
      - .offset:         60
        .size:           2
        .value_kind:     hidden_remainder_y
      - .offset:         62
        .size:           2
        .value_kind:     hidden_remainder_z
      - .offset:         80
        .size:           8
        .value_kind:     hidden_global_offset_x
      - .offset:         88
        .size:           8
        .value_kind:     hidden_global_offset_y
      - .offset:         96
        .size:           8
        .value_kind:     hidden_global_offset_z
      - .offset:         104
        .size:           2
        .value_kind:     hidden_grid_dims
    .group_segment_fixed_size: 0
    .kernarg_segment_align: 8
    .kernarg_segment_size: 296
    .language:       OpenCL C
    .language_version:
      - 2
      - 0
    .max_flat_workgroup_size: 1024
    .name:           _ZL13mul_mat_vec_qIN3c104HalfELi256ELi32E10block_q5_KLi2EXadL_ZL17vec_dot_q5_K_q8_1PKvPK10block_q8_1RKiEEEvS4_S4_PT_iii
    .private_segment_fixed_size: 0
    .sgpr_count:     18
    .sgpr_spill_count: 0
    .symbol:         _ZL13mul_mat_vec_qIN3c104HalfELi256ELi32E10block_q5_KLi2EXadL_ZL17vec_dot_q5_K_q8_1PKvPK10block_q8_1RKiEEEvS4_S4_PT_iii.kd
    .uniform_work_group_size: 1
    .uses_dynamic_stack: false
    .vgpr_count:     52
    .vgpr_spill_count: 0
    .wavefront_size: 32
    .workgroup_processor_mode: 1
  - .args:
      - .actual_access:  read_only
        .address_space:  global
        .offset:         0
        .size:           8
        .value_kind:     global_buffer
      - .actual_access:  read_only
        .address_space:  global
        .offset:         8
        .size:           8
        .value_kind:     global_buffer
      - .actual_access:  write_only
        .address_space:  global
        .offset:         16
        .size:           8
        .value_kind:     global_buffer
      - .offset:         24
        .size:           4
        .value_kind:     by_value
      - .offset:         28
        .size:           4
        .value_kind:     by_value
      - .offset:         32
        .size:           4
        .value_kind:     by_value
      - .offset:         40
        .size:           4
        .value_kind:     hidden_block_count_x
      - .offset:         44
        .size:           4
        .value_kind:     hidden_block_count_y
      - .offset:         48
        .size:           4
        .value_kind:     hidden_block_count_z
      - .offset:         52
        .size:           2
        .value_kind:     hidden_group_size_x
      - .offset:         54
        .size:           2
        .value_kind:     hidden_group_size_y
      - .offset:         56
        .size:           2
        .value_kind:     hidden_group_size_z
      - .offset:         58
        .size:           2
        .value_kind:     hidden_remainder_x
      - .offset:         60
        .size:           2
        .value_kind:     hidden_remainder_y
      - .offset:         62
        .size:           2
        .value_kind:     hidden_remainder_z
      - .offset:         80
        .size:           8
        .value_kind:     hidden_global_offset_x
      - .offset:         88
        .size:           8
        .value_kind:     hidden_global_offset_y
      - .offset:         96
        .size:           8
        .value_kind:     hidden_global_offset_z
      - .offset:         104
        .size:           2
        .value_kind:     hidden_grid_dims
    .group_segment_fixed_size: 0
    .kernarg_segment_align: 8
    .kernarg_segment_size: 296
    .language:       OpenCL C
    .language_version:
      - 2
      - 0
    .max_flat_workgroup_size: 1024
    .name:           _ZL13mul_mat_vec_qIN3c104HalfELi256ELi32E10block_q6_KLi1EXadL_ZL17vec_dot_q6_K_q8_1PKvPK10block_q8_1RKiEEEvS4_S4_PT_iii
    .private_segment_fixed_size: 0
    .sgpr_count:     18
    .sgpr_spill_count: 0
    .symbol:         _ZL13mul_mat_vec_qIN3c104HalfELi256ELi32E10block_q6_KLi1EXadL_ZL17vec_dot_q6_K_q8_1PKvPK10block_q8_1RKiEEEvS4_S4_PT_iii.kd
    .uniform_work_group_size: 1
    .uses_dynamic_stack: false
    .vgpr_count:     34
    .vgpr_spill_count: 0
    .wavefront_size: 32
    .workgroup_processor_mode: 1
  - .args:
      - .actual_access:  read_only
        .address_space:  global
        .offset:         0
        .size:           8
        .value_kind:     global_buffer
      - .actual_access:  read_only
        .address_space:  global
        .offset:         8
        .size:           8
        .value_kind:     global_buffer
      - .actual_access:  write_only
        .address_space:  global
        .offset:         16
        .size:           8
        .value_kind:     global_buffer
      - .offset:         24
        .size:           4
        .value_kind:     by_value
      - .offset:         28
        .size:           4
        .value_kind:     by_value
      - .offset:         32
        .size:           4
        .value_kind:     by_value
      - .offset:         40
        .size:           4
        .value_kind:     hidden_block_count_x
      - .offset:         44
        .size:           4
        .value_kind:     hidden_block_count_y
      - .offset:         48
        .size:           4
        .value_kind:     hidden_block_count_z
      - .offset:         52
        .size:           2
        .value_kind:     hidden_group_size_x
      - .offset:         54
        .size:           2
        .value_kind:     hidden_group_size_y
      - .offset:         56
        .size:           2
        .value_kind:     hidden_group_size_z
      - .offset:         58
        .size:           2
        .value_kind:     hidden_remainder_x
      - .offset:         60
        .size:           2
        .value_kind:     hidden_remainder_y
      - .offset:         62
        .size:           2
        .value_kind:     hidden_remainder_z
      - .offset:         80
        .size:           8
        .value_kind:     hidden_global_offset_x
      - .offset:         88
        .size:           8
        .value_kind:     hidden_global_offset_y
      - .offset:         96
        .size:           8
        .value_kind:     hidden_global_offset_z
      - .offset:         104
        .size:           2
        .value_kind:     hidden_grid_dims
    .group_segment_fixed_size: 0
    .kernarg_segment_align: 8
    .kernarg_segment_size: 296
    .language:       OpenCL C
    .language_version:
      - 2
      - 0
    .max_flat_workgroup_size: 1024
    .name:           _ZL13mul_mat_vec_qIN3c104HalfELi256ELi8E13block_iq2_xxsLi1EXadL_ZL20vec_dot_iq2_xxs_q8_1PKvPK10block_q8_1RKiEEEvS4_S4_PT_iii
    .private_segment_fixed_size: 0
    .sgpr_count:     26
    .sgpr_spill_count: 0
    .symbol:         _ZL13mul_mat_vec_qIN3c104HalfELi256ELi8E13block_iq2_xxsLi1EXadL_ZL20vec_dot_iq2_xxs_q8_1PKvPK10block_q8_1RKiEEEvS4_S4_PT_iii.kd
    .uniform_work_group_size: 1
    .uses_dynamic_stack: false
    .vgpr_count:     94
    .vgpr_spill_count: 0
    .wavefront_size: 32
    .workgroup_processor_mode: 1
  - .args:
      - .actual_access:  read_only
        .address_space:  global
        .offset:         0
        .size:           8
        .value_kind:     global_buffer
      - .actual_access:  read_only
        .address_space:  global
        .offset:         8
        .size:           8
        .value_kind:     global_buffer
      - .actual_access:  write_only
        .address_space:  global
        .offset:         16
        .size:           8
        .value_kind:     global_buffer
      - .offset:         24
        .size:           4
        .value_kind:     by_value
      - .offset:         28
        .size:           4
        .value_kind:     by_value
      - .offset:         32
        .size:           4
        .value_kind:     by_value
      - .offset:         40
        .size:           4
        .value_kind:     hidden_block_count_x
      - .offset:         44
        .size:           4
        .value_kind:     hidden_block_count_y
      - .offset:         48
        .size:           4
        .value_kind:     hidden_block_count_z
      - .offset:         52
        .size:           2
        .value_kind:     hidden_group_size_x
      - .offset:         54
        .size:           2
        .value_kind:     hidden_group_size_y
      - .offset:         56
        .size:           2
        .value_kind:     hidden_group_size_z
      - .offset:         58
        .size:           2
        .value_kind:     hidden_remainder_x
      - .offset:         60
        .size:           2
        .value_kind:     hidden_remainder_y
      - .offset:         62
        .size:           2
        .value_kind:     hidden_remainder_z
      - .offset:         80
        .size:           8
        .value_kind:     hidden_global_offset_x
      - .offset:         88
        .size:           8
        .value_kind:     hidden_global_offset_y
      - .offset:         96
        .size:           8
        .value_kind:     hidden_global_offset_z
      - .offset:         104
        .size:           2
        .value_kind:     hidden_grid_dims
    .group_segment_fixed_size: 0
    .kernarg_segment_align: 8
    .kernarg_segment_size: 296
    .language:       OpenCL C
    .language_version:
      - 2
      - 0
    .max_flat_workgroup_size: 1024
    .name:           _ZL13mul_mat_vec_qIN3c104HalfELi256ELi8E12block_iq2_xsLi1EXadL_ZL19vec_dot_iq2_xs_q8_1PKvPK10block_q8_1RKiEEEvS4_S4_PT_iii
    .private_segment_fixed_size: 0
    .sgpr_count:     46
    .sgpr_spill_count: 0
    .symbol:         _ZL13mul_mat_vec_qIN3c104HalfELi256ELi8E12block_iq2_xsLi1EXadL_ZL19vec_dot_iq2_xs_q8_1PKvPK10block_q8_1RKiEEEvS4_S4_PT_iii.kd
    .uniform_work_group_size: 1
    .uses_dynamic_stack: false
    .vgpr_count:     94
    .vgpr_spill_count: 0
    .wavefront_size: 32
    .workgroup_processor_mode: 1
  - .args:
      - .actual_access:  read_only
        .address_space:  global
        .offset:         0
        .size:           8
        .value_kind:     global_buffer
      - .actual_access:  read_only
        .address_space:  global
        .offset:         8
        .size:           8
        .value_kind:     global_buffer
      - .actual_access:  write_only
        .address_space:  global
        .offset:         16
        .size:           8
        .value_kind:     global_buffer
      - .offset:         24
        .size:           4
        .value_kind:     by_value
      - .offset:         28
        .size:           4
        .value_kind:     by_value
      - .offset:         32
        .size:           4
        .value_kind:     by_value
      - .offset:         40
        .size:           4
        .value_kind:     hidden_block_count_x
      - .offset:         44
        .size:           4
        .value_kind:     hidden_block_count_y
      - .offset:         48
        .size:           4
        .value_kind:     hidden_block_count_z
      - .offset:         52
        .size:           2
        .value_kind:     hidden_group_size_x
      - .offset:         54
        .size:           2
        .value_kind:     hidden_group_size_y
      - .offset:         56
        .size:           2
        .value_kind:     hidden_group_size_z
      - .offset:         58
        .size:           2
        .value_kind:     hidden_remainder_x
      - .offset:         60
        .size:           2
        .value_kind:     hidden_remainder_y
      - .offset:         62
        .size:           2
        .value_kind:     hidden_remainder_z
      - .offset:         80
        .size:           8
        .value_kind:     hidden_global_offset_x
      - .offset:         88
        .size:           8
        .value_kind:     hidden_global_offset_y
      - .offset:         96
        .size:           8
        .value_kind:     hidden_global_offset_z
      - .offset:         104
        .size:           2
        .value_kind:     hidden_grid_dims
    .group_segment_fixed_size: 0
    .kernarg_segment_align: 8
    .kernarg_segment_size: 296
    .language:       OpenCL C
    .language_version:
      - 2
      - 0
    .max_flat_workgroup_size: 1024
    .name:           _ZL13mul_mat_vec_qIN3c104HalfELi256ELi8E13block_iq3_xxsLi1EXadL_ZL20vec_dot_iq3_xxs_q8_1PKvPK10block_q8_1RKiEEEvS4_S4_PT_iii
    .private_segment_fixed_size: 0
    .sgpr_count:     20
    .sgpr_spill_count: 0
    .symbol:         _ZL13mul_mat_vec_qIN3c104HalfELi256ELi8E13block_iq3_xxsLi1EXadL_ZL20vec_dot_iq3_xxs_q8_1PKvPK10block_q8_1RKiEEEvS4_S4_PT_iii.kd
    .uniform_work_group_size: 1
    .uses_dynamic_stack: false
    .vgpr_count:     37
    .vgpr_spill_count: 0
    .wavefront_size: 32
    .workgroup_processor_mode: 1
  - .args:
      - .actual_access:  read_only
        .address_space:  global
        .offset:         0
        .size:           8
        .value_kind:     global_buffer
      - .actual_access:  read_only
        .address_space:  global
        .offset:         8
        .size:           8
        .value_kind:     global_buffer
      - .actual_access:  write_only
        .address_space:  global
        .offset:         16
        .size:           8
        .value_kind:     global_buffer
      - .offset:         24
        .size:           4
        .value_kind:     by_value
      - .offset:         28
        .size:           4
        .value_kind:     by_value
      - .offset:         32
        .size:           4
        .value_kind:     by_value
      - .offset:         40
        .size:           4
        .value_kind:     hidden_block_count_x
      - .offset:         44
        .size:           4
        .value_kind:     hidden_block_count_y
      - .offset:         48
        .size:           4
        .value_kind:     hidden_block_count_z
      - .offset:         52
        .size:           2
        .value_kind:     hidden_group_size_x
      - .offset:         54
        .size:           2
        .value_kind:     hidden_group_size_y
      - .offset:         56
        .size:           2
        .value_kind:     hidden_group_size_z
      - .offset:         58
        .size:           2
        .value_kind:     hidden_remainder_x
      - .offset:         60
        .size:           2
        .value_kind:     hidden_remainder_y
      - .offset:         62
        .size:           2
        .value_kind:     hidden_remainder_z
      - .offset:         80
        .size:           8
        .value_kind:     hidden_global_offset_x
      - .offset:         88
        .size:           8
        .value_kind:     hidden_global_offset_y
      - .offset:         96
        .size:           8
        .value_kind:     hidden_global_offset_z
      - .offset:         104
        .size:           2
        .value_kind:     hidden_grid_dims
    .group_segment_fixed_size: 0
    .kernarg_segment_align: 8
    .kernarg_segment_size: 296
    .language:       OpenCL C
    .language_version:
      - 2
      - 0
    .max_flat_workgroup_size: 1024
    .name:           _ZL13mul_mat_vec_qIN3c104HalfELi256ELi8E11block_iq1_sLi1EXadL_ZL18vec_dot_iq1_s_q8_1PKvPK10block_q8_1RKiEEEvS4_S4_PT_iii
    .private_segment_fixed_size: 0
    .sgpr_count:     18
    .sgpr_spill_count: 0
    .symbol:         _ZL13mul_mat_vec_qIN3c104HalfELi256ELi8E11block_iq1_sLi1EXadL_ZL18vec_dot_iq1_s_q8_1PKvPK10block_q8_1RKiEEEvS4_S4_PT_iii.kd
    .uniform_work_group_size: 1
    .uses_dynamic_stack: false
    .vgpr_count:     53
    .vgpr_spill_count: 0
    .wavefront_size: 32
    .workgroup_processor_mode: 1
  - .args:
      - .actual_access:  read_only
        .address_space:  global
        .offset:         0
        .size:           8
        .value_kind:     global_buffer
      - .actual_access:  read_only
        .address_space:  global
        .offset:         8
        .size:           8
        .value_kind:     global_buffer
      - .actual_access:  write_only
        .address_space:  global
        .offset:         16
        .size:           8
        .value_kind:     global_buffer
      - .offset:         24
        .size:           4
        .value_kind:     by_value
      - .offset:         28
        .size:           4
        .value_kind:     by_value
      - .offset:         32
        .size:           4
        .value_kind:     by_value
      - .offset:         40
        .size:           4
        .value_kind:     hidden_block_count_x
      - .offset:         44
        .size:           4
        .value_kind:     hidden_block_count_y
      - .offset:         48
        .size:           4
        .value_kind:     hidden_block_count_z
      - .offset:         52
        .size:           2
        .value_kind:     hidden_group_size_x
      - .offset:         54
        .size:           2
        .value_kind:     hidden_group_size_y
      - .offset:         56
        .size:           2
        .value_kind:     hidden_group_size_z
      - .offset:         58
        .size:           2
        .value_kind:     hidden_remainder_x
      - .offset:         60
        .size:           2
        .value_kind:     hidden_remainder_y
      - .offset:         62
        .size:           2
        .value_kind:     hidden_remainder_z
      - .offset:         80
        .size:           8
        .value_kind:     hidden_global_offset_x
      - .offset:         88
        .size:           8
        .value_kind:     hidden_global_offset_y
      - .offset:         96
        .size:           8
        .value_kind:     hidden_global_offset_z
      - .offset:         104
        .size:           2
        .value_kind:     hidden_grid_dims
    .group_segment_fixed_size: 0
    .kernarg_segment_align: 8
    .kernarg_segment_size: 296
    .language:       OpenCL C
    .language_version:
      - 2
      - 0
    .max_flat_workgroup_size: 1024
    .name:           _ZL13mul_mat_vec_qIN3c104HalfELi32ELi4E12block_iq4_nlLi2EXadL_ZL19vec_dot_iq4_nl_q8_1PKvPK10block_q8_1RKiEEEvS4_S4_PT_iii
    .private_segment_fixed_size: 0
    .sgpr_count:     18
    .sgpr_spill_count: 0
    .symbol:         _ZL13mul_mat_vec_qIN3c104HalfELi32ELi4E12block_iq4_nlLi2EXadL_ZL19vec_dot_iq4_nl_q8_1PKvPK10block_q8_1RKiEEEvS4_S4_PT_iii.kd
    .uniform_work_group_size: 1
    .uses_dynamic_stack: false
    .vgpr_count:     33
    .vgpr_spill_count: 0
    .wavefront_size: 32
    .workgroup_processor_mode: 1
  - .args:
      - .actual_access:  read_only
        .address_space:  global
        .offset:         0
        .size:           8
        .value_kind:     global_buffer
      - .actual_access:  read_only
        .address_space:  global
        .offset:         8
        .size:           8
        .value_kind:     global_buffer
      - .actual_access:  write_only
        .address_space:  global
        .offset:         16
        .size:           8
        .value_kind:     global_buffer
      - .offset:         24
        .size:           4
        .value_kind:     by_value
      - .offset:         28
        .size:           4
        .value_kind:     by_value
      - .offset:         32
        .size:           4
        .value_kind:     by_value
      - .offset:         40
        .size:           4
        .value_kind:     hidden_block_count_x
      - .offset:         44
        .size:           4
        .value_kind:     hidden_block_count_y
      - .offset:         48
        .size:           4
        .value_kind:     hidden_block_count_z
      - .offset:         52
        .size:           2
        .value_kind:     hidden_group_size_x
      - .offset:         54
        .size:           2
        .value_kind:     hidden_group_size_y
      - .offset:         56
        .size:           2
        .value_kind:     hidden_group_size_z
      - .offset:         58
        .size:           2
        .value_kind:     hidden_remainder_x
      - .offset:         60
        .size:           2
        .value_kind:     hidden_remainder_y
      - .offset:         62
        .size:           2
        .value_kind:     hidden_remainder_z
      - .offset:         80
        .size:           8
        .value_kind:     hidden_global_offset_x
      - .offset:         88
        .size:           8
        .value_kind:     hidden_global_offset_y
      - .offset:         96
        .size:           8
        .value_kind:     hidden_global_offset_z
      - .offset:         104
        .size:           2
        .value_kind:     hidden_grid_dims
    .group_segment_fixed_size: 0
    .kernarg_segment_align: 8
    .kernarg_segment_size: 296
    .language:       OpenCL C
    .language_version:
      - 2
      - 0
    .max_flat_workgroup_size: 1024
    .name:           _ZL13mul_mat_vec_qIN3c104HalfELi256ELi8E11block_iq3_sLi1EXadL_ZL18vec_dot_iq3_s_q8_1PKvPK10block_q8_1RKiEEEvS4_S4_PT_iii
    .private_segment_fixed_size: 0
    .sgpr_count:     18
    .sgpr_spill_count: 0
    .symbol:         _ZL13mul_mat_vec_qIN3c104HalfELi256ELi8E11block_iq3_sLi1EXadL_ZL18vec_dot_iq3_s_q8_1PKvPK10block_q8_1RKiEEEvS4_S4_PT_iii.kd
    .uniform_work_group_size: 1
    .uses_dynamic_stack: false
    .vgpr_count:     42
    .vgpr_spill_count: 0
    .wavefront_size: 32
    .workgroup_processor_mode: 1
  - .args:
      - .actual_access:  read_only
        .address_space:  global
        .offset:         0
        .size:           8
        .value_kind:     global_buffer
      - .actual_access:  read_only
        .address_space:  global
        .offset:         8
        .size:           8
        .value_kind:     global_buffer
      - .actual_access:  write_only
        .address_space:  global
        .offset:         16
        .size:           8
        .value_kind:     global_buffer
      - .offset:         24
        .size:           4
        .value_kind:     by_value
      - .offset:         28
        .size:           4
        .value_kind:     by_value
      - .offset:         32
        .size:           4
        .value_kind:     by_value
      - .offset:         40
        .size:           4
        .value_kind:     hidden_block_count_x
      - .offset:         44
        .size:           4
        .value_kind:     hidden_block_count_y
      - .offset:         48
        .size:           4
        .value_kind:     hidden_block_count_z
      - .offset:         52
        .size:           2
        .value_kind:     hidden_group_size_x
      - .offset:         54
        .size:           2
        .value_kind:     hidden_group_size_y
      - .offset:         56
        .size:           2
        .value_kind:     hidden_group_size_z
      - .offset:         58
        .size:           2
        .value_kind:     hidden_remainder_x
      - .offset:         60
        .size:           2
        .value_kind:     hidden_remainder_y
      - .offset:         62
        .size:           2
        .value_kind:     hidden_remainder_z
      - .offset:         80
        .size:           8
        .value_kind:     hidden_global_offset_x
      - .offset:         88
        .size:           8
        .value_kind:     hidden_global_offset_y
      - .offset:         96
        .size:           8
        .value_kind:     hidden_global_offset_z
      - .offset:         104
        .size:           2
        .value_kind:     hidden_grid_dims
    .group_segment_fixed_size: 0
    .kernarg_segment_align: 8
    .kernarg_segment_size: 296
    .language:       OpenCL C
    .language_version:
      - 2
      - 0
    .max_flat_workgroup_size: 1024
    .name:           _ZL13mul_mat_vec_qIN3c104HalfELi256ELi8E11block_iq2_sLi1EXadL_ZL18vec_dot_iq2_s_q8_1PKvPK10block_q8_1RKiEEEvS4_S4_PT_iii
    .private_segment_fixed_size: 0
    .sgpr_count:     18
    .sgpr_spill_count: 0
    .symbol:         _ZL13mul_mat_vec_qIN3c104HalfELi256ELi8E11block_iq2_sLi1EXadL_ZL18vec_dot_iq2_s_q8_1PKvPK10block_q8_1RKiEEEvS4_S4_PT_iii.kd
    .uniform_work_group_size: 1
    .uses_dynamic_stack: false
    .vgpr_count:     41
    .vgpr_spill_count: 0
    .wavefront_size: 32
    .workgroup_processor_mode: 1
  - .args:
      - .actual_access:  read_only
        .address_space:  global
        .offset:         0
        .size:           8
        .value_kind:     global_buffer
      - .actual_access:  read_only
        .address_space:  global
        .offset:         8
        .size:           8
        .value_kind:     global_buffer
      - .actual_access:  write_only
        .address_space:  global
        .offset:         16
        .size:           8
        .value_kind:     global_buffer
      - .offset:         24
        .size:           4
        .value_kind:     by_value
      - .offset:         28
        .size:           4
        .value_kind:     by_value
      - .offset:         32
        .size:           4
        .value_kind:     by_value
      - .offset:         40
        .size:           4
        .value_kind:     hidden_block_count_x
      - .offset:         44
        .size:           4
        .value_kind:     hidden_block_count_y
      - .offset:         48
        .size:           4
        .value_kind:     hidden_block_count_z
      - .offset:         52
        .size:           2
        .value_kind:     hidden_group_size_x
      - .offset:         54
        .size:           2
        .value_kind:     hidden_group_size_y
      - .offset:         56
        .size:           2
        .value_kind:     hidden_group_size_z
      - .offset:         58
        .size:           2
        .value_kind:     hidden_remainder_x
      - .offset:         60
        .size:           2
        .value_kind:     hidden_remainder_y
      - .offset:         62
        .size:           2
        .value_kind:     hidden_remainder_z
      - .offset:         80
        .size:           8
        .value_kind:     hidden_global_offset_x
      - .offset:         88
        .size:           8
        .value_kind:     hidden_global_offset_y
      - .offset:         96
        .size:           8
        .value_kind:     hidden_global_offset_z
      - .offset:         104
        .size:           2
        .value_kind:     hidden_grid_dims
    .group_segment_fixed_size: 0
    .kernarg_segment_align: 8
    .kernarg_segment_size: 296
    .language:       OpenCL C
    .language_version:
      - 2
      - 0
    .max_flat_workgroup_size: 1024
    .name:           _ZL13mul_mat_vec_qIN3c104HalfELi256ELi8E12block_iq4_xsLi1EXadL_ZL19vec_dot_iq4_xs_q8_1PKvPK10block_q8_1RKiEEEvS4_S4_PT_iii
    .private_segment_fixed_size: 0
    .sgpr_count:     18
    .sgpr_spill_count: 0
    .symbol:         _ZL13mul_mat_vec_qIN3c104HalfELi256ELi8E12block_iq4_xsLi1EXadL_ZL19vec_dot_iq4_xs_q8_1PKvPK10block_q8_1RKiEEEvS4_S4_PT_iii.kd
    .uniform_work_group_size: 1
    .uses_dynamic_stack: false
    .vgpr_count:     34
    .vgpr_spill_count: 0
    .wavefront_size: 32
    .workgroup_processor_mode: 1
  - .args:
      - .actual_access:  read_only
        .address_space:  global
        .offset:         0
        .size:           8
        .value_kind:     global_buffer
      - .actual_access:  read_only
        .address_space:  global
        .offset:         8
        .size:           8
        .value_kind:     global_buffer
      - .actual_access:  write_only
        .address_space:  global
        .offset:         16
        .size:           8
        .value_kind:     global_buffer
      - .offset:         24
        .size:           4
        .value_kind:     by_value
      - .offset:         28
        .size:           4
        .value_kind:     by_value
      - .offset:         32
        .size:           4
        .value_kind:     by_value
      - .offset:         40
        .size:           4
        .value_kind:     hidden_block_count_x
      - .offset:         44
        .size:           4
        .value_kind:     hidden_block_count_y
      - .offset:         48
        .size:           4
        .value_kind:     hidden_block_count_z
      - .offset:         52
        .size:           2
        .value_kind:     hidden_group_size_x
      - .offset:         54
        .size:           2
        .value_kind:     hidden_group_size_y
      - .offset:         56
        .size:           2
        .value_kind:     hidden_group_size_z
      - .offset:         58
        .size:           2
        .value_kind:     hidden_remainder_x
      - .offset:         60
        .size:           2
        .value_kind:     hidden_remainder_y
      - .offset:         62
        .size:           2
        .value_kind:     hidden_remainder_z
      - .offset:         80
        .size:           8
        .value_kind:     hidden_global_offset_x
      - .offset:         88
        .size:           8
        .value_kind:     hidden_global_offset_y
      - .offset:         96
        .size:           8
        .value_kind:     hidden_global_offset_z
      - .offset:         104
        .size:           2
        .value_kind:     hidden_grid_dims
    .group_segment_fixed_size: 0
    .kernarg_segment_align: 8
    .kernarg_segment_size: 296
    .language:       OpenCL C
    .language_version:
      - 2
      - 0
    .max_flat_workgroup_size: 1024
    .name:           _ZL13mul_mat_vec_qIN3c104HalfELi256ELi8E11block_iq1_mLi1EXadL_ZL18vec_dot_iq1_m_q8_1PKvPK10block_q8_1RKiEEEvS4_S4_PT_iii
    .private_segment_fixed_size: 0
    .sgpr_count:     18
    .sgpr_spill_count: 0
    .symbol:         _ZL13mul_mat_vec_qIN3c104HalfELi256ELi8E11block_iq1_mLi1EXadL_ZL18vec_dot_iq1_m_q8_1PKvPK10block_q8_1RKiEEEvS4_S4_PT_iii.kd
    .uniform_work_group_size: 1
    .uses_dynamic_stack: false
    .vgpr_count:     74
    .vgpr_spill_count: 0
    .wavefront_size: 32
    .workgroup_processor_mode: 1
  - .args:
      - .actual_access:  read_only
        .address_space:  global
        .offset:         0
        .size:           8
        .value_kind:     global_buffer
      - .actual_access:  write_only
        .address_space:  global
        .offset:         8
        .size:           8
        .value_kind:     global_buffer
      - .offset:         16
        .size:           4
        .value_kind:     by_value
      - .offset:         20
        .size:           4
        .value_kind:     by_value
      - .offset:         24
        .size:           4
        .value_kind:     hidden_block_count_x
      - .offset:         28
        .size:           4
        .value_kind:     hidden_block_count_y
      - .offset:         32
        .size:           4
        .value_kind:     hidden_block_count_z
      - .offset:         36
        .size:           2
        .value_kind:     hidden_group_size_x
      - .offset:         38
        .size:           2
        .value_kind:     hidden_group_size_y
      - .offset:         40
        .size:           2
        .value_kind:     hidden_group_size_z
      - .offset:         42
        .size:           2
        .value_kind:     hidden_remainder_x
      - .offset:         44
        .size:           2
        .value_kind:     hidden_remainder_y
      - .offset:         46
        .size:           2
        .value_kind:     hidden_remainder_z
      - .offset:         64
        .size:           8
        .value_kind:     hidden_global_offset_x
      - .offset:         72
        .size:           8
        .value_kind:     hidden_global_offset_y
      - .offset:         80
        .size:           8
        .value_kind:     hidden_global_offset_z
      - .offset:         88
        .size:           2
        .value_kind:     hidden_grid_dims
    .group_segment_fixed_size: 0
    .kernarg_segment_align: 8
    .kernarg_segment_size: 280
    .language:       OpenCL C
    .language_version:
      - 2
      - 0
    .max_flat_workgroup_size: 1024
    .name:           _ZL13quantize_q8_1IN3c108BFloat16EEvPKT_Pvii
    .private_segment_fixed_size: 0
    .sgpr_count:     18
    .sgpr_spill_count: 0
    .symbol:         _ZL13quantize_q8_1IN3c108BFloat16EEvPKT_Pvii.kd
    .uniform_work_group_size: 1
    .uses_dynamic_stack: false
    .vgpr_count:     13
    .vgpr_spill_count: 0
    .wavefront_size: 32
    .workgroup_processor_mode: 1
  - .args:
      - .actual_access:  read_only
        .address_space:  global
        .offset:         0
        .size:           8
        .value_kind:     global_buffer
      - .actual_access:  read_only
        .address_space:  global
        .offset:         8
        .size:           8
        .value_kind:     global_buffer
      - .actual_access:  write_only
        .address_space:  global
        .offset:         16
        .size:           8
        .value_kind:     global_buffer
      - .offset:         24
        .size:           4
        .value_kind:     by_value
      - .offset:         28
        .size:           4
        .value_kind:     by_value
      - .offset:         32
        .size:           4
        .value_kind:     by_value
      - .offset:         40
        .size:           4
        .value_kind:     hidden_block_count_x
      - .offset:         44
        .size:           4
        .value_kind:     hidden_block_count_y
      - .offset:         48
        .size:           4
        .value_kind:     hidden_block_count_z
      - .offset:         52
        .size:           2
        .value_kind:     hidden_group_size_x
      - .offset:         54
        .size:           2
        .value_kind:     hidden_group_size_y
      - .offset:         56
        .size:           2
        .value_kind:     hidden_group_size_z
      - .offset:         58
        .size:           2
        .value_kind:     hidden_remainder_x
      - .offset:         60
        .size:           2
        .value_kind:     hidden_remainder_y
      - .offset:         62
        .size:           2
        .value_kind:     hidden_remainder_z
      - .offset:         80
        .size:           8
        .value_kind:     hidden_global_offset_x
      - .offset:         88
        .size:           8
        .value_kind:     hidden_global_offset_y
      - .offset:         96
        .size:           8
        .value_kind:     hidden_global_offset_z
      - .offset:         104
        .size:           2
        .value_kind:     hidden_grid_dims
    .group_segment_fixed_size: 0
    .kernarg_segment_align: 8
    .kernarg_segment_size: 296
    .language:       OpenCL C
    .language_version:
      - 2
      - 0
    .max_flat_workgroup_size: 1024
    .name:           _ZL13mul_mat_vec_qIN3c108BFloat16ELi32ELi4E10block_q4_0Li2EXadL_ZL17vec_dot_q4_0_q8_1PKvPK10block_q8_1RKiEEEvS4_S4_PT_iii
    .private_segment_fixed_size: 0
    .sgpr_count:     18
    .sgpr_spill_count: 0
    .symbol:         _ZL13mul_mat_vec_qIN3c108BFloat16ELi32ELi4E10block_q4_0Li2EXadL_ZL17vec_dot_q4_0_q8_1PKvPK10block_q8_1RKiEEEvS4_S4_PT_iii.kd
    .uniform_work_group_size: 1
    .uses_dynamic_stack: false
    .vgpr_count:     32
    .vgpr_spill_count: 0
    .wavefront_size: 32
    .workgroup_processor_mode: 1
  - .args:
      - .actual_access:  read_only
        .address_space:  global
        .offset:         0
        .size:           8
        .value_kind:     global_buffer
      - .actual_access:  read_only
        .address_space:  global
        .offset:         8
        .size:           8
        .value_kind:     global_buffer
      - .actual_access:  write_only
        .address_space:  global
        .offset:         16
        .size:           8
        .value_kind:     global_buffer
      - .offset:         24
        .size:           4
        .value_kind:     by_value
      - .offset:         28
        .size:           4
        .value_kind:     by_value
      - .offset:         32
        .size:           4
        .value_kind:     by_value
      - .offset:         40
        .size:           4
        .value_kind:     hidden_block_count_x
      - .offset:         44
        .size:           4
        .value_kind:     hidden_block_count_y
      - .offset:         48
        .size:           4
        .value_kind:     hidden_block_count_z
      - .offset:         52
        .size:           2
        .value_kind:     hidden_group_size_x
      - .offset:         54
        .size:           2
        .value_kind:     hidden_group_size_y
      - .offset:         56
        .size:           2
        .value_kind:     hidden_group_size_z
      - .offset:         58
        .size:           2
        .value_kind:     hidden_remainder_x
      - .offset:         60
        .size:           2
        .value_kind:     hidden_remainder_y
      - .offset:         62
        .size:           2
        .value_kind:     hidden_remainder_z
      - .offset:         80
        .size:           8
        .value_kind:     hidden_global_offset_x
      - .offset:         88
        .size:           8
        .value_kind:     hidden_global_offset_y
      - .offset:         96
        .size:           8
        .value_kind:     hidden_global_offset_z
      - .offset:         104
        .size:           2
        .value_kind:     hidden_grid_dims
    .group_segment_fixed_size: 0
    .kernarg_segment_align: 8
    .kernarg_segment_size: 296
    .language:       OpenCL C
    .language_version:
      - 2
      - 0
    .max_flat_workgroup_size: 1024
    .name:           _ZL13mul_mat_vec_qIN3c108BFloat16ELi32ELi4E10block_q4_1Li2EXadL_ZL17vec_dot_q4_1_q8_1PKvPK10block_q8_1RKiEEEvS4_S4_PT_iii
    .private_segment_fixed_size: 0
    .sgpr_count:     18
    .sgpr_spill_count: 0
    .symbol:         _ZL13mul_mat_vec_qIN3c108BFloat16ELi32ELi4E10block_q4_1Li2EXadL_ZL17vec_dot_q4_1_q8_1PKvPK10block_q8_1RKiEEEvS4_S4_PT_iii.kd
    .uniform_work_group_size: 1
    .uses_dynamic_stack: false
    .vgpr_count:     32
    .vgpr_spill_count: 0
    .wavefront_size: 32
    .workgroup_processor_mode: 1
  - .args:
      - .actual_access:  read_only
        .address_space:  global
        .offset:         0
        .size:           8
        .value_kind:     global_buffer
      - .actual_access:  read_only
        .address_space:  global
        .offset:         8
        .size:           8
        .value_kind:     global_buffer
      - .actual_access:  write_only
        .address_space:  global
        .offset:         16
        .size:           8
        .value_kind:     global_buffer
      - .offset:         24
        .size:           4
        .value_kind:     by_value
      - .offset:         28
        .size:           4
        .value_kind:     by_value
      - .offset:         32
        .size:           4
        .value_kind:     by_value
      - .offset:         40
        .size:           4
        .value_kind:     hidden_block_count_x
      - .offset:         44
        .size:           4
        .value_kind:     hidden_block_count_y
      - .offset:         48
        .size:           4
        .value_kind:     hidden_block_count_z
      - .offset:         52
        .size:           2
        .value_kind:     hidden_group_size_x
      - .offset:         54
        .size:           2
        .value_kind:     hidden_group_size_y
      - .offset:         56
        .size:           2
        .value_kind:     hidden_group_size_z
      - .offset:         58
        .size:           2
        .value_kind:     hidden_remainder_x
      - .offset:         60
        .size:           2
        .value_kind:     hidden_remainder_y
      - .offset:         62
        .size:           2
        .value_kind:     hidden_remainder_z
      - .offset:         80
        .size:           8
        .value_kind:     hidden_global_offset_x
      - .offset:         88
        .size:           8
        .value_kind:     hidden_global_offset_y
      - .offset:         96
        .size:           8
        .value_kind:     hidden_global_offset_z
      - .offset:         104
        .size:           2
        .value_kind:     hidden_grid_dims
    .group_segment_fixed_size: 0
    .kernarg_segment_align: 8
    .kernarg_segment_size: 296
    .language:       OpenCL C
    .language_version:
      - 2
      - 0
    .max_flat_workgroup_size: 1024
    .name:           _ZL13mul_mat_vec_qIN3c108BFloat16ELi32ELi4E10block_q5_0Li2EXadL_ZL17vec_dot_q5_0_q8_1PKvPK10block_q8_1RKiEEEvS4_S4_PT_iii
    .private_segment_fixed_size: 0
    .sgpr_count:     18
    .sgpr_spill_count: 0
    .symbol:         _ZL13mul_mat_vec_qIN3c108BFloat16ELi32ELi4E10block_q5_0Li2EXadL_ZL17vec_dot_q5_0_q8_1PKvPK10block_q8_1RKiEEEvS4_S4_PT_iii.kd
    .uniform_work_group_size: 1
    .uses_dynamic_stack: false
    .vgpr_count:     45
    .vgpr_spill_count: 0
    .wavefront_size: 32
    .workgroup_processor_mode: 1
  - .args:
      - .actual_access:  read_only
        .address_space:  global
        .offset:         0
        .size:           8
        .value_kind:     global_buffer
      - .actual_access:  read_only
        .address_space:  global
        .offset:         8
        .size:           8
        .value_kind:     global_buffer
      - .actual_access:  write_only
        .address_space:  global
        .offset:         16
        .size:           8
        .value_kind:     global_buffer
      - .offset:         24
        .size:           4
        .value_kind:     by_value
      - .offset:         28
        .size:           4
        .value_kind:     by_value
      - .offset:         32
        .size:           4
        .value_kind:     by_value
      - .offset:         40
        .size:           4
        .value_kind:     hidden_block_count_x
      - .offset:         44
        .size:           4
        .value_kind:     hidden_block_count_y
      - .offset:         48
        .size:           4
        .value_kind:     hidden_block_count_z
      - .offset:         52
        .size:           2
        .value_kind:     hidden_group_size_x
      - .offset:         54
        .size:           2
        .value_kind:     hidden_group_size_y
      - .offset:         56
        .size:           2
        .value_kind:     hidden_group_size_z
      - .offset:         58
        .size:           2
        .value_kind:     hidden_remainder_x
      - .offset:         60
        .size:           2
        .value_kind:     hidden_remainder_y
      - .offset:         62
        .size:           2
        .value_kind:     hidden_remainder_z
      - .offset:         80
        .size:           8
        .value_kind:     hidden_global_offset_x
      - .offset:         88
        .size:           8
        .value_kind:     hidden_global_offset_y
      - .offset:         96
        .size:           8
        .value_kind:     hidden_global_offset_z
      - .offset:         104
        .size:           2
        .value_kind:     hidden_grid_dims
    .group_segment_fixed_size: 0
    .kernarg_segment_align: 8
    .kernarg_segment_size: 296
    .language:       OpenCL C
    .language_version:
      - 2
      - 0
    .max_flat_workgroup_size: 1024
    .name:           _ZL13mul_mat_vec_qIN3c108BFloat16ELi32ELi4E10block_q5_1Li2EXadL_ZL17vec_dot_q5_1_q8_1PKvPK10block_q8_1RKiEEEvS4_S4_PT_iii
    .private_segment_fixed_size: 0
    .sgpr_count:     18
    .sgpr_spill_count: 0
    .symbol:         _ZL13mul_mat_vec_qIN3c108BFloat16ELi32ELi4E10block_q5_1Li2EXadL_ZL17vec_dot_q5_1_q8_1PKvPK10block_q8_1RKiEEEvS4_S4_PT_iii.kd
    .uniform_work_group_size: 1
    .uses_dynamic_stack: false
    .vgpr_count:     45
    .vgpr_spill_count: 0
    .wavefront_size: 32
    .workgroup_processor_mode: 1
  - .args:
      - .actual_access:  read_only
        .address_space:  global
        .offset:         0
        .size:           8
        .value_kind:     global_buffer
      - .actual_access:  read_only
        .address_space:  global
        .offset:         8
        .size:           8
        .value_kind:     global_buffer
      - .actual_access:  write_only
        .address_space:  global
        .offset:         16
        .size:           8
        .value_kind:     global_buffer
      - .offset:         24
        .size:           4
        .value_kind:     by_value
      - .offset:         28
        .size:           4
        .value_kind:     by_value
      - .offset:         32
        .size:           4
        .value_kind:     by_value
      - .offset:         40
        .size:           4
        .value_kind:     hidden_block_count_x
      - .offset:         44
        .size:           4
        .value_kind:     hidden_block_count_y
      - .offset:         48
        .size:           4
        .value_kind:     hidden_block_count_z
      - .offset:         52
        .size:           2
        .value_kind:     hidden_group_size_x
      - .offset:         54
        .size:           2
        .value_kind:     hidden_group_size_y
      - .offset:         56
        .size:           2
        .value_kind:     hidden_group_size_z
      - .offset:         58
        .size:           2
        .value_kind:     hidden_remainder_x
      - .offset:         60
        .size:           2
        .value_kind:     hidden_remainder_y
      - .offset:         62
        .size:           2
        .value_kind:     hidden_remainder_z
      - .offset:         80
        .size:           8
        .value_kind:     hidden_global_offset_x
      - .offset:         88
        .size:           8
        .value_kind:     hidden_global_offset_y
      - .offset:         96
        .size:           8
        .value_kind:     hidden_global_offset_z
      - .offset:         104
        .size:           2
        .value_kind:     hidden_grid_dims
    .group_segment_fixed_size: 0
    .kernarg_segment_align: 8
    .kernarg_segment_size: 296
    .language:       OpenCL C
    .language_version:
      - 2
      - 0
    .max_flat_workgroup_size: 1024
    .name:           _ZL13mul_mat_vec_qIN3c108BFloat16ELi32ELi8E10block_q8_0Li2EXadL_ZL17vec_dot_q8_0_q8_1PKvPK10block_q8_1RKiEEEvS4_S4_PT_iii
    .private_segment_fixed_size: 0
    .sgpr_count:     18
    .sgpr_spill_count: 0
    .symbol:         _ZL13mul_mat_vec_qIN3c108BFloat16ELi32ELi8E10block_q8_0Li2EXadL_ZL17vec_dot_q8_0_q8_1PKvPK10block_q8_1RKiEEEvS4_S4_PT_iii.kd
    .uniform_work_group_size: 1
    .uses_dynamic_stack: false
    .vgpr_count:     14
    .vgpr_spill_count: 0
    .wavefront_size: 32
    .workgroup_processor_mode: 1
  - .args:
      - .actual_access:  read_only
        .address_space:  global
        .offset:         0
        .size:           8
        .value_kind:     global_buffer
      - .actual_access:  read_only
        .address_space:  global
        .offset:         8
        .size:           8
        .value_kind:     global_buffer
      - .actual_access:  write_only
        .address_space:  global
        .offset:         16
        .size:           8
        .value_kind:     global_buffer
      - .offset:         24
        .size:           4
        .value_kind:     by_value
      - .offset:         28
        .size:           4
        .value_kind:     by_value
      - .offset:         32
        .size:           4
        .value_kind:     by_value
      - .offset:         40
        .size:           4
        .value_kind:     hidden_block_count_x
      - .offset:         44
        .size:           4
        .value_kind:     hidden_block_count_y
      - .offset:         48
        .size:           4
        .value_kind:     hidden_block_count_z
      - .offset:         52
        .size:           2
        .value_kind:     hidden_group_size_x
      - .offset:         54
        .size:           2
        .value_kind:     hidden_group_size_y
      - .offset:         56
        .size:           2
        .value_kind:     hidden_group_size_z
      - .offset:         58
        .size:           2
        .value_kind:     hidden_remainder_x
      - .offset:         60
        .size:           2
        .value_kind:     hidden_remainder_y
      - .offset:         62
        .size:           2
        .value_kind:     hidden_remainder_z
      - .offset:         80
        .size:           8
        .value_kind:     hidden_global_offset_x
      - .offset:         88
        .size:           8
        .value_kind:     hidden_global_offset_y
      - .offset:         96
        .size:           8
        .value_kind:     hidden_global_offset_z
      - .offset:         104
        .size:           2
        .value_kind:     hidden_grid_dims
    .group_segment_fixed_size: 0
    .kernarg_segment_align: 8
    .kernarg_segment_size: 296
    .language:       OpenCL C
    .language_version:
      - 2
      - 0
    .max_flat_workgroup_size: 1024
    .name:           _ZL13mul_mat_vec_qIN3c108BFloat16ELi256ELi16E10block_q2_KLi1EXadL_ZL17vec_dot_q2_K_q8_1PKvPK10block_q8_1RKiEEEvS4_S4_PT_iii
    .private_segment_fixed_size: 0
    .sgpr_count:     18
    .sgpr_spill_count: 0
    .symbol:         _ZL13mul_mat_vec_qIN3c108BFloat16ELi256ELi16E10block_q2_KLi1EXadL_ZL17vec_dot_q2_K_q8_1PKvPK10block_q8_1RKiEEEvS4_S4_PT_iii.kd
    .uniform_work_group_size: 1
    .uses_dynamic_stack: false
    .vgpr_count:     65
    .vgpr_spill_count: 0
    .wavefront_size: 32
    .workgroup_processor_mode: 1
  - .args:
      - .actual_access:  read_only
        .address_space:  global
        .offset:         0
        .size:           8
        .value_kind:     global_buffer
      - .actual_access:  read_only
        .address_space:  global
        .offset:         8
        .size:           8
        .value_kind:     global_buffer
      - .actual_access:  write_only
        .address_space:  global
        .offset:         16
        .size:           8
        .value_kind:     global_buffer
      - .offset:         24
        .size:           4
        .value_kind:     by_value
      - .offset:         28
        .size:           4
        .value_kind:     by_value
      - .offset:         32
        .size:           4
        .value_kind:     by_value
      - .offset:         40
        .size:           4
        .value_kind:     hidden_block_count_x
      - .offset:         44
        .size:           4
        .value_kind:     hidden_block_count_y
      - .offset:         48
        .size:           4
        .value_kind:     hidden_block_count_z
      - .offset:         52
        .size:           2
        .value_kind:     hidden_group_size_x
      - .offset:         54
        .size:           2
        .value_kind:     hidden_group_size_y
      - .offset:         56
        .size:           2
        .value_kind:     hidden_group_size_z
      - .offset:         58
        .size:           2
        .value_kind:     hidden_remainder_x
      - .offset:         60
        .size:           2
        .value_kind:     hidden_remainder_y
      - .offset:         62
        .size:           2
        .value_kind:     hidden_remainder_z
      - .offset:         80
        .size:           8
        .value_kind:     hidden_global_offset_x
      - .offset:         88
        .size:           8
        .value_kind:     hidden_global_offset_y
      - .offset:         96
        .size:           8
        .value_kind:     hidden_global_offset_z
      - .offset:         104
        .size:           2
        .value_kind:     hidden_grid_dims
    .group_segment_fixed_size: 0
    .kernarg_segment_align: 8
    .kernarg_segment_size: 296
    .language:       OpenCL C
    .language_version:
      - 2
      - 0
    .max_flat_workgroup_size: 1024
    .name:           _ZL13mul_mat_vec_qIN3c108BFloat16ELi256ELi16E10block_q3_KLi1EXadL_ZL17vec_dot_q3_K_q8_1PKvPK10block_q8_1RKiEEEvS4_S4_PT_iii
    .private_segment_fixed_size: 0
    .sgpr_count:     18
    .sgpr_spill_count: 0
    .symbol:         _ZL13mul_mat_vec_qIN3c108BFloat16ELi256ELi16E10block_q3_KLi1EXadL_ZL17vec_dot_q3_K_q8_1PKvPK10block_q8_1RKiEEEvS4_S4_PT_iii.kd
    .uniform_work_group_size: 1
    .uses_dynamic_stack: false
    .vgpr_count:     76
    .vgpr_spill_count: 0
    .wavefront_size: 32
    .workgroup_processor_mode: 1
  - .args:
      - .actual_access:  read_only
        .address_space:  global
        .offset:         0
        .size:           8
        .value_kind:     global_buffer
      - .actual_access:  read_only
        .address_space:  global
        .offset:         8
        .size:           8
        .value_kind:     global_buffer
      - .actual_access:  write_only
        .address_space:  global
        .offset:         16
        .size:           8
        .value_kind:     global_buffer
      - .offset:         24
        .size:           4
        .value_kind:     by_value
      - .offset:         28
        .size:           4
        .value_kind:     by_value
      - .offset:         32
        .size:           4
        .value_kind:     by_value
      - .offset:         40
        .size:           4
        .value_kind:     hidden_block_count_x
      - .offset:         44
        .size:           4
        .value_kind:     hidden_block_count_y
      - .offset:         48
        .size:           4
        .value_kind:     hidden_block_count_z
      - .offset:         52
        .size:           2
        .value_kind:     hidden_group_size_x
      - .offset:         54
        .size:           2
        .value_kind:     hidden_group_size_y
      - .offset:         56
        .size:           2
        .value_kind:     hidden_group_size_z
      - .offset:         58
        .size:           2
        .value_kind:     hidden_remainder_x
      - .offset:         60
        .size:           2
        .value_kind:     hidden_remainder_y
      - .offset:         62
        .size:           2
        .value_kind:     hidden_remainder_z
      - .offset:         80
        .size:           8
        .value_kind:     hidden_global_offset_x
      - .offset:         88
        .size:           8
        .value_kind:     hidden_global_offset_y
      - .offset:         96
        .size:           8
        .value_kind:     hidden_global_offset_z
      - .offset:         104
        .size:           2
        .value_kind:     hidden_grid_dims
    .group_segment_fixed_size: 0
    .kernarg_segment_align: 8
    .kernarg_segment_size: 296
    .language:       OpenCL C
    .language_version:
      - 2
      - 0
    .max_flat_workgroup_size: 1024
    .name:           _ZL13mul_mat_vec_qIN3c108BFloat16ELi256ELi32E10block_q4_KLi2EXadL_ZL17vec_dot_q4_K_q8_1PKvPK10block_q8_1RKiEEEvS4_S4_PT_iii
    .private_segment_fixed_size: 0
    .sgpr_count:     18
    .sgpr_spill_count: 0
    .symbol:         _ZL13mul_mat_vec_qIN3c108BFloat16ELi256ELi32E10block_q4_KLi2EXadL_ZL17vec_dot_q4_K_q8_1PKvPK10block_q8_1RKiEEEvS4_S4_PT_iii.kd
    .uniform_work_group_size: 1
    .uses_dynamic_stack: false
    .vgpr_count:     51
    .vgpr_spill_count: 0
    .wavefront_size: 32
    .workgroup_processor_mode: 1
  - .args:
      - .actual_access:  read_only
        .address_space:  global
        .offset:         0
        .size:           8
        .value_kind:     global_buffer
      - .actual_access:  read_only
        .address_space:  global
        .offset:         8
        .size:           8
        .value_kind:     global_buffer
      - .actual_access:  write_only
        .address_space:  global
        .offset:         16
        .size:           8
        .value_kind:     global_buffer
      - .offset:         24
        .size:           4
        .value_kind:     by_value
      - .offset:         28
        .size:           4
        .value_kind:     by_value
      - .offset:         32
        .size:           4
        .value_kind:     by_value
      - .offset:         40
        .size:           4
        .value_kind:     hidden_block_count_x
      - .offset:         44
        .size:           4
        .value_kind:     hidden_block_count_y
      - .offset:         48
        .size:           4
        .value_kind:     hidden_block_count_z
      - .offset:         52
        .size:           2
        .value_kind:     hidden_group_size_x
      - .offset:         54
        .size:           2
        .value_kind:     hidden_group_size_y
      - .offset:         56
        .size:           2
        .value_kind:     hidden_group_size_z
      - .offset:         58
        .size:           2
        .value_kind:     hidden_remainder_x
      - .offset:         60
        .size:           2
        .value_kind:     hidden_remainder_y
      - .offset:         62
        .size:           2
        .value_kind:     hidden_remainder_z
      - .offset:         80
        .size:           8
        .value_kind:     hidden_global_offset_x
      - .offset:         88
        .size:           8
        .value_kind:     hidden_global_offset_y
      - .offset:         96
        .size:           8
        .value_kind:     hidden_global_offset_z
      - .offset:         104
        .size:           2
        .value_kind:     hidden_grid_dims
    .group_segment_fixed_size: 0
    .kernarg_segment_align: 8
    .kernarg_segment_size: 296
    .language:       OpenCL C
    .language_version:
      - 2
      - 0
    .max_flat_workgroup_size: 1024
    .name:           _ZL13mul_mat_vec_qIN3c108BFloat16ELi256ELi32E10block_q5_KLi2EXadL_ZL17vec_dot_q5_K_q8_1PKvPK10block_q8_1RKiEEEvS4_S4_PT_iii
    .private_segment_fixed_size: 0
    .sgpr_count:     18
    .sgpr_spill_count: 0
    .symbol:         _ZL13mul_mat_vec_qIN3c108BFloat16ELi256ELi32E10block_q5_KLi2EXadL_ZL17vec_dot_q5_K_q8_1PKvPK10block_q8_1RKiEEEvS4_S4_PT_iii.kd
    .uniform_work_group_size: 1
    .uses_dynamic_stack: false
    .vgpr_count:     52
    .vgpr_spill_count: 0
    .wavefront_size: 32
    .workgroup_processor_mode: 1
  - .args:
      - .actual_access:  read_only
        .address_space:  global
        .offset:         0
        .size:           8
        .value_kind:     global_buffer
      - .actual_access:  read_only
        .address_space:  global
        .offset:         8
        .size:           8
        .value_kind:     global_buffer
      - .actual_access:  write_only
        .address_space:  global
        .offset:         16
        .size:           8
        .value_kind:     global_buffer
      - .offset:         24
        .size:           4
        .value_kind:     by_value
      - .offset:         28
        .size:           4
        .value_kind:     by_value
      - .offset:         32
        .size:           4
        .value_kind:     by_value
      - .offset:         40
        .size:           4
        .value_kind:     hidden_block_count_x
      - .offset:         44
        .size:           4
        .value_kind:     hidden_block_count_y
      - .offset:         48
        .size:           4
        .value_kind:     hidden_block_count_z
      - .offset:         52
        .size:           2
        .value_kind:     hidden_group_size_x
      - .offset:         54
        .size:           2
        .value_kind:     hidden_group_size_y
      - .offset:         56
        .size:           2
        .value_kind:     hidden_group_size_z
      - .offset:         58
        .size:           2
        .value_kind:     hidden_remainder_x
      - .offset:         60
        .size:           2
        .value_kind:     hidden_remainder_y
      - .offset:         62
        .size:           2
        .value_kind:     hidden_remainder_z
      - .offset:         80
        .size:           8
        .value_kind:     hidden_global_offset_x
      - .offset:         88
        .size:           8
        .value_kind:     hidden_global_offset_y
      - .offset:         96
        .size:           8
        .value_kind:     hidden_global_offset_z
      - .offset:         104
        .size:           2
        .value_kind:     hidden_grid_dims
    .group_segment_fixed_size: 0
    .kernarg_segment_align: 8
    .kernarg_segment_size: 296
    .language:       OpenCL C
    .language_version:
      - 2
      - 0
    .max_flat_workgroup_size: 1024
    .name:           _ZL13mul_mat_vec_qIN3c108BFloat16ELi256ELi32E10block_q6_KLi1EXadL_ZL17vec_dot_q6_K_q8_1PKvPK10block_q8_1RKiEEEvS4_S4_PT_iii
    .private_segment_fixed_size: 0
    .sgpr_count:     18
    .sgpr_spill_count: 0
    .symbol:         _ZL13mul_mat_vec_qIN3c108BFloat16ELi256ELi32E10block_q6_KLi1EXadL_ZL17vec_dot_q6_K_q8_1PKvPK10block_q8_1RKiEEEvS4_S4_PT_iii.kd
    .uniform_work_group_size: 1
    .uses_dynamic_stack: false
    .vgpr_count:     34
    .vgpr_spill_count: 0
    .wavefront_size: 32
    .workgroup_processor_mode: 1
  - .args:
      - .actual_access:  read_only
        .address_space:  global
        .offset:         0
        .size:           8
        .value_kind:     global_buffer
      - .actual_access:  read_only
        .address_space:  global
        .offset:         8
        .size:           8
        .value_kind:     global_buffer
      - .actual_access:  write_only
        .address_space:  global
        .offset:         16
        .size:           8
        .value_kind:     global_buffer
      - .offset:         24
        .size:           4
        .value_kind:     by_value
      - .offset:         28
        .size:           4
        .value_kind:     by_value
      - .offset:         32
        .size:           4
        .value_kind:     by_value
      - .offset:         40
        .size:           4
        .value_kind:     hidden_block_count_x
      - .offset:         44
        .size:           4
        .value_kind:     hidden_block_count_y
      - .offset:         48
        .size:           4
        .value_kind:     hidden_block_count_z
      - .offset:         52
        .size:           2
        .value_kind:     hidden_group_size_x
      - .offset:         54
        .size:           2
        .value_kind:     hidden_group_size_y
      - .offset:         56
        .size:           2
        .value_kind:     hidden_group_size_z
      - .offset:         58
        .size:           2
        .value_kind:     hidden_remainder_x
      - .offset:         60
        .size:           2
        .value_kind:     hidden_remainder_y
      - .offset:         62
        .size:           2
        .value_kind:     hidden_remainder_z
      - .offset:         80
        .size:           8
        .value_kind:     hidden_global_offset_x
      - .offset:         88
        .size:           8
        .value_kind:     hidden_global_offset_y
      - .offset:         96
        .size:           8
        .value_kind:     hidden_global_offset_z
      - .offset:         104
        .size:           2
        .value_kind:     hidden_grid_dims
    .group_segment_fixed_size: 0
    .kernarg_segment_align: 8
    .kernarg_segment_size: 296
    .language:       OpenCL C
    .language_version:
      - 2
      - 0
    .max_flat_workgroup_size: 1024
    .name:           _ZL13mul_mat_vec_qIN3c108BFloat16ELi256ELi8E13block_iq2_xxsLi1EXadL_ZL20vec_dot_iq2_xxs_q8_1PKvPK10block_q8_1RKiEEEvS4_S4_PT_iii
    .private_segment_fixed_size: 0
    .sgpr_count:     26
    .sgpr_spill_count: 0
    .symbol:         _ZL13mul_mat_vec_qIN3c108BFloat16ELi256ELi8E13block_iq2_xxsLi1EXadL_ZL20vec_dot_iq2_xxs_q8_1PKvPK10block_q8_1RKiEEEvS4_S4_PT_iii.kd
    .uniform_work_group_size: 1
    .uses_dynamic_stack: false
    .vgpr_count:     94
    .vgpr_spill_count: 0
    .wavefront_size: 32
    .workgroup_processor_mode: 1
  - .args:
      - .actual_access:  read_only
        .address_space:  global
        .offset:         0
        .size:           8
        .value_kind:     global_buffer
      - .actual_access:  read_only
        .address_space:  global
        .offset:         8
        .size:           8
        .value_kind:     global_buffer
      - .actual_access:  write_only
        .address_space:  global
        .offset:         16
        .size:           8
        .value_kind:     global_buffer
      - .offset:         24
        .size:           4
        .value_kind:     by_value
      - .offset:         28
        .size:           4
        .value_kind:     by_value
      - .offset:         32
        .size:           4
        .value_kind:     by_value
      - .offset:         40
        .size:           4
        .value_kind:     hidden_block_count_x
      - .offset:         44
        .size:           4
        .value_kind:     hidden_block_count_y
      - .offset:         48
        .size:           4
        .value_kind:     hidden_block_count_z
      - .offset:         52
        .size:           2
        .value_kind:     hidden_group_size_x
      - .offset:         54
        .size:           2
        .value_kind:     hidden_group_size_y
      - .offset:         56
        .size:           2
        .value_kind:     hidden_group_size_z
      - .offset:         58
        .size:           2
        .value_kind:     hidden_remainder_x
      - .offset:         60
        .size:           2
        .value_kind:     hidden_remainder_y
      - .offset:         62
        .size:           2
        .value_kind:     hidden_remainder_z
      - .offset:         80
        .size:           8
        .value_kind:     hidden_global_offset_x
      - .offset:         88
        .size:           8
        .value_kind:     hidden_global_offset_y
      - .offset:         96
        .size:           8
        .value_kind:     hidden_global_offset_z
      - .offset:         104
        .size:           2
        .value_kind:     hidden_grid_dims
    .group_segment_fixed_size: 0
    .kernarg_segment_align: 8
    .kernarg_segment_size: 296
    .language:       OpenCL C
    .language_version:
      - 2
      - 0
    .max_flat_workgroup_size: 1024
    .name:           _ZL13mul_mat_vec_qIN3c108BFloat16ELi256ELi8E12block_iq2_xsLi1EXadL_ZL19vec_dot_iq2_xs_q8_1PKvPK10block_q8_1RKiEEEvS4_S4_PT_iii
    .private_segment_fixed_size: 0
    .sgpr_count:     46
    .sgpr_spill_count: 0
    .symbol:         _ZL13mul_mat_vec_qIN3c108BFloat16ELi256ELi8E12block_iq2_xsLi1EXadL_ZL19vec_dot_iq2_xs_q8_1PKvPK10block_q8_1RKiEEEvS4_S4_PT_iii.kd
    .uniform_work_group_size: 1
    .uses_dynamic_stack: false
    .vgpr_count:     94
    .vgpr_spill_count: 0
    .wavefront_size: 32
    .workgroup_processor_mode: 1
  - .args:
      - .actual_access:  read_only
        .address_space:  global
        .offset:         0
        .size:           8
        .value_kind:     global_buffer
      - .actual_access:  read_only
        .address_space:  global
        .offset:         8
        .size:           8
        .value_kind:     global_buffer
      - .actual_access:  write_only
        .address_space:  global
        .offset:         16
        .size:           8
        .value_kind:     global_buffer
      - .offset:         24
        .size:           4
        .value_kind:     by_value
      - .offset:         28
        .size:           4
        .value_kind:     by_value
      - .offset:         32
        .size:           4
        .value_kind:     by_value
      - .offset:         40
        .size:           4
        .value_kind:     hidden_block_count_x
      - .offset:         44
        .size:           4
        .value_kind:     hidden_block_count_y
      - .offset:         48
        .size:           4
        .value_kind:     hidden_block_count_z
      - .offset:         52
        .size:           2
        .value_kind:     hidden_group_size_x
      - .offset:         54
        .size:           2
        .value_kind:     hidden_group_size_y
      - .offset:         56
        .size:           2
        .value_kind:     hidden_group_size_z
      - .offset:         58
        .size:           2
        .value_kind:     hidden_remainder_x
      - .offset:         60
        .size:           2
        .value_kind:     hidden_remainder_y
      - .offset:         62
        .size:           2
        .value_kind:     hidden_remainder_z
      - .offset:         80
        .size:           8
        .value_kind:     hidden_global_offset_x
      - .offset:         88
        .size:           8
        .value_kind:     hidden_global_offset_y
      - .offset:         96
        .size:           8
        .value_kind:     hidden_global_offset_z
      - .offset:         104
        .size:           2
        .value_kind:     hidden_grid_dims
    .group_segment_fixed_size: 0
    .kernarg_segment_align: 8
    .kernarg_segment_size: 296
    .language:       OpenCL C
    .language_version:
      - 2
      - 0
    .max_flat_workgroup_size: 1024
    .name:           _ZL13mul_mat_vec_qIN3c108BFloat16ELi256ELi8E13block_iq3_xxsLi1EXadL_ZL20vec_dot_iq3_xxs_q8_1PKvPK10block_q8_1RKiEEEvS4_S4_PT_iii
    .private_segment_fixed_size: 0
    .sgpr_count:     20
    .sgpr_spill_count: 0
    .symbol:         _ZL13mul_mat_vec_qIN3c108BFloat16ELi256ELi8E13block_iq3_xxsLi1EXadL_ZL20vec_dot_iq3_xxs_q8_1PKvPK10block_q8_1RKiEEEvS4_S4_PT_iii.kd
    .uniform_work_group_size: 1
    .uses_dynamic_stack: false
    .vgpr_count:     37
    .vgpr_spill_count: 0
    .wavefront_size: 32
    .workgroup_processor_mode: 1
  - .args:
      - .actual_access:  read_only
        .address_space:  global
        .offset:         0
        .size:           8
        .value_kind:     global_buffer
      - .actual_access:  read_only
        .address_space:  global
        .offset:         8
        .size:           8
        .value_kind:     global_buffer
      - .actual_access:  write_only
        .address_space:  global
        .offset:         16
        .size:           8
        .value_kind:     global_buffer
      - .offset:         24
        .size:           4
        .value_kind:     by_value
      - .offset:         28
        .size:           4
        .value_kind:     by_value
      - .offset:         32
        .size:           4
        .value_kind:     by_value
      - .offset:         40
        .size:           4
        .value_kind:     hidden_block_count_x
      - .offset:         44
        .size:           4
        .value_kind:     hidden_block_count_y
      - .offset:         48
        .size:           4
        .value_kind:     hidden_block_count_z
      - .offset:         52
        .size:           2
        .value_kind:     hidden_group_size_x
      - .offset:         54
        .size:           2
        .value_kind:     hidden_group_size_y
      - .offset:         56
        .size:           2
        .value_kind:     hidden_group_size_z
      - .offset:         58
        .size:           2
        .value_kind:     hidden_remainder_x
      - .offset:         60
        .size:           2
        .value_kind:     hidden_remainder_y
      - .offset:         62
        .size:           2
        .value_kind:     hidden_remainder_z
      - .offset:         80
        .size:           8
        .value_kind:     hidden_global_offset_x
      - .offset:         88
        .size:           8
        .value_kind:     hidden_global_offset_y
      - .offset:         96
        .size:           8
        .value_kind:     hidden_global_offset_z
      - .offset:         104
        .size:           2
        .value_kind:     hidden_grid_dims
    .group_segment_fixed_size: 0
    .kernarg_segment_align: 8
    .kernarg_segment_size: 296
    .language:       OpenCL C
    .language_version:
      - 2
      - 0
    .max_flat_workgroup_size: 1024
    .name:           _ZL13mul_mat_vec_qIN3c108BFloat16ELi256ELi8E11block_iq1_sLi1EXadL_ZL18vec_dot_iq1_s_q8_1PKvPK10block_q8_1RKiEEEvS4_S4_PT_iii
    .private_segment_fixed_size: 0
    .sgpr_count:     18
    .sgpr_spill_count: 0
    .symbol:         _ZL13mul_mat_vec_qIN3c108BFloat16ELi256ELi8E11block_iq1_sLi1EXadL_ZL18vec_dot_iq1_s_q8_1PKvPK10block_q8_1RKiEEEvS4_S4_PT_iii.kd
    .uniform_work_group_size: 1
    .uses_dynamic_stack: false
    .vgpr_count:     53
    .vgpr_spill_count: 0
    .wavefront_size: 32
    .workgroup_processor_mode: 1
  - .args:
      - .actual_access:  read_only
        .address_space:  global
        .offset:         0
        .size:           8
        .value_kind:     global_buffer
      - .actual_access:  read_only
        .address_space:  global
        .offset:         8
        .size:           8
        .value_kind:     global_buffer
      - .actual_access:  write_only
        .address_space:  global
        .offset:         16
        .size:           8
        .value_kind:     global_buffer
      - .offset:         24
        .size:           4
        .value_kind:     by_value
      - .offset:         28
        .size:           4
        .value_kind:     by_value
      - .offset:         32
        .size:           4
        .value_kind:     by_value
      - .offset:         40
        .size:           4
        .value_kind:     hidden_block_count_x
      - .offset:         44
        .size:           4
        .value_kind:     hidden_block_count_y
      - .offset:         48
        .size:           4
        .value_kind:     hidden_block_count_z
      - .offset:         52
        .size:           2
        .value_kind:     hidden_group_size_x
      - .offset:         54
        .size:           2
        .value_kind:     hidden_group_size_y
      - .offset:         56
        .size:           2
        .value_kind:     hidden_group_size_z
      - .offset:         58
        .size:           2
        .value_kind:     hidden_remainder_x
      - .offset:         60
        .size:           2
        .value_kind:     hidden_remainder_y
      - .offset:         62
        .size:           2
        .value_kind:     hidden_remainder_z
      - .offset:         80
        .size:           8
        .value_kind:     hidden_global_offset_x
      - .offset:         88
        .size:           8
        .value_kind:     hidden_global_offset_y
      - .offset:         96
        .size:           8
        .value_kind:     hidden_global_offset_z
      - .offset:         104
        .size:           2
        .value_kind:     hidden_grid_dims
    .group_segment_fixed_size: 0
    .kernarg_segment_align: 8
    .kernarg_segment_size: 296
    .language:       OpenCL C
    .language_version:
      - 2
      - 0
    .max_flat_workgroup_size: 1024
    .name:           _ZL13mul_mat_vec_qIN3c108BFloat16ELi32ELi4E12block_iq4_nlLi2EXadL_ZL19vec_dot_iq4_nl_q8_1PKvPK10block_q8_1RKiEEEvS4_S4_PT_iii
    .private_segment_fixed_size: 0
    .sgpr_count:     18
    .sgpr_spill_count: 0
    .symbol:         _ZL13mul_mat_vec_qIN3c108BFloat16ELi32ELi4E12block_iq4_nlLi2EXadL_ZL19vec_dot_iq4_nl_q8_1PKvPK10block_q8_1RKiEEEvS4_S4_PT_iii.kd
    .uniform_work_group_size: 1
    .uses_dynamic_stack: false
    .vgpr_count:     33
    .vgpr_spill_count: 0
    .wavefront_size: 32
    .workgroup_processor_mode: 1
  - .args:
      - .actual_access:  read_only
        .address_space:  global
        .offset:         0
        .size:           8
        .value_kind:     global_buffer
      - .actual_access:  read_only
        .address_space:  global
        .offset:         8
        .size:           8
        .value_kind:     global_buffer
      - .actual_access:  write_only
        .address_space:  global
        .offset:         16
        .size:           8
        .value_kind:     global_buffer
      - .offset:         24
        .size:           4
        .value_kind:     by_value
      - .offset:         28
        .size:           4
        .value_kind:     by_value
      - .offset:         32
        .size:           4
        .value_kind:     by_value
      - .offset:         40
        .size:           4
        .value_kind:     hidden_block_count_x
      - .offset:         44
        .size:           4
        .value_kind:     hidden_block_count_y
      - .offset:         48
        .size:           4
        .value_kind:     hidden_block_count_z
      - .offset:         52
        .size:           2
        .value_kind:     hidden_group_size_x
      - .offset:         54
        .size:           2
        .value_kind:     hidden_group_size_y
      - .offset:         56
        .size:           2
        .value_kind:     hidden_group_size_z
      - .offset:         58
        .size:           2
        .value_kind:     hidden_remainder_x
      - .offset:         60
        .size:           2
        .value_kind:     hidden_remainder_y
      - .offset:         62
        .size:           2
        .value_kind:     hidden_remainder_z
      - .offset:         80
        .size:           8
        .value_kind:     hidden_global_offset_x
      - .offset:         88
        .size:           8
        .value_kind:     hidden_global_offset_y
      - .offset:         96
        .size:           8
        .value_kind:     hidden_global_offset_z
      - .offset:         104
        .size:           2
        .value_kind:     hidden_grid_dims
    .group_segment_fixed_size: 0
    .kernarg_segment_align: 8
    .kernarg_segment_size: 296
    .language:       OpenCL C
    .language_version:
      - 2
      - 0
    .max_flat_workgroup_size: 1024
    .name:           _ZL13mul_mat_vec_qIN3c108BFloat16ELi256ELi8E11block_iq3_sLi1EXadL_ZL18vec_dot_iq3_s_q8_1PKvPK10block_q8_1RKiEEEvS4_S4_PT_iii
    .private_segment_fixed_size: 0
    .sgpr_count:     18
    .sgpr_spill_count: 0
    .symbol:         _ZL13mul_mat_vec_qIN3c108BFloat16ELi256ELi8E11block_iq3_sLi1EXadL_ZL18vec_dot_iq3_s_q8_1PKvPK10block_q8_1RKiEEEvS4_S4_PT_iii.kd
    .uniform_work_group_size: 1
    .uses_dynamic_stack: false
    .vgpr_count:     42
    .vgpr_spill_count: 0
    .wavefront_size: 32
    .workgroup_processor_mode: 1
  - .args:
      - .actual_access:  read_only
        .address_space:  global
        .offset:         0
        .size:           8
        .value_kind:     global_buffer
      - .actual_access:  read_only
        .address_space:  global
        .offset:         8
        .size:           8
        .value_kind:     global_buffer
      - .actual_access:  write_only
        .address_space:  global
        .offset:         16
        .size:           8
        .value_kind:     global_buffer
      - .offset:         24
        .size:           4
        .value_kind:     by_value
      - .offset:         28
        .size:           4
        .value_kind:     by_value
      - .offset:         32
        .size:           4
        .value_kind:     by_value
      - .offset:         40
        .size:           4
        .value_kind:     hidden_block_count_x
      - .offset:         44
        .size:           4
        .value_kind:     hidden_block_count_y
      - .offset:         48
        .size:           4
        .value_kind:     hidden_block_count_z
      - .offset:         52
        .size:           2
        .value_kind:     hidden_group_size_x
      - .offset:         54
        .size:           2
        .value_kind:     hidden_group_size_y
      - .offset:         56
        .size:           2
        .value_kind:     hidden_group_size_z
      - .offset:         58
        .size:           2
        .value_kind:     hidden_remainder_x
      - .offset:         60
        .size:           2
        .value_kind:     hidden_remainder_y
      - .offset:         62
        .size:           2
        .value_kind:     hidden_remainder_z
      - .offset:         80
        .size:           8
        .value_kind:     hidden_global_offset_x
      - .offset:         88
        .size:           8
        .value_kind:     hidden_global_offset_y
      - .offset:         96
        .size:           8
        .value_kind:     hidden_global_offset_z
      - .offset:         104
        .size:           2
        .value_kind:     hidden_grid_dims
    .group_segment_fixed_size: 0
    .kernarg_segment_align: 8
    .kernarg_segment_size: 296
    .language:       OpenCL C
    .language_version:
      - 2
      - 0
    .max_flat_workgroup_size: 1024
    .name:           _ZL13mul_mat_vec_qIN3c108BFloat16ELi256ELi8E11block_iq2_sLi1EXadL_ZL18vec_dot_iq2_s_q8_1PKvPK10block_q8_1RKiEEEvS4_S4_PT_iii
    .private_segment_fixed_size: 0
    .sgpr_count:     18
    .sgpr_spill_count: 0
    .symbol:         _ZL13mul_mat_vec_qIN3c108BFloat16ELi256ELi8E11block_iq2_sLi1EXadL_ZL18vec_dot_iq2_s_q8_1PKvPK10block_q8_1RKiEEEvS4_S4_PT_iii.kd
    .uniform_work_group_size: 1
    .uses_dynamic_stack: false
    .vgpr_count:     41
    .vgpr_spill_count: 0
    .wavefront_size: 32
    .workgroup_processor_mode: 1
  - .args:
      - .actual_access:  read_only
        .address_space:  global
        .offset:         0
        .size:           8
        .value_kind:     global_buffer
      - .actual_access:  read_only
        .address_space:  global
        .offset:         8
        .size:           8
        .value_kind:     global_buffer
      - .actual_access:  write_only
        .address_space:  global
        .offset:         16
        .size:           8
        .value_kind:     global_buffer
      - .offset:         24
        .size:           4
        .value_kind:     by_value
      - .offset:         28
        .size:           4
        .value_kind:     by_value
      - .offset:         32
        .size:           4
        .value_kind:     by_value
      - .offset:         40
        .size:           4
        .value_kind:     hidden_block_count_x
      - .offset:         44
        .size:           4
        .value_kind:     hidden_block_count_y
      - .offset:         48
        .size:           4
        .value_kind:     hidden_block_count_z
      - .offset:         52
        .size:           2
        .value_kind:     hidden_group_size_x
      - .offset:         54
        .size:           2
        .value_kind:     hidden_group_size_y
      - .offset:         56
        .size:           2
        .value_kind:     hidden_group_size_z
      - .offset:         58
        .size:           2
        .value_kind:     hidden_remainder_x
      - .offset:         60
        .size:           2
        .value_kind:     hidden_remainder_y
      - .offset:         62
        .size:           2
        .value_kind:     hidden_remainder_z
      - .offset:         80
        .size:           8
        .value_kind:     hidden_global_offset_x
      - .offset:         88
        .size:           8
        .value_kind:     hidden_global_offset_y
      - .offset:         96
        .size:           8
        .value_kind:     hidden_global_offset_z
      - .offset:         104
        .size:           2
        .value_kind:     hidden_grid_dims
    .group_segment_fixed_size: 0
    .kernarg_segment_align: 8
    .kernarg_segment_size: 296
    .language:       OpenCL C
    .language_version:
      - 2
      - 0
    .max_flat_workgroup_size: 1024
    .name:           _ZL13mul_mat_vec_qIN3c108BFloat16ELi256ELi8E12block_iq4_xsLi1EXadL_ZL19vec_dot_iq4_xs_q8_1PKvPK10block_q8_1RKiEEEvS4_S4_PT_iii
    .private_segment_fixed_size: 0
    .sgpr_count:     18
    .sgpr_spill_count: 0
    .symbol:         _ZL13mul_mat_vec_qIN3c108BFloat16ELi256ELi8E12block_iq4_xsLi1EXadL_ZL19vec_dot_iq4_xs_q8_1PKvPK10block_q8_1RKiEEEvS4_S4_PT_iii.kd
    .uniform_work_group_size: 1
    .uses_dynamic_stack: false
    .vgpr_count:     34
    .vgpr_spill_count: 0
    .wavefront_size: 32
    .workgroup_processor_mode: 1
  - .args:
      - .actual_access:  read_only
        .address_space:  global
        .offset:         0
        .size:           8
        .value_kind:     global_buffer
      - .actual_access:  read_only
        .address_space:  global
        .offset:         8
        .size:           8
        .value_kind:     global_buffer
      - .actual_access:  write_only
        .address_space:  global
        .offset:         16
        .size:           8
        .value_kind:     global_buffer
      - .offset:         24
        .size:           4
        .value_kind:     by_value
      - .offset:         28
        .size:           4
        .value_kind:     by_value
      - .offset:         32
        .size:           4
        .value_kind:     by_value
      - .offset:         40
        .size:           4
        .value_kind:     hidden_block_count_x
      - .offset:         44
        .size:           4
        .value_kind:     hidden_block_count_y
      - .offset:         48
        .size:           4
        .value_kind:     hidden_block_count_z
      - .offset:         52
        .size:           2
        .value_kind:     hidden_group_size_x
      - .offset:         54
        .size:           2
        .value_kind:     hidden_group_size_y
      - .offset:         56
        .size:           2
        .value_kind:     hidden_group_size_z
      - .offset:         58
        .size:           2
        .value_kind:     hidden_remainder_x
      - .offset:         60
        .size:           2
        .value_kind:     hidden_remainder_y
      - .offset:         62
        .size:           2
        .value_kind:     hidden_remainder_z
      - .offset:         80
        .size:           8
        .value_kind:     hidden_global_offset_x
      - .offset:         88
        .size:           8
        .value_kind:     hidden_global_offset_y
      - .offset:         96
        .size:           8
        .value_kind:     hidden_global_offset_z
      - .offset:         104
        .size:           2
        .value_kind:     hidden_grid_dims
    .group_segment_fixed_size: 0
    .kernarg_segment_align: 8
    .kernarg_segment_size: 296
    .language:       OpenCL C
    .language_version:
      - 2
      - 0
    .max_flat_workgroup_size: 1024
    .name:           _ZL13mul_mat_vec_qIN3c108BFloat16ELi256ELi8E11block_iq1_mLi1EXadL_ZL18vec_dot_iq1_m_q8_1PKvPK10block_q8_1RKiEEEvS4_S4_PT_iii
    .private_segment_fixed_size: 0
    .sgpr_count:     18
    .sgpr_spill_count: 0
    .symbol:         _ZL13mul_mat_vec_qIN3c108BFloat16ELi256ELi8E11block_iq1_mLi1EXadL_ZL18vec_dot_iq1_m_q8_1PKvPK10block_q8_1RKiEEEvS4_S4_PT_iii.kd
    .uniform_work_group_size: 1
    .uses_dynamic_stack: false
    .vgpr_count:     74
    .vgpr_spill_count: 0
    .wavefront_size: 32
    .workgroup_processor_mode: 1
  - .args:
      - .actual_access:  read_only
        .address_space:  global
        .offset:         0
        .size:           8
        .value_kind:     global_buffer
      - .actual_access:  read_only
        .address_space:  global
        .offset:         8
        .size:           8
        .value_kind:     global_buffer
      - .actual_access:  write_only
        .address_space:  global
        .offset:         16
        .size:           8
        .value_kind:     global_buffer
      - .offset:         24
        .size:           4
        .value_kind:     by_value
      - .offset:         28
        .size:           4
        .value_kind:     by_value
      - .offset:         32
        .size:           4
        .value_kind:     by_value
      - .offset:         36
        .size:           4
        .value_kind:     by_value
      - .offset:         40
        .size:           4
        .value_kind:     by_value
    .group_segment_fixed_size: 30336
    .kernarg_segment_align: 8
    .kernarg_segment_size: 44
    .language:       OpenCL C
    .language_version:
      - 2
      - 0
    .max_flat_workgroup_size: 256
    .name:           _ZL12mul_mat_q4_0IfLb0EEvPKvS1_PT_iiiii
    .private_segment_fixed_size: 252
    .sgpr_count:     18
    .sgpr_spill_count: 0
    .symbol:         _ZL12mul_mat_q4_0IfLb0EEvPKvS1_PT_iiiii.kd
    .uniform_work_group_size: 1
    .uses_dynamic_stack: false
    .vgpr_count:     256
    .vgpr_spill_count: 62
    .wavefront_size: 32
    .workgroup_processor_mode: 1
  - .args:
      - .actual_access:  read_only
        .address_space:  global
        .offset:         0
        .size:           8
        .value_kind:     global_buffer
      - .actual_access:  read_only
        .address_space:  global
        .offset:         8
        .size:           8
        .value_kind:     global_buffer
      - .actual_access:  write_only
        .address_space:  global
        .offset:         16
        .size:           8
        .value_kind:     global_buffer
      - .offset:         24
        .size:           4
        .value_kind:     by_value
      - .offset:         28
        .size:           4
        .value_kind:     by_value
      - .offset:         32
        .size:           4
        .value_kind:     by_value
      - .offset:         36
        .size:           4
        .value_kind:     by_value
      - .offset:         40
        .size:           4
        .value_kind:     by_value
    .group_segment_fixed_size: 30336
    .kernarg_segment_align: 8
    .kernarg_segment_size: 44
    .language:       OpenCL C
    .language_version:
      - 2
      - 0
    .max_flat_workgroup_size: 256
    .name:           _ZL12mul_mat_q4_0IfLb1EEvPKvS1_PT_iiiii
    .private_segment_fixed_size: 256
    .sgpr_count:     18
    .sgpr_spill_count: 0
    .symbol:         _ZL12mul_mat_q4_0IfLb1EEvPKvS1_PT_iiiii.kd
    .uniform_work_group_size: 1
    .uses_dynamic_stack: false
    .vgpr_count:     256
    .vgpr_spill_count: 63
    .wavefront_size: 32
    .workgroup_processor_mode: 1
  - .args:
      - .actual_access:  read_only
        .address_space:  global
        .offset:         0
        .size:           8
        .value_kind:     global_buffer
      - .actual_access:  read_only
        .address_space:  global
        .offset:         8
        .size:           8
        .value_kind:     global_buffer
      - .actual_access:  write_only
        .address_space:  global
        .offset:         16
        .size:           8
        .value_kind:     global_buffer
      - .offset:         24
        .size:           4
        .value_kind:     by_value
      - .offset:         28
        .size:           4
        .value_kind:     by_value
      - .offset:         32
        .size:           4
        .value_kind:     by_value
      - .offset:         36
        .size:           4
        .value_kind:     by_value
      - .offset:         40
        .size:           4
        .value_kind:     by_value
    .group_segment_fixed_size: 30336
    .kernarg_segment_align: 8
    .kernarg_segment_size: 44
    .language:       OpenCL C
    .language_version:
      - 2
      - 0
    .max_flat_workgroup_size: 256
    .name:           _ZL12mul_mat_q4_1IfLb0EEvPKvS1_PT_iiiii
    .private_segment_fixed_size: 248
    .sgpr_count:     18
    .sgpr_spill_count: 0
    .symbol:         _ZL12mul_mat_q4_1IfLb0EEvPKvS1_PT_iiiii.kd
    .uniform_work_group_size: 1
    .uses_dynamic_stack: false
    .vgpr_count:     256
    .vgpr_spill_count: 61
    .wavefront_size: 32
    .workgroup_processor_mode: 1
  - .args:
      - .actual_access:  read_only
        .address_space:  global
        .offset:         0
        .size:           8
        .value_kind:     global_buffer
      - .actual_access:  read_only
        .address_space:  global
        .offset:         8
        .size:           8
        .value_kind:     global_buffer
      - .actual_access:  write_only
        .address_space:  global
        .offset:         16
        .size:           8
        .value_kind:     global_buffer
      - .offset:         24
        .size:           4
        .value_kind:     by_value
      - .offset:         28
        .size:           4
        .value_kind:     by_value
      - .offset:         32
        .size:           4
        .value_kind:     by_value
      - .offset:         36
        .size:           4
        .value_kind:     by_value
      - .offset:         40
        .size:           4
        .value_kind:     by_value
    .group_segment_fixed_size: 30336
    .kernarg_segment_align: 8
    .kernarg_segment_size: 44
    .language:       OpenCL C
    .language_version:
      - 2
      - 0
    .max_flat_workgroup_size: 256
    .name:           _ZL12mul_mat_q4_1IfLb1EEvPKvS1_PT_iiiii
    .private_segment_fixed_size: 248
    .sgpr_count:     18
    .sgpr_spill_count: 0
    .symbol:         _ZL12mul_mat_q4_1IfLb1EEvPKvS1_PT_iiiii.kd
    .uniform_work_group_size: 1
    .uses_dynamic_stack: false
    .vgpr_count:     256
    .vgpr_spill_count: 61
    .wavefront_size: 32
    .workgroup_processor_mode: 1
  - .args:
      - .actual_access:  read_only
        .address_space:  global
        .offset:         0
        .size:           8
        .value_kind:     global_buffer
      - .actual_access:  read_only
        .address_space:  global
        .offset:         8
        .size:           8
        .value_kind:     global_buffer
      - .actual_access:  write_only
        .address_space:  global
        .offset:         16
        .size:           8
        .value_kind:     global_buffer
      - .offset:         24
        .size:           4
        .value_kind:     by_value
      - .offset:         28
        .size:           4
        .value_kind:     by_value
      - .offset:         32
        .size:           4
        .value_kind:     by_value
      - .offset:         36
        .size:           4
        .value_kind:     by_value
      - .offset:         40
        .size:           4
        .value_kind:     by_value
    .group_segment_fixed_size: 46720
    .kernarg_segment_align: 8
    .kernarg_segment_size: 44
    .language:       OpenCL C
    .language_version:
      - 2
      - 0
    .max_flat_workgroup_size: 256
    .name:           _ZL12mul_mat_q5_0IfLb0EEvPKvS1_PT_iiiii
    .private_segment_fixed_size: 0
    .sgpr_count:     18
    .sgpr_spill_count: 0
    .symbol:         _ZL12mul_mat_q5_0IfLb0EEvPKvS1_PT_iiiii.kd
    .uniform_work_group_size: 1
    .uses_dynamic_stack: false
    .vgpr_count:     195
    .vgpr_spill_count: 0
    .wavefront_size: 32
    .workgroup_processor_mode: 1
  - .args:
      - .actual_access:  read_only
        .address_space:  global
        .offset:         0
        .size:           8
        .value_kind:     global_buffer
      - .actual_access:  read_only
        .address_space:  global
        .offset:         8
        .size:           8
        .value_kind:     global_buffer
      - .actual_access:  write_only
        .address_space:  global
        .offset:         16
        .size:           8
        .value_kind:     global_buffer
      - .offset:         24
        .size:           4
        .value_kind:     by_value
      - .offset:         28
        .size:           4
        .value_kind:     by_value
      - .offset:         32
        .size:           4
        .value_kind:     by_value
      - .offset:         36
        .size:           4
        .value_kind:     by_value
      - .offset:         40
        .size:           4
        .value_kind:     by_value
    .group_segment_fixed_size: 46720
    .kernarg_segment_align: 8
    .kernarg_segment_size: 44
    .language:       OpenCL C
    .language_version:
      - 2
      - 0
    .max_flat_workgroup_size: 256
    .name:           _ZL12mul_mat_q5_0IfLb1EEvPKvS1_PT_iiiii
    .private_segment_fixed_size: 0
    .sgpr_count:     18
    .sgpr_spill_count: 0
    .symbol:         _ZL12mul_mat_q5_0IfLb1EEvPKvS1_PT_iiiii.kd
    .uniform_work_group_size: 1
    .uses_dynamic_stack: false
    .vgpr_count:     195
    .vgpr_spill_count: 0
    .wavefront_size: 32
    .workgroup_processor_mode: 1
  - .args:
      - .actual_access:  read_only
        .address_space:  global
        .offset:         0
        .size:           8
        .value_kind:     global_buffer
      - .actual_access:  read_only
        .address_space:  global
        .offset:         8
        .size:           8
        .value_kind:     global_buffer
      - .actual_access:  write_only
        .address_space:  global
        .offset:         16
        .size:           8
        .value_kind:     global_buffer
      - .offset:         24
        .size:           4
        .value_kind:     by_value
      - .offset:         28
        .size:           4
        .value_kind:     by_value
      - .offset:         32
        .size:           4
        .value_kind:     by_value
      - .offset:         36
        .size:           4
        .value_kind:     by_value
      - .offset:         40
        .size:           4
        .value_kind:     by_value
    .group_segment_fixed_size: 46720
    .kernarg_segment_align: 8
    .kernarg_segment_size: 44
    .language:       OpenCL C
    .language_version:
      - 2
      - 0
    .max_flat_workgroup_size: 256
    .name:           _ZL12mul_mat_q5_1IfLb0EEvPKvS1_PT_iiiii
    .private_segment_fixed_size: 0
    .sgpr_count:     18
    .sgpr_spill_count: 0
    .symbol:         _ZL12mul_mat_q5_1IfLb0EEvPKvS1_PT_iiiii.kd
    .uniform_work_group_size: 1
    .uses_dynamic_stack: false
    .vgpr_count:     221
    .vgpr_spill_count: 0
    .wavefront_size: 32
    .workgroup_processor_mode: 1
  - .args:
      - .actual_access:  read_only
        .address_space:  global
        .offset:         0
        .size:           8
        .value_kind:     global_buffer
      - .actual_access:  read_only
        .address_space:  global
        .offset:         8
        .size:           8
        .value_kind:     global_buffer
      - .actual_access:  write_only
        .address_space:  global
        .offset:         16
        .size:           8
        .value_kind:     global_buffer
      - .offset:         24
        .size:           4
        .value_kind:     by_value
      - .offset:         28
        .size:           4
        .value_kind:     by_value
      - .offset:         32
        .size:           4
        .value_kind:     by_value
      - .offset:         36
        .size:           4
        .value_kind:     by_value
      - .offset:         40
        .size:           4
        .value_kind:     by_value
    .group_segment_fixed_size: 46720
    .kernarg_segment_align: 8
    .kernarg_segment_size: 44
    .language:       OpenCL C
    .language_version:
      - 2
      - 0
    .max_flat_workgroup_size: 256
    .name:           _ZL12mul_mat_q5_1IfLb1EEvPKvS1_PT_iiiii
    .private_segment_fixed_size: 0
    .sgpr_count:     18
    .sgpr_spill_count: 0
    .symbol:         _ZL12mul_mat_q5_1IfLb1EEvPKvS1_PT_iiiii.kd
    .uniform_work_group_size: 1
    .uses_dynamic_stack: false
    .vgpr_count:     221
    .vgpr_spill_count: 0
    .wavefront_size: 32
    .workgroup_processor_mode: 1
  - .args:
      - .actual_access:  read_only
        .address_space:  global
        .offset:         0
        .size:           8
        .value_kind:     global_buffer
      - .actual_access:  read_only
        .address_space:  global
        .offset:         8
        .size:           8
        .value_kind:     global_buffer
      - .actual_access:  write_only
        .address_space:  global
        .offset:         16
        .size:           8
        .value_kind:     global_buffer
      - .offset:         24
        .size:           4
        .value_kind:     by_value
      - .offset:         28
        .size:           4
        .value_kind:     by_value
      - .offset:         32
        .size:           4
        .value_kind:     by_value
      - .offset:         36
        .size:           4
        .value_kind:     by_value
      - .offset:         40
        .size:           4
        .value_kind:     by_value
    .group_segment_fixed_size: 28224
    .kernarg_segment_align: 8
    .kernarg_segment_size: 44
    .language:       OpenCL C
    .language_version:
      - 2
      - 0
    .max_flat_workgroup_size: 256
    .name:           _ZL12mul_mat_q8_0IfLb0EEvPKvS1_PT_iiiii
    .private_segment_fixed_size: 0
    .sgpr_count:     18
    .sgpr_spill_count: 0
    .symbol:         _ZL12mul_mat_q8_0IfLb0EEvPKvS1_PT_iiiii.kd
    .uniform_work_group_size: 1
    .uses_dynamic_stack: false
    .vgpr_count:     156
    .vgpr_spill_count: 0
    .wavefront_size: 32
    .workgroup_processor_mode: 1
  - .args:
      - .actual_access:  read_only
        .address_space:  global
        .offset:         0
        .size:           8
        .value_kind:     global_buffer
      - .actual_access:  read_only
        .address_space:  global
        .offset:         8
        .size:           8
        .value_kind:     global_buffer
      - .actual_access:  write_only
        .address_space:  global
        .offset:         16
        .size:           8
        .value_kind:     global_buffer
      - .offset:         24
        .size:           4
        .value_kind:     by_value
      - .offset:         28
        .size:           4
        .value_kind:     by_value
      - .offset:         32
        .size:           4
        .value_kind:     by_value
      - .offset:         36
        .size:           4
        .value_kind:     by_value
      - .offset:         40
        .size:           4
        .value_kind:     by_value
    .group_segment_fixed_size: 28224
    .kernarg_segment_align: 8
    .kernarg_segment_size: 44
    .language:       OpenCL C
    .language_version:
      - 2
      - 0
    .max_flat_workgroup_size: 256
    .name:           _ZL12mul_mat_q8_0IfLb1EEvPKvS1_PT_iiiii
    .private_segment_fixed_size: 0
    .sgpr_count:     18
    .sgpr_spill_count: 0
    .symbol:         _ZL12mul_mat_q8_0IfLb1EEvPKvS1_PT_iiiii.kd
    .uniform_work_group_size: 1
    .uses_dynamic_stack: false
    .vgpr_count:     156
    .vgpr_spill_count: 0
    .wavefront_size: 32
    .workgroup_processor_mode: 1
  - .args:
      - .actual_access:  read_only
        .address_space:  global
        .offset:         0
        .size:           8
        .value_kind:     global_buffer
      - .actual_access:  read_only
        .address_space:  global
        .offset:         8
        .size:           8
        .value_kind:     global_buffer
      - .actual_access:  write_only
        .address_space:  global
        .offset:         16
        .size:           8
        .value_kind:     global_buffer
      - .offset:         24
        .size:           4
        .value_kind:     by_value
      - .offset:         28
        .size:           4
        .value_kind:     by_value
      - .offset:         32
        .size:           4
        .value_kind:     by_value
      - .offset:         36
        .size:           4
        .value_kind:     by_value
      - .offset:         40
        .size:           4
        .value_kind:     by_value
    .group_segment_fixed_size: 31392
    .kernarg_segment_align: 8
    .kernarg_segment_size: 44
    .language:       OpenCL C
    .language_version:
      - 2
      - 0
    .max_flat_workgroup_size: 256
    .name:           _ZL12mul_mat_q2_KIfLb0EEvPKvS1_PT_iiiii
    .private_segment_fixed_size: 428
    .sgpr_count:     24
    .sgpr_spill_count: 0
    .symbol:         _ZL12mul_mat_q2_KIfLb0EEvPKvS1_PT_iiiii.kd
    .uniform_work_group_size: 1
    .uses_dynamic_stack: false
    .vgpr_count:     256
    .vgpr_spill_count: 117
    .wavefront_size: 32
    .workgroup_processor_mode: 1
  - .args:
      - .actual_access:  read_only
        .address_space:  global
        .offset:         0
        .size:           8
        .value_kind:     global_buffer
      - .actual_access:  read_only
        .address_space:  global
        .offset:         8
        .size:           8
        .value_kind:     global_buffer
      - .actual_access:  write_only
        .address_space:  global
        .offset:         16
        .size:           8
        .value_kind:     global_buffer
      - .offset:         24
        .size:           4
        .value_kind:     by_value
      - .offset:         28
        .size:           4
        .value_kind:     by_value
      - .offset:         32
        .size:           4
        .value_kind:     by_value
      - .offset:         36
        .size:           4
        .value_kind:     by_value
      - .offset:         40
        .size:           4
        .value_kind:     by_value
    .group_segment_fixed_size: 31392
    .kernarg_segment_align: 8
    .kernarg_segment_size: 44
    .language:       OpenCL C
    .language_version:
      - 2
      - 0
    .max_flat_workgroup_size: 256
    .name:           _ZL12mul_mat_q2_KIfLb1EEvPKvS1_PT_iiiii
    .private_segment_fixed_size: 480
    .sgpr_count:     24
    .sgpr_spill_count: 0
    .symbol:         _ZL12mul_mat_q2_KIfLb1EEvPKvS1_PT_iiiii.kd
    .uniform_work_group_size: 1
    .uses_dynamic_stack: false
    .vgpr_count:     256
    .vgpr_spill_count: 126
    .wavefront_size: 32
    .workgroup_processor_mode: 1
  - .args:
      - .actual_access:  read_only
        .address_space:  global
        .offset:         0
        .size:           8
        .value_kind:     global_buffer
      - .actual_access:  read_only
        .address_space:  global
        .offset:         8
        .size:           8
        .value_kind:     global_buffer
      - .actual_access:  write_only
        .address_space:  global
        .offset:         16
        .size:           8
        .value_kind:     global_buffer
      - .offset:         24
        .size:           4
        .value_kind:     by_value
      - .offset:         28
        .size:           4
        .value_kind:     by_value
      - .offset:         32
        .size:           4
        .value_kind:     by_value
      - .offset:         36
        .size:           4
        .value_kind:     by_value
      - .offset:         40
        .size:           4
        .value_kind:     by_value
    .group_segment_fixed_size: 39840
    .kernarg_segment_align: 8
    .kernarg_segment_size: 44
    .language:       OpenCL C
    .language_version:
      - 2
      - 0
    .max_flat_workgroup_size: 256
    .name:           _ZL12mul_mat_q3_KIfLb0EEvPKvS1_PT_iiiii
    .private_segment_fixed_size: 528
    .sgpr_count:     25
    .sgpr_spill_count: 0
    .symbol:         _ZL12mul_mat_q3_KIfLb0EEvPKvS1_PT_iiiii.kd
    .uniform_work_group_size: 1
    .uses_dynamic_stack: false
    .vgpr_count:     256
    .vgpr_spill_count: 147
    .wavefront_size: 32
    .workgroup_processor_mode: 1
  - .args:
      - .actual_access:  read_only
        .address_space:  global
        .offset:         0
        .size:           8
        .value_kind:     global_buffer
      - .actual_access:  read_only
        .address_space:  global
        .offset:         8
        .size:           8
        .value_kind:     global_buffer
      - .actual_access:  write_only
        .address_space:  global
        .offset:         16
        .size:           8
        .value_kind:     global_buffer
      - .offset:         24
        .size:           4
        .value_kind:     by_value
      - .offset:         28
        .size:           4
        .value_kind:     by_value
      - .offset:         32
        .size:           4
        .value_kind:     by_value
      - .offset:         36
        .size:           4
        .value_kind:     by_value
      - .offset:         40
        .size:           4
        .value_kind:     by_value
    .group_segment_fixed_size: 39840
    .kernarg_segment_align: 8
    .kernarg_segment_size: 44
    .language:       OpenCL C
    .language_version:
      - 2
      - 0
    .max_flat_workgroup_size: 256
    .name:           _ZL12mul_mat_q3_KIfLb1EEvPKvS1_PT_iiiii
    .private_segment_fixed_size: 592
    .sgpr_count:     25
    .sgpr_spill_count: 0
    .symbol:         _ZL12mul_mat_q3_KIfLb1EEvPKvS1_PT_iiiii.kd
    .uniform_work_group_size: 1
    .uses_dynamic_stack: false
    .vgpr_count:     256
    .vgpr_spill_count: 163
    .wavefront_size: 32
    .workgroup_processor_mode: 1
  - .args:
      - .actual_access:  read_only
        .address_space:  global
        .offset:         0
        .size:           8
        .value_kind:     global_buffer
      - .actual_access:  read_only
        .address_space:  global
        .offset:         8
        .size:           8
        .value_kind:     global_buffer
      - .actual_access:  write_only
        .address_space:  global
        .offset:         16
        .size:           8
        .value_kind:     global_buffer
      - .offset:         24
        .size:           4
        .value_kind:     by_value
      - .offset:         28
        .size:           4
        .value_kind:     by_value
      - .offset:         32
        .size:           4
        .value_kind:     by_value
      - .offset:         36
        .size:           4
        .value_kind:     by_value
      - .offset:         40
        .size:           4
        .value_kind:     by_value
    .group_segment_fixed_size: 28752
    .kernarg_segment_align: 8
    .kernarg_segment_size: 44
    .language:       OpenCL C
    .language_version:
      - 2
      - 0
    .max_flat_workgroup_size: 256
    .name:           _ZL12mul_mat_q4_KIfLb0EEvPKvS1_PT_iiiii
    .private_segment_fixed_size: 1588
    .sgpr_count:     20
    .sgpr_spill_count: 0
    .symbol:         _ZL12mul_mat_q4_KIfLb0EEvPKvS1_PT_iiiii.kd
    .uniform_work_group_size: 1
    .uses_dynamic_stack: false
    .vgpr_count:     256
    .vgpr_spill_count: 443
    .wavefront_size: 32
    .workgroup_processor_mode: 1
  - .args:
      - .actual_access:  read_only
        .address_space:  global
        .offset:         0
        .size:           8
        .value_kind:     global_buffer
      - .actual_access:  read_only
        .address_space:  global
        .offset:         8
        .size:           8
        .value_kind:     global_buffer
      - .actual_access:  write_only
        .address_space:  global
        .offset:         16
        .size:           8
        .value_kind:     global_buffer
      - .offset:         24
        .size:           4
        .value_kind:     by_value
      - .offset:         28
        .size:           4
        .value_kind:     by_value
      - .offset:         32
        .size:           4
        .value_kind:     by_value
      - .offset:         36
        .size:           4
        .value_kind:     by_value
      - .offset:         40
        .size:           4
        .value_kind:     by_value
    .group_segment_fixed_size: 28752
    .kernarg_segment_align: 8
    .kernarg_segment_size: 44
    .language:       OpenCL C
    .language_version:
      - 2
      - 0
    .max_flat_workgroup_size: 256
    .name:           _ZL12mul_mat_q4_KIfLb1EEvPKvS1_PT_iiiii
    .private_segment_fixed_size: 1648
    .sgpr_count:     20
    .sgpr_spill_count: 0
    .symbol:         _ZL12mul_mat_q4_KIfLb1EEvPKvS1_PT_iiiii.kd
    .uniform_work_group_size: 1
    .uses_dynamic_stack: false
    .vgpr_count:     256
    .vgpr_spill_count: 457
    .wavefront_size: 32
    .workgroup_processor_mode: 1
  - .args:
      - .actual_access:  read_only
        .address_space:  global
        .offset:         0
        .size:           8
        .value_kind:     global_buffer
      - .actual_access:  read_only
        .address_space:  global
        .offset:         8
        .size:           8
        .value_kind:     global_buffer
      - .actual_access:  write_only
        .address_space:  global
        .offset:         16
        .size:           8
        .value_kind:     global_buffer
      - .offset:         24
        .size:           4
        .value_kind:     by_value
      - .offset:         28
        .size:           4
        .value_kind:     by_value
      - .offset:         32
        .size:           4
        .value_kind:     by_value
      - .offset:         36
        .size:           4
        .value_kind:     by_value
      - .offset:         40
        .size:           4
        .value_kind:     by_value
    .group_segment_fixed_size: 45136
    .kernarg_segment_align: 8
    .kernarg_segment_size: 44
    .language:       OpenCL C
    .language_version:
      - 2
      - 0
    .max_flat_workgroup_size: 256
    .name:           _ZL12mul_mat_q5_KIfLb0EEvPKvS1_PT_iiiii
    .private_segment_fixed_size: 0
    .sgpr_count:     20
    .sgpr_spill_count: 0
    .symbol:         _ZL12mul_mat_q5_KIfLb0EEvPKvS1_PT_iiiii.kd
    .uniform_work_group_size: 1
    .uses_dynamic_stack: false
    .vgpr_count:     248
    .vgpr_spill_count: 0
    .wavefront_size: 32
    .workgroup_processor_mode: 1
  - .args:
      - .actual_access:  read_only
        .address_space:  global
        .offset:         0
        .size:           8
        .value_kind:     global_buffer
      - .actual_access:  read_only
        .address_space:  global
        .offset:         8
        .size:           8
        .value_kind:     global_buffer
      - .actual_access:  write_only
        .address_space:  global
        .offset:         16
        .size:           8
        .value_kind:     global_buffer
      - .offset:         24
        .size:           4
        .value_kind:     by_value
      - .offset:         28
        .size:           4
        .value_kind:     by_value
      - .offset:         32
        .size:           4
        .value_kind:     by_value
      - .offset:         36
        .size:           4
        .value_kind:     by_value
      - .offset:         40
        .size:           4
        .value_kind:     by_value
    .group_segment_fixed_size: 45136
    .kernarg_segment_align: 8
    .kernarg_segment_size: 44
    .language:       OpenCL C
    .language_version:
      - 2
      - 0
    .max_flat_workgroup_size: 256
    .name:           _ZL12mul_mat_q5_KIfLb1EEvPKvS1_PT_iiiii
    .private_segment_fixed_size: 0
    .sgpr_count:     20
    .sgpr_spill_count: 0
    .symbol:         _ZL12mul_mat_q5_KIfLb1EEvPKvS1_PT_iiiii.kd
    .uniform_work_group_size: 1
    .uses_dynamic_stack: false
    .vgpr_count:     248
    .vgpr_spill_count: 0
    .wavefront_size: 32
    .workgroup_processor_mode: 1
  - .args:
      - .actual_access:  read_only
        .address_space:  global
        .offset:         0
        .size:           8
        .value_kind:     global_buffer
      - .actual_access:  read_only
        .address_space:  global
        .offset:         8
        .size:           8
        .value_kind:     global_buffer
      - .actual_access:  write_only
        .address_space:  global
        .offset:         16
        .size:           8
        .value_kind:     global_buffer
      - .offset:         24
        .size:           4
        .value_kind:     by_value
      - .offset:         28
        .size:           4
        .value_kind:     by_value
      - .offset:         32
        .size:           4
        .value_kind:     by_value
      - .offset:         36
        .size:           4
        .value_kind:     by_value
      - .offset:         40
        .size:           4
        .value_kind:     by_value
    .group_segment_fixed_size: 45136
    .kernarg_segment_align: 8
    .kernarg_segment_size: 44
    .language:       OpenCL C
    .language_version:
      - 2
      - 0
    .max_flat_workgroup_size: 256
    .name:           _ZL12mul_mat_q6_KIfLb0EEvPKvS1_PT_iiiii
    .private_segment_fixed_size: 44
    .sgpr_count:     20
    .sgpr_spill_count: 0
    .symbol:         _ZL12mul_mat_q6_KIfLb0EEvPKvS1_PT_iiiii.kd
    .uniform_work_group_size: 1
    .uses_dynamic_stack: false
    .vgpr_count:     256
    .vgpr_spill_count: 10
    .wavefront_size: 32
    .workgroup_processor_mode: 1
  - .args:
      - .actual_access:  read_only
        .address_space:  global
        .offset:         0
        .size:           8
        .value_kind:     global_buffer
      - .actual_access:  read_only
        .address_space:  global
        .offset:         8
        .size:           8
        .value_kind:     global_buffer
      - .actual_access:  write_only
        .address_space:  global
        .offset:         16
        .size:           8
        .value_kind:     global_buffer
      - .offset:         24
        .size:           4
        .value_kind:     by_value
      - .offset:         28
        .size:           4
        .value_kind:     by_value
      - .offset:         32
        .size:           4
        .value_kind:     by_value
      - .offset:         36
        .size:           4
        .value_kind:     by_value
      - .offset:         40
        .size:           4
        .value_kind:     by_value
    .group_segment_fixed_size: 45136
    .kernarg_segment_align: 8
    .kernarg_segment_size: 44
    .language:       OpenCL C
    .language_version:
      - 2
      - 0
    .max_flat_workgroup_size: 256
    .name:           _ZL12mul_mat_q6_KIfLb1EEvPKvS1_PT_iiiii
    .private_segment_fixed_size: 100
    .sgpr_count:     20
    .sgpr_spill_count: 0
    .symbol:         _ZL12mul_mat_q6_KIfLb1EEvPKvS1_PT_iiiii.kd
    .uniform_work_group_size: 1
    .uses_dynamic_stack: false
    .vgpr_count:     256
    .vgpr_spill_count: 24
    .wavefront_size: 32
    .workgroup_processor_mode: 1
  - .args:
      - .actual_access:  read_only
        .address_space:  global
        .offset:         0
        .size:           8
        .value_kind:     global_buffer
      - .actual_access:  read_only
        .address_space:  global
        .offset:         8
        .size:           8
        .value_kind:     global_buffer
      - .actual_access:  write_only
        .address_space:  global
        .offset:         16
        .size:           8
        .value_kind:     global_buffer
      - .offset:         24
        .size:           4
        .value_kind:     by_value
      - .offset:         28
        .size:           4
        .value_kind:     by_value
      - .offset:         32
        .size:           4
        .value_kind:     by_value
      - .offset:         36
        .size:           4
        .value_kind:     by_value
      - .offset:         40
        .size:           4
        .value_kind:     by_value
    .group_segment_fixed_size: 30336
    .kernarg_segment_align: 8
    .kernarg_segment_size: 44
    .language:       OpenCL C
    .language_version:
      - 2
      - 0
    .max_flat_workgroup_size: 256
    .name:           _ZL12mul_mat_q4_0IN3c104HalfELb0EEvPKvS3_PT_iiiii
    .private_segment_fixed_size: 252
    .sgpr_count:     18
    .sgpr_spill_count: 0
    .symbol:         _ZL12mul_mat_q4_0IN3c104HalfELb0EEvPKvS3_PT_iiiii.kd
    .uniform_work_group_size: 1
    .uses_dynamic_stack: false
    .vgpr_count:     256
    .vgpr_spill_count: 62
    .wavefront_size: 32
    .workgroup_processor_mode: 1
  - .args:
      - .actual_access:  read_only
        .address_space:  global
        .offset:         0
        .size:           8
        .value_kind:     global_buffer
      - .actual_access:  read_only
        .address_space:  global
        .offset:         8
        .size:           8
        .value_kind:     global_buffer
      - .actual_access:  write_only
        .address_space:  global
        .offset:         16
        .size:           8
        .value_kind:     global_buffer
      - .offset:         24
        .size:           4
        .value_kind:     by_value
      - .offset:         28
        .size:           4
        .value_kind:     by_value
      - .offset:         32
        .size:           4
        .value_kind:     by_value
      - .offset:         36
        .size:           4
        .value_kind:     by_value
      - .offset:         40
        .size:           4
        .value_kind:     by_value
    .group_segment_fixed_size: 30336
    .kernarg_segment_align: 8
    .kernarg_segment_size: 44
    .language:       OpenCL C
    .language_version:
      - 2
      - 0
    .max_flat_workgroup_size: 256
    .name:           _ZL12mul_mat_q4_0IN3c104HalfELb1EEvPKvS3_PT_iiiii
    .private_segment_fixed_size: 256
    .sgpr_count:     18
    .sgpr_spill_count: 0
    .symbol:         _ZL12mul_mat_q4_0IN3c104HalfELb1EEvPKvS3_PT_iiiii.kd
    .uniform_work_group_size: 1
    .uses_dynamic_stack: false
    .vgpr_count:     256
    .vgpr_spill_count: 63
    .wavefront_size: 32
    .workgroup_processor_mode: 1
  - .args:
      - .actual_access:  read_only
        .address_space:  global
        .offset:         0
        .size:           8
        .value_kind:     global_buffer
      - .actual_access:  read_only
        .address_space:  global
        .offset:         8
        .size:           8
        .value_kind:     global_buffer
      - .actual_access:  write_only
        .address_space:  global
        .offset:         16
        .size:           8
        .value_kind:     global_buffer
      - .offset:         24
        .size:           4
        .value_kind:     by_value
      - .offset:         28
        .size:           4
        .value_kind:     by_value
      - .offset:         32
        .size:           4
        .value_kind:     by_value
      - .offset:         36
        .size:           4
        .value_kind:     by_value
      - .offset:         40
        .size:           4
        .value_kind:     by_value
    .group_segment_fixed_size: 30336
    .kernarg_segment_align: 8
    .kernarg_segment_size: 44
    .language:       OpenCL C
    .language_version:
      - 2
      - 0
    .max_flat_workgroup_size: 256
    .name:           _ZL12mul_mat_q4_1IN3c104HalfELb0EEvPKvS3_PT_iiiii
    .private_segment_fixed_size: 248
    .sgpr_count:     18
    .sgpr_spill_count: 0
    .symbol:         _ZL12mul_mat_q4_1IN3c104HalfELb0EEvPKvS3_PT_iiiii.kd
    .uniform_work_group_size: 1
    .uses_dynamic_stack: false
    .vgpr_count:     256
    .vgpr_spill_count: 61
    .wavefront_size: 32
    .workgroup_processor_mode: 1
  - .args:
      - .actual_access:  read_only
        .address_space:  global
        .offset:         0
        .size:           8
        .value_kind:     global_buffer
      - .actual_access:  read_only
        .address_space:  global
        .offset:         8
        .size:           8
        .value_kind:     global_buffer
      - .actual_access:  write_only
        .address_space:  global
        .offset:         16
        .size:           8
        .value_kind:     global_buffer
      - .offset:         24
        .size:           4
        .value_kind:     by_value
      - .offset:         28
        .size:           4
        .value_kind:     by_value
      - .offset:         32
        .size:           4
        .value_kind:     by_value
      - .offset:         36
        .size:           4
        .value_kind:     by_value
      - .offset:         40
        .size:           4
        .value_kind:     by_value
    .group_segment_fixed_size: 30336
    .kernarg_segment_align: 8
    .kernarg_segment_size: 44
    .language:       OpenCL C
    .language_version:
      - 2
      - 0
    .max_flat_workgroup_size: 256
    .name:           _ZL12mul_mat_q4_1IN3c104HalfELb1EEvPKvS3_PT_iiiii
    .private_segment_fixed_size: 248
    .sgpr_count:     18
    .sgpr_spill_count: 0
    .symbol:         _ZL12mul_mat_q4_1IN3c104HalfELb1EEvPKvS3_PT_iiiii.kd
    .uniform_work_group_size: 1
    .uses_dynamic_stack: false
    .vgpr_count:     256
    .vgpr_spill_count: 61
    .wavefront_size: 32
    .workgroup_processor_mode: 1
  - .args:
      - .actual_access:  read_only
        .address_space:  global
        .offset:         0
        .size:           8
        .value_kind:     global_buffer
      - .actual_access:  read_only
        .address_space:  global
        .offset:         8
        .size:           8
        .value_kind:     global_buffer
      - .actual_access:  write_only
        .address_space:  global
        .offset:         16
        .size:           8
        .value_kind:     global_buffer
      - .offset:         24
        .size:           4
        .value_kind:     by_value
      - .offset:         28
        .size:           4
        .value_kind:     by_value
      - .offset:         32
        .size:           4
        .value_kind:     by_value
      - .offset:         36
        .size:           4
        .value_kind:     by_value
      - .offset:         40
        .size:           4
        .value_kind:     by_value
    .group_segment_fixed_size: 46720
    .kernarg_segment_align: 8
    .kernarg_segment_size: 44
    .language:       OpenCL C
    .language_version:
      - 2
      - 0
    .max_flat_workgroup_size: 256
    .name:           _ZL12mul_mat_q5_0IN3c104HalfELb0EEvPKvS3_PT_iiiii
    .private_segment_fixed_size: 0
    .sgpr_count:     18
    .sgpr_spill_count: 0
    .symbol:         _ZL12mul_mat_q5_0IN3c104HalfELb0EEvPKvS3_PT_iiiii.kd
    .uniform_work_group_size: 1
    .uses_dynamic_stack: false
    .vgpr_count:     195
    .vgpr_spill_count: 0
    .wavefront_size: 32
    .workgroup_processor_mode: 1
  - .args:
      - .actual_access:  read_only
        .address_space:  global
        .offset:         0
        .size:           8
        .value_kind:     global_buffer
      - .actual_access:  read_only
        .address_space:  global
        .offset:         8
        .size:           8
        .value_kind:     global_buffer
      - .actual_access:  write_only
        .address_space:  global
        .offset:         16
        .size:           8
        .value_kind:     global_buffer
      - .offset:         24
        .size:           4
        .value_kind:     by_value
      - .offset:         28
        .size:           4
        .value_kind:     by_value
      - .offset:         32
        .size:           4
        .value_kind:     by_value
      - .offset:         36
        .size:           4
        .value_kind:     by_value
      - .offset:         40
        .size:           4
        .value_kind:     by_value
    .group_segment_fixed_size: 46720
    .kernarg_segment_align: 8
    .kernarg_segment_size: 44
    .language:       OpenCL C
    .language_version:
      - 2
      - 0
    .max_flat_workgroup_size: 256
    .name:           _ZL12mul_mat_q5_0IN3c104HalfELb1EEvPKvS3_PT_iiiii
    .private_segment_fixed_size: 0
    .sgpr_count:     18
    .sgpr_spill_count: 0
    .symbol:         _ZL12mul_mat_q5_0IN3c104HalfELb1EEvPKvS3_PT_iiiii.kd
    .uniform_work_group_size: 1
    .uses_dynamic_stack: false
    .vgpr_count:     195
    .vgpr_spill_count: 0
    .wavefront_size: 32
    .workgroup_processor_mode: 1
  - .args:
      - .actual_access:  read_only
        .address_space:  global
        .offset:         0
        .size:           8
        .value_kind:     global_buffer
      - .actual_access:  read_only
        .address_space:  global
        .offset:         8
        .size:           8
        .value_kind:     global_buffer
      - .actual_access:  write_only
        .address_space:  global
        .offset:         16
        .size:           8
        .value_kind:     global_buffer
      - .offset:         24
        .size:           4
        .value_kind:     by_value
      - .offset:         28
        .size:           4
        .value_kind:     by_value
      - .offset:         32
        .size:           4
        .value_kind:     by_value
      - .offset:         36
        .size:           4
        .value_kind:     by_value
      - .offset:         40
        .size:           4
        .value_kind:     by_value
    .group_segment_fixed_size: 46720
    .kernarg_segment_align: 8
    .kernarg_segment_size: 44
    .language:       OpenCL C
    .language_version:
      - 2
      - 0
    .max_flat_workgroup_size: 256
    .name:           _ZL12mul_mat_q5_1IN3c104HalfELb0EEvPKvS3_PT_iiiii
    .private_segment_fixed_size: 0
    .sgpr_count:     18
    .sgpr_spill_count: 0
    .symbol:         _ZL12mul_mat_q5_1IN3c104HalfELb0EEvPKvS3_PT_iiiii.kd
    .uniform_work_group_size: 1
    .uses_dynamic_stack: false
    .vgpr_count:     221
    .vgpr_spill_count: 0
    .wavefront_size: 32
    .workgroup_processor_mode: 1
  - .args:
      - .actual_access:  read_only
        .address_space:  global
        .offset:         0
        .size:           8
        .value_kind:     global_buffer
      - .actual_access:  read_only
        .address_space:  global
        .offset:         8
        .size:           8
        .value_kind:     global_buffer
      - .actual_access:  write_only
        .address_space:  global
        .offset:         16
        .size:           8
        .value_kind:     global_buffer
      - .offset:         24
        .size:           4
        .value_kind:     by_value
      - .offset:         28
        .size:           4
        .value_kind:     by_value
      - .offset:         32
        .size:           4
        .value_kind:     by_value
      - .offset:         36
        .size:           4
        .value_kind:     by_value
      - .offset:         40
        .size:           4
        .value_kind:     by_value
    .group_segment_fixed_size: 46720
    .kernarg_segment_align: 8
    .kernarg_segment_size: 44
    .language:       OpenCL C
    .language_version:
      - 2
      - 0
    .max_flat_workgroup_size: 256
    .name:           _ZL12mul_mat_q5_1IN3c104HalfELb1EEvPKvS3_PT_iiiii
    .private_segment_fixed_size: 0
    .sgpr_count:     18
    .sgpr_spill_count: 0
    .symbol:         _ZL12mul_mat_q5_1IN3c104HalfELb1EEvPKvS3_PT_iiiii.kd
    .uniform_work_group_size: 1
    .uses_dynamic_stack: false
    .vgpr_count:     221
    .vgpr_spill_count: 0
    .wavefront_size: 32
    .workgroup_processor_mode: 1
  - .args:
      - .actual_access:  read_only
        .address_space:  global
        .offset:         0
        .size:           8
        .value_kind:     global_buffer
      - .actual_access:  read_only
        .address_space:  global
        .offset:         8
        .size:           8
        .value_kind:     global_buffer
      - .actual_access:  write_only
        .address_space:  global
        .offset:         16
        .size:           8
        .value_kind:     global_buffer
      - .offset:         24
        .size:           4
        .value_kind:     by_value
      - .offset:         28
        .size:           4
        .value_kind:     by_value
      - .offset:         32
        .size:           4
        .value_kind:     by_value
      - .offset:         36
        .size:           4
        .value_kind:     by_value
      - .offset:         40
        .size:           4
        .value_kind:     by_value
    .group_segment_fixed_size: 28224
    .kernarg_segment_align: 8
    .kernarg_segment_size: 44
    .language:       OpenCL C
    .language_version:
      - 2
      - 0
    .max_flat_workgroup_size: 256
    .name:           _ZL12mul_mat_q8_0IN3c104HalfELb0EEvPKvS3_PT_iiiii
    .private_segment_fixed_size: 0
    .sgpr_count:     18
    .sgpr_spill_count: 0
    .symbol:         _ZL12mul_mat_q8_0IN3c104HalfELb0EEvPKvS3_PT_iiiii.kd
    .uniform_work_group_size: 1
    .uses_dynamic_stack: false
    .vgpr_count:     156
    .vgpr_spill_count: 0
    .wavefront_size: 32
    .workgroup_processor_mode: 1
  - .args:
      - .actual_access:  read_only
        .address_space:  global
        .offset:         0
        .size:           8
        .value_kind:     global_buffer
      - .actual_access:  read_only
        .address_space:  global
        .offset:         8
        .size:           8
        .value_kind:     global_buffer
      - .actual_access:  write_only
        .address_space:  global
        .offset:         16
        .size:           8
        .value_kind:     global_buffer
      - .offset:         24
        .size:           4
        .value_kind:     by_value
      - .offset:         28
        .size:           4
        .value_kind:     by_value
      - .offset:         32
        .size:           4
        .value_kind:     by_value
      - .offset:         36
        .size:           4
        .value_kind:     by_value
      - .offset:         40
        .size:           4
        .value_kind:     by_value
    .group_segment_fixed_size: 28224
    .kernarg_segment_align: 8
    .kernarg_segment_size: 44
    .language:       OpenCL C
    .language_version:
      - 2
      - 0
    .max_flat_workgroup_size: 256
    .name:           _ZL12mul_mat_q8_0IN3c104HalfELb1EEvPKvS3_PT_iiiii
    .private_segment_fixed_size: 0
    .sgpr_count:     18
    .sgpr_spill_count: 0
    .symbol:         _ZL12mul_mat_q8_0IN3c104HalfELb1EEvPKvS3_PT_iiiii.kd
    .uniform_work_group_size: 1
    .uses_dynamic_stack: false
    .vgpr_count:     156
    .vgpr_spill_count: 0
    .wavefront_size: 32
    .workgroup_processor_mode: 1
  - .args:
      - .actual_access:  read_only
        .address_space:  global
        .offset:         0
        .size:           8
        .value_kind:     global_buffer
      - .actual_access:  read_only
        .address_space:  global
        .offset:         8
        .size:           8
        .value_kind:     global_buffer
      - .actual_access:  write_only
        .address_space:  global
        .offset:         16
        .size:           8
        .value_kind:     global_buffer
      - .offset:         24
        .size:           4
        .value_kind:     by_value
      - .offset:         28
        .size:           4
        .value_kind:     by_value
      - .offset:         32
        .size:           4
        .value_kind:     by_value
      - .offset:         36
        .size:           4
        .value_kind:     by_value
      - .offset:         40
        .size:           4
        .value_kind:     by_value
    .group_segment_fixed_size: 31392
    .kernarg_segment_align: 8
    .kernarg_segment_size: 44
    .language:       OpenCL C
    .language_version:
      - 2
      - 0
    .max_flat_workgroup_size: 256
    .name:           _ZL12mul_mat_q2_KIN3c104HalfELb0EEvPKvS3_PT_iiiii
    .private_segment_fixed_size: 432
    .sgpr_count:     24
    .sgpr_spill_count: 0
    .symbol:         _ZL12mul_mat_q2_KIN3c104HalfELb0EEvPKvS3_PT_iiiii.kd
    .uniform_work_group_size: 1
    .uses_dynamic_stack: false
    .vgpr_count:     256
    .vgpr_spill_count: 119
    .wavefront_size: 32
    .workgroup_processor_mode: 1
  - .args:
      - .actual_access:  read_only
        .address_space:  global
        .offset:         0
        .size:           8
        .value_kind:     global_buffer
      - .actual_access:  read_only
        .address_space:  global
        .offset:         8
        .size:           8
        .value_kind:     global_buffer
      - .actual_access:  write_only
        .address_space:  global
        .offset:         16
        .size:           8
        .value_kind:     global_buffer
      - .offset:         24
        .size:           4
        .value_kind:     by_value
      - .offset:         28
        .size:           4
        .value_kind:     by_value
      - .offset:         32
        .size:           4
        .value_kind:     by_value
      - .offset:         36
        .size:           4
        .value_kind:     by_value
      - .offset:         40
        .size:           4
        .value_kind:     by_value
    .group_segment_fixed_size: 31392
    .kernarg_segment_align: 8
    .kernarg_segment_size: 44
    .language:       OpenCL C
    .language_version:
      - 2
      - 0
    .max_flat_workgroup_size: 256
    .name:           _ZL12mul_mat_q2_KIN3c104HalfELb1EEvPKvS3_PT_iiiii
    .private_segment_fixed_size: 488
    .sgpr_count:     24
    .sgpr_spill_count: 0
    .symbol:         _ZL12mul_mat_q2_KIN3c104HalfELb1EEvPKvS3_PT_iiiii.kd
    .uniform_work_group_size: 1
    .uses_dynamic_stack: false
    .vgpr_count:     256
    .vgpr_spill_count: 127
    .wavefront_size: 32
    .workgroup_processor_mode: 1
  - .args:
      - .actual_access:  read_only
        .address_space:  global
        .offset:         0
        .size:           8
        .value_kind:     global_buffer
      - .actual_access:  read_only
        .address_space:  global
        .offset:         8
        .size:           8
        .value_kind:     global_buffer
      - .actual_access:  write_only
        .address_space:  global
        .offset:         16
        .size:           8
        .value_kind:     global_buffer
      - .offset:         24
        .size:           4
        .value_kind:     by_value
      - .offset:         28
        .size:           4
        .value_kind:     by_value
      - .offset:         32
        .size:           4
        .value_kind:     by_value
      - .offset:         36
        .size:           4
        .value_kind:     by_value
      - .offset:         40
        .size:           4
        .value_kind:     by_value
    .group_segment_fixed_size: 39840
    .kernarg_segment_align: 8
    .kernarg_segment_size: 44
    .language:       OpenCL C
    .language_version:
      - 2
      - 0
    .max_flat_workgroup_size: 256
    .name:           _ZL12mul_mat_q3_KIN3c104HalfELb0EEvPKvS3_PT_iiiii
    .private_segment_fixed_size: 528
    .sgpr_count:     25
    .sgpr_spill_count: 0
    .symbol:         _ZL12mul_mat_q3_KIN3c104HalfELb0EEvPKvS3_PT_iiiii.kd
    .uniform_work_group_size: 1
    .uses_dynamic_stack: false
    .vgpr_count:     256
    .vgpr_spill_count: 147
    .wavefront_size: 32
    .workgroup_processor_mode: 1
  - .args:
      - .actual_access:  read_only
        .address_space:  global
        .offset:         0
        .size:           8
        .value_kind:     global_buffer
      - .actual_access:  read_only
        .address_space:  global
        .offset:         8
        .size:           8
        .value_kind:     global_buffer
      - .actual_access:  write_only
        .address_space:  global
        .offset:         16
        .size:           8
        .value_kind:     global_buffer
      - .offset:         24
        .size:           4
        .value_kind:     by_value
      - .offset:         28
        .size:           4
        .value_kind:     by_value
      - .offset:         32
        .size:           4
        .value_kind:     by_value
      - .offset:         36
        .size:           4
        .value_kind:     by_value
      - .offset:         40
        .size:           4
        .value_kind:     by_value
    .group_segment_fixed_size: 39840
    .kernarg_segment_align: 8
    .kernarg_segment_size: 44
    .language:       OpenCL C
    .language_version:
      - 2
      - 0
    .max_flat_workgroup_size: 256
    .name:           _ZL12mul_mat_q3_KIN3c104HalfELb1EEvPKvS3_PT_iiiii
    .private_segment_fixed_size: 592
    .sgpr_count:     25
    .sgpr_spill_count: 0
    .symbol:         _ZL12mul_mat_q3_KIN3c104HalfELb1EEvPKvS3_PT_iiiii.kd
    .uniform_work_group_size: 1
    .uses_dynamic_stack: false
    .vgpr_count:     256
    .vgpr_spill_count: 163
    .wavefront_size: 32
    .workgroup_processor_mode: 1
  - .args:
      - .actual_access:  read_only
        .address_space:  global
        .offset:         0
        .size:           8
        .value_kind:     global_buffer
      - .actual_access:  read_only
        .address_space:  global
        .offset:         8
        .size:           8
        .value_kind:     global_buffer
      - .actual_access:  write_only
        .address_space:  global
        .offset:         16
        .size:           8
        .value_kind:     global_buffer
      - .offset:         24
        .size:           4
        .value_kind:     by_value
      - .offset:         28
        .size:           4
        .value_kind:     by_value
      - .offset:         32
        .size:           4
        .value_kind:     by_value
      - .offset:         36
        .size:           4
        .value_kind:     by_value
      - .offset:         40
        .size:           4
        .value_kind:     by_value
    .group_segment_fixed_size: 28752
    .kernarg_segment_align: 8
    .kernarg_segment_size: 44
    .language:       OpenCL C
    .language_version:
      - 2
      - 0
    .max_flat_workgroup_size: 256
    .name:           _ZL12mul_mat_q4_KIN3c104HalfELb0EEvPKvS3_PT_iiiii
    .private_segment_fixed_size: 1588
    .sgpr_count:     20
    .sgpr_spill_count: 0
    .symbol:         _ZL12mul_mat_q4_KIN3c104HalfELb0EEvPKvS3_PT_iiiii.kd
    .uniform_work_group_size: 1
    .uses_dynamic_stack: false
    .vgpr_count:     256
    .vgpr_spill_count: 443
    .wavefront_size: 32
    .workgroup_processor_mode: 1
  - .args:
      - .actual_access:  read_only
        .address_space:  global
        .offset:         0
        .size:           8
        .value_kind:     global_buffer
      - .actual_access:  read_only
        .address_space:  global
        .offset:         8
        .size:           8
        .value_kind:     global_buffer
      - .actual_access:  write_only
        .address_space:  global
        .offset:         16
        .size:           8
        .value_kind:     global_buffer
      - .offset:         24
        .size:           4
        .value_kind:     by_value
      - .offset:         28
        .size:           4
        .value_kind:     by_value
      - .offset:         32
        .size:           4
        .value_kind:     by_value
      - .offset:         36
        .size:           4
        .value_kind:     by_value
      - .offset:         40
        .size:           4
        .value_kind:     by_value
    .group_segment_fixed_size: 28752
    .kernarg_segment_align: 8
    .kernarg_segment_size: 44
    .language:       OpenCL C
    .language_version:
      - 2
      - 0
    .max_flat_workgroup_size: 256
    .name:           _ZL12mul_mat_q4_KIN3c104HalfELb1EEvPKvS3_PT_iiiii
    .private_segment_fixed_size: 1648
    .sgpr_count:     20
    .sgpr_spill_count: 0
    .symbol:         _ZL12mul_mat_q4_KIN3c104HalfELb1EEvPKvS3_PT_iiiii.kd
    .uniform_work_group_size: 1
    .uses_dynamic_stack: false
    .vgpr_count:     256
    .vgpr_spill_count: 459
    .wavefront_size: 32
    .workgroup_processor_mode: 1
  - .args:
      - .actual_access:  read_only
        .address_space:  global
        .offset:         0
        .size:           8
        .value_kind:     global_buffer
      - .actual_access:  read_only
        .address_space:  global
        .offset:         8
        .size:           8
        .value_kind:     global_buffer
      - .actual_access:  write_only
        .address_space:  global
        .offset:         16
        .size:           8
        .value_kind:     global_buffer
      - .offset:         24
        .size:           4
        .value_kind:     by_value
      - .offset:         28
        .size:           4
        .value_kind:     by_value
      - .offset:         32
        .size:           4
        .value_kind:     by_value
      - .offset:         36
        .size:           4
        .value_kind:     by_value
      - .offset:         40
        .size:           4
        .value_kind:     by_value
    .group_segment_fixed_size: 45136
    .kernarg_segment_align: 8
    .kernarg_segment_size: 44
    .language:       OpenCL C
    .language_version:
      - 2
      - 0
    .max_flat_workgroup_size: 256
    .name:           _ZL12mul_mat_q5_KIN3c104HalfELb0EEvPKvS3_PT_iiiii
    .private_segment_fixed_size: 0
    .sgpr_count:     20
    .sgpr_spill_count: 0
    .symbol:         _ZL12mul_mat_q5_KIN3c104HalfELb0EEvPKvS3_PT_iiiii.kd
    .uniform_work_group_size: 1
    .uses_dynamic_stack: false
    .vgpr_count:     248
    .vgpr_spill_count: 0
    .wavefront_size: 32
    .workgroup_processor_mode: 1
  - .args:
      - .actual_access:  read_only
        .address_space:  global
        .offset:         0
        .size:           8
        .value_kind:     global_buffer
      - .actual_access:  read_only
        .address_space:  global
        .offset:         8
        .size:           8
        .value_kind:     global_buffer
      - .actual_access:  write_only
        .address_space:  global
        .offset:         16
        .size:           8
        .value_kind:     global_buffer
      - .offset:         24
        .size:           4
        .value_kind:     by_value
      - .offset:         28
        .size:           4
        .value_kind:     by_value
      - .offset:         32
        .size:           4
        .value_kind:     by_value
      - .offset:         36
        .size:           4
        .value_kind:     by_value
      - .offset:         40
        .size:           4
        .value_kind:     by_value
    .group_segment_fixed_size: 45136
    .kernarg_segment_align: 8
    .kernarg_segment_size: 44
    .language:       OpenCL C
    .language_version:
      - 2
      - 0
    .max_flat_workgroup_size: 256
    .name:           _ZL12mul_mat_q5_KIN3c104HalfELb1EEvPKvS3_PT_iiiii
    .private_segment_fixed_size: 0
    .sgpr_count:     20
    .sgpr_spill_count: 0
    .symbol:         _ZL12mul_mat_q5_KIN3c104HalfELb1EEvPKvS3_PT_iiiii.kd
    .uniform_work_group_size: 1
    .uses_dynamic_stack: false
    .vgpr_count:     248
    .vgpr_spill_count: 0
    .wavefront_size: 32
    .workgroup_processor_mode: 1
  - .args:
      - .actual_access:  read_only
        .address_space:  global
        .offset:         0
        .size:           8
        .value_kind:     global_buffer
      - .actual_access:  read_only
        .address_space:  global
        .offset:         8
        .size:           8
        .value_kind:     global_buffer
      - .actual_access:  write_only
        .address_space:  global
        .offset:         16
        .size:           8
        .value_kind:     global_buffer
      - .offset:         24
        .size:           4
        .value_kind:     by_value
      - .offset:         28
        .size:           4
        .value_kind:     by_value
      - .offset:         32
        .size:           4
        .value_kind:     by_value
      - .offset:         36
        .size:           4
        .value_kind:     by_value
      - .offset:         40
        .size:           4
        .value_kind:     by_value
    .group_segment_fixed_size: 45136
    .kernarg_segment_align: 8
    .kernarg_segment_size: 44
    .language:       OpenCL C
    .language_version:
      - 2
      - 0
    .max_flat_workgroup_size: 256
    .name:           _ZL12mul_mat_q6_KIN3c104HalfELb0EEvPKvS3_PT_iiiii
    .private_segment_fixed_size: 44
    .sgpr_count:     20
    .sgpr_spill_count: 0
    .symbol:         _ZL12mul_mat_q6_KIN3c104HalfELb0EEvPKvS3_PT_iiiii.kd
    .uniform_work_group_size: 1
    .uses_dynamic_stack: false
    .vgpr_count:     256
    .vgpr_spill_count: 10
    .wavefront_size: 32
    .workgroup_processor_mode: 1
  - .args:
      - .actual_access:  read_only
        .address_space:  global
        .offset:         0
        .size:           8
        .value_kind:     global_buffer
      - .actual_access:  read_only
        .address_space:  global
        .offset:         8
        .size:           8
        .value_kind:     global_buffer
      - .actual_access:  write_only
        .address_space:  global
        .offset:         16
        .size:           8
        .value_kind:     global_buffer
      - .offset:         24
        .size:           4
        .value_kind:     by_value
      - .offset:         28
        .size:           4
        .value_kind:     by_value
      - .offset:         32
        .size:           4
        .value_kind:     by_value
      - .offset:         36
        .size:           4
        .value_kind:     by_value
      - .offset:         40
        .size:           4
        .value_kind:     by_value
    .group_segment_fixed_size: 45136
    .kernarg_segment_align: 8
    .kernarg_segment_size: 44
    .language:       OpenCL C
    .language_version:
      - 2
      - 0
    .max_flat_workgroup_size: 256
    .name:           _ZL12mul_mat_q6_KIN3c104HalfELb1EEvPKvS3_PT_iiiii
    .private_segment_fixed_size: 100
    .sgpr_count:     20
    .sgpr_spill_count: 0
    .symbol:         _ZL12mul_mat_q6_KIN3c104HalfELb1EEvPKvS3_PT_iiiii.kd
    .uniform_work_group_size: 1
    .uses_dynamic_stack: false
    .vgpr_count:     256
    .vgpr_spill_count: 24
    .wavefront_size: 32
    .workgroup_processor_mode: 1
  - .args:
      - .actual_access:  read_only
        .address_space:  global
        .offset:         0
        .size:           8
        .value_kind:     global_buffer
      - .actual_access:  read_only
        .address_space:  global
        .offset:         8
        .size:           8
        .value_kind:     global_buffer
      - .actual_access:  write_only
        .address_space:  global
        .offset:         16
        .size:           8
        .value_kind:     global_buffer
      - .offset:         24
        .size:           4
        .value_kind:     by_value
      - .offset:         28
        .size:           4
        .value_kind:     by_value
      - .offset:         32
        .size:           4
        .value_kind:     by_value
      - .offset:         36
        .size:           4
        .value_kind:     by_value
      - .offset:         40
        .size:           4
        .value_kind:     by_value
    .group_segment_fixed_size: 30336
    .kernarg_segment_align: 8
    .kernarg_segment_size: 44
    .language:       OpenCL C
    .language_version:
      - 2
      - 0
    .max_flat_workgroup_size: 256
    .name:           _ZL12mul_mat_q4_0IN3c108BFloat16ELb0EEvPKvS3_PT_iiiii
    .private_segment_fixed_size: 252
    .sgpr_count:     18
    .sgpr_spill_count: 0
    .symbol:         _ZL12mul_mat_q4_0IN3c108BFloat16ELb0EEvPKvS3_PT_iiiii.kd
    .uniform_work_group_size: 1
    .uses_dynamic_stack: false
    .vgpr_count:     256
    .vgpr_spill_count: 62
    .wavefront_size: 32
    .workgroup_processor_mode: 1
  - .args:
      - .actual_access:  read_only
        .address_space:  global
        .offset:         0
        .size:           8
        .value_kind:     global_buffer
      - .actual_access:  read_only
        .address_space:  global
        .offset:         8
        .size:           8
        .value_kind:     global_buffer
      - .actual_access:  write_only
        .address_space:  global
        .offset:         16
        .size:           8
        .value_kind:     global_buffer
      - .offset:         24
        .size:           4
        .value_kind:     by_value
      - .offset:         28
        .size:           4
        .value_kind:     by_value
      - .offset:         32
        .size:           4
        .value_kind:     by_value
      - .offset:         36
        .size:           4
        .value_kind:     by_value
      - .offset:         40
        .size:           4
        .value_kind:     by_value
    .group_segment_fixed_size: 30336
    .kernarg_segment_align: 8
    .kernarg_segment_size: 44
    .language:       OpenCL C
    .language_version:
      - 2
      - 0
    .max_flat_workgroup_size: 256
    .name:           _ZL12mul_mat_q4_0IN3c108BFloat16ELb1EEvPKvS3_PT_iiiii
    .private_segment_fixed_size: 256
    .sgpr_count:     18
    .sgpr_spill_count: 0
    .symbol:         _ZL12mul_mat_q4_0IN3c108BFloat16ELb1EEvPKvS3_PT_iiiii.kd
    .uniform_work_group_size: 1
    .uses_dynamic_stack: false
    .vgpr_count:     256
    .vgpr_spill_count: 63
    .wavefront_size: 32
    .workgroup_processor_mode: 1
  - .args:
      - .actual_access:  read_only
        .address_space:  global
        .offset:         0
        .size:           8
        .value_kind:     global_buffer
      - .actual_access:  read_only
        .address_space:  global
        .offset:         8
        .size:           8
        .value_kind:     global_buffer
      - .actual_access:  write_only
        .address_space:  global
        .offset:         16
        .size:           8
        .value_kind:     global_buffer
      - .offset:         24
        .size:           4
        .value_kind:     by_value
      - .offset:         28
        .size:           4
        .value_kind:     by_value
      - .offset:         32
        .size:           4
        .value_kind:     by_value
      - .offset:         36
        .size:           4
        .value_kind:     by_value
      - .offset:         40
        .size:           4
        .value_kind:     by_value
    .group_segment_fixed_size: 30336
    .kernarg_segment_align: 8
    .kernarg_segment_size: 44
    .language:       OpenCL C
    .language_version:
      - 2
      - 0
    .max_flat_workgroup_size: 256
    .name:           _ZL12mul_mat_q4_1IN3c108BFloat16ELb0EEvPKvS3_PT_iiiii
    .private_segment_fixed_size: 248
    .sgpr_count:     18
    .sgpr_spill_count: 0
    .symbol:         _ZL12mul_mat_q4_1IN3c108BFloat16ELb0EEvPKvS3_PT_iiiii.kd
    .uniform_work_group_size: 1
    .uses_dynamic_stack: false
    .vgpr_count:     256
    .vgpr_spill_count: 61
    .wavefront_size: 32
    .workgroup_processor_mode: 1
  - .args:
      - .actual_access:  read_only
        .address_space:  global
        .offset:         0
        .size:           8
        .value_kind:     global_buffer
      - .actual_access:  read_only
        .address_space:  global
        .offset:         8
        .size:           8
        .value_kind:     global_buffer
      - .actual_access:  write_only
        .address_space:  global
        .offset:         16
        .size:           8
        .value_kind:     global_buffer
      - .offset:         24
        .size:           4
        .value_kind:     by_value
      - .offset:         28
        .size:           4
        .value_kind:     by_value
      - .offset:         32
        .size:           4
        .value_kind:     by_value
      - .offset:         36
        .size:           4
        .value_kind:     by_value
      - .offset:         40
        .size:           4
        .value_kind:     by_value
    .group_segment_fixed_size: 30336
    .kernarg_segment_align: 8
    .kernarg_segment_size: 44
    .language:       OpenCL C
    .language_version:
      - 2
      - 0
    .max_flat_workgroup_size: 256
    .name:           _ZL12mul_mat_q4_1IN3c108BFloat16ELb1EEvPKvS3_PT_iiiii
    .private_segment_fixed_size: 248
    .sgpr_count:     18
    .sgpr_spill_count: 0
    .symbol:         _ZL12mul_mat_q4_1IN3c108BFloat16ELb1EEvPKvS3_PT_iiiii.kd
    .uniform_work_group_size: 1
    .uses_dynamic_stack: false
    .vgpr_count:     256
    .vgpr_spill_count: 61
    .wavefront_size: 32
    .workgroup_processor_mode: 1
  - .args:
      - .actual_access:  read_only
        .address_space:  global
        .offset:         0
        .size:           8
        .value_kind:     global_buffer
      - .actual_access:  read_only
        .address_space:  global
        .offset:         8
        .size:           8
        .value_kind:     global_buffer
      - .actual_access:  write_only
        .address_space:  global
        .offset:         16
        .size:           8
        .value_kind:     global_buffer
      - .offset:         24
        .size:           4
        .value_kind:     by_value
      - .offset:         28
        .size:           4
        .value_kind:     by_value
      - .offset:         32
        .size:           4
        .value_kind:     by_value
      - .offset:         36
        .size:           4
        .value_kind:     by_value
      - .offset:         40
        .size:           4
        .value_kind:     by_value
    .group_segment_fixed_size: 46720
    .kernarg_segment_align: 8
    .kernarg_segment_size: 44
    .language:       OpenCL C
    .language_version:
      - 2
      - 0
    .max_flat_workgroup_size: 256
    .name:           _ZL12mul_mat_q5_0IN3c108BFloat16ELb0EEvPKvS3_PT_iiiii
    .private_segment_fixed_size: 0
    .sgpr_count:     18
    .sgpr_spill_count: 0
    .symbol:         _ZL12mul_mat_q5_0IN3c108BFloat16ELb0EEvPKvS3_PT_iiiii.kd
    .uniform_work_group_size: 1
    .uses_dynamic_stack: false
    .vgpr_count:     195
    .vgpr_spill_count: 0
    .wavefront_size: 32
    .workgroup_processor_mode: 1
  - .args:
      - .actual_access:  read_only
        .address_space:  global
        .offset:         0
        .size:           8
        .value_kind:     global_buffer
      - .actual_access:  read_only
        .address_space:  global
        .offset:         8
        .size:           8
        .value_kind:     global_buffer
      - .actual_access:  write_only
        .address_space:  global
        .offset:         16
        .size:           8
        .value_kind:     global_buffer
      - .offset:         24
        .size:           4
        .value_kind:     by_value
      - .offset:         28
        .size:           4
        .value_kind:     by_value
      - .offset:         32
        .size:           4
        .value_kind:     by_value
      - .offset:         36
        .size:           4
        .value_kind:     by_value
      - .offset:         40
        .size:           4
        .value_kind:     by_value
    .group_segment_fixed_size: 46720
    .kernarg_segment_align: 8
    .kernarg_segment_size: 44
    .language:       OpenCL C
    .language_version:
      - 2
      - 0
    .max_flat_workgroup_size: 256
    .name:           _ZL12mul_mat_q5_0IN3c108BFloat16ELb1EEvPKvS3_PT_iiiii
    .private_segment_fixed_size: 0
    .sgpr_count:     18
    .sgpr_spill_count: 0
    .symbol:         _ZL12mul_mat_q5_0IN3c108BFloat16ELb1EEvPKvS3_PT_iiiii.kd
    .uniform_work_group_size: 1
    .uses_dynamic_stack: false
    .vgpr_count:     195
    .vgpr_spill_count: 0
    .wavefront_size: 32
    .workgroup_processor_mode: 1
  - .args:
      - .actual_access:  read_only
        .address_space:  global
        .offset:         0
        .size:           8
        .value_kind:     global_buffer
      - .actual_access:  read_only
        .address_space:  global
        .offset:         8
        .size:           8
        .value_kind:     global_buffer
      - .actual_access:  write_only
        .address_space:  global
        .offset:         16
        .size:           8
        .value_kind:     global_buffer
      - .offset:         24
        .size:           4
        .value_kind:     by_value
      - .offset:         28
        .size:           4
        .value_kind:     by_value
      - .offset:         32
        .size:           4
        .value_kind:     by_value
      - .offset:         36
        .size:           4
        .value_kind:     by_value
      - .offset:         40
        .size:           4
        .value_kind:     by_value
    .group_segment_fixed_size: 46720
    .kernarg_segment_align: 8
    .kernarg_segment_size: 44
    .language:       OpenCL C
    .language_version:
      - 2
      - 0
    .max_flat_workgroup_size: 256
    .name:           _ZL12mul_mat_q5_1IN3c108BFloat16ELb0EEvPKvS3_PT_iiiii
    .private_segment_fixed_size: 0
    .sgpr_count:     18
    .sgpr_spill_count: 0
    .symbol:         _ZL12mul_mat_q5_1IN3c108BFloat16ELb0EEvPKvS3_PT_iiiii.kd
    .uniform_work_group_size: 1
    .uses_dynamic_stack: false
    .vgpr_count:     221
    .vgpr_spill_count: 0
    .wavefront_size: 32
    .workgroup_processor_mode: 1
  - .args:
      - .actual_access:  read_only
        .address_space:  global
        .offset:         0
        .size:           8
        .value_kind:     global_buffer
      - .actual_access:  read_only
        .address_space:  global
        .offset:         8
        .size:           8
        .value_kind:     global_buffer
      - .actual_access:  write_only
        .address_space:  global
        .offset:         16
        .size:           8
        .value_kind:     global_buffer
      - .offset:         24
        .size:           4
        .value_kind:     by_value
      - .offset:         28
        .size:           4
        .value_kind:     by_value
      - .offset:         32
        .size:           4
        .value_kind:     by_value
      - .offset:         36
        .size:           4
        .value_kind:     by_value
      - .offset:         40
        .size:           4
        .value_kind:     by_value
    .group_segment_fixed_size: 46720
    .kernarg_segment_align: 8
    .kernarg_segment_size: 44
    .language:       OpenCL C
    .language_version:
      - 2
      - 0
    .max_flat_workgroup_size: 256
    .name:           _ZL12mul_mat_q5_1IN3c108BFloat16ELb1EEvPKvS3_PT_iiiii
    .private_segment_fixed_size: 0
    .sgpr_count:     18
    .sgpr_spill_count: 0
    .symbol:         _ZL12mul_mat_q5_1IN3c108BFloat16ELb1EEvPKvS3_PT_iiiii.kd
    .uniform_work_group_size: 1
    .uses_dynamic_stack: false
    .vgpr_count:     221
    .vgpr_spill_count: 0
    .wavefront_size: 32
    .workgroup_processor_mode: 1
  - .args:
      - .actual_access:  read_only
        .address_space:  global
        .offset:         0
        .size:           8
        .value_kind:     global_buffer
      - .actual_access:  read_only
        .address_space:  global
        .offset:         8
        .size:           8
        .value_kind:     global_buffer
      - .actual_access:  write_only
        .address_space:  global
        .offset:         16
        .size:           8
        .value_kind:     global_buffer
      - .offset:         24
        .size:           4
        .value_kind:     by_value
      - .offset:         28
        .size:           4
        .value_kind:     by_value
      - .offset:         32
        .size:           4
        .value_kind:     by_value
      - .offset:         36
        .size:           4
        .value_kind:     by_value
      - .offset:         40
        .size:           4
        .value_kind:     by_value
    .group_segment_fixed_size: 28224
    .kernarg_segment_align: 8
    .kernarg_segment_size: 44
    .language:       OpenCL C
    .language_version:
      - 2
      - 0
    .max_flat_workgroup_size: 256
    .name:           _ZL12mul_mat_q8_0IN3c108BFloat16ELb0EEvPKvS3_PT_iiiii
    .private_segment_fixed_size: 0
    .sgpr_count:     18
    .sgpr_spill_count: 0
    .symbol:         _ZL12mul_mat_q8_0IN3c108BFloat16ELb0EEvPKvS3_PT_iiiii.kd
    .uniform_work_group_size: 1
    .uses_dynamic_stack: false
    .vgpr_count:     156
    .vgpr_spill_count: 0
    .wavefront_size: 32
    .workgroup_processor_mode: 1
  - .args:
      - .actual_access:  read_only
        .address_space:  global
        .offset:         0
        .size:           8
        .value_kind:     global_buffer
      - .actual_access:  read_only
        .address_space:  global
        .offset:         8
        .size:           8
        .value_kind:     global_buffer
      - .actual_access:  write_only
        .address_space:  global
        .offset:         16
        .size:           8
        .value_kind:     global_buffer
      - .offset:         24
        .size:           4
        .value_kind:     by_value
      - .offset:         28
        .size:           4
        .value_kind:     by_value
      - .offset:         32
        .size:           4
        .value_kind:     by_value
      - .offset:         36
        .size:           4
        .value_kind:     by_value
      - .offset:         40
        .size:           4
        .value_kind:     by_value
    .group_segment_fixed_size: 28224
    .kernarg_segment_align: 8
    .kernarg_segment_size: 44
    .language:       OpenCL C
    .language_version:
      - 2
      - 0
    .max_flat_workgroup_size: 256
    .name:           _ZL12mul_mat_q8_0IN3c108BFloat16ELb1EEvPKvS3_PT_iiiii
    .private_segment_fixed_size: 0
    .sgpr_count:     18
    .sgpr_spill_count: 0
    .symbol:         _ZL12mul_mat_q8_0IN3c108BFloat16ELb1EEvPKvS3_PT_iiiii.kd
    .uniform_work_group_size: 1
    .uses_dynamic_stack: false
    .vgpr_count:     156
    .vgpr_spill_count: 0
    .wavefront_size: 32
    .workgroup_processor_mode: 1
  - .args:
      - .actual_access:  read_only
        .address_space:  global
        .offset:         0
        .size:           8
        .value_kind:     global_buffer
      - .actual_access:  read_only
        .address_space:  global
        .offset:         8
        .size:           8
        .value_kind:     global_buffer
      - .actual_access:  write_only
        .address_space:  global
        .offset:         16
        .size:           8
        .value_kind:     global_buffer
      - .offset:         24
        .size:           4
        .value_kind:     by_value
      - .offset:         28
        .size:           4
        .value_kind:     by_value
      - .offset:         32
        .size:           4
        .value_kind:     by_value
      - .offset:         36
        .size:           4
        .value_kind:     by_value
      - .offset:         40
        .size:           4
        .value_kind:     by_value
    .group_segment_fixed_size: 31392
    .kernarg_segment_align: 8
    .kernarg_segment_size: 44
    .language:       OpenCL C
    .language_version:
      - 2
      - 0
    .max_flat_workgroup_size: 256
    .name:           _ZL12mul_mat_q2_KIN3c108BFloat16ELb0EEvPKvS3_PT_iiiii
    .private_segment_fixed_size: 396
    .sgpr_count:     24
    .sgpr_spill_count: 0
    .symbol:         _ZL12mul_mat_q2_KIN3c108BFloat16ELb0EEvPKvS3_PT_iiiii.kd
    .uniform_work_group_size: 1
    .uses_dynamic_stack: false
    .vgpr_count:     256
    .vgpr_spill_count: 103
    .wavefront_size: 32
    .workgroup_processor_mode: 1
  - .args:
      - .actual_access:  read_only
        .address_space:  global
        .offset:         0
        .size:           8
        .value_kind:     global_buffer
      - .actual_access:  read_only
        .address_space:  global
        .offset:         8
        .size:           8
        .value_kind:     global_buffer
      - .actual_access:  write_only
        .address_space:  global
        .offset:         16
        .size:           8
        .value_kind:     global_buffer
      - .offset:         24
        .size:           4
        .value_kind:     by_value
      - .offset:         28
        .size:           4
        .value_kind:     by_value
      - .offset:         32
        .size:           4
        .value_kind:     by_value
      - .offset:         36
        .size:           4
        .value_kind:     by_value
      - .offset:         40
        .size:           4
        .value_kind:     by_value
    .group_segment_fixed_size: 31392
    .kernarg_segment_align: 8
    .kernarg_segment_size: 44
    .language:       OpenCL C
    .language_version:
      - 2
      - 0
    .max_flat_workgroup_size: 256
    .name:           _ZL12mul_mat_q2_KIN3c108BFloat16ELb1EEvPKvS3_PT_iiiii
    .private_segment_fixed_size: 456
    .sgpr_count:     24
    .sgpr_spill_count: 0
    .symbol:         _ZL12mul_mat_q2_KIN3c108BFloat16ELb1EEvPKvS3_PT_iiiii.kd
    .uniform_work_group_size: 1
    .uses_dynamic_stack: false
    .vgpr_count:     256
    .vgpr_spill_count: 118
    .wavefront_size: 32
    .workgroup_processor_mode: 1
  - .args:
      - .actual_access:  read_only
        .address_space:  global
        .offset:         0
        .size:           8
        .value_kind:     global_buffer
      - .actual_access:  read_only
        .address_space:  global
        .offset:         8
        .size:           8
        .value_kind:     global_buffer
      - .actual_access:  write_only
        .address_space:  global
        .offset:         16
        .size:           8
        .value_kind:     global_buffer
      - .offset:         24
        .size:           4
        .value_kind:     by_value
      - .offset:         28
        .size:           4
        .value_kind:     by_value
      - .offset:         32
        .size:           4
        .value_kind:     by_value
      - .offset:         36
        .size:           4
        .value_kind:     by_value
      - .offset:         40
        .size:           4
        .value_kind:     by_value
    .group_segment_fixed_size: 39840
    .kernarg_segment_align: 8
    .kernarg_segment_size: 44
    .language:       OpenCL C
    .language_version:
      - 2
      - 0
    .max_flat_workgroup_size: 256
    .name:           _ZL12mul_mat_q3_KIN3c108BFloat16ELb0EEvPKvS3_PT_iiiii
    .private_segment_fixed_size: 528
    .sgpr_count:     25
    .sgpr_spill_count: 0
    .symbol:         _ZL12mul_mat_q3_KIN3c108BFloat16ELb0EEvPKvS3_PT_iiiii.kd
    .uniform_work_group_size: 1
    .uses_dynamic_stack: false
    .vgpr_count:     256
    .vgpr_spill_count: 147
    .wavefront_size: 32
    .workgroup_processor_mode: 1
  - .args:
      - .actual_access:  read_only
        .address_space:  global
        .offset:         0
        .size:           8
        .value_kind:     global_buffer
      - .actual_access:  read_only
        .address_space:  global
        .offset:         8
        .size:           8
        .value_kind:     global_buffer
      - .actual_access:  write_only
        .address_space:  global
        .offset:         16
        .size:           8
        .value_kind:     global_buffer
      - .offset:         24
        .size:           4
        .value_kind:     by_value
      - .offset:         28
        .size:           4
        .value_kind:     by_value
      - .offset:         32
        .size:           4
        .value_kind:     by_value
      - .offset:         36
        .size:           4
        .value_kind:     by_value
      - .offset:         40
        .size:           4
        .value_kind:     by_value
    .group_segment_fixed_size: 39840
    .kernarg_segment_align: 8
    .kernarg_segment_size: 44
    .language:       OpenCL C
    .language_version:
      - 2
      - 0
    .max_flat_workgroup_size: 256
    .name:           _ZL12mul_mat_q3_KIN3c108BFloat16ELb1EEvPKvS3_PT_iiiii
    .private_segment_fixed_size: 592
    .sgpr_count:     25
    .sgpr_spill_count: 0
    .symbol:         _ZL12mul_mat_q3_KIN3c108BFloat16ELb1EEvPKvS3_PT_iiiii.kd
    .uniform_work_group_size: 1
    .uses_dynamic_stack: false
    .vgpr_count:     256
    .vgpr_spill_count: 163
    .wavefront_size: 32
    .workgroup_processor_mode: 1
  - .args:
      - .actual_access:  read_only
        .address_space:  global
        .offset:         0
        .size:           8
        .value_kind:     global_buffer
      - .actual_access:  read_only
        .address_space:  global
        .offset:         8
        .size:           8
        .value_kind:     global_buffer
      - .actual_access:  write_only
        .address_space:  global
        .offset:         16
        .size:           8
        .value_kind:     global_buffer
      - .offset:         24
        .size:           4
        .value_kind:     by_value
      - .offset:         28
        .size:           4
        .value_kind:     by_value
      - .offset:         32
        .size:           4
        .value_kind:     by_value
      - .offset:         36
        .size:           4
        .value_kind:     by_value
      - .offset:         40
        .size:           4
        .value_kind:     by_value
    .group_segment_fixed_size: 28752
    .kernarg_segment_align: 8
    .kernarg_segment_size: 44
    .language:       OpenCL C
    .language_version:
      - 2
      - 0
    .max_flat_workgroup_size: 256
    .name:           _ZL12mul_mat_q4_KIN3c108BFloat16ELb0EEvPKvS3_PT_iiiii
    .private_segment_fixed_size: 1588
    .sgpr_count:     20
    .sgpr_spill_count: 0
    .symbol:         _ZL12mul_mat_q4_KIN3c108BFloat16ELb0EEvPKvS3_PT_iiiii.kd
    .uniform_work_group_size: 1
    .uses_dynamic_stack: false
    .vgpr_count:     256
    .vgpr_spill_count: 440
    .wavefront_size: 32
    .workgroup_processor_mode: 1
  - .args:
      - .actual_access:  read_only
        .address_space:  global
        .offset:         0
        .size:           8
        .value_kind:     global_buffer
      - .actual_access:  read_only
        .address_space:  global
        .offset:         8
        .size:           8
        .value_kind:     global_buffer
      - .actual_access:  write_only
        .address_space:  global
        .offset:         16
        .size:           8
        .value_kind:     global_buffer
      - .offset:         24
        .size:           4
        .value_kind:     by_value
      - .offset:         28
        .size:           4
        .value_kind:     by_value
      - .offset:         32
        .size:           4
        .value_kind:     by_value
      - .offset:         36
        .size:           4
        .value_kind:     by_value
      - .offset:         40
        .size:           4
        .value_kind:     by_value
    .group_segment_fixed_size: 28752
    .kernarg_segment_align: 8
    .kernarg_segment_size: 44
    .language:       OpenCL C
    .language_version:
      - 2
      - 0
    .max_flat_workgroup_size: 256
    .name:           _ZL12mul_mat_q4_KIN3c108BFloat16ELb1EEvPKvS3_PT_iiiii
    .private_segment_fixed_size: 1648
    .sgpr_count:     20
    .sgpr_spill_count: 0
    .symbol:         _ZL12mul_mat_q4_KIN3c108BFloat16ELb1EEvPKvS3_PT_iiiii.kd
    .uniform_work_group_size: 1
    .uses_dynamic_stack: false
    .vgpr_count:     256
    .vgpr_spill_count: 457
    .wavefront_size: 32
    .workgroup_processor_mode: 1
  - .args:
      - .actual_access:  read_only
        .address_space:  global
        .offset:         0
        .size:           8
        .value_kind:     global_buffer
      - .actual_access:  read_only
        .address_space:  global
        .offset:         8
        .size:           8
        .value_kind:     global_buffer
      - .actual_access:  write_only
        .address_space:  global
        .offset:         16
        .size:           8
        .value_kind:     global_buffer
      - .offset:         24
        .size:           4
        .value_kind:     by_value
      - .offset:         28
        .size:           4
        .value_kind:     by_value
      - .offset:         32
        .size:           4
        .value_kind:     by_value
      - .offset:         36
        .size:           4
        .value_kind:     by_value
      - .offset:         40
        .size:           4
        .value_kind:     by_value
    .group_segment_fixed_size: 45136
    .kernarg_segment_align: 8
    .kernarg_segment_size: 44
    .language:       OpenCL C
    .language_version:
      - 2
      - 0
    .max_flat_workgroup_size: 256
    .name:           _ZL12mul_mat_q5_KIN3c108BFloat16ELb0EEvPKvS3_PT_iiiii
    .private_segment_fixed_size: 0
    .sgpr_count:     20
    .sgpr_spill_count: 0
    .symbol:         _ZL12mul_mat_q5_KIN3c108BFloat16ELb0EEvPKvS3_PT_iiiii.kd
    .uniform_work_group_size: 1
    .uses_dynamic_stack: false
    .vgpr_count:     248
    .vgpr_spill_count: 0
    .wavefront_size: 32
    .workgroup_processor_mode: 1
  - .args:
      - .actual_access:  read_only
        .address_space:  global
        .offset:         0
        .size:           8
        .value_kind:     global_buffer
      - .actual_access:  read_only
        .address_space:  global
        .offset:         8
        .size:           8
        .value_kind:     global_buffer
      - .actual_access:  write_only
        .address_space:  global
        .offset:         16
        .size:           8
        .value_kind:     global_buffer
      - .offset:         24
        .size:           4
        .value_kind:     by_value
      - .offset:         28
        .size:           4
        .value_kind:     by_value
      - .offset:         32
        .size:           4
        .value_kind:     by_value
      - .offset:         36
        .size:           4
        .value_kind:     by_value
      - .offset:         40
        .size:           4
        .value_kind:     by_value
    .group_segment_fixed_size: 45136
    .kernarg_segment_align: 8
    .kernarg_segment_size: 44
    .language:       OpenCL C
    .language_version:
      - 2
      - 0
    .max_flat_workgroup_size: 256
    .name:           _ZL12mul_mat_q5_KIN3c108BFloat16ELb1EEvPKvS3_PT_iiiii
    .private_segment_fixed_size: 0
    .sgpr_count:     20
    .sgpr_spill_count: 0
    .symbol:         _ZL12mul_mat_q5_KIN3c108BFloat16ELb1EEvPKvS3_PT_iiiii.kd
    .uniform_work_group_size: 1
    .uses_dynamic_stack: false
    .vgpr_count:     248
    .vgpr_spill_count: 0
    .wavefront_size: 32
    .workgroup_processor_mode: 1
  - .args:
      - .actual_access:  read_only
        .address_space:  global
        .offset:         0
        .size:           8
        .value_kind:     global_buffer
      - .actual_access:  read_only
        .address_space:  global
        .offset:         8
        .size:           8
        .value_kind:     global_buffer
      - .actual_access:  write_only
        .address_space:  global
        .offset:         16
        .size:           8
        .value_kind:     global_buffer
      - .offset:         24
        .size:           4
        .value_kind:     by_value
      - .offset:         28
        .size:           4
        .value_kind:     by_value
      - .offset:         32
        .size:           4
        .value_kind:     by_value
      - .offset:         36
        .size:           4
        .value_kind:     by_value
      - .offset:         40
        .size:           4
        .value_kind:     by_value
    .group_segment_fixed_size: 45136
    .kernarg_segment_align: 8
    .kernarg_segment_size: 44
    .language:       OpenCL C
    .language_version:
      - 2
      - 0
    .max_flat_workgroup_size: 256
    .name:           _ZL12mul_mat_q6_KIN3c108BFloat16ELb0EEvPKvS3_PT_iiiii
    .private_segment_fixed_size: 44
    .sgpr_count:     20
    .sgpr_spill_count: 0
    .symbol:         _ZL12mul_mat_q6_KIN3c108BFloat16ELb0EEvPKvS3_PT_iiiii.kd
    .uniform_work_group_size: 1
    .uses_dynamic_stack: false
    .vgpr_count:     256
    .vgpr_spill_count: 10
    .wavefront_size: 32
    .workgroup_processor_mode: 1
  - .args:
      - .actual_access:  read_only
        .address_space:  global
        .offset:         0
        .size:           8
        .value_kind:     global_buffer
      - .actual_access:  read_only
        .address_space:  global
        .offset:         8
        .size:           8
        .value_kind:     global_buffer
      - .actual_access:  write_only
        .address_space:  global
        .offset:         16
        .size:           8
        .value_kind:     global_buffer
      - .offset:         24
        .size:           4
        .value_kind:     by_value
      - .offset:         28
        .size:           4
        .value_kind:     by_value
      - .offset:         32
        .size:           4
        .value_kind:     by_value
      - .offset:         36
        .size:           4
        .value_kind:     by_value
      - .offset:         40
        .size:           4
        .value_kind:     by_value
    .group_segment_fixed_size: 45136
    .kernarg_segment_align: 8
    .kernarg_segment_size: 44
    .language:       OpenCL C
    .language_version:
      - 2
      - 0
    .max_flat_workgroup_size: 256
    .name:           _ZL12mul_mat_q6_KIN3c108BFloat16ELb1EEvPKvS3_PT_iiiii
    .private_segment_fixed_size: 100
    .sgpr_count:     20
    .sgpr_spill_count: 0
    .symbol:         _ZL12mul_mat_q6_KIN3c108BFloat16ELb1EEvPKvS3_PT_iiiii.kd
    .uniform_work_group_size: 1
    .uses_dynamic_stack: false
    .vgpr_count:     256
    .vgpr_spill_count: 24
    .wavefront_size: 32
    .workgroup_processor_mode: 1
  - .args:
      - .actual_access:  read_only
        .address_space:  global
        .offset:         0
        .size:           8
        .value_kind:     global_buffer
      - .actual_access:  read_only
        .address_space:  global
        .offset:         8
        .size:           8
        .value_kind:     global_buffer
      - .actual_access:  write_only
        .address_space:  global
        .offset:         16
        .size:           8
        .value_kind:     global_buffer
      - .address_space:  global
        .offset:         24
        .size:           8
        .value_kind:     global_buffer
      - .address_space:  global
        .offset:         32
        .size:           8
        .value_kind:     global_buffer
      - .address_space:  global
        .offset:         40
        .size:           8
        .value_kind:     global_buffer
      - .offset:         48
        .size:           4
        .value_kind:     by_value
      - .offset:         52
        .size:           4
        .value_kind:     by_value
      - .offset:         56
        .size:           4
        .value_kind:     by_value
      - .offset:         60
        .size:           4
        .value_kind:     by_value
      - .offset:         64
        .size:           4
        .value_kind:     by_value
      - .offset:         68
        .size:           4
        .value_kind:     by_value
      - .offset:         72
        .size:           4
        .value_kind:     by_value
    .group_segment_fixed_size: 22272
    .kernarg_segment_align: 8
    .kernarg_segment_size: 76
    .language:       OpenCL C
    .language_version:
      - 2
      - 0
    .max_flat_workgroup_size: 256
    .name:           _ZL8moe_q4_0IfLb0EEvPKvS1_PT_PKiS5_S5_iiiiiii
    .private_segment_fixed_size: 0
    .sgpr_count:     22
    .sgpr_spill_count: 0
    .symbol:         _ZL8moe_q4_0IfLb0EEvPKvS1_PT_PKiS5_S5_iiiiiii.kd
    .uniform_work_group_size: 1
    .uses_dynamic_stack: false
    .vgpr_count:     242
    .vgpr_spill_count: 0
    .wavefront_size: 32
    .workgroup_processor_mode: 1
  - .args:
      - .actual_access:  read_only
        .address_space:  global
        .offset:         0
        .size:           8
        .value_kind:     global_buffer
      - .actual_access:  read_only
        .address_space:  global
        .offset:         8
        .size:           8
        .value_kind:     global_buffer
      - .actual_access:  write_only
        .address_space:  global
        .offset:         16
        .size:           8
        .value_kind:     global_buffer
      - .address_space:  global
        .offset:         24
        .size:           8
        .value_kind:     global_buffer
      - .address_space:  global
        .offset:         32
        .size:           8
        .value_kind:     global_buffer
      - .address_space:  global
        .offset:         40
        .size:           8
        .value_kind:     global_buffer
      - .offset:         48
        .size:           4
        .value_kind:     by_value
      - .offset:         52
        .size:           4
        .value_kind:     by_value
      - .offset:         56
        .size:           4
        .value_kind:     by_value
      - .offset:         60
        .size:           4
        .value_kind:     by_value
      - .offset:         64
        .size:           4
        .value_kind:     by_value
      - .offset:         68
        .size:           4
        .value_kind:     by_value
      - .offset:         72
        .size:           4
        .value_kind:     by_value
    .group_segment_fixed_size: 22272
    .kernarg_segment_align: 8
    .kernarg_segment_size: 76
    .language:       OpenCL C
    .language_version:
      - 2
      - 0
    .max_flat_workgroup_size: 256
    .name:           _ZL8moe_q4_0IfLb1EEvPKvS1_PT_PKiS5_S5_iiiiiii
    .private_segment_fixed_size: 0
    .sgpr_count:     22
    .sgpr_spill_count: 0
    .symbol:         _ZL8moe_q4_0IfLb1EEvPKvS1_PT_PKiS5_S5_iiiiiii.kd
    .uniform_work_group_size: 1
    .uses_dynamic_stack: false
    .vgpr_count:     242
    .vgpr_spill_count: 0
    .wavefront_size: 32
    .workgroup_processor_mode: 1
  - .args:
      - .actual_access:  read_only
        .address_space:  global
        .offset:         0
        .size:           8
        .value_kind:     global_buffer
      - .actual_access:  read_only
        .address_space:  global
        .offset:         8
        .size:           8
        .value_kind:     global_buffer
      - .actual_access:  write_only
        .address_space:  global
        .offset:         16
        .size:           8
        .value_kind:     global_buffer
      - .address_space:  global
        .offset:         24
        .size:           8
        .value_kind:     global_buffer
      - .address_space:  global
        .offset:         32
        .size:           8
        .value_kind:     global_buffer
      - .address_space:  global
        .offset:         40
        .size:           8
        .value_kind:     global_buffer
      - .offset:         48
        .size:           4
        .value_kind:     by_value
      - .offset:         52
        .size:           4
        .value_kind:     by_value
      - .offset:         56
        .size:           4
        .value_kind:     by_value
      - .offset:         60
        .size:           4
        .value_kind:     by_value
      - .offset:         64
        .size:           4
        .value_kind:     by_value
      - .offset:         68
        .size:           4
        .value_kind:     by_value
      - .offset:         72
        .size:           4
        .value_kind:     by_value
    .group_segment_fixed_size: 22272
    .kernarg_segment_align: 8
    .kernarg_segment_size: 76
    .language:       OpenCL C
    .language_version:
      - 2
      - 0
    .max_flat_workgroup_size: 256
    .name:           _ZL8moe_q4_1IfLb0EEvPKvS1_PT_PKiS5_S5_iiiiiii
    .private_segment_fixed_size: 0
    .sgpr_count:     22
    .sgpr_spill_count: 0
    .symbol:         _ZL8moe_q4_1IfLb0EEvPKvS1_PT_PKiS5_S5_iiiiiii.kd
    .uniform_work_group_size: 1
    .uses_dynamic_stack: false
    .vgpr_count:     241
    .vgpr_spill_count: 0
    .wavefront_size: 32
    .workgroup_processor_mode: 1
  - .args:
      - .actual_access:  read_only
        .address_space:  global
        .offset:         0
        .size:           8
        .value_kind:     global_buffer
      - .actual_access:  read_only
        .address_space:  global
        .offset:         8
        .size:           8
        .value_kind:     global_buffer
      - .actual_access:  write_only
        .address_space:  global
        .offset:         16
        .size:           8
        .value_kind:     global_buffer
      - .address_space:  global
        .offset:         24
        .size:           8
        .value_kind:     global_buffer
      - .address_space:  global
        .offset:         32
        .size:           8
        .value_kind:     global_buffer
      - .address_space:  global
        .offset:         40
        .size:           8
        .value_kind:     global_buffer
      - .offset:         48
        .size:           4
        .value_kind:     by_value
      - .offset:         52
        .size:           4
        .value_kind:     by_value
      - .offset:         56
        .size:           4
        .value_kind:     by_value
      - .offset:         60
        .size:           4
        .value_kind:     by_value
      - .offset:         64
        .size:           4
        .value_kind:     by_value
      - .offset:         68
        .size:           4
        .value_kind:     by_value
      - .offset:         72
        .size:           4
        .value_kind:     by_value
    .group_segment_fixed_size: 22272
    .kernarg_segment_align: 8
    .kernarg_segment_size: 76
    .language:       OpenCL C
    .language_version:
      - 2
      - 0
    .max_flat_workgroup_size: 256
    .name:           _ZL8moe_q4_1IfLb1EEvPKvS1_PT_PKiS5_S5_iiiiiii
    .private_segment_fixed_size: 0
    .sgpr_count:     22
    .sgpr_spill_count: 0
    .symbol:         _ZL8moe_q4_1IfLb1EEvPKvS1_PT_PKiS5_S5_iiiiiii.kd
    .uniform_work_group_size: 1
    .uses_dynamic_stack: false
    .vgpr_count:     241
    .vgpr_spill_count: 0
    .wavefront_size: 32
    .workgroup_processor_mode: 1
  - .args:
      - .actual_access:  read_only
        .address_space:  global
        .offset:         0
        .size:           8
        .value_kind:     global_buffer
      - .actual_access:  read_only
        .address_space:  global
        .offset:         8
        .size:           8
        .value_kind:     global_buffer
      - .actual_access:  write_only
        .address_space:  global
        .offset:         16
        .size:           8
        .value_kind:     global_buffer
      - .address_space:  global
        .offset:         24
        .size:           8
        .value_kind:     global_buffer
      - .address_space:  global
        .offset:         32
        .size:           8
        .value_kind:     global_buffer
      - .address_space:  global
        .offset:         40
        .size:           8
        .value_kind:     global_buffer
      - .offset:         48
        .size:           4
        .value_kind:     by_value
      - .offset:         52
        .size:           4
        .value_kind:     by_value
      - .offset:         56
        .size:           4
        .value_kind:     by_value
      - .offset:         60
        .size:           4
        .value_kind:     by_value
      - .offset:         64
        .size:           4
        .value_kind:     by_value
      - .offset:         68
        .size:           4
        .value_kind:     by_value
      - .offset:         72
        .size:           4
        .value_kind:     by_value
    .group_segment_fixed_size: 38656
    .kernarg_segment_align: 8
    .kernarg_segment_size: 76
    .language:       OpenCL C
    .language_version:
      - 2
      - 0
    .max_flat_workgroup_size: 256
    .name:           _ZL8moe_q5_0IfLb0EEvPKvS1_PT_PKiS5_S5_iiiiiii
    .private_segment_fixed_size: 0
    .sgpr_count:     22
    .sgpr_spill_count: 0
    .symbol:         _ZL8moe_q5_0IfLb0EEvPKvS1_PT_PKiS5_S5_iiiiiii.kd
    .uniform_work_group_size: 1
    .uses_dynamic_stack: false
    .vgpr_count:     141
    .vgpr_spill_count: 0
    .wavefront_size: 32
    .workgroup_processor_mode: 1
  - .args:
      - .actual_access:  read_only
        .address_space:  global
        .offset:         0
        .size:           8
        .value_kind:     global_buffer
      - .actual_access:  read_only
        .address_space:  global
        .offset:         8
        .size:           8
        .value_kind:     global_buffer
      - .actual_access:  write_only
        .address_space:  global
        .offset:         16
        .size:           8
        .value_kind:     global_buffer
      - .address_space:  global
        .offset:         24
        .size:           8
        .value_kind:     global_buffer
      - .address_space:  global
        .offset:         32
        .size:           8
        .value_kind:     global_buffer
      - .address_space:  global
        .offset:         40
        .size:           8
        .value_kind:     global_buffer
      - .offset:         48
        .size:           4
        .value_kind:     by_value
      - .offset:         52
        .size:           4
        .value_kind:     by_value
      - .offset:         56
        .size:           4
        .value_kind:     by_value
      - .offset:         60
        .size:           4
        .value_kind:     by_value
      - .offset:         64
        .size:           4
        .value_kind:     by_value
      - .offset:         68
        .size:           4
        .value_kind:     by_value
      - .offset:         72
        .size:           4
        .value_kind:     by_value
    .group_segment_fixed_size: 38656
    .kernarg_segment_align: 8
    .kernarg_segment_size: 76
    .language:       OpenCL C
    .language_version:
      - 2
      - 0
    .max_flat_workgroup_size: 256
    .name:           _ZL8moe_q5_0IfLb1EEvPKvS1_PT_PKiS5_S5_iiiiiii
    .private_segment_fixed_size: 0
    .sgpr_count:     23
    .sgpr_spill_count: 0
    .symbol:         _ZL8moe_q5_0IfLb1EEvPKvS1_PT_PKiS5_S5_iiiiiii.kd
    .uniform_work_group_size: 1
    .uses_dynamic_stack: false
    .vgpr_count:     142
    .vgpr_spill_count: 0
    .wavefront_size: 32
    .workgroup_processor_mode: 1
  - .args:
      - .actual_access:  read_only
        .address_space:  global
        .offset:         0
        .size:           8
        .value_kind:     global_buffer
      - .actual_access:  read_only
        .address_space:  global
        .offset:         8
        .size:           8
        .value_kind:     global_buffer
      - .actual_access:  write_only
        .address_space:  global
        .offset:         16
        .size:           8
        .value_kind:     global_buffer
      - .address_space:  global
        .offset:         24
        .size:           8
        .value_kind:     global_buffer
      - .address_space:  global
        .offset:         32
        .size:           8
        .value_kind:     global_buffer
      - .address_space:  global
        .offset:         40
        .size:           8
        .value_kind:     global_buffer
      - .offset:         48
        .size:           4
        .value_kind:     by_value
      - .offset:         52
        .size:           4
        .value_kind:     by_value
      - .offset:         56
        .size:           4
        .value_kind:     by_value
      - .offset:         60
        .size:           4
        .value_kind:     by_value
      - .offset:         64
        .size:           4
        .value_kind:     by_value
      - .offset:         68
        .size:           4
        .value_kind:     by_value
      - .offset:         72
        .size:           4
        .value_kind:     by_value
    .group_segment_fixed_size: 38656
    .kernarg_segment_align: 8
    .kernarg_segment_size: 76
    .language:       OpenCL C
    .language_version:
      - 2
      - 0
    .max_flat_workgroup_size: 256
    .name:           _ZL8moe_q5_1IfLb0EEvPKvS1_PT_PKiS5_S5_iiiiiii
    .private_segment_fixed_size: 0
    .sgpr_count:     22
    .sgpr_spill_count: 0
    .symbol:         _ZL8moe_q5_1IfLb0EEvPKvS1_PT_PKiS5_S5_iiiiiii.kd
    .uniform_work_group_size: 1
    .uses_dynamic_stack: false
    .vgpr_count:     177
    .vgpr_spill_count: 0
    .wavefront_size: 32
    .workgroup_processor_mode: 1
  - .args:
      - .actual_access:  read_only
        .address_space:  global
        .offset:         0
        .size:           8
        .value_kind:     global_buffer
      - .actual_access:  read_only
        .address_space:  global
        .offset:         8
        .size:           8
        .value_kind:     global_buffer
      - .actual_access:  write_only
        .address_space:  global
        .offset:         16
        .size:           8
        .value_kind:     global_buffer
      - .address_space:  global
        .offset:         24
        .size:           8
        .value_kind:     global_buffer
      - .address_space:  global
        .offset:         32
        .size:           8
        .value_kind:     global_buffer
      - .address_space:  global
        .offset:         40
        .size:           8
        .value_kind:     global_buffer
      - .offset:         48
        .size:           4
        .value_kind:     by_value
      - .offset:         52
        .size:           4
        .value_kind:     by_value
      - .offset:         56
        .size:           4
        .value_kind:     by_value
      - .offset:         60
        .size:           4
        .value_kind:     by_value
      - .offset:         64
        .size:           4
        .value_kind:     by_value
      - .offset:         68
        .size:           4
        .value_kind:     by_value
      - .offset:         72
        .size:           4
        .value_kind:     by_value
    .group_segment_fixed_size: 38656
    .kernarg_segment_align: 8
    .kernarg_segment_size: 76
    .language:       OpenCL C
    .language_version:
      - 2
      - 0
    .max_flat_workgroup_size: 256
    .name:           _ZL8moe_q5_1IfLb1EEvPKvS1_PT_PKiS5_S5_iiiiiii
    .private_segment_fixed_size: 0
    .sgpr_count:     23
    .sgpr_spill_count: 0
    .symbol:         _ZL8moe_q5_1IfLb1EEvPKvS1_PT_PKiS5_S5_iiiiiii.kd
    .uniform_work_group_size: 1
    .uses_dynamic_stack: false
    .vgpr_count:     177
    .vgpr_spill_count: 0
    .wavefront_size: 32
    .workgroup_processor_mode: 1
  - .args:
      - .actual_access:  read_only
        .address_space:  global
        .offset:         0
        .size:           8
        .value_kind:     global_buffer
      - .actual_access:  read_only
        .address_space:  global
        .offset:         8
        .size:           8
        .value_kind:     global_buffer
      - .actual_access:  write_only
        .address_space:  global
        .offset:         16
        .size:           8
        .value_kind:     global_buffer
      - .address_space:  global
        .offset:         24
        .size:           8
        .value_kind:     global_buffer
      - .address_space:  global
        .offset:         32
        .size:           8
        .value_kind:     global_buffer
      - .address_space:  global
        .offset:         40
        .size:           8
        .value_kind:     global_buffer
      - .offset:         48
        .size:           4
        .value_kind:     by_value
      - .offset:         52
        .size:           4
        .value_kind:     by_value
      - .offset:         56
        .size:           4
        .value_kind:     by_value
      - .offset:         60
        .size:           4
        .value_kind:     by_value
      - .offset:         64
        .size:           4
        .value_kind:     by_value
      - .offset:         68
        .size:           4
        .value_kind:     by_value
      - .offset:         72
        .size:           4
        .value_kind:     by_value
    .group_segment_fixed_size: 20160
    .kernarg_segment_align: 8
    .kernarg_segment_size: 76
    .language:       OpenCL C
    .language_version:
      - 2
      - 0
    .max_flat_workgroup_size: 256
    .name:           _ZL8moe_q8_0IfLb0EEvPKvS1_PT_PKiS5_S5_iiiiiii
    .private_segment_fixed_size: 0
    .sgpr_count:     20
    .sgpr_spill_count: 0
    .symbol:         _ZL8moe_q8_0IfLb0EEvPKvS1_PT_PKiS5_S5_iiiiiii.kd
    .uniform_work_group_size: 1
    .uses_dynamic_stack: false
    .vgpr_count:     109
    .vgpr_spill_count: 0
    .wavefront_size: 32
    .workgroup_processor_mode: 1
  - .args:
      - .actual_access:  read_only
        .address_space:  global
        .offset:         0
        .size:           8
        .value_kind:     global_buffer
      - .actual_access:  read_only
        .address_space:  global
        .offset:         8
        .size:           8
        .value_kind:     global_buffer
      - .actual_access:  write_only
        .address_space:  global
        .offset:         16
        .size:           8
        .value_kind:     global_buffer
      - .address_space:  global
        .offset:         24
        .size:           8
        .value_kind:     global_buffer
      - .address_space:  global
        .offset:         32
        .size:           8
        .value_kind:     global_buffer
      - .address_space:  global
        .offset:         40
        .size:           8
        .value_kind:     global_buffer
      - .offset:         48
        .size:           4
        .value_kind:     by_value
      - .offset:         52
        .size:           4
        .value_kind:     by_value
      - .offset:         56
        .size:           4
        .value_kind:     by_value
      - .offset:         60
        .size:           4
        .value_kind:     by_value
      - .offset:         64
        .size:           4
        .value_kind:     by_value
      - .offset:         68
        .size:           4
        .value_kind:     by_value
      - .offset:         72
        .size:           4
        .value_kind:     by_value
    .group_segment_fixed_size: 20160
    .kernarg_segment_align: 8
    .kernarg_segment_size: 76
    .language:       OpenCL C
    .language_version:
      - 2
      - 0
    .max_flat_workgroup_size: 256
    .name:           _ZL8moe_q8_0IfLb1EEvPKvS1_PT_PKiS5_S5_iiiiiii
    .private_segment_fixed_size: 0
    .sgpr_count:     22
    .sgpr_spill_count: 0
    .symbol:         _ZL8moe_q8_0IfLb1EEvPKvS1_PT_PKiS5_S5_iiiiiii.kd
    .uniform_work_group_size: 1
    .uses_dynamic_stack: false
    .vgpr_count:     109
    .vgpr_spill_count: 0
    .wavefront_size: 32
    .workgroup_processor_mode: 1
  - .args:
      - .actual_access:  read_only
        .address_space:  global
        .offset:         0
        .size:           8
        .value_kind:     global_buffer
      - .actual_access:  read_only
        .address_space:  global
        .offset:         8
        .size:           8
        .value_kind:     global_buffer
      - .actual_access:  write_only
        .address_space:  global
        .offset:         16
        .size:           8
        .value_kind:     global_buffer
      - .address_space:  global
        .offset:         24
        .size:           8
        .value_kind:     global_buffer
      - .address_space:  global
        .offset:         32
        .size:           8
        .value_kind:     global_buffer
      - .address_space:  global
        .offset:         40
        .size:           8
        .value_kind:     global_buffer
      - .offset:         48
        .size:           4
        .value_kind:     by_value
      - .offset:         52
        .size:           4
        .value_kind:     by_value
      - .offset:         56
        .size:           4
        .value_kind:     by_value
      - .offset:         60
        .size:           4
        .value_kind:     by_value
      - .offset:         64
        .size:           4
        .value_kind:     by_value
      - .offset:         68
        .size:           4
        .value_kind:     by_value
      - .offset:         72
        .size:           4
        .value_kind:     by_value
    .group_segment_fixed_size: 23328
    .kernarg_segment_align: 8
    .kernarg_segment_size: 76
    .language:       OpenCL C
    .language_version:
      - 2
      - 0
    .max_flat_workgroup_size: 256
    .name:           _ZL8moe_q2_KIfLb0EEvPKvS1_PT_PKiS5_S5_iiiiiii
    .private_segment_fixed_size: 100
    .sgpr_count:     32
    .sgpr_spill_count: 0
    .symbol:         _ZL8moe_q2_KIfLb0EEvPKvS1_PT_PKiS5_S5_iiiiiii.kd
    .uniform_work_group_size: 1
    .uses_dynamic_stack: false
    .vgpr_count:     256
    .vgpr_spill_count: 24
    .wavefront_size: 32
    .workgroup_processor_mode: 1
  - .args:
      - .actual_access:  read_only
        .address_space:  global
        .offset:         0
        .size:           8
        .value_kind:     global_buffer
      - .actual_access:  read_only
        .address_space:  global
        .offset:         8
        .size:           8
        .value_kind:     global_buffer
      - .actual_access:  write_only
        .address_space:  global
        .offset:         16
        .size:           8
        .value_kind:     global_buffer
      - .address_space:  global
        .offset:         24
        .size:           8
        .value_kind:     global_buffer
      - .address_space:  global
        .offset:         32
        .size:           8
        .value_kind:     global_buffer
      - .address_space:  global
        .offset:         40
        .size:           8
        .value_kind:     global_buffer
      - .offset:         48
        .size:           4
        .value_kind:     by_value
      - .offset:         52
        .size:           4
        .value_kind:     by_value
      - .offset:         56
        .size:           4
        .value_kind:     by_value
      - .offset:         60
        .size:           4
        .value_kind:     by_value
      - .offset:         64
        .size:           4
        .value_kind:     by_value
      - .offset:         68
        .size:           4
        .value_kind:     by_value
      - .offset:         72
        .size:           4
        .value_kind:     by_value
    .group_segment_fixed_size: 23328
    .kernarg_segment_align: 8
    .kernarg_segment_size: 76
    .language:       OpenCL C
    .language_version:
      - 2
      - 0
    .max_flat_workgroup_size: 256
    .name:           _ZL8moe_q2_KIfLb1EEvPKvS1_PT_PKiS5_S5_iiiiiii
    .private_segment_fixed_size: 108
    .sgpr_count:     32
    .sgpr_spill_count: 0
    .symbol:         _ZL8moe_q2_KIfLb1EEvPKvS1_PT_PKiS5_S5_iiiiiii.kd
    .uniform_work_group_size: 1
    .uses_dynamic_stack: false
    .vgpr_count:     256
    .vgpr_spill_count: 26
    .wavefront_size: 32
    .workgroup_processor_mode: 1
  - .args:
      - .actual_access:  read_only
        .address_space:  global
        .offset:         0
        .size:           8
        .value_kind:     global_buffer
      - .actual_access:  read_only
        .address_space:  global
        .offset:         8
        .size:           8
        .value_kind:     global_buffer
      - .actual_access:  write_only
        .address_space:  global
        .offset:         16
        .size:           8
        .value_kind:     global_buffer
      - .address_space:  global
        .offset:         24
        .size:           8
        .value_kind:     global_buffer
      - .address_space:  global
        .offset:         32
        .size:           8
        .value_kind:     global_buffer
      - .address_space:  global
        .offset:         40
        .size:           8
        .value_kind:     global_buffer
      - .offset:         48
        .size:           4
        .value_kind:     by_value
      - .offset:         52
        .size:           4
        .value_kind:     by_value
      - .offset:         56
        .size:           4
        .value_kind:     by_value
      - .offset:         60
        .size:           4
        .value_kind:     by_value
      - .offset:         64
        .size:           4
        .value_kind:     by_value
      - .offset:         68
        .size:           4
        .value_kind:     by_value
      - .offset:         72
        .size:           4
        .value_kind:     by_value
    .group_segment_fixed_size: 31776
    .kernarg_segment_align: 8
    .kernarg_segment_size: 76
    .language:       OpenCL C
    .language_version:
      - 2
      - 0
    .max_flat_workgroup_size: 256
    .name:           _ZL8moe_q3_KIfLb0EEvPKvS1_PT_PKiS5_S5_iiiiiii
    .private_segment_fixed_size: 0
    .sgpr_count:     33
    .sgpr_spill_count: 0
    .symbol:         _ZL8moe_q3_KIfLb0EEvPKvS1_PT_PKiS5_S5_iiiiiii.kd
    .uniform_work_group_size: 1
    .uses_dynamic_stack: false
    .vgpr_count:     195
    .vgpr_spill_count: 0
    .wavefront_size: 32
    .workgroup_processor_mode: 1
  - .args:
      - .actual_access:  read_only
        .address_space:  global
        .offset:         0
        .size:           8
        .value_kind:     global_buffer
      - .actual_access:  read_only
        .address_space:  global
        .offset:         8
        .size:           8
        .value_kind:     global_buffer
      - .actual_access:  write_only
        .address_space:  global
        .offset:         16
        .size:           8
        .value_kind:     global_buffer
      - .address_space:  global
        .offset:         24
        .size:           8
        .value_kind:     global_buffer
      - .address_space:  global
        .offset:         32
        .size:           8
        .value_kind:     global_buffer
      - .address_space:  global
        .offset:         40
        .size:           8
        .value_kind:     global_buffer
      - .offset:         48
        .size:           4
        .value_kind:     by_value
      - .offset:         52
        .size:           4
        .value_kind:     by_value
      - .offset:         56
        .size:           4
        .value_kind:     by_value
      - .offset:         60
        .size:           4
        .value_kind:     by_value
      - .offset:         64
        .size:           4
        .value_kind:     by_value
      - .offset:         68
        .size:           4
        .value_kind:     by_value
      - .offset:         72
        .size:           4
        .value_kind:     by_value
    .group_segment_fixed_size: 31776
    .kernarg_segment_align: 8
    .kernarg_segment_size: 76
    .language:       OpenCL C
    .language_version:
      - 2
      - 0
    .max_flat_workgroup_size: 256
    .name:           _ZL8moe_q3_KIfLb1EEvPKvS1_PT_PKiS5_S5_iiiiiii
    .private_segment_fixed_size: 0
    .sgpr_count:     33
    .sgpr_spill_count: 0
    .symbol:         _ZL8moe_q3_KIfLb1EEvPKvS1_PT_PKiS5_S5_iiiiiii.kd
    .uniform_work_group_size: 1
    .uses_dynamic_stack: false
    .vgpr_count:     195
    .vgpr_spill_count: 0
    .wavefront_size: 32
    .workgroup_processor_mode: 1
  - .args:
      - .actual_access:  read_only
        .address_space:  global
        .offset:         0
        .size:           8
        .value_kind:     global_buffer
      - .actual_access:  read_only
        .address_space:  global
        .offset:         8
        .size:           8
        .value_kind:     global_buffer
      - .actual_access:  write_only
        .address_space:  global
        .offset:         16
        .size:           8
        .value_kind:     global_buffer
      - .address_space:  global
        .offset:         24
        .size:           8
        .value_kind:     global_buffer
      - .address_space:  global
        .offset:         32
        .size:           8
        .value_kind:     global_buffer
      - .address_space:  global
        .offset:         40
        .size:           8
        .value_kind:     global_buffer
      - .offset:         48
        .size:           4
        .value_kind:     by_value
      - .offset:         52
        .size:           4
        .value_kind:     by_value
      - .offset:         56
        .size:           4
        .value_kind:     by_value
      - .offset:         60
        .size:           4
        .value_kind:     by_value
      - .offset:         64
        .size:           4
        .value_kind:     by_value
      - .offset:         68
        .size:           4
        .value_kind:     by_value
      - .offset:         72
        .size:           4
        .value_kind:     by_value
    .group_segment_fixed_size: 20688
    .kernarg_segment_align: 8
    .kernarg_segment_size: 76
    .language:       OpenCL C
    .language_version:
      - 2
      - 0
    .max_flat_workgroup_size: 256
    .name:           _ZL8moe_q4_KIfLb0EEvPKvS1_PT_PKiS5_S5_iiiiiii
    .private_segment_fixed_size: 172
    .sgpr_count:     25
    .sgpr_spill_count: 0
    .symbol:         _ZL8moe_q4_KIfLb0EEvPKvS1_PT_PKiS5_S5_iiiiiii.kd
    .uniform_work_group_size: 1
    .uses_dynamic_stack: false
    .vgpr_count:     256
    .vgpr_spill_count: 42
    .wavefront_size: 32
    .workgroup_processor_mode: 1
  - .args:
      - .actual_access:  read_only
        .address_space:  global
        .offset:         0
        .size:           8
        .value_kind:     global_buffer
      - .actual_access:  read_only
        .address_space:  global
        .offset:         8
        .size:           8
        .value_kind:     global_buffer
      - .actual_access:  write_only
        .address_space:  global
        .offset:         16
        .size:           8
        .value_kind:     global_buffer
      - .address_space:  global
        .offset:         24
        .size:           8
        .value_kind:     global_buffer
      - .address_space:  global
        .offset:         32
        .size:           8
        .value_kind:     global_buffer
      - .address_space:  global
        .offset:         40
        .size:           8
        .value_kind:     global_buffer
      - .offset:         48
        .size:           4
        .value_kind:     by_value
      - .offset:         52
        .size:           4
        .value_kind:     by_value
      - .offset:         56
        .size:           4
        .value_kind:     by_value
      - .offset:         60
        .size:           4
        .value_kind:     by_value
      - .offset:         64
        .size:           4
        .value_kind:     by_value
      - .offset:         68
        .size:           4
        .value_kind:     by_value
      - .offset:         72
        .size:           4
        .value_kind:     by_value
    .group_segment_fixed_size: 20688
    .kernarg_segment_align: 8
    .kernarg_segment_size: 76
    .language:       OpenCL C
    .language_version:
      - 2
      - 0
    .max_flat_workgroup_size: 256
    .name:           _ZL8moe_q4_KIfLb1EEvPKvS1_PT_PKiS5_S5_iiiiiii
    .private_segment_fixed_size: 208
    .sgpr_count:     25
    .sgpr_spill_count: 0
    .symbol:         _ZL8moe_q4_KIfLb1EEvPKvS1_PT_PKiS5_S5_iiiiiii.kd
    .uniform_work_group_size: 1
    .uses_dynamic_stack: false
    .vgpr_count:     256
    .vgpr_spill_count: 51
    .wavefront_size: 32
    .workgroup_processor_mode: 1
  - .args:
      - .actual_access:  read_only
        .address_space:  global
        .offset:         0
        .size:           8
        .value_kind:     global_buffer
      - .actual_access:  read_only
        .address_space:  global
        .offset:         8
        .size:           8
        .value_kind:     global_buffer
      - .actual_access:  write_only
        .address_space:  global
        .offset:         16
        .size:           8
        .value_kind:     global_buffer
      - .address_space:  global
        .offset:         24
        .size:           8
        .value_kind:     global_buffer
      - .address_space:  global
        .offset:         32
        .size:           8
        .value_kind:     global_buffer
      - .address_space:  global
        .offset:         40
        .size:           8
        .value_kind:     global_buffer
      - .offset:         48
        .size:           4
        .value_kind:     by_value
      - .offset:         52
        .size:           4
        .value_kind:     by_value
      - .offset:         56
        .size:           4
        .value_kind:     by_value
      - .offset:         60
        .size:           4
        .value_kind:     by_value
      - .offset:         64
        .size:           4
        .value_kind:     by_value
      - .offset:         68
        .size:           4
        .value_kind:     by_value
      - .offset:         72
        .size:           4
        .value_kind:     by_value
    .group_segment_fixed_size: 37072
    .kernarg_segment_align: 8
    .kernarg_segment_size: 76
    .language:       OpenCL C
    .language_version:
      - 2
      - 0
    .max_flat_workgroup_size: 256
    .name:           _ZL8moe_q5_KIfLb0EEvPKvS1_PT_PKiS5_S5_iiiiiii
    .private_segment_fixed_size: 0
    .sgpr_count:     25
    .sgpr_spill_count: 0
    .symbol:         _ZL8moe_q5_KIfLb0EEvPKvS1_PT_PKiS5_S5_iiiiiii.kd
    .uniform_work_group_size: 1
    .uses_dynamic_stack: false
    .vgpr_count:     189
    .vgpr_spill_count: 0
    .wavefront_size: 32
    .workgroup_processor_mode: 1
  - .args:
      - .actual_access:  read_only
        .address_space:  global
        .offset:         0
        .size:           8
        .value_kind:     global_buffer
      - .actual_access:  read_only
        .address_space:  global
        .offset:         8
        .size:           8
        .value_kind:     global_buffer
      - .actual_access:  write_only
        .address_space:  global
        .offset:         16
        .size:           8
        .value_kind:     global_buffer
      - .address_space:  global
        .offset:         24
        .size:           8
        .value_kind:     global_buffer
      - .address_space:  global
        .offset:         32
        .size:           8
        .value_kind:     global_buffer
      - .address_space:  global
        .offset:         40
        .size:           8
        .value_kind:     global_buffer
      - .offset:         48
        .size:           4
        .value_kind:     by_value
      - .offset:         52
        .size:           4
        .value_kind:     by_value
      - .offset:         56
        .size:           4
        .value_kind:     by_value
      - .offset:         60
        .size:           4
        .value_kind:     by_value
      - .offset:         64
        .size:           4
        .value_kind:     by_value
      - .offset:         68
        .size:           4
        .value_kind:     by_value
      - .offset:         72
        .size:           4
        .value_kind:     by_value
    .group_segment_fixed_size: 37072
    .kernarg_segment_align: 8
    .kernarg_segment_size: 76
    .language:       OpenCL C
    .language_version:
      - 2
      - 0
    .max_flat_workgroup_size: 256
    .name:           _ZL8moe_q5_KIfLb1EEvPKvS1_PT_PKiS5_S5_iiiiiii
    .private_segment_fixed_size: 0
    .sgpr_count:     25
    .sgpr_spill_count: 0
    .symbol:         _ZL8moe_q5_KIfLb1EEvPKvS1_PT_PKiS5_S5_iiiiiii.kd
    .uniform_work_group_size: 1
    .uses_dynamic_stack: false
    .vgpr_count:     188
    .vgpr_spill_count: 0
    .wavefront_size: 32
    .workgroup_processor_mode: 1
  - .args:
      - .actual_access:  read_only
        .address_space:  global
        .offset:         0
        .size:           8
        .value_kind:     global_buffer
      - .actual_access:  read_only
        .address_space:  global
        .offset:         8
        .size:           8
        .value_kind:     global_buffer
      - .actual_access:  write_only
        .address_space:  global
        .offset:         16
        .size:           8
        .value_kind:     global_buffer
      - .address_space:  global
        .offset:         24
        .size:           8
        .value_kind:     global_buffer
      - .address_space:  global
        .offset:         32
        .size:           8
        .value_kind:     global_buffer
      - .address_space:  global
        .offset:         40
        .size:           8
        .value_kind:     global_buffer
      - .offset:         48
        .size:           4
        .value_kind:     by_value
      - .offset:         52
        .size:           4
        .value_kind:     by_value
      - .offset:         56
        .size:           4
        .value_kind:     by_value
      - .offset:         60
        .size:           4
        .value_kind:     by_value
      - .offset:         64
        .size:           4
        .value_kind:     by_value
      - .offset:         68
        .size:           4
        .value_kind:     by_value
      - .offset:         72
        .size:           4
        .value_kind:     by_value
    .group_segment_fixed_size: 37072
    .kernarg_segment_align: 8
    .kernarg_segment_size: 76
    .language:       OpenCL C
    .language_version:
      - 2
      - 0
    .max_flat_workgroup_size: 256
    .name:           _ZL8moe_q6_KIfLb0EEvPKvS1_PT_PKiS5_S5_iiiiiii
    .private_segment_fixed_size: 0
    .sgpr_count:     25
    .sgpr_spill_count: 0
    .symbol:         _ZL8moe_q6_KIfLb0EEvPKvS1_PT_PKiS5_S5_iiiiiii.kd
    .uniform_work_group_size: 1
    .uses_dynamic_stack: false
    .vgpr_count:     186
    .vgpr_spill_count: 0
    .wavefront_size: 32
    .workgroup_processor_mode: 1
  - .args:
      - .actual_access:  read_only
        .address_space:  global
        .offset:         0
        .size:           8
        .value_kind:     global_buffer
      - .actual_access:  read_only
        .address_space:  global
        .offset:         8
        .size:           8
        .value_kind:     global_buffer
      - .actual_access:  write_only
        .address_space:  global
        .offset:         16
        .size:           8
        .value_kind:     global_buffer
      - .address_space:  global
        .offset:         24
        .size:           8
        .value_kind:     global_buffer
      - .address_space:  global
        .offset:         32
        .size:           8
        .value_kind:     global_buffer
      - .address_space:  global
        .offset:         40
        .size:           8
        .value_kind:     global_buffer
      - .offset:         48
        .size:           4
        .value_kind:     by_value
      - .offset:         52
        .size:           4
        .value_kind:     by_value
      - .offset:         56
        .size:           4
        .value_kind:     by_value
      - .offset:         60
        .size:           4
        .value_kind:     by_value
      - .offset:         64
        .size:           4
        .value_kind:     by_value
      - .offset:         68
        .size:           4
        .value_kind:     by_value
      - .offset:         72
        .size:           4
        .value_kind:     by_value
    .group_segment_fixed_size: 37072
    .kernarg_segment_align: 8
    .kernarg_segment_size: 76
    .language:       OpenCL C
    .language_version:
      - 2
      - 0
    .max_flat_workgroup_size: 256
    .name:           _ZL8moe_q6_KIfLb1EEvPKvS1_PT_PKiS5_S5_iiiiiii
    .private_segment_fixed_size: 0
    .sgpr_count:     25
    .sgpr_spill_count: 0
    .symbol:         _ZL8moe_q6_KIfLb1EEvPKvS1_PT_PKiS5_S5_iiiiiii.kd
    .uniform_work_group_size: 1
    .uses_dynamic_stack: false
    .vgpr_count:     186
    .vgpr_spill_count: 0
    .wavefront_size: 32
    .workgroup_processor_mode: 1
  - .args:
      - .actual_access:  read_only
        .address_space:  global
        .offset:         0
        .size:           8
        .value_kind:     global_buffer
      - .actual_access:  read_only
        .address_space:  global
        .offset:         8
        .size:           8
        .value_kind:     global_buffer
      - .actual_access:  write_only
        .address_space:  global
        .offset:         16
        .size:           8
        .value_kind:     global_buffer
      - .address_space:  global
        .offset:         24
        .size:           8
        .value_kind:     global_buffer
      - .address_space:  global
        .offset:         32
        .size:           8
        .value_kind:     global_buffer
      - .address_space:  global
        .offset:         40
        .size:           8
        .value_kind:     global_buffer
      - .offset:         48
        .size:           4
        .value_kind:     by_value
      - .offset:         52
        .size:           4
        .value_kind:     by_value
      - .offset:         56
        .size:           4
        .value_kind:     by_value
      - .offset:         60
        .size:           4
        .value_kind:     by_value
      - .offset:         64
        .size:           4
        .value_kind:     by_value
      - .offset:         68
        .size:           4
        .value_kind:     by_value
      - .offset:         72
        .size:           4
        .value_kind:     by_value
    .group_segment_fixed_size: 22272
    .kernarg_segment_align: 8
    .kernarg_segment_size: 76
    .language:       OpenCL C
    .language_version:
      - 2
      - 0
    .max_flat_workgroup_size: 256
    .name:           _ZL8moe_q4_0IN3c104HalfELb0EEvPKvS3_PT_PKiS7_S7_iiiiiii
    .private_segment_fixed_size: 0
    .sgpr_count:     22
    .sgpr_spill_count: 0
    .symbol:         _ZL8moe_q4_0IN3c104HalfELb0EEvPKvS3_PT_PKiS7_S7_iiiiiii.kd
    .uniform_work_group_size: 1
    .uses_dynamic_stack: false
    .vgpr_count:     242
    .vgpr_spill_count: 0
    .wavefront_size: 32
    .workgroup_processor_mode: 1
  - .args:
      - .actual_access:  read_only
        .address_space:  global
        .offset:         0
        .size:           8
        .value_kind:     global_buffer
      - .actual_access:  read_only
        .address_space:  global
        .offset:         8
        .size:           8
        .value_kind:     global_buffer
      - .actual_access:  write_only
        .address_space:  global
        .offset:         16
        .size:           8
        .value_kind:     global_buffer
      - .address_space:  global
        .offset:         24
        .size:           8
        .value_kind:     global_buffer
      - .address_space:  global
        .offset:         32
        .size:           8
        .value_kind:     global_buffer
      - .address_space:  global
        .offset:         40
        .size:           8
        .value_kind:     global_buffer
      - .offset:         48
        .size:           4
        .value_kind:     by_value
      - .offset:         52
        .size:           4
        .value_kind:     by_value
      - .offset:         56
        .size:           4
        .value_kind:     by_value
      - .offset:         60
        .size:           4
        .value_kind:     by_value
      - .offset:         64
        .size:           4
        .value_kind:     by_value
      - .offset:         68
        .size:           4
        .value_kind:     by_value
      - .offset:         72
        .size:           4
        .value_kind:     by_value
    .group_segment_fixed_size: 22272
    .kernarg_segment_align: 8
    .kernarg_segment_size: 76
    .language:       OpenCL C
    .language_version:
      - 2
      - 0
    .max_flat_workgroup_size: 256
    .name:           _ZL8moe_q4_0IN3c104HalfELb1EEvPKvS3_PT_PKiS7_S7_iiiiiii
    .private_segment_fixed_size: 0
    .sgpr_count:     22
    .sgpr_spill_count: 0
    .symbol:         _ZL8moe_q4_0IN3c104HalfELb1EEvPKvS3_PT_PKiS7_S7_iiiiiii.kd
    .uniform_work_group_size: 1
    .uses_dynamic_stack: false
    .vgpr_count:     242
    .vgpr_spill_count: 0
    .wavefront_size: 32
    .workgroup_processor_mode: 1
  - .args:
      - .actual_access:  read_only
        .address_space:  global
        .offset:         0
        .size:           8
        .value_kind:     global_buffer
      - .actual_access:  read_only
        .address_space:  global
        .offset:         8
        .size:           8
        .value_kind:     global_buffer
      - .actual_access:  write_only
        .address_space:  global
        .offset:         16
        .size:           8
        .value_kind:     global_buffer
      - .address_space:  global
        .offset:         24
        .size:           8
        .value_kind:     global_buffer
      - .address_space:  global
        .offset:         32
        .size:           8
        .value_kind:     global_buffer
      - .address_space:  global
        .offset:         40
        .size:           8
        .value_kind:     global_buffer
      - .offset:         48
        .size:           4
        .value_kind:     by_value
      - .offset:         52
        .size:           4
        .value_kind:     by_value
      - .offset:         56
        .size:           4
        .value_kind:     by_value
      - .offset:         60
        .size:           4
        .value_kind:     by_value
      - .offset:         64
        .size:           4
        .value_kind:     by_value
      - .offset:         68
        .size:           4
        .value_kind:     by_value
      - .offset:         72
        .size:           4
        .value_kind:     by_value
    .group_segment_fixed_size: 22272
    .kernarg_segment_align: 8
    .kernarg_segment_size: 76
    .language:       OpenCL C
    .language_version:
      - 2
      - 0
    .max_flat_workgroup_size: 256
    .name:           _ZL8moe_q4_1IN3c104HalfELb0EEvPKvS3_PT_PKiS7_S7_iiiiiii
    .private_segment_fixed_size: 0
    .sgpr_count:     22
    .sgpr_spill_count: 0
    .symbol:         _ZL8moe_q4_1IN3c104HalfELb0EEvPKvS3_PT_PKiS7_S7_iiiiiii.kd
    .uniform_work_group_size: 1
    .uses_dynamic_stack: false
    .vgpr_count:     241
    .vgpr_spill_count: 0
    .wavefront_size: 32
    .workgroup_processor_mode: 1
  - .args:
      - .actual_access:  read_only
        .address_space:  global
        .offset:         0
        .size:           8
        .value_kind:     global_buffer
      - .actual_access:  read_only
        .address_space:  global
        .offset:         8
        .size:           8
        .value_kind:     global_buffer
      - .actual_access:  write_only
        .address_space:  global
        .offset:         16
        .size:           8
        .value_kind:     global_buffer
      - .address_space:  global
        .offset:         24
        .size:           8
        .value_kind:     global_buffer
      - .address_space:  global
        .offset:         32
        .size:           8
        .value_kind:     global_buffer
      - .address_space:  global
        .offset:         40
        .size:           8
        .value_kind:     global_buffer
      - .offset:         48
        .size:           4
        .value_kind:     by_value
      - .offset:         52
        .size:           4
        .value_kind:     by_value
      - .offset:         56
        .size:           4
        .value_kind:     by_value
      - .offset:         60
        .size:           4
        .value_kind:     by_value
      - .offset:         64
        .size:           4
        .value_kind:     by_value
      - .offset:         68
        .size:           4
        .value_kind:     by_value
      - .offset:         72
        .size:           4
        .value_kind:     by_value
    .group_segment_fixed_size: 22272
    .kernarg_segment_align: 8
    .kernarg_segment_size: 76
    .language:       OpenCL C
    .language_version:
      - 2
      - 0
    .max_flat_workgroup_size: 256
    .name:           _ZL8moe_q4_1IN3c104HalfELb1EEvPKvS3_PT_PKiS7_S7_iiiiiii
    .private_segment_fixed_size: 0
    .sgpr_count:     22
    .sgpr_spill_count: 0
    .symbol:         _ZL8moe_q4_1IN3c104HalfELb1EEvPKvS3_PT_PKiS7_S7_iiiiiii.kd
    .uniform_work_group_size: 1
    .uses_dynamic_stack: false
    .vgpr_count:     241
    .vgpr_spill_count: 0
    .wavefront_size: 32
    .workgroup_processor_mode: 1
  - .args:
      - .actual_access:  read_only
        .address_space:  global
        .offset:         0
        .size:           8
        .value_kind:     global_buffer
      - .actual_access:  read_only
        .address_space:  global
        .offset:         8
        .size:           8
        .value_kind:     global_buffer
      - .actual_access:  write_only
        .address_space:  global
        .offset:         16
        .size:           8
        .value_kind:     global_buffer
      - .address_space:  global
        .offset:         24
        .size:           8
        .value_kind:     global_buffer
      - .address_space:  global
        .offset:         32
        .size:           8
        .value_kind:     global_buffer
      - .address_space:  global
        .offset:         40
        .size:           8
        .value_kind:     global_buffer
      - .offset:         48
        .size:           4
        .value_kind:     by_value
      - .offset:         52
        .size:           4
        .value_kind:     by_value
      - .offset:         56
        .size:           4
        .value_kind:     by_value
      - .offset:         60
        .size:           4
        .value_kind:     by_value
      - .offset:         64
        .size:           4
        .value_kind:     by_value
      - .offset:         68
        .size:           4
        .value_kind:     by_value
      - .offset:         72
        .size:           4
        .value_kind:     by_value
    .group_segment_fixed_size: 38656
    .kernarg_segment_align: 8
    .kernarg_segment_size: 76
    .language:       OpenCL C
    .language_version:
      - 2
      - 0
    .max_flat_workgroup_size: 256
    .name:           _ZL8moe_q5_0IN3c104HalfELb0EEvPKvS3_PT_PKiS7_S7_iiiiiii
    .private_segment_fixed_size: 0
    .sgpr_count:     22
    .sgpr_spill_count: 0
    .symbol:         _ZL8moe_q5_0IN3c104HalfELb0EEvPKvS3_PT_PKiS7_S7_iiiiiii.kd
    .uniform_work_group_size: 1
    .uses_dynamic_stack: false
    .vgpr_count:     141
    .vgpr_spill_count: 0
    .wavefront_size: 32
    .workgroup_processor_mode: 1
  - .args:
      - .actual_access:  read_only
        .address_space:  global
        .offset:         0
        .size:           8
        .value_kind:     global_buffer
      - .actual_access:  read_only
        .address_space:  global
        .offset:         8
        .size:           8
        .value_kind:     global_buffer
      - .actual_access:  write_only
        .address_space:  global
        .offset:         16
        .size:           8
        .value_kind:     global_buffer
      - .address_space:  global
        .offset:         24
        .size:           8
        .value_kind:     global_buffer
      - .address_space:  global
        .offset:         32
        .size:           8
        .value_kind:     global_buffer
      - .address_space:  global
        .offset:         40
        .size:           8
        .value_kind:     global_buffer
      - .offset:         48
        .size:           4
        .value_kind:     by_value
      - .offset:         52
        .size:           4
        .value_kind:     by_value
      - .offset:         56
        .size:           4
        .value_kind:     by_value
      - .offset:         60
        .size:           4
        .value_kind:     by_value
      - .offset:         64
        .size:           4
        .value_kind:     by_value
      - .offset:         68
        .size:           4
        .value_kind:     by_value
      - .offset:         72
        .size:           4
        .value_kind:     by_value
    .group_segment_fixed_size: 38656
    .kernarg_segment_align: 8
    .kernarg_segment_size: 76
    .language:       OpenCL C
    .language_version:
      - 2
      - 0
    .max_flat_workgroup_size: 256
    .name:           _ZL8moe_q5_0IN3c104HalfELb1EEvPKvS3_PT_PKiS7_S7_iiiiiii
    .private_segment_fixed_size: 0
    .sgpr_count:     23
    .sgpr_spill_count: 0
    .symbol:         _ZL8moe_q5_0IN3c104HalfELb1EEvPKvS3_PT_PKiS7_S7_iiiiiii.kd
    .uniform_work_group_size: 1
    .uses_dynamic_stack: false
    .vgpr_count:     142
    .vgpr_spill_count: 0
    .wavefront_size: 32
    .workgroup_processor_mode: 1
  - .args:
      - .actual_access:  read_only
        .address_space:  global
        .offset:         0
        .size:           8
        .value_kind:     global_buffer
      - .actual_access:  read_only
        .address_space:  global
        .offset:         8
        .size:           8
        .value_kind:     global_buffer
      - .actual_access:  write_only
        .address_space:  global
        .offset:         16
        .size:           8
        .value_kind:     global_buffer
      - .address_space:  global
        .offset:         24
        .size:           8
        .value_kind:     global_buffer
      - .address_space:  global
        .offset:         32
        .size:           8
        .value_kind:     global_buffer
      - .address_space:  global
        .offset:         40
        .size:           8
        .value_kind:     global_buffer
      - .offset:         48
        .size:           4
        .value_kind:     by_value
      - .offset:         52
        .size:           4
        .value_kind:     by_value
      - .offset:         56
        .size:           4
        .value_kind:     by_value
      - .offset:         60
        .size:           4
        .value_kind:     by_value
      - .offset:         64
        .size:           4
        .value_kind:     by_value
      - .offset:         68
        .size:           4
        .value_kind:     by_value
      - .offset:         72
        .size:           4
        .value_kind:     by_value
    .group_segment_fixed_size: 38656
    .kernarg_segment_align: 8
    .kernarg_segment_size: 76
    .language:       OpenCL C
    .language_version:
      - 2
      - 0
    .max_flat_workgroup_size: 256
    .name:           _ZL8moe_q5_1IN3c104HalfELb0EEvPKvS3_PT_PKiS7_S7_iiiiiii
    .private_segment_fixed_size: 0
    .sgpr_count:     22
    .sgpr_spill_count: 0
    .symbol:         _ZL8moe_q5_1IN3c104HalfELb0EEvPKvS3_PT_PKiS7_S7_iiiiiii.kd
    .uniform_work_group_size: 1
    .uses_dynamic_stack: false
    .vgpr_count:     177
    .vgpr_spill_count: 0
    .wavefront_size: 32
    .workgroup_processor_mode: 1
  - .args:
      - .actual_access:  read_only
        .address_space:  global
        .offset:         0
        .size:           8
        .value_kind:     global_buffer
      - .actual_access:  read_only
        .address_space:  global
        .offset:         8
        .size:           8
        .value_kind:     global_buffer
      - .actual_access:  write_only
        .address_space:  global
        .offset:         16
        .size:           8
        .value_kind:     global_buffer
      - .address_space:  global
        .offset:         24
        .size:           8
        .value_kind:     global_buffer
      - .address_space:  global
        .offset:         32
        .size:           8
        .value_kind:     global_buffer
      - .address_space:  global
        .offset:         40
        .size:           8
        .value_kind:     global_buffer
      - .offset:         48
        .size:           4
        .value_kind:     by_value
      - .offset:         52
        .size:           4
        .value_kind:     by_value
      - .offset:         56
        .size:           4
        .value_kind:     by_value
      - .offset:         60
        .size:           4
        .value_kind:     by_value
      - .offset:         64
        .size:           4
        .value_kind:     by_value
      - .offset:         68
        .size:           4
        .value_kind:     by_value
      - .offset:         72
        .size:           4
        .value_kind:     by_value
    .group_segment_fixed_size: 38656
    .kernarg_segment_align: 8
    .kernarg_segment_size: 76
    .language:       OpenCL C
    .language_version:
      - 2
      - 0
    .max_flat_workgroup_size: 256
    .name:           _ZL8moe_q5_1IN3c104HalfELb1EEvPKvS3_PT_PKiS7_S7_iiiiiii
    .private_segment_fixed_size: 0
    .sgpr_count:     23
    .sgpr_spill_count: 0
    .symbol:         _ZL8moe_q5_1IN3c104HalfELb1EEvPKvS3_PT_PKiS7_S7_iiiiiii.kd
    .uniform_work_group_size: 1
    .uses_dynamic_stack: false
    .vgpr_count:     177
    .vgpr_spill_count: 0
    .wavefront_size: 32
    .workgroup_processor_mode: 1
  - .args:
      - .actual_access:  read_only
        .address_space:  global
        .offset:         0
        .size:           8
        .value_kind:     global_buffer
      - .actual_access:  read_only
        .address_space:  global
        .offset:         8
        .size:           8
        .value_kind:     global_buffer
      - .actual_access:  write_only
        .address_space:  global
        .offset:         16
        .size:           8
        .value_kind:     global_buffer
      - .address_space:  global
        .offset:         24
        .size:           8
        .value_kind:     global_buffer
      - .address_space:  global
        .offset:         32
        .size:           8
        .value_kind:     global_buffer
      - .address_space:  global
        .offset:         40
        .size:           8
        .value_kind:     global_buffer
      - .offset:         48
        .size:           4
        .value_kind:     by_value
      - .offset:         52
        .size:           4
        .value_kind:     by_value
      - .offset:         56
        .size:           4
        .value_kind:     by_value
      - .offset:         60
        .size:           4
        .value_kind:     by_value
      - .offset:         64
        .size:           4
        .value_kind:     by_value
      - .offset:         68
        .size:           4
        .value_kind:     by_value
      - .offset:         72
        .size:           4
        .value_kind:     by_value
    .group_segment_fixed_size: 20160
    .kernarg_segment_align: 8
    .kernarg_segment_size: 76
    .language:       OpenCL C
    .language_version:
      - 2
      - 0
    .max_flat_workgroup_size: 256
    .name:           _ZL8moe_q8_0IN3c104HalfELb0EEvPKvS3_PT_PKiS7_S7_iiiiiii
    .private_segment_fixed_size: 0
    .sgpr_count:     20
    .sgpr_spill_count: 0
    .symbol:         _ZL8moe_q8_0IN3c104HalfELb0EEvPKvS3_PT_PKiS7_S7_iiiiiii.kd
    .uniform_work_group_size: 1
    .uses_dynamic_stack: false
    .vgpr_count:     109
    .vgpr_spill_count: 0
    .wavefront_size: 32
    .workgroup_processor_mode: 1
  - .args:
      - .actual_access:  read_only
        .address_space:  global
        .offset:         0
        .size:           8
        .value_kind:     global_buffer
      - .actual_access:  read_only
        .address_space:  global
        .offset:         8
        .size:           8
        .value_kind:     global_buffer
      - .actual_access:  write_only
        .address_space:  global
        .offset:         16
        .size:           8
        .value_kind:     global_buffer
      - .address_space:  global
        .offset:         24
        .size:           8
        .value_kind:     global_buffer
      - .address_space:  global
        .offset:         32
        .size:           8
        .value_kind:     global_buffer
      - .address_space:  global
        .offset:         40
        .size:           8
        .value_kind:     global_buffer
      - .offset:         48
        .size:           4
        .value_kind:     by_value
      - .offset:         52
        .size:           4
        .value_kind:     by_value
      - .offset:         56
        .size:           4
        .value_kind:     by_value
      - .offset:         60
        .size:           4
        .value_kind:     by_value
      - .offset:         64
        .size:           4
        .value_kind:     by_value
      - .offset:         68
        .size:           4
        .value_kind:     by_value
      - .offset:         72
        .size:           4
        .value_kind:     by_value
    .group_segment_fixed_size: 20160
    .kernarg_segment_align: 8
    .kernarg_segment_size: 76
    .language:       OpenCL C
    .language_version:
      - 2
      - 0
    .max_flat_workgroup_size: 256
    .name:           _ZL8moe_q8_0IN3c104HalfELb1EEvPKvS3_PT_PKiS7_S7_iiiiiii
    .private_segment_fixed_size: 0
    .sgpr_count:     22
    .sgpr_spill_count: 0
    .symbol:         _ZL8moe_q8_0IN3c104HalfELb1EEvPKvS3_PT_PKiS7_S7_iiiiiii.kd
    .uniform_work_group_size: 1
    .uses_dynamic_stack: false
    .vgpr_count:     109
    .vgpr_spill_count: 0
    .wavefront_size: 32
    .workgroup_processor_mode: 1
  - .args:
      - .actual_access:  read_only
        .address_space:  global
        .offset:         0
        .size:           8
        .value_kind:     global_buffer
      - .actual_access:  read_only
        .address_space:  global
        .offset:         8
        .size:           8
        .value_kind:     global_buffer
      - .actual_access:  write_only
        .address_space:  global
        .offset:         16
        .size:           8
        .value_kind:     global_buffer
      - .address_space:  global
        .offset:         24
        .size:           8
        .value_kind:     global_buffer
      - .address_space:  global
        .offset:         32
        .size:           8
        .value_kind:     global_buffer
      - .address_space:  global
        .offset:         40
        .size:           8
        .value_kind:     global_buffer
      - .offset:         48
        .size:           4
        .value_kind:     by_value
      - .offset:         52
        .size:           4
        .value_kind:     by_value
      - .offset:         56
        .size:           4
        .value_kind:     by_value
      - .offset:         60
        .size:           4
        .value_kind:     by_value
      - .offset:         64
        .size:           4
        .value_kind:     by_value
      - .offset:         68
        .size:           4
        .value_kind:     by_value
      - .offset:         72
        .size:           4
        .value_kind:     by_value
    .group_segment_fixed_size: 23328
    .kernarg_segment_align: 8
    .kernarg_segment_size: 76
    .language:       OpenCL C
    .language_version:
      - 2
      - 0
    .max_flat_workgroup_size: 256
    .name:           _ZL8moe_q2_KIN3c104HalfELb0EEvPKvS3_PT_PKiS7_S7_iiiiiii
    .private_segment_fixed_size: 100
    .sgpr_count:     32
    .sgpr_spill_count: 0
    .symbol:         _ZL8moe_q2_KIN3c104HalfELb0EEvPKvS3_PT_PKiS7_S7_iiiiiii.kd
    .uniform_work_group_size: 1
    .uses_dynamic_stack: false
    .vgpr_count:     256
    .vgpr_spill_count: 24
    .wavefront_size: 32
    .workgroup_processor_mode: 1
  - .args:
      - .actual_access:  read_only
        .address_space:  global
        .offset:         0
        .size:           8
        .value_kind:     global_buffer
      - .actual_access:  read_only
        .address_space:  global
        .offset:         8
        .size:           8
        .value_kind:     global_buffer
      - .actual_access:  write_only
        .address_space:  global
        .offset:         16
        .size:           8
        .value_kind:     global_buffer
      - .address_space:  global
        .offset:         24
        .size:           8
        .value_kind:     global_buffer
      - .address_space:  global
        .offset:         32
        .size:           8
        .value_kind:     global_buffer
      - .address_space:  global
        .offset:         40
        .size:           8
        .value_kind:     global_buffer
      - .offset:         48
        .size:           4
        .value_kind:     by_value
      - .offset:         52
        .size:           4
        .value_kind:     by_value
      - .offset:         56
        .size:           4
        .value_kind:     by_value
      - .offset:         60
        .size:           4
        .value_kind:     by_value
      - .offset:         64
        .size:           4
        .value_kind:     by_value
      - .offset:         68
        .size:           4
        .value_kind:     by_value
      - .offset:         72
        .size:           4
        .value_kind:     by_value
    .group_segment_fixed_size: 23328
    .kernarg_segment_align: 8
    .kernarg_segment_size: 76
    .language:       OpenCL C
    .language_version:
      - 2
      - 0
    .max_flat_workgroup_size: 256
    .name:           _ZL8moe_q2_KIN3c104HalfELb1EEvPKvS3_PT_PKiS7_S7_iiiiiii
    .private_segment_fixed_size: 108
    .sgpr_count:     32
    .sgpr_spill_count: 0
    .symbol:         _ZL8moe_q2_KIN3c104HalfELb1EEvPKvS3_PT_PKiS7_S7_iiiiiii.kd
    .uniform_work_group_size: 1
    .uses_dynamic_stack: false
    .vgpr_count:     256
    .vgpr_spill_count: 26
    .wavefront_size: 32
    .workgroup_processor_mode: 1
  - .args:
      - .actual_access:  read_only
        .address_space:  global
        .offset:         0
        .size:           8
        .value_kind:     global_buffer
      - .actual_access:  read_only
        .address_space:  global
        .offset:         8
        .size:           8
        .value_kind:     global_buffer
      - .actual_access:  write_only
        .address_space:  global
        .offset:         16
        .size:           8
        .value_kind:     global_buffer
      - .address_space:  global
        .offset:         24
        .size:           8
        .value_kind:     global_buffer
      - .address_space:  global
        .offset:         32
        .size:           8
        .value_kind:     global_buffer
      - .address_space:  global
        .offset:         40
        .size:           8
        .value_kind:     global_buffer
      - .offset:         48
        .size:           4
        .value_kind:     by_value
      - .offset:         52
        .size:           4
        .value_kind:     by_value
      - .offset:         56
        .size:           4
        .value_kind:     by_value
      - .offset:         60
        .size:           4
        .value_kind:     by_value
      - .offset:         64
        .size:           4
        .value_kind:     by_value
      - .offset:         68
        .size:           4
        .value_kind:     by_value
      - .offset:         72
        .size:           4
        .value_kind:     by_value
    .group_segment_fixed_size: 31776
    .kernarg_segment_align: 8
    .kernarg_segment_size: 76
    .language:       OpenCL C
    .language_version:
      - 2
      - 0
    .max_flat_workgroup_size: 256
    .name:           _ZL8moe_q3_KIN3c104HalfELb0EEvPKvS3_PT_PKiS7_S7_iiiiiii
    .private_segment_fixed_size: 0
    .sgpr_count:     33
    .sgpr_spill_count: 0
    .symbol:         _ZL8moe_q3_KIN3c104HalfELb0EEvPKvS3_PT_PKiS7_S7_iiiiiii.kd
    .uniform_work_group_size: 1
    .uses_dynamic_stack: false
    .vgpr_count:     195
    .vgpr_spill_count: 0
    .wavefront_size: 32
    .workgroup_processor_mode: 1
  - .args:
      - .actual_access:  read_only
        .address_space:  global
        .offset:         0
        .size:           8
        .value_kind:     global_buffer
      - .actual_access:  read_only
        .address_space:  global
        .offset:         8
        .size:           8
        .value_kind:     global_buffer
      - .actual_access:  write_only
        .address_space:  global
        .offset:         16
        .size:           8
        .value_kind:     global_buffer
      - .address_space:  global
        .offset:         24
        .size:           8
        .value_kind:     global_buffer
      - .address_space:  global
        .offset:         32
        .size:           8
        .value_kind:     global_buffer
      - .address_space:  global
        .offset:         40
        .size:           8
        .value_kind:     global_buffer
      - .offset:         48
        .size:           4
        .value_kind:     by_value
      - .offset:         52
        .size:           4
        .value_kind:     by_value
      - .offset:         56
        .size:           4
        .value_kind:     by_value
      - .offset:         60
        .size:           4
        .value_kind:     by_value
      - .offset:         64
        .size:           4
        .value_kind:     by_value
      - .offset:         68
        .size:           4
        .value_kind:     by_value
      - .offset:         72
        .size:           4
        .value_kind:     by_value
    .group_segment_fixed_size: 31776
    .kernarg_segment_align: 8
    .kernarg_segment_size: 76
    .language:       OpenCL C
    .language_version:
      - 2
      - 0
    .max_flat_workgroup_size: 256
    .name:           _ZL8moe_q3_KIN3c104HalfELb1EEvPKvS3_PT_PKiS7_S7_iiiiiii
    .private_segment_fixed_size: 0
    .sgpr_count:     33
    .sgpr_spill_count: 0
    .symbol:         _ZL8moe_q3_KIN3c104HalfELb1EEvPKvS3_PT_PKiS7_S7_iiiiiii.kd
    .uniform_work_group_size: 1
    .uses_dynamic_stack: false
    .vgpr_count:     195
    .vgpr_spill_count: 0
    .wavefront_size: 32
    .workgroup_processor_mode: 1
  - .args:
      - .actual_access:  read_only
        .address_space:  global
        .offset:         0
        .size:           8
        .value_kind:     global_buffer
      - .actual_access:  read_only
        .address_space:  global
        .offset:         8
        .size:           8
        .value_kind:     global_buffer
      - .actual_access:  write_only
        .address_space:  global
        .offset:         16
        .size:           8
        .value_kind:     global_buffer
      - .address_space:  global
        .offset:         24
        .size:           8
        .value_kind:     global_buffer
      - .address_space:  global
        .offset:         32
        .size:           8
        .value_kind:     global_buffer
      - .address_space:  global
        .offset:         40
        .size:           8
        .value_kind:     global_buffer
      - .offset:         48
        .size:           4
        .value_kind:     by_value
      - .offset:         52
        .size:           4
        .value_kind:     by_value
      - .offset:         56
        .size:           4
        .value_kind:     by_value
      - .offset:         60
        .size:           4
        .value_kind:     by_value
      - .offset:         64
        .size:           4
        .value_kind:     by_value
      - .offset:         68
        .size:           4
        .value_kind:     by_value
      - .offset:         72
        .size:           4
        .value_kind:     by_value
    .group_segment_fixed_size: 20688
    .kernarg_segment_align: 8
    .kernarg_segment_size: 76
    .language:       OpenCL C
    .language_version:
      - 2
      - 0
    .max_flat_workgroup_size: 256
    .name:           _ZL8moe_q4_KIN3c104HalfELb0EEvPKvS3_PT_PKiS7_S7_iiiiiii
    .private_segment_fixed_size: 176
    .sgpr_count:     25
    .sgpr_spill_count: 0
    .symbol:         _ZL8moe_q4_KIN3c104HalfELb0EEvPKvS3_PT_PKiS7_S7_iiiiiii.kd
    .uniform_work_group_size: 1
    .uses_dynamic_stack: false
    .vgpr_count:     256
    .vgpr_spill_count: 43
    .wavefront_size: 32
    .workgroup_processor_mode: 1
  - .args:
      - .actual_access:  read_only
        .address_space:  global
        .offset:         0
        .size:           8
        .value_kind:     global_buffer
      - .actual_access:  read_only
        .address_space:  global
        .offset:         8
        .size:           8
        .value_kind:     global_buffer
      - .actual_access:  write_only
        .address_space:  global
        .offset:         16
        .size:           8
        .value_kind:     global_buffer
      - .address_space:  global
        .offset:         24
        .size:           8
        .value_kind:     global_buffer
      - .address_space:  global
        .offset:         32
        .size:           8
        .value_kind:     global_buffer
      - .address_space:  global
        .offset:         40
        .size:           8
        .value_kind:     global_buffer
      - .offset:         48
        .size:           4
        .value_kind:     by_value
      - .offset:         52
        .size:           4
        .value_kind:     by_value
      - .offset:         56
        .size:           4
        .value_kind:     by_value
      - .offset:         60
        .size:           4
        .value_kind:     by_value
      - .offset:         64
        .size:           4
        .value_kind:     by_value
      - .offset:         68
        .size:           4
        .value_kind:     by_value
      - .offset:         72
        .size:           4
        .value_kind:     by_value
    .group_segment_fixed_size: 20688
    .kernarg_segment_align: 8
    .kernarg_segment_size: 76
    .language:       OpenCL C
    .language_version:
      - 2
      - 0
    .max_flat_workgroup_size: 256
    .name:           _ZL8moe_q4_KIN3c104HalfELb1EEvPKvS3_PT_PKiS7_S7_iiiiiii
    .private_segment_fixed_size: 208
    .sgpr_count:     25
    .sgpr_spill_count: 0
    .symbol:         _ZL8moe_q4_KIN3c104HalfELb1EEvPKvS3_PT_PKiS7_S7_iiiiiii.kd
    .uniform_work_group_size: 1
    .uses_dynamic_stack: false
    .vgpr_count:     256
    .vgpr_spill_count: 51
    .wavefront_size: 32
    .workgroup_processor_mode: 1
  - .args:
      - .actual_access:  read_only
        .address_space:  global
        .offset:         0
        .size:           8
        .value_kind:     global_buffer
      - .actual_access:  read_only
        .address_space:  global
        .offset:         8
        .size:           8
        .value_kind:     global_buffer
      - .actual_access:  write_only
        .address_space:  global
        .offset:         16
        .size:           8
        .value_kind:     global_buffer
      - .address_space:  global
        .offset:         24
        .size:           8
        .value_kind:     global_buffer
      - .address_space:  global
        .offset:         32
        .size:           8
        .value_kind:     global_buffer
      - .address_space:  global
        .offset:         40
        .size:           8
        .value_kind:     global_buffer
      - .offset:         48
        .size:           4
        .value_kind:     by_value
      - .offset:         52
        .size:           4
        .value_kind:     by_value
      - .offset:         56
        .size:           4
        .value_kind:     by_value
      - .offset:         60
        .size:           4
        .value_kind:     by_value
      - .offset:         64
        .size:           4
        .value_kind:     by_value
      - .offset:         68
        .size:           4
        .value_kind:     by_value
      - .offset:         72
        .size:           4
        .value_kind:     by_value
    .group_segment_fixed_size: 37072
    .kernarg_segment_align: 8
    .kernarg_segment_size: 76
    .language:       OpenCL C
    .language_version:
      - 2
      - 0
    .max_flat_workgroup_size: 256
    .name:           _ZL8moe_q5_KIN3c104HalfELb0EEvPKvS3_PT_PKiS7_S7_iiiiiii
    .private_segment_fixed_size: 0
    .sgpr_count:     25
    .sgpr_spill_count: 0
    .symbol:         _ZL8moe_q5_KIN3c104HalfELb0EEvPKvS3_PT_PKiS7_S7_iiiiiii.kd
    .uniform_work_group_size: 1
    .uses_dynamic_stack: false
    .vgpr_count:     189
    .vgpr_spill_count: 0
    .wavefront_size: 32
    .workgroup_processor_mode: 1
  - .args:
      - .actual_access:  read_only
        .address_space:  global
        .offset:         0
        .size:           8
        .value_kind:     global_buffer
      - .actual_access:  read_only
        .address_space:  global
        .offset:         8
        .size:           8
        .value_kind:     global_buffer
      - .actual_access:  write_only
        .address_space:  global
        .offset:         16
        .size:           8
        .value_kind:     global_buffer
      - .address_space:  global
        .offset:         24
        .size:           8
        .value_kind:     global_buffer
      - .address_space:  global
        .offset:         32
        .size:           8
        .value_kind:     global_buffer
      - .address_space:  global
        .offset:         40
        .size:           8
        .value_kind:     global_buffer
      - .offset:         48
        .size:           4
        .value_kind:     by_value
      - .offset:         52
        .size:           4
        .value_kind:     by_value
      - .offset:         56
        .size:           4
        .value_kind:     by_value
      - .offset:         60
        .size:           4
        .value_kind:     by_value
      - .offset:         64
        .size:           4
        .value_kind:     by_value
      - .offset:         68
        .size:           4
        .value_kind:     by_value
      - .offset:         72
        .size:           4
        .value_kind:     by_value
    .group_segment_fixed_size: 37072
    .kernarg_segment_align: 8
    .kernarg_segment_size: 76
    .language:       OpenCL C
    .language_version:
      - 2
      - 0
    .max_flat_workgroup_size: 256
    .name:           _ZL8moe_q5_KIN3c104HalfELb1EEvPKvS3_PT_PKiS7_S7_iiiiiii
    .private_segment_fixed_size: 0
    .sgpr_count:     25
    .sgpr_spill_count: 0
    .symbol:         _ZL8moe_q5_KIN3c104HalfELb1EEvPKvS3_PT_PKiS7_S7_iiiiiii.kd
    .uniform_work_group_size: 1
    .uses_dynamic_stack: false
    .vgpr_count:     188
    .vgpr_spill_count: 0
    .wavefront_size: 32
    .workgroup_processor_mode: 1
  - .args:
      - .actual_access:  read_only
        .address_space:  global
        .offset:         0
        .size:           8
        .value_kind:     global_buffer
      - .actual_access:  read_only
        .address_space:  global
        .offset:         8
        .size:           8
        .value_kind:     global_buffer
      - .actual_access:  write_only
        .address_space:  global
        .offset:         16
        .size:           8
        .value_kind:     global_buffer
      - .address_space:  global
        .offset:         24
        .size:           8
        .value_kind:     global_buffer
      - .address_space:  global
        .offset:         32
        .size:           8
        .value_kind:     global_buffer
      - .address_space:  global
        .offset:         40
        .size:           8
        .value_kind:     global_buffer
      - .offset:         48
        .size:           4
        .value_kind:     by_value
      - .offset:         52
        .size:           4
        .value_kind:     by_value
      - .offset:         56
        .size:           4
        .value_kind:     by_value
      - .offset:         60
        .size:           4
        .value_kind:     by_value
      - .offset:         64
        .size:           4
        .value_kind:     by_value
      - .offset:         68
        .size:           4
        .value_kind:     by_value
      - .offset:         72
        .size:           4
        .value_kind:     by_value
    .group_segment_fixed_size: 37072
    .kernarg_segment_align: 8
    .kernarg_segment_size: 76
    .language:       OpenCL C
    .language_version:
      - 2
      - 0
    .max_flat_workgroup_size: 256
    .name:           _ZL8moe_q6_KIN3c104HalfELb0EEvPKvS3_PT_PKiS7_S7_iiiiiii
    .private_segment_fixed_size: 0
    .sgpr_count:     25
    .sgpr_spill_count: 0
    .symbol:         _ZL8moe_q6_KIN3c104HalfELb0EEvPKvS3_PT_PKiS7_S7_iiiiiii.kd
    .uniform_work_group_size: 1
    .uses_dynamic_stack: false
    .vgpr_count:     186
    .vgpr_spill_count: 0
    .wavefront_size: 32
    .workgroup_processor_mode: 1
  - .args:
      - .actual_access:  read_only
        .address_space:  global
        .offset:         0
        .size:           8
        .value_kind:     global_buffer
      - .actual_access:  read_only
        .address_space:  global
        .offset:         8
        .size:           8
        .value_kind:     global_buffer
      - .actual_access:  write_only
        .address_space:  global
        .offset:         16
        .size:           8
        .value_kind:     global_buffer
      - .address_space:  global
        .offset:         24
        .size:           8
        .value_kind:     global_buffer
      - .address_space:  global
        .offset:         32
        .size:           8
        .value_kind:     global_buffer
      - .address_space:  global
        .offset:         40
        .size:           8
        .value_kind:     global_buffer
      - .offset:         48
        .size:           4
        .value_kind:     by_value
      - .offset:         52
        .size:           4
        .value_kind:     by_value
      - .offset:         56
        .size:           4
        .value_kind:     by_value
      - .offset:         60
        .size:           4
        .value_kind:     by_value
      - .offset:         64
        .size:           4
        .value_kind:     by_value
      - .offset:         68
        .size:           4
        .value_kind:     by_value
      - .offset:         72
        .size:           4
        .value_kind:     by_value
    .group_segment_fixed_size: 37072
    .kernarg_segment_align: 8
    .kernarg_segment_size: 76
    .language:       OpenCL C
    .language_version:
      - 2
      - 0
    .max_flat_workgroup_size: 256
    .name:           _ZL8moe_q6_KIN3c104HalfELb1EEvPKvS3_PT_PKiS7_S7_iiiiiii
    .private_segment_fixed_size: 0
    .sgpr_count:     25
    .sgpr_spill_count: 0
    .symbol:         _ZL8moe_q6_KIN3c104HalfELb1EEvPKvS3_PT_PKiS7_S7_iiiiiii.kd
    .uniform_work_group_size: 1
    .uses_dynamic_stack: false
    .vgpr_count:     186
    .vgpr_spill_count: 0
    .wavefront_size: 32
    .workgroup_processor_mode: 1
  - .args:
      - .actual_access:  read_only
        .address_space:  global
        .offset:         0
        .size:           8
        .value_kind:     global_buffer
      - .actual_access:  read_only
        .address_space:  global
        .offset:         8
        .size:           8
        .value_kind:     global_buffer
      - .actual_access:  write_only
        .address_space:  global
        .offset:         16
        .size:           8
        .value_kind:     global_buffer
      - .address_space:  global
        .offset:         24
        .size:           8
        .value_kind:     global_buffer
      - .address_space:  global
        .offset:         32
        .size:           8
        .value_kind:     global_buffer
      - .address_space:  global
        .offset:         40
        .size:           8
        .value_kind:     global_buffer
      - .offset:         48
        .size:           4
        .value_kind:     by_value
      - .offset:         52
        .size:           4
        .value_kind:     by_value
      - .offset:         56
        .size:           4
        .value_kind:     by_value
      - .offset:         60
        .size:           4
        .value_kind:     by_value
      - .offset:         64
        .size:           4
        .value_kind:     by_value
      - .offset:         68
        .size:           4
        .value_kind:     by_value
      - .offset:         72
        .size:           4
        .value_kind:     by_value
    .group_segment_fixed_size: 22272
    .kernarg_segment_align: 8
    .kernarg_segment_size: 76
    .language:       OpenCL C
    .language_version:
      - 2
      - 0
    .max_flat_workgroup_size: 256
    .name:           _ZL8moe_q4_0IN3c108BFloat16ELb0EEvPKvS3_PT_PKiS7_S7_iiiiiii
    .private_segment_fixed_size: 0
    .sgpr_count:     22
    .sgpr_spill_count: 0
    .symbol:         _ZL8moe_q4_0IN3c108BFloat16ELb0EEvPKvS3_PT_PKiS7_S7_iiiiiii.kd
    .uniform_work_group_size: 1
    .uses_dynamic_stack: false
    .vgpr_count:     242
    .vgpr_spill_count: 0
    .wavefront_size: 32
    .workgroup_processor_mode: 1
  - .args:
      - .actual_access:  read_only
        .address_space:  global
        .offset:         0
        .size:           8
        .value_kind:     global_buffer
      - .actual_access:  read_only
        .address_space:  global
        .offset:         8
        .size:           8
        .value_kind:     global_buffer
      - .actual_access:  write_only
        .address_space:  global
        .offset:         16
        .size:           8
        .value_kind:     global_buffer
      - .address_space:  global
        .offset:         24
        .size:           8
        .value_kind:     global_buffer
      - .address_space:  global
        .offset:         32
        .size:           8
        .value_kind:     global_buffer
      - .address_space:  global
        .offset:         40
        .size:           8
        .value_kind:     global_buffer
      - .offset:         48
        .size:           4
        .value_kind:     by_value
      - .offset:         52
        .size:           4
        .value_kind:     by_value
      - .offset:         56
        .size:           4
        .value_kind:     by_value
      - .offset:         60
        .size:           4
        .value_kind:     by_value
      - .offset:         64
        .size:           4
        .value_kind:     by_value
      - .offset:         68
        .size:           4
        .value_kind:     by_value
      - .offset:         72
        .size:           4
        .value_kind:     by_value
    .group_segment_fixed_size: 22272
    .kernarg_segment_align: 8
    .kernarg_segment_size: 76
    .language:       OpenCL C
    .language_version:
      - 2
      - 0
    .max_flat_workgroup_size: 256
    .name:           _ZL8moe_q4_0IN3c108BFloat16ELb1EEvPKvS3_PT_PKiS7_S7_iiiiiii
    .private_segment_fixed_size: 0
    .sgpr_count:     22
    .sgpr_spill_count: 0
    .symbol:         _ZL8moe_q4_0IN3c108BFloat16ELb1EEvPKvS3_PT_PKiS7_S7_iiiiiii.kd
    .uniform_work_group_size: 1
    .uses_dynamic_stack: false
    .vgpr_count:     242
    .vgpr_spill_count: 0
    .wavefront_size: 32
    .workgroup_processor_mode: 1
  - .args:
      - .actual_access:  read_only
        .address_space:  global
        .offset:         0
        .size:           8
        .value_kind:     global_buffer
      - .actual_access:  read_only
        .address_space:  global
        .offset:         8
        .size:           8
        .value_kind:     global_buffer
      - .actual_access:  write_only
        .address_space:  global
        .offset:         16
        .size:           8
        .value_kind:     global_buffer
      - .address_space:  global
        .offset:         24
        .size:           8
        .value_kind:     global_buffer
      - .address_space:  global
        .offset:         32
        .size:           8
        .value_kind:     global_buffer
      - .address_space:  global
        .offset:         40
        .size:           8
        .value_kind:     global_buffer
      - .offset:         48
        .size:           4
        .value_kind:     by_value
      - .offset:         52
        .size:           4
        .value_kind:     by_value
      - .offset:         56
        .size:           4
        .value_kind:     by_value
      - .offset:         60
        .size:           4
        .value_kind:     by_value
      - .offset:         64
        .size:           4
        .value_kind:     by_value
      - .offset:         68
        .size:           4
        .value_kind:     by_value
      - .offset:         72
        .size:           4
        .value_kind:     by_value
    .group_segment_fixed_size: 22272
    .kernarg_segment_align: 8
    .kernarg_segment_size: 76
    .language:       OpenCL C
    .language_version:
      - 2
      - 0
    .max_flat_workgroup_size: 256
    .name:           _ZL8moe_q4_1IN3c108BFloat16ELb0EEvPKvS3_PT_PKiS7_S7_iiiiiii
    .private_segment_fixed_size: 0
    .sgpr_count:     22
    .sgpr_spill_count: 0
    .symbol:         _ZL8moe_q4_1IN3c108BFloat16ELb0EEvPKvS3_PT_PKiS7_S7_iiiiiii.kd
    .uniform_work_group_size: 1
    .uses_dynamic_stack: false
    .vgpr_count:     241
    .vgpr_spill_count: 0
    .wavefront_size: 32
    .workgroup_processor_mode: 1
  - .args:
      - .actual_access:  read_only
        .address_space:  global
        .offset:         0
        .size:           8
        .value_kind:     global_buffer
      - .actual_access:  read_only
        .address_space:  global
        .offset:         8
        .size:           8
        .value_kind:     global_buffer
      - .actual_access:  write_only
        .address_space:  global
        .offset:         16
        .size:           8
        .value_kind:     global_buffer
      - .address_space:  global
        .offset:         24
        .size:           8
        .value_kind:     global_buffer
      - .address_space:  global
        .offset:         32
        .size:           8
        .value_kind:     global_buffer
      - .address_space:  global
        .offset:         40
        .size:           8
        .value_kind:     global_buffer
      - .offset:         48
        .size:           4
        .value_kind:     by_value
      - .offset:         52
        .size:           4
        .value_kind:     by_value
      - .offset:         56
        .size:           4
        .value_kind:     by_value
      - .offset:         60
        .size:           4
        .value_kind:     by_value
      - .offset:         64
        .size:           4
        .value_kind:     by_value
      - .offset:         68
        .size:           4
        .value_kind:     by_value
      - .offset:         72
        .size:           4
        .value_kind:     by_value
    .group_segment_fixed_size: 22272
    .kernarg_segment_align: 8
    .kernarg_segment_size: 76
    .language:       OpenCL C
    .language_version:
      - 2
      - 0
    .max_flat_workgroup_size: 256
    .name:           _ZL8moe_q4_1IN3c108BFloat16ELb1EEvPKvS3_PT_PKiS7_S7_iiiiiii
    .private_segment_fixed_size: 0
    .sgpr_count:     22
    .sgpr_spill_count: 0
    .symbol:         _ZL8moe_q4_1IN3c108BFloat16ELb1EEvPKvS3_PT_PKiS7_S7_iiiiiii.kd
    .uniform_work_group_size: 1
    .uses_dynamic_stack: false
    .vgpr_count:     241
    .vgpr_spill_count: 0
    .wavefront_size: 32
    .workgroup_processor_mode: 1
  - .args:
      - .actual_access:  read_only
        .address_space:  global
        .offset:         0
        .size:           8
        .value_kind:     global_buffer
      - .actual_access:  read_only
        .address_space:  global
        .offset:         8
        .size:           8
        .value_kind:     global_buffer
      - .actual_access:  write_only
        .address_space:  global
        .offset:         16
        .size:           8
        .value_kind:     global_buffer
      - .address_space:  global
        .offset:         24
        .size:           8
        .value_kind:     global_buffer
      - .address_space:  global
        .offset:         32
        .size:           8
        .value_kind:     global_buffer
      - .address_space:  global
        .offset:         40
        .size:           8
        .value_kind:     global_buffer
      - .offset:         48
        .size:           4
        .value_kind:     by_value
      - .offset:         52
        .size:           4
        .value_kind:     by_value
      - .offset:         56
        .size:           4
        .value_kind:     by_value
      - .offset:         60
        .size:           4
        .value_kind:     by_value
      - .offset:         64
        .size:           4
        .value_kind:     by_value
      - .offset:         68
        .size:           4
        .value_kind:     by_value
      - .offset:         72
        .size:           4
        .value_kind:     by_value
    .group_segment_fixed_size: 38656
    .kernarg_segment_align: 8
    .kernarg_segment_size: 76
    .language:       OpenCL C
    .language_version:
      - 2
      - 0
    .max_flat_workgroup_size: 256
    .name:           _ZL8moe_q5_0IN3c108BFloat16ELb0EEvPKvS3_PT_PKiS7_S7_iiiiiii
    .private_segment_fixed_size: 0
    .sgpr_count:     22
    .sgpr_spill_count: 0
    .symbol:         _ZL8moe_q5_0IN3c108BFloat16ELb0EEvPKvS3_PT_PKiS7_S7_iiiiiii.kd
    .uniform_work_group_size: 1
    .uses_dynamic_stack: false
    .vgpr_count:     141
    .vgpr_spill_count: 0
    .wavefront_size: 32
    .workgroup_processor_mode: 1
  - .args:
      - .actual_access:  read_only
        .address_space:  global
        .offset:         0
        .size:           8
        .value_kind:     global_buffer
      - .actual_access:  read_only
        .address_space:  global
        .offset:         8
        .size:           8
        .value_kind:     global_buffer
      - .actual_access:  write_only
        .address_space:  global
        .offset:         16
        .size:           8
        .value_kind:     global_buffer
      - .address_space:  global
        .offset:         24
        .size:           8
        .value_kind:     global_buffer
      - .address_space:  global
        .offset:         32
        .size:           8
        .value_kind:     global_buffer
      - .address_space:  global
        .offset:         40
        .size:           8
        .value_kind:     global_buffer
      - .offset:         48
        .size:           4
        .value_kind:     by_value
      - .offset:         52
        .size:           4
        .value_kind:     by_value
      - .offset:         56
        .size:           4
        .value_kind:     by_value
      - .offset:         60
        .size:           4
        .value_kind:     by_value
      - .offset:         64
        .size:           4
        .value_kind:     by_value
      - .offset:         68
        .size:           4
        .value_kind:     by_value
      - .offset:         72
        .size:           4
        .value_kind:     by_value
    .group_segment_fixed_size: 38656
    .kernarg_segment_align: 8
    .kernarg_segment_size: 76
    .language:       OpenCL C
    .language_version:
      - 2
      - 0
    .max_flat_workgroup_size: 256
    .name:           _ZL8moe_q5_0IN3c108BFloat16ELb1EEvPKvS3_PT_PKiS7_S7_iiiiiii
    .private_segment_fixed_size: 0
    .sgpr_count:     23
    .sgpr_spill_count: 0
    .symbol:         _ZL8moe_q5_0IN3c108BFloat16ELb1EEvPKvS3_PT_PKiS7_S7_iiiiiii.kd
    .uniform_work_group_size: 1
    .uses_dynamic_stack: false
    .vgpr_count:     142
    .vgpr_spill_count: 0
    .wavefront_size: 32
    .workgroup_processor_mode: 1
  - .args:
      - .actual_access:  read_only
        .address_space:  global
        .offset:         0
        .size:           8
        .value_kind:     global_buffer
      - .actual_access:  read_only
        .address_space:  global
        .offset:         8
        .size:           8
        .value_kind:     global_buffer
      - .actual_access:  write_only
        .address_space:  global
        .offset:         16
        .size:           8
        .value_kind:     global_buffer
      - .address_space:  global
        .offset:         24
        .size:           8
        .value_kind:     global_buffer
      - .address_space:  global
        .offset:         32
        .size:           8
        .value_kind:     global_buffer
      - .address_space:  global
        .offset:         40
        .size:           8
        .value_kind:     global_buffer
      - .offset:         48
        .size:           4
        .value_kind:     by_value
      - .offset:         52
        .size:           4
        .value_kind:     by_value
      - .offset:         56
        .size:           4
        .value_kind:     by_value
      - .offset:         60
        .size:           4
        .value_kind:     by_value
      - .offset:         64
        .size:           4
        .value_kind:     by_value
      - .offset:         68
        .size:           4
        .value_kind:     by_value
      - .offset:         72
        .size:           4
        .value_kind:     by_value
    .group_segment_fixed_size: 38656
    .kernarg_segment_align: 8
    .kernarg_segment_size: 76
    .language:       OpenCL C
    .language_version:
      - 2
      - 0
    .max_flat_workgroup_size: 256
    .name:           _ZL8moe_q5_1IN3c108BFloat16ELb0EEvPKvS3_PT_PKiS7_S7_iiiiiii
    .private_segment_fixed_size: 0
    .sgpr_count:     22
    .sgpr_spill_count: 0
    .symbol:         _ZL8moe_q5_1IN3c108BFloat16ELb0EEvPKvS3_PT_PKiS7_S7_iiiiiii.kd
    .uniform_work_group_size: 1
    .uses_dynamic_stack: false
    .vgpr_count:     177
    .vgpr_spill_count: 0
    .wavefront_size: 32
    .workgroup_processor_mode: 1
  - .args:
      - .actual_access:  read_only
        .address_space:  global
        .offset:         0
        .size:           8
        .value_kind:     global_buffer
      - .actual_access:  read_only
        .address_space:  global
        .offset:         8
        .size:           8
        .value_kind:     global_buffer
      - .actual_access:  write_only
        .address_space:  global
        .offset:         16
        .size:           8
        .value_kind:     global_buffer
      - .address_space:  global
        .offset:         24
        .size:           8
        .value_kind:     global_buffer
      - .address_space:  global
        .offset:         32
        .size:           8
        .value_kind:     global_buffer
      - .address_space:  global
        .offset:         40
        .size:           8
        .value_kind:     global_buffer
      - .offset:         48
        .size:           4
        .value_kind:     by_value
      - .offset:         52
        .size:           4
        .value_kind:     by_value
      - .offset:         56
        .size:           4
        .value_kind:     by_value
      - .offset:         60
        .size:           4
        .value_kind:     by_value
      - .offset:         64
        .size:           4
        .value_kind:     by_value
      - .offset:         68
        .size:           4
        .value_kind:     by_value
      - .offset:         72
        .size:           4
        .value_kind:     by_value
    .group_segment_fixed_size: 38656
    .kernarg_segment_align: 8
    .kernarg_segment_size: 76
    .language:       OpenCL C
    .language_version:
      - 2
      - 0
    .max_flat_workgroup_size: 256
    .name:           _ZL8moe_q5_1IN3c108BFloat16ELb1EEvPKvS3_PT_PKiS7_S7_iiiiiii
    .private_segment_fixed_size: 0
    .sgpr_count:     23
    .sgpr_spill_count: 0
    .symbol:         _ZL8moe_q5_1IN3c108BFloat16ELb1EEvPKvS3_PT_PKiS7_S7_iiiiiii.kd
    .uniform_work_group_size: 1
    .uses_dynamic_stack: false
    .vgpr_count:     177
    .vgpr_spill_count: 0
    .wavefront_size: 32
    .workgroup_processor_mode: 1
  - .args:
      - .actual_access:  read_only
        .address_space:  global
        .offset:         0
        .size:           8
        .value_kind:     global_buffer
      - .actual_access:  read_only
        .address_space:  global
        .offset:         8
        .size:           8
        .value_kind:     global_buffer
      - .actual_access:  write_only
        .address_space:  global
        .offset:         16
        .size:           8
        .value_kind:     global_buffer
      - .address_space:  global
        .offset:         24
        .size:           8
        .value_kind:     global_buffer
      - .address_space:  global
        .offset:         32
        .size:           8
        .value_kind:     global_buffer
      - .address_space:  global
        .offset:         40
        .size:           8
        .value_kind:     global_buffer
      - .offset:         48
        .size:           4
        .value_kind:     by_value
      - .offset:         52
        .size:           4
        .value_kind:     by_value
      - .offset:         56
        .size:           4
        .value_kind:     by_value
      - .offset:         60
        .size:           4
        .value_kind:     by_value
      - .offset:         64
        .size:           4
        .value_kind:     by_value
      - .offset:         68
        .size:           4
        .value_kind:     by_value
      - .offset:         72
        .size:           4
        .value_kind:     by_value
    .group_segment_fixed_size: 20160
    .kernarg_segment_align: 8
    .kernarg_segment_size: 76
    .language:       OpenCL C
    .language_version:
      - 2
      - 0
    .max_flat_workgroup_size: 256
    .name:           _ZL8moe_q8_0IN3c108BFloat16ELb0EEvPKvS3_PT_PKiS7_S7_iiiiiii
    .private_segment_fixed_size: 0
    .sgpr_count:     20
    .sgpr_spill_count: 0
    .symbol:         _ZL8moe_q8_0IN3c108BFloat16ELb0EEvPKvS3_PT_PKiS7_S7_iiiiiii.kd
    .uniform_work_group_size: 1
    .uses_dynamic_stack: false
    .vgpr_count:     109
    .vgpr_spill_count: 0
    .wavefront_size: 32
    .workgroup_processor_mode: 1
  - .args:
      - .actual_access:  read_only
        .address_space:  global
        .offset:         0
        .size:           8
        .value_kind:     global_buffer
      - .actual_access:  read_only
        .address_space:  global
        .offset:         8
        .size:           8
        .value_kind:     global_buffer
      - .actual_access:  write_only
        .address_space:  global
        .offset:         16
        .size:           8
        .value_kind:     global_buffer
      - .address_space:  global
        .offset:         24
        .size:           8
        .value_kind:     global_buffer
      - .address_space:  global
        .offset:         32
        .size:           8
        .value_kind:     global_buffer
      - .address_space:  global
        .offset:         40
        .size:           8
        .value_kind:     global_buffer
      - .offset:         48
        .size:           4
        .value_kind:     by_value
      - .offset:         52
        .size:           4
        .value_kind:     by_value
      - .offset:         56
        .size:           4
        .value_kind:     by_value
      - .offset:         60
        .size:           4
        .value_kind:     by_value
      - .offset:         64
        .size:           4
        .value_kind:     by_value
      - .offset:         68
        .size:           4
        .value_kind:     by_value
      - .offset:         72
        .size:           4
        .value_kind:     by_value
    .group_segment_fixed_size: 20160
    .kernarg_segment_align: 8
    .kernarg_segment_size: 76
    .language:       OpenCL C
    .language_version:
      - 2
      - 0
    .max_flat_workgroup_size: 256
    .name:           _ZL8moe_q8_0IN3c108BFloat16ELb1EEvPKvS3_PT_PKiS7_S7_iiiiiii
    .private_segment_fixed_size: 0
    .sgpr_count:     22
    .sgpr_spill_count: 0
    .symbol:         _ZL8moe_q8_0IN3c108BFloat16ELb1EEvPKvS3_PT_PKiS7_S7_iiiiiii.kd
    .uniform_work_group_size: 1
    .uses_dynamic_stack: false
    .vgpr_count:     109
    .vgpr_spill_count: 0
    .wavefront_size: 32
    .workgroup_processor_mode: 1
  - .args:
      - .actual_access:  read_only
        .address_space:  global
        .offset:         0
        .size:           8
        .value_kind:     global_buffer
      - .actual_access:  read_only
        .address_space:  global
        .offset:         8
        .size:           8
        .value_kind:     global_buffer
      - .actual_access:  write_only
        .address_space:  global
        .offset:         16
        .size:           8
        .value_kind:     global_buffer
      - .address_space:  global
        .offset:         24
        .size:           8
        .value_kind:     global_buffer
      - .address_space:  global
        .offset:         32
        .size:           8
        .value_kind:     global_buffer
      - .address_space:  global
        .offset:         40
        .size:           8
        .value_kind:     global_buffer
      - .offset:         48
        .size:           4
        .value_kind:     by_value
      - .offset:         52
        .size:           4
        .value_kind:     by_value
      - .offset:         56
        .size:           4
        .value_kind:     by_value
      - .offset:         60
        .size:           4
        .value_kind:     by_value
      - .offset:         64
        .size:           4
        .value_kind:     by_value
      - .offset:         68
        .size:           4
        .value_kind:     by_value
      - .offset:         72
        .size:           4
        .value_kind:     by_value
    .group_segment_fixed_size: 23328
    .kernarg_segment_align: 8
    .kernarg_segment_size: 76
    .language:       OpenCL C
    .language_version:
      - 2
      - 0
    .max_flat_workgroup_size: 256
    .name:           _ZL8moe_q2_KIN3c108BFloat16ELb0EEvPKvS3_PT_PKiS7_S7_iiiiiii
    .private_segment_fixed_size: 100
    .sgpr_count:     32
    .sgpr_spill_count: 0
    .symbol:         _ZL8moe_q2_KIN3c108BFloat16ELb0EEvPKvS3_PT_PKiS7_S7_iiiiiii.kd
    .uniform_work_group_size: 1
    .uses_dynamic_stack: false
    .vgpr_count:     256
    .vgpr_spill_count: 24
    .wavefront_size: 32
    .workgroup_processor_mode: 1
  - .args:
      - .actual_access:  read_only
        .address_space:  global
        .offset:         0
        .size:           8
        .value_kind:     global_buffer
      - .actual_access:  read_only
        .address_space:  global
        .offset:         8
        .size:           8
        .value_kind:     global_buffer
      - .actual_access:  write_only
        .address_space:  global
        .offset:         16
        .size:           8
        .value_kind:     global_buffer
      - .address_space:  global
        .offset:         24
        .size:           8
        .value_kind:     global_buffer
      - .address_space:  global
        .offset:         32
        .size:           8
        .value_kind:     global_buffer
      - .address_space:  global
        .offset:         40
        .size:           8
        .value_kind:     global_buffer
      - .offset:         48
        .size:           4
        .value_kind:     by_value
      - .offset:         52
        .size:           4
        .value_kind:     by_value
      - .offset:         56
        .size:           4
        .value_kind:     by_value
      - .offset:         60
        .size:           4
        .value_kind:     by_value
      - .offset:         64
        .size:           4
        .value_kind:     by_value
      - .offset:         68
        .size:           4
        .value_kind:     by_value
      - .offset:         72
        .size:           4
        .value_kind:     by_value
    .group_segment_fixed_size: 23328
    .kernarg_segment_align: 8
    .kernarg_segment_size: 76
    .language:       OpenCL C
    .language_version:
      - 2
      - 0
    .max_flat_workgroup_size: 256
    .name:           _ZL8moe_q2_KIN3c108BFloat16ELb1EEvPKvS3_PT_PKiS7_S7_iiiiiii
    .private_segment_fixed_size: 108
    .sgpr_count:     32
    .sgpr_spill_count: 0
    .symbol:         _ZL8moe_q2_KIN3c108BFloat16ELb1EEvPKvS3_PT_PKiS7_S7_iiiiiii.kd
    .uniform_work_group_size: 1
    .uses_dynamic_stack: false
    .vgpr_count:     256
    .vgpr_spill_count: 26
    .wavefront_size: 32
    .workgroup_processor_mode: 1
  - .args:
      - .actual_access:  read_only
        .address_space:  global
        .offset:         0
        .size:           8
        .value_kind:     global_buffer
      - .actual_access:  read_only
        .address_space:  global
        .offset:         8
        .size:           8
        .value_kind:     global_buffer
      - .actual_access:  write_only
        .address_space:  global
        .offset:         16
        .size:           8
        .value_kind:     global_buffer
      - .address_space:  global
        .offset:         24
        .size:           8
        .value_kind:     global_buffer
      - .address_space:  global
        .offset:         32
        .size:           8
        .value_kind:     global_buffer
      - .address_space:  global
        .offset:         40
        .size:           8
        .value_kind:     global_buffer
      - .offset:         48
        .size:           4
        .value_kind:     by_value
      - .offset:         52
        .size:           4
        .value_kind:     by_value
      - .offset:         56
        .size:           4
        .value_kind:     by_value
      - .offset:         60
        .size:           4
        .value_kind:     by_value
      - .offset:         64
        .size:           4
        .value_kind:     by_value
      - .offset:         68
        .size:           4
        .value_kind:     by_value
      - .offset:         72
        .size:           4
        .value_kind:     by_value
    .group_segment_fixed_size: 31776
    .kernarg_segment_align: 8
    .kernarg_segment_size: 76
    .language:       OpenCL C
    .language_version:
      - 2
      - 0
    .max_flat_workgroup_size: 256
    .name:           _ZL8moe_q3_KIN3c108BFloat16ELb0EEvPKvS3_PT_PKiS7_S7_iiiiiii
    .private_segment_fixed_size: 0
    .sgpr_count:     33
    .sgpr_spill_count: 0
    .symbol:         _ZL8moe_q3_KIN3c108BFloat16ELb0EEvPKvS3_PT_PKiS7_S7_iiiiiii.kd
    .uniform_work_group_size: 1
    .uses_dynamic_stack: false
    .vgpr_count:     195
    .vgpr_spill_count: 0
    .wavefront_size: 32
    .workgroup_processor_mode: 1
  - .args:
      - .actual_access:  read_only
        .address_space:  global
        .offset:         0
        .size:           8
        .value_kind:     global_buffer
      - .actual_access:  read_only
        .address_space:  global
        .offset:         8
        .size:           8
        .value_kind:     global_buffer
      - .actual_access:  write_only
        .address_space:  global
        .offset:         16
        .size:           8
        .value_kind:     global_buffer
      - .address_space:  global
        .offset:         24
        .size:           8
        .value_kind:     global_buffer
      - .address_space:  global
        .offset:         32
        .size:           8
        .value_kind:     global_buffer
      - .address_space:  global
        .offset:         40
        .size:           8
        .value_kind:     global_buffer
      - .offset:         48
        .size:           4
        .value_kind:     by_value
      - .offset:         52
        .size:           4
        .value_kind:     by_value
      - .offset:         56
        .size:           4
        .value_kind:     by_value
      - .offset:         60
        .size:           4
        .value_kind:     by_value
      - .offset:         64
        .size:           4
        .value_kind:     by_value
      - .offset:         68
        .size:           4
        .value_kind:     by_value
      - .offset:         72
        .size:           4
        .value_kind:     by_value
    .group_segment_fixed_size: 31776
    .kernarg_segment_align: 8
    .kernarg_segment_size: 76
    .language:       OpenCL C
    .language_version:
      - 2
      - 0
    .max_flat_workgroup_size: 256
    .name:           _ZL8moe_q3_KIN3c108BFloat16ELb1EEvPKvS3_PT_PKiS7_S7_iiiiiii
    .private_segment_fixed_size: 0
    .sgpr_count:     33
    .sgpr_spill_count: 0
    .symbol:         _ZL8moe_q3_KIN3c108BFloat16ELb1EEvPKvS3_PT_PKiS7_S7_iiiiiii.kd
    .uniform_work_group_size: 1
    .uses_dynamic_stack: false
    .vgpr_count:     195
    .vgpr_spill_count: 0
    .wavefront_size: 32
    .workgroup_processor_mode: 1
  - .args:
      - .actual_access:  read_only
        .address_space:  global
        .offset:         0
        .size:           8
        .value_kind:     global_buffer
      - .actual_access:  read_only
        .address_space:  global
        .offset:         8
        .size:           8
        .value_kind:     global_buffer
      - .actual_access:  write_only
        .address_space:  global
        .offset:         16
        .size:           8
        .value_kind:     global_buffer
      - .address_space:  global
        .offset:         24
        .size:           8
        .value_kind:     global_buffer
      - .address_space:  global
        .offset:         32
        .size:           8
        .value_kind:     global_buffer
      - .address_space:  global
        .offset:         40
        .size:           8
        .value_kind:     global_buffer
      - .offset:         48
        .size:           4
        .value_kind:     by_value
      - .offset:         52
        .size:           4
        .value_kind:     by_value
      - .offset:         56
        .size:           4
        .value_kind:     by_value
      - .offset:         60
        .size:           4
        .value_kind:     by_value
      - .offset:         64
        .size:           4
        .value_kind:     by_value
      - .offset:         68
        .size:           4
        .value_kind:     by_value
      - .offset:         72
        .size:           4
        .value_kind:     by_value
    .group_segment_fixed_size: 20688
    .kernarg_segment_align: 8
    .kernarg_segment_size: 76
    .language:       OpenCL C
    .language_version:
      - 2
      - 0
    .max_flat_workgroup_size: 256
    .name:           _ZL8moe_q4_KIN3c108BFloat16ELb0EEvPKvS3_PT_PKiS7_S7_iiiiiii
    .private_segment_fixed_size: 172
    .sgpr_count:     25
    .sgpr_spill_count: 0
    .symbol:         _ZL8moe_q4_KIN3c108BFloat16ELb0EEvPKvS3_PT_PKiS7_S7_iiiiiii.kd
    .uniform_work_group_size: 1
    .uses_dynamic_stack: false
    .vgpr_count:     256
    .vgpr_spill_count: 42
    .wavefront_size: 32
    .workgroup_processor_mode: 1
  - .args:
      - .actual_access:  read_only
        .address_space:  global
        .offset:         0
        .size:           8
        .value_kind:     global_buffer
      - .actual_access:  read_only
        .address_space:  global
        .offset:         8
        .size:           8
        .value_kind:     global_buffer
      - .actual_access:  write_only
        .address_space:  global
        .offset:         16
        .size:           8
        .value_kind:     global_buffer
      - .address_space:  global
        .offset:         24
        .size:           8
        .value_kind:     global_buffer
      - .address_space:  global
        .offset:         32
        .size:           8
        .value_kind:     global_buffer
      - .address_space:  global
        .offset:         40
        .size:           8
        .value_kind:     global_buffer
      - .offset:         48
        .size:           4
        .value_kind:     by_value
      - .offset:         52
        .size:           4
        .value_kind:     by_value
      - .offset:         56
        .size:           4
        .value_kind:     by_value
      - .offset:         60
        .size:           4
        .value_kind:     by_value
      - .offset:         64
        .size:           4
        .value_kind:     by_value
      - .offset:         68
        .size:           4
        .value_kind:     by_value
      - .offset:         72
        .size:           4
        .value_kind:     by_value
    .group_segment_fixed_size: 20688
    .kernarg_segment_align: 8
    .kernarg_segment_size: 76
    .language:       OpenCL C
    .language_version:
      - 2
      - 0
    .max_flat_workgroup_size: 256
    .name:           _ZL8moe_q4_KIN3c108BFloat16ELb1EEvPKvS3_PT_PKiS7_S7_iiiiiii
    .private_segment_fixed_size: 204
    .sgpr_count:     25
    .sgpr_spill_count: 0
    .symbol:         _ZL8moe_q4_KIN3c108BFloat16ELb1EEvPKvS3_PT_PKiS7_S7_iiiiiii.kd
    .uniform_work_group_size: 1
    .uses_dynamic_stack: false
    .vgpr_count:     256
    .vgpr_spill_count: 50
    .wavefront_size: 32
    .workgroup_processor_mode: 1
  - .args:
      - .actual_access:  read_only
        .address_space:  global
        .offset:         0
        .size:           8
        .value_kind:     global_buffer
      - .actual_access:  read_only
        .address_space:  global
        .offset:         8
        .size:           8
        .value_kind:     global_buffer
      - .actual_access:  write_only
        .address_space:  global
        .offset:         16
        .size:           8
        .value_kind:     global_buffer
      - .address_space:  global
        .offset:         24
        .size:           8
        .value_kind:     global_buffer
      - .address_space:  global
        .offset:         32
        .size:           8
        .value_kind:     global_buffer
      - .address_space:  global
        .offset:         40
        .size:           8
        .value_kind:     global_buffer
      - .offset:         48
        .size:           4
        .value_kind:     by_value
      - .offset:         52
        .size:           4
        .value_kind:     by_value
      - .offset:         56
        .size:           4
        .value_kind:     by_value
      - .offset:         60
        .size:           4
        .value_kind:     by_value
      - .offset:         64
        .size:           4
        .value_kind:     by_value
      - .offset:         68
        .size:           4
        .value_kind:     by_value
      - .offset:         72
        .size:           4
        .value_kind:     by_value
    .group_segment_fixed_size: 37072
    .kernarg_segment_align: 8
    .kernarg_segment_size: 76
    .language:       OpenCL C
    .language_version:
      - 2
      - 0
    .max_flat_workgroup_size: 256
    .name:           _ZL8moe_q5_KIN3c108BFloat16ELb0EEvPKvS3_PT_PKiS7_S7_iiiiiii
    .private_segment_fixed_size: 0
    .sgpr_count:     25
    .sgpr_spill_count: 0
    .symbol:         _ZL8moe_q5_KIN3c108BFloat16ELb0EEvPKvS3_PT_PKiS7_S7_iiiiiii.kd
    .uniform_work_group_size: 1
    .uses_dynamic_stack: false
    .vgpr_count:     189
    .vgpr_spill_count: 0
    .wavefront_size: 32
    .workgroup_processor_mode: 1
  - .args:
      - .actual_access:  read_only
        .address_space:  global
        .offset:         0
        .size:           8
        .value_kind:     global_buffer
      - .actual_access:  read_only
        .address_space:  global
        .offset:         8
        .size:           8
        .value_kind:     global_buffer
      - .actual_access:  write_only
        .address_space:  global
        .offset:         16
        .size:           8
        .value_kind:     global_buffer
      - .address_space:  global
        .offset:         24
        .size:           8
        .value_kind:     global_buffer
      - .address_space:  global
        .offset:         32
        .size:           8
        .value_kind:     global_buffer
      - .address_space:  global
        .offset:         40
        .size:           8
        .value_kind:     global_buffer
      - .offset:         48
        .size:           4
        .value_kind:     by_value
      - .offset:         52
        .size:           4
        .value_kind:     by_value
      - .offset:         56
        .size:           4
        .value_kind:     by_value
      - .offset:         60
        .size:           4
        .value_kind:     by_value
      - .offset:         64
        .size:           4
        .value_kind:     by_value
      - .offset:         68
        .size:           4
        .value_kind:     by_value
      - .offset:         72
        .size:           4
        .value_kind:     by_value
    .group_segment_fixed_size: 37072
    .kernarg_segment_align: 8
    .kernarg_segment_size: 76
    .language:       OpenCL C
    .language_version:
      - 2
      - 0
    .max_flat_workgroup_size: 256
    .name:           _ZL8moe_q5_KIN3c108BFloat16ELb1EEvPKvS3_PT_PKiS7_S7_iiiiiii
    .private_segment_fixed_size: 0
    .sgpr_count:     25
    .sgpr_spill_count: 0
    .symbol:         _ZL8moe_q5_KIN3c108BFloat16ELb1EEvPKvS3_PT_PKiS7_S7_iiiiiii.kd
    .uniform_work_group_size: 1
    .uses_dynamic_stack: false
    .vgpr_count:     188
    .vgpr_spill_count: 0
    .wavefront_size: 32
    .workgroup_processor_mode: 1
  - .args:
      - .actual_access:  read_only
        .address_space:  global
        .offset:         0
        .size:           8
        .value_kind:     global_buffer
      - .actual_access:  read_only
        .address_space:  global
        .offset:         8
        .size:           8
        .value_kind:     global_buffer
      - .actual_access:  write_only
        .address_space:  global
        .offset:         16
        .size:           8
        .value_kind:     global_buffer
      - .address_space:  global
        .offset:         24
        .size:           8
        .value_kind:     global_buffer
      - .address_space:  global
        .offset:         32
        .size:           8
        .value_kind:     global_buffer
      - .address_space:  global
        .offset:         40
        .size:           8
        .value_kind:     global_buffer
      - .offset:         48
        .size:           4
        .value_kind:     by_value
      - .offset:         52
        .size:           4
        .value_kind:     by_value
      - .offset:         56
        .size:           4
        .value_kind:     by_value
      - .offset:         60
        .size:           4
        .value_kind:     by_value
      - .offset:         64
        .size:           4
        .value_kind:     by_value
      - .offset:         68
        .size:           4
        .value_kind:     by_value
      - .offset:         72
        .size:           4
        .value_kind:     by_value
    .group_segment_fixed_size: 37072
    .kernarg_segment_align: 8
    .kernarg_segment_size: 76
    .language:       OpenCL C
    .language_version:
      - 2
      - 0
    .max_flat_workgroup_size: 256
    .name:           _ZL8moe_q6_KIN3c108BFloat16ELb0EEvPKvS3_PT_PKiS7_S7_iiiiiii
    .private_segment_fixed_size: 0
    .sgpr_count:     25
    .sgpr_spill_count: 0
    .symbol:         _ZL8moe_q6_KIN3c108BFloat16ELb0EEvPKvS3_PT_PKiS7_S7_iiiiiii.kd
    .uniform_work_group_size: 1
    .uses_dynamic_stack: false
    .vgpr_count:     186
    .vgpr_spill_count: 0
    .wavefront_size: 32
    .workgroup_processor_mode: 1
  - .args:
      - .actual_access:  read_only
        .address_space:  global
        .offset:         0
        .size:           8
        .value_kind:     global_buffer
      - .actual_access:  read_only
        .address_space:  global
        .offset:         8
        .size:           8
        .value_kind:     global_buffer
      - .actual_access:  write_only
        .address_space:  global
        .offset:         16
        .size:           8
        .value_kind:     global_buffer
      - .address_space:  global
        .offset:         24
        .size:           8
        .value_kind:     global_buffer
      - .address_space:  global
        .offset:         32
        .size:           8
        .value_kind:     global_buffer
      - .address_space:  global
        .offset:         40
        .size:           8
        .value_kind:     global_buffer
      - .offset:         48
        .size:           4
        .value_kind:     by_value
      - .offset:         52
        .size:           4
        .value_kind:     by_value
      - .offset:         56
        .size:           4
        .value_kind:     by_value
      - .offset:         60
        .size:           4
        .value_kind:     by_value
      - .offset:         64
        .size:           4
        .value_kind:     by_value
      - .offset:         68
        .size:           4
        .value_kind:     by_value
      - .offset:         72
        .size:           4
        .value_kind:     by_value
    .group_segment_fixed_size: 37072
    .kernarg_segment_align: 8
    .kernarg_segment_size: 76
    .language:       OpenCL C
    .language_version:
      - 2
      - 0
    .max_flat_workgroup_size: 256
    .name:           _ZL8moe_q6_KIN3c108BFloat16ELb1EEvPKvS3_PT_PKiS7_S7_iiiiiii
    .private_segment_fixed_size: 0
    .sgpr_count:     25
    .sgpr_spill_count: 0
    .symbol:         _ZL8moe_q6_KIN3c108BFloat16ELb1EEvPKvS3_PT_PKiS7_S7_iiiiiii.kd
    .uniform_work_group_size: 1
    .uses_dynamic_stack: false
    .vgpr_count:     186
    .vgpr_spill_count: 0
    .wavefront_size: 32
    .workgroup_processor_mode: 1
  - .args:
      - .actual_access:  read_only
        .address_space:  global
        .offset:         0
        .size:           8
        .value_kind:     global_buffer
      - .actual_access:  read_only
        .address_space:  global
        .offset:         8
        .size:           8
        .value_kind:     global_buffer
      - .actual_access:  write_only
        .address_space:  global
        .offset:         16
        .size:           8
        .value_kind:     global_buffer
      - .address_space:  global
        .offset:         24
        .size:           8
        .value_kind:     global_buffer
      - .offset:         32
        .size:           4
        .value_kind:     by_value
      - .offset:         36
        .size:           4
        .value_kind:     by_value
      - .offset:         40
        .size:           4
        .value_kind:     by_value
      - .offset:         44
        .size:           4
        .value_kind:     by_value
      - .offset:         48
        .size:           4
        .value_kind:     hidden_block_count_x
      - .offset:         52
        .size:           4
        .value_kind:     hidden_block_count_y
      - .offset:         56
        .size:           4
        .value_kind:     hidden_block_count_z
      - .offset:         60
        .size:           2
        .value_kind:     hidden_group_size_x
      - .offset:         62
        .size:           2
        .value_kind:     hidden_group_size_y
      - .offset:         64
        .size:           2
        .value_kind:     hidden_group_size_z
      - .offset:         66
        .size:           2
        .value_kind:     hidden_remainder_x
      - .offset:         68
        .size:           2
        .value_kind:     hidden_remainder_y
      - .offset:         70
        .size:           2
        .value_kind:     hidden_remainder_z
      - .offset:         88
        .size:           8
        .value_kind:     hidden_global_offset_x
      - .offset:         96
        .size:           8
        .value_kind:     hidden_global_offset_y
      - .offset:         104
        .size:           8
        .value_kind:     hidden_global_offset_z
      - .offset:         112
        .size:           2
        .value_kind:     hidden_grid_dims
    .group_segment_fixed_size: 0
    .kernarg_segment_align: 8
    .kernarg_segment_size: 304
    .language:       OpenCL C
    .language_version:
      - 2
      - 0
    .max_flat_workgroup_size: 1024
    .name:           _ZL9moe_vec_qIfLi32ELi4E10block_q4_0Li2EXadL_ZL17vec_dot_q4_0_q8_1PKvPK10block_q8_1RKiEEEvS2_S2_PT_PS6_iiii
    .private_segment_fixed_size: 0
    .sgpr_count:     22
    .sgpr_spill_count: 0
    .symbol:         _ZL9moe_vec_qIfLi32ELi4E10block_q4_0Li2EXadL_ZL17vec_dot_q4_0_q8_1PKvPK10block_q8_1RKiEEEvS2_S2_PT_PS6_iiii.kd
    .uniform_work_group_size: 1
    .uses_dynamic_stack: false
    .vgpr_count:     31
    .vgpr_spill_count: 0
    .wavefront_size: 32
    .workgroup_processor_mode: 1
  - .args:
      - .actual_access:  read_only
        .address_space:  global
        .offset:         0
        .size:           8
        .value_kind:     global_buffer
      - .actual_access:  read_only
        .address_space:  global
        .offset:         8
        .size:           8
        .value_kind:     global_buffer
      - .actual_access:  write_only
        .address_space:  global
        .offset:         16
        .size:           8
        .value_kind:     global_buffer
      - .address_space:  global
        .offset:         24
        .size:           8
        .value_kind:     global_buffer
      - .offset:         32
        .size:           4
        .value_kind:     by_value
      - .offset:         36
        .size:           4
        .value_kind:     by_value
      - .offset:         40
        .size:           4
        .value_kind:     by_value
      - .offset:         44
        .size:           4
        .value_kind:     by_value
      - .offset:         48
        .size:           4
        .value_kind:     hidden_block_count_x
      - .offset:         52
        .size:           4
        .value_kind:     hidden_block_count_y
      - .offset:         56
        .size:           4
        .value_kind:     hidden_block_count_z
      - .offset:         60
        .size:           2
        .value_kind:     hidden_group_size_x
      - .offset:         62
        .size:           2
        .value_kind:     hidden_group_size_y
      - .offset:         64
        .size:           2
        .value_kind:     hidden_group_size_z
      - .offset:         66
        .size:           2
        .value_kind:     hidden_remainder_x
      - .offset:         68
        .size:           2
        .value_kind:     hidden_remainder_y
      - .offset:         70
        .size:           2
        .value_kind:     hidden_remainder_z
      - .offset:         88
        .size:           8
        .value_kind:     hidden_global_offset_x
      - .offset:         96
        .size:           8
        .value_kind:     hidden_global_offset_y
      - .offset:         104
        .size:           8
        .value_kind:     hidden_global_offset_z
      - .offset:         112
        .size:           2
        .value_kind:     hidden_grid_dims
    .group_segment_fixed_size: 0
    .kernarg_segment_align: 8
    .kernarg_segment_size: 304
    .language:       OpenCL C
    .language_version:
      - 2
      - 0
    .max_flat_workgroup_size: 1024
    .name:           _ZL9moe_vec_qIfLi32ELi4E10block_q4_1Li2EXadL_ZL17vec_dot_q4_1_q8_1PKvPK10block_q8_1RKiEEEvS2_S2_PT_PS6_iiii
    .private_segment_fixed_size: 0
    .sgpr_count:     21
    .sgpr_spill_count: 0
    .symbol:         _ZL9moe_vec_qIfLi32ELi4E10block_q4_1Li2EXadL_ZL17vec_dot_q4_1_q8_1PKvPK10block_q8_1RKiEEEvS2_S2_PT_PS6_iiii.kd
    .uniform_work_group_size: 1
    .uses_dynamic_stack: false
    .vgpr_count:     31
    .vgpr_spill_count: 0
    .wavefront_size: 32
    .workgroup_processor_mode: 1
  - .args:
      - .actual_access:  read_only
        .address_space:  global
        .offset:         0
        .size:           8
        .value_kind:     global_buffer
      - .actual_access:  read_only
        .address_space:  global
        .offset:         8
        .size:           8
        .value_kind:     global_buffer
      - .actual_access:  write_only
        .address_space:  global
        .offset:         16
        .size:           8
        .value_kind:     global_buffer
      - .address_space:  global
        .offset:         24
        .size:           8
        .value_kind:     global_buffer
      - .offset:         32
        .size:           4
        .value_kind:     by_value
      - .offset:         36
        .size:           4
        .value_kind:     by_value
      - .offset:         40
        .size:           4
        .value_kind:     by_value
      - .offset:         44
        .size:           4
        .value_kind:     by_value
      - .offset:         48
        .size:           4
        .value_kind:     hidden_block_count_x
      - .offset:         52
        .size:           4
        .value_kind:     hidden_block_count_y
      - .offset:         56
        .size:           4
        .value_kind:     hidden_block_count_z
      - .offset:         60
        .size:           2
        .value_kind:     hidden_group_size_x
      - .offset:         62
        .size:           2
        .value_kind:     hidden_group_size_y
      - .offset:         64
        .size:           2
        .value_kind:     hidden_group_size_z
      - .offset:         66
        .size:           2
        .value_kind:     hidden_remainder_x
      - .offset:         68
        .size:           2
        .value_kind:     hidden_remainder_y
      - .offset:         70
        .size:           2
        .value_kind:     hidden_remainder_z
      - .offset:         88
        .size:           8
        .value_kind:     hidden_global_offset_x
      - .offset:         96
        .size:           8
        .value_kind:     hidden_global_offset_y
      - .offset:         104
        .size:           8
        .value_kind:     hidden_global_offset_z
      - .offset:         112
        .size:           2
        .value_kind:     hidden_grid_dims
    .group_segment_fixed_size: 0
    .kernarg_segment_align: 8
    .kernarg_segment_size: 304
    .language:       OpenCL C
    .language_version:
      - 2
      - 0
    .max_flat_workgroup_size: 1024
    .name:           _ZL9moe_vec_qIfLi32ELi4E10block_q5_0Li2EXadL_ZL17vec_dot_q5_0_q8_1PKvPK10block_q8_1RKiEEEvS2_S2_PT_PS6_iiii
    .private_segment_fixed_size: 0
    .sgpr_count:     22
    .sgpr_spill_count: 0
    .symbol:         _ZL9moe_vec_qIfLi32ELi4E10block_q5_0Li2EXadL_ZL17vec_dot_q5_0_q8_1PKvPK10block_q8_1RKiEEEvS2_S2_PT_PS6_iiii.kd
    .uniform_work_group_size: 1
    .uses_dynamic_stack: false
    .vgpr_count:     45
    .vgpr_spill_count: 0
    .wavefront_size: 32
    .workgroup_processor_mode: 1
  - .args:
      - .actual_access:  read_only
        .address_space:  global
        .offset:         0
        .size:           8
        .value_kind:     global_buffer
      - .actual_access:  read_only
        .address_space:  global
        .offset:         8
        .size:           8
        .value_kind:     global_buffer
      - .actual_access:  write_only
        .address_space:  global
        .offset:         16
        .size:           8
        .value_kind:     global_buffer
      - .address_space:  global
        .offset:         24
        .size:           8
        .value_kind:     global_buffer
      - .offset:         32
        .size:           4
        .value_kind:     by_value
      - .offset:         36
        .size:           4
        .value_kind:     by_value
      - .offset:         40
        .size:           4
        .value_kind:     by_value
      - .offset:         44
        .size:           4
        .value_kind:     by_value
      - .offset:         48
        .size:           4
        .value_kind:     hidden_block_count_x
      - .offset:         52
        .size:           4
        .value_kind:     hidden_block_count_y
      - .offset:         56
        .size:           4
        .value_kind:     hidden_block_count_z
      - .offset:         60
        .size:           2
        .value_kind:     hidden_group_size_x
      - .offset:         62
        .size:           2
        .value_kind:     hidden_group_size_y
      - .offset:         64
        .size:           2
        .value_kind:     hidden_group_size_z
      - .offset:         66
        .size:           2
        .value_kind:     hidden_remainder_x
      - .offset:         68
        .size:           2
        .value_kind:     hidden_remainder_y
      - .offset:         70
        .size:           2
        .value_kind:     hidden_remainder_z
      - .offset:         88
        .size:           8
        .value_kind:     hidden_global_offset_x
      - .offset:         96
        .size:           8
        .value_kind:     hidden_global_offset_y
      - .offset:         104
        .size:           8
        .value_kind:     hidden_global_offset_z
      - .offset:         112
        .size:           2
        .value_kind:     hidden_grid_dims
    .group_segment_fixed_size: 0
    .kernarg_segment_align: 8
    .kernarg_segment_size: 304
    .language:       OpenCL C
    .language_version:
      - 2
      - 0
    .max_flat_workgroup_size: 1024
    .name:           _ZL9moe_vec_qIfLi32ELi4E10block_q5_1Li2EXadL_ZL17vec_dot_q5_1_q8_1PKvPK10block_q8_1RKiEEEvS2_S2_PT_PS6_iiii
    .private_segment_fixed_size: 0
    .sgpr_count:     22
    .sgpr_spill_count: 0
    .symbol:         _ZL9moe_vec_qIfLi32ELi4E10block_q5_1Li2EXadL_ZL17vec_dot_q5_1_q8_1PKvPK10block_q8_1RKiEEEvS2_S2_PT_PS6_iiii.kd
    .uniform_work_group_size: 1
    .uses_dynamic_stack: false
    .vgpr_count:     45
    .vgpr_spill_count: 0
    .wavefront_size: 32
    .workgroup_processor_mode: 1
  - .args:
      - .actual_access:  read_only
        .address_space:  global
        .offset:         0
        .size:           8
        .value_kind:     global_buffer
      - .actual_access:  read_only
        .address_space:  global
        .offset:         8
        .size:           8
        .value_kind:     global_buffer
      - .actual_access:  write_only
        .address_space:  global
        .offset:         16
        .size:           8
        .value_kind:     global_buffer
      - .address_space:  global
        .offset:         24
        .size:           8
        .value_kind:     global_buffer
      - .offset:         32
        .size:           4
        .value_kind:     by_value
      - .offset:         36
        .size:           4
        .value_kind:     by_value
      - .offset:         40
        .size:           4
        .value_kind:     by_value
      - .offset:         44
        .size:           4
        .value_kind:     by_value
      - .offset:         48
        .size:           4
        .value_kind:     hidden_block_count_x
      - .offset:         52
        .size:           4
        .value_kind:     hidden_block_count_y
      - .offset:         56
        .size:           4
        .value_kind:     hidden_block_count_z
      - .offset:         60
        .size:           2
        .value_kind:     hidden_group_size_x
      - .offset:         62
        .size:           2
        .value_kind:     hidden_group_size_y
      - .offset:         64
        .size:           2
        .value_kind:     hidden_group_size_z
      - .offset:         66
        .size:           2
        .value_kind:     hidden_remainder_x
      - .offset:         68
        .size:           2
        .value_kind:     hidden_remainder_y
      - .offset:         70
        .size:           2
        .value_kind:     hidden_remainder_z
      - .offset:         88
        .size:           8
        .value_kind:     hidden_global_offset_x
      - .offset:         96
        .size:           8
        .value_kind:     hidden_global_offset_y
      - .offset:         104
        .size:           8
        .value_kind:     hidden_global_offset_z
      - .offset:         112
        .size:           2
        .value_kind:     hidden_grid_dims
    .group_segment_fixed_size: 0
    .kernarg_segment_align: 8
    .kernarg_segment_size: 304
    .language:       OpenCL C
    .language_version:
      - 2
      - 0
    .max_flat_workgroup_size: 1024
    .name:           _ZL9moe_vec_qIfLi32ELi8E10block_q8_0Li2EXadL_ZL17vec_dot_q8_0_q8_1PKvPK10block_q8_1RKiEEEvS2_S2_PT_PS6_iiii
    .private_segment_fixed_size: 0
    .sgpr_count:     22
    .sgpr_spill_count: 0
    .symbol:         _ZL9moe_vec_qIfLi32ELi8E10block_q8_0Li2EXadL_ZL17vec_dot_q8_0_q8_1PKvPK10block_q8_1RKiEEEvS2_S2_PT_PS6_iiii.kd
    .uniform_work_group_size: 1
    .uses_dynamic_stack: false
    .vgpr_count:     14
    .vgpr_spill_count: 0
    .wavefront_size: 32
    .workgroup_processor_mode: 1
  - .args:
      - .actual_access:  read_only
        .address_space:  global
        .offset:         0
        .size:           8
        .value_kind:     global_buffer
      - .actual_access:  read_only
        .address_space:  global
        .offset:         8
        .size:           8
        .value_kind:     global_buffer
      - .actual_access:  write_only
        .address_space:  global
        .offset:         16
        .size:           8
        .value_kind:     global_buffer
      - .address_space:  global
        .offset:         24
        .size:           8
        .value_kind:     global_buffer
      - .offset:         32
        .size:           4
        .value_kind:     by_value
      - .offset:         36
        .size:           4
        .value_kind:     by_value
      - .offset:         40
        .size:           4
        .value_kind:     by_value
      - .offset:         44
        .size:           4
        .value_kind:     by_value
      - .offset:         48
        .size:           4
        .value_kind:     hidden_block_count_x
      - .offset:         52
        .size:           4
        .value_kind:     hidden_block_count_y
      - .offset:         56
        .size:           4
        .value_kind:     hidden_block_count_z
      - .offset:         60
        .size:           2
        .value_kind:     hidden_group_size_x
      - .offset:         62
        .size:           2
        .value_kind:     hidden_group_size_y
      - .offset:         64
        .size:           2
        .value_kind:     hidden_group_size_z
      - .offset:         66
        .size:           2
        .value_kind:     hidden_remainder_x
      - .offset:         68
        .size:           2
        .value_kind:     hidden_remainder_y
      - .offset:         70
        .size:           2
        .value_kind:     hidden_remainder_z
      - .offset:         88
        .size:           8
        .value_kind:     hidden_global_offset_x
      - .offset:         96
        .size:           8
        .value_kind:     hidden_global_offset_y
      - .offset:         104
        .size:           8
        .value_kind:     hidden_global_offset_z
      - .offset:         112
        .size:           2
        .value_kind:     hidden_grid_dims
    .group_segment_fixed_size: 0
    .kernarg_segment_align: 8
    .kernarg_segment_size: 304
    .language:       OpenCL C
    .language_version:
      - 2
      - 0
    .max_flat_workgroup_size: 1024
    .name:           _ZL9moe_vec_qIfLi256ELi16E10block_q2_KLi1EXadL_ZL17vec_dot_q2_K_q8_1PKvPK10block_q8_1RKiEEEvS2_S2_PT_PS6_iiii
    .private_segment_fixed_size: 0
    .sgpr_count:     22
    .sgpr_spill_count: 0
    .symbol:         _ZL9moe_vec_qIfLi256ELi16E10block_q2_KLi1EXadL_ZL17vec_dot_q2_K_q8_1PKvPK10block_q8_1RKiEEEvS2_S2_PT_PS6_iiii.kd
    .uniform_work_group_size: 1
    .uses_dynamic_stack: false
    .vgpr_count:     65
    .vgpr_spill_count: 0
    .wavefront_size: 32
    .workgroup_processor_mode: 1
  - .args:
      - .actual_access:  read_only
        .address_space:  global
        .offset:         0
        .size:           8
        .value_kind:     global_buffer
      - .actual_access:  read_only
        .address_space:  global
        .offset:         8
        .size:           8
        .value_kind:     global_buffer
      - .actual_access:  write_only
        .address_space:  global
        .offset:         16
        .size:           8
        .value_kind:     global_buffer
      - .address_space:  global
        .offset:         24
        .size:           8
        .value_kind:     global_buffer
      - .offset:         32
        .size:           4
        .value_kind:     by_value
      - .offset:         36
        .size:           4
        .value_kind:     by_value
      - .offset:         40
        .size:           4
        .value_kind:     by_value
      - .offset:         44
        .size:           4
        .value_kind:     by_value
      - .offset:         48
        .size:           4
        .value_kind:     hidden_block_count_x
      - .offset:         52
        .size:           4
        .value_kind:     hidden_block_count_y
      - .offset:         56
        .size:           4
        .value_kind:     hidden_block_count_z
      - .offset:         60
        .size:           2
        .value_kind:     hidden_group_size_x
      - .offset:         62
        .size:           2
        .value_kind:     hidden_group_size_y
      - .offset:         64
        .size:           2
        .value_kind:     hidden_group_size_z
      - .offset:         66
        .size:           2
        .value_kind:     hidden_remainder_x
      - .offset:         68
        .size:           2
        .value_kind:     hidden_remainder_y
      - .offset:         70
        .size:           2
        .value_kind:     hidden_remainder_z
      - .offset:         88
        .size:           8
        .value_kind:     hidden_global_offset_x
      - .offset:         96
        .size:           8
        .value_kind:     hidden_global_offset_y
      - .offset:         104
        .size:           8
        .value_kind:     hidden_global_offset_z
      - .offset:         112
        .size:           2
        .value_kind:     hidden_grid_dims
    .group_segment_fixed_size: 0
    .kernarg_segment_align: 8
    .kernarg_segment_size: 304
    .language:       OpenCL C
    .language_version:
      - 2
      - 0
    .max_flat_workgroup_size: 1024
    .name:           _ZL9moe_vec_qIfLi256ELi16E10block_q3_KLi1EXadL_ZL17vec_dot_q3_K_q8_1PKvPK10block_q8_1RKiEEEvS2_S2_PT_PS6_iiii
    .private_segment_fixed_size: 0
    .sgpr_count:     22
    .sgpr_spill_count: 0
    .symbol:         _ZL9moe_vec_qIfLi256ELi16E10block_q3_KLi1EXadL_ZL17vec_dot_q3_K_q8_1PKvPK10block_q8_1RKiEEEvS2_S2_PT_PS6_iiii.kd
    .uniform_work_group_size: 1
    .uses_dynamic_stack: false
    .vgpr_count:     76
    .vgpr_spill_count: 0
    .wavefront_size: 32
    .workgroup_processor_mode: 1
  - .args:
      - .actual_access:  read_only
        .address_space:  global
        .offset:         0
        .size:           8
        .value_kind:     global_buffer
      - .actual_access:  read_only
        .address_space:  global
        .offset:         8
        .size:           8
        .value_kind:     global_buffer
      - .actual_access:  write_only
        .address_space:  global
        .offset:         16
        .size:           8
        .value_kind:     global_buffer
      - .address_space:  global
        .offset:         24
        .size:           8
        .value_kind:     global_buffer
      - .offset:         32
        .size:           4
        .value_kind:     by_value
      - .offset:         36
        .size:           4
        .value_kind:     by_value
      - .offset:         40
        .size:           4
        .value_kind:     by_value
      - .offset:         44
        .size:           4
        .value_kind:     by_value
      - .offset:         48
        .size:           4
        .value_kind:     hidden_block_count_x
      - .offset:         52
        .size:           4
        .value_kind:     hidden_block_count_y
      - .offset:         56
        .size:           4
        .value_kind:     hidden_block_count_z
      - .offset:         60
        .size:           2
        .value_kind:     hidden_group_size_x
      - .offset:         62
        .size:           2
        .value_kind:     hidden_group_size_y
      - .offset:         64
        .size:           2
        .value_kind:     hidden_group_size_z
      - .offset:         66
        .size:           2
        .value_kind:     hidden_remainder_x
      - .offset:         68
        .size:           2
        .value_kind:     hidden_remainder_y
      - .offset:         70
        .size:           2
        .value_kind:     hidden_remainder_z
      - .offset:         88
        .size:           8
        .value_kind:     hidden_global_offset_x
      - .offset:         96
        .size:           8
        .value_kind:     hidden_global_offset_y
      - .offset:         104
        .size:           8
        .value_kind:     hidden_global_offset_z
      - .offset:         112
        .size:           2
        .value_kind:     hidden_grid_dims
    .group_segment_fixed_size: 0
    .kernarg_segment_align: 8
    .kernarg_segment_size: 304
    .language:       OpenCL C
    .language_version:
      - 2
      - 0
    .max_flat_workgroup_size: 1024
    .name:           _ZL9moe_vec_qIfLi256ELi32E10block_q4_KLi2EXadL_ZL17vec_dot_q4_K_q8_1PKvPK10block_q8_1RKiEEEvS2_S2_PT_PS6_iiii
    .private_segment_fixed_size: 0
    .sgpr_count:     20
    .sgpr_spill_count: 0
    .symbol:         _ZL9moe_vec_qIfLi256ELi32E10block_q4_KLi2EXadL_ZL17vec_dot_q4_K_q8_1PKvPK10block_q8_1RKiEEEvS2_S2_PT_PS6_iiii.kd
    .uniform_work_group_size: 1
    .uses_dynamic_stack: false
    .vgpr_count:     51
    .vgpr_spill_count: 0
    .wavefront_size: 32
    .workgroup_processor_mode: 1
  - .args:
      - .actual_access:  read_only
        .address_space:  global
        .offset:         0
        .size:           8
        .value_kind:     global_buffer
      - .actual_access:  read_only
        .address_space:  global
        .offset:         8
        .size:           8
        .value_kind:     global_buffer
      - .actual_access:  write_only
        .address_space:  global
        .offset:         16
        .size:           8
        .value_kind:     global_buffer
      - .address_space:  global
        .offset:         24
        .size:           8
        .value_kind:     global_buffer
      - .offset:         32
        .size:           4
        .value_kind:     by_value
      - .offset:         36
        .size:           4
        .value_kind:     by_value
      - .offset:         40
        .size:           4
        .value_kind:     by_value
      - .offset:         44
        .size:           4
        .value_kind:     by_value
      - .offset:         48
        .size:           4
        .value_kind:     hidden_block_count_x
      - .offset:         52
        .size:           4
        .value_kind:     hidden_block_count_y
      - .offset:         56
        .size:           4
        .value_kind:     hidden_block_count_z
      - .offset:         60
        .size:           2
        .value_kind:     hidden_group_size_x
      - .offset:         62
        .size:           2
        .value_kind:     hidden_group_size_y
      - .offset:         64
        .size:           2
        .value_kind:     hidden_group_size_z
      - .offset:         66
        .size:           2
        .value_kind:     hidden_remainder_x
      - .offset:         68
        .size:           2
        .value_kind:     hidden_remainder_y
      - .offset:         70
        .size:           2
        .value_kind:     hidden_remainder_z
      - .offset:         88
        .size:           8
        .value_kind:     hidden_global_offset_x
      - .offset:         96
        .size:           8
        .value_kind:     hidden_global_offset_y
      - .offset:         104
        .size:           8
        .value_kind:     hidden_global_offset_z
      - .offset:         112
        .size:           2
        .value_kind:     hidden_grid_dims
    .group_segment_fixed_size: 0
    .kernarg_segment_align: 8
    .kernarg_segment_size: 304
    .language:       OpenCL C
    .language_version:
      - 2
      - 0
    .max_flat_workgroup_size: 1024
    .name:           _ZL9moe_vec_qIfLi256ELi32E10block_q5_KLi2EXadL_ZL17vec_dot_q5_K_q8_1PKvPK10block_q8_1RKiEEEvS2_S2_PT_PS6_iiii
    .private_segment_fixed_size: 0
    .sgpr_count:     20
    .sgpr_spill_count: 0
    .symbol:         _ZL9moe_vec_qIfLi256ELi32E10block_q5_KLi2EXadL_ZL17vec_dot_q5_K_q8_1PKvPK10block_q8_1RKiEEEvS2_S2_PT_PS6_iiii.kd
    .uniform_work_group_size: 1
    .uses_dynamic_stack: false
    .vgpr_count:     52
    .vgpr_spill_count: 0
    .wavefront_size: 32
    .workgroup_processor_mode: 1
  - .args:
      - .actual_access:  read_only
        .address_space:  global
        .offset:         0
        .size:           8
        .value_kind:     global_buffer
      - .actual_access:  read_only
        .address_space:  global
        .offset:         8
        .size:           8
        .value_kind:     global_buffer
      - .actual_access:  write_only
        .address_space:  global
        .offset:         16
        .size:           8
        .value_kind:     global_buffer
      - .address_space:  global
        .offset:         24
        .size:           8
        .value_kind:     global_buffer
      - .offset:         32
        .size:           4
        .value_kind:     by_value
      - .offset:         36
        .size:           4
        .value_kind:     by_value
      - .offset:         40
        .size:           4
        .value_kind:     by_value
      - .offset:         44
        .size:           4
        .value_kind:     by_value
      - .offset:         48
        .size:           4
        .value_kind:     hidden_block_count_x
      - .offset:         52
        .size:           4
        .value_kind:     hidden_block_count_y
      - .offset:         56
        .size:           4
        .value_kind:     hidden_block_count_z
      - .offset:         60
        .size:           2
        .value_kind:     hidden_group_size_x
      - .offset:         62
        .size:           2
        .value_kind:     hidden_group_size_y
      - .offset:         64
        .size:           2
        .value_kind:     hidden_group_size_z
      - .offset:         66
        .size:           2
        .value_kind:     hidden_remainder_x
      - .offset:         68
        .size:           2
        .value_kind:     hidden_remainder_y
      - .offset:         70
        .size:           2
        .value_kind:     hidden_remainder_z
      - .offset:         88
        .size:           8
        .value_kind:     hidden_global_offset_x
      - .offset:         96
        .size:           8
        .value_kind:     hidden_global_offset_y
      - .offset:         104
        .size:           8
        .value_kind:     hidden_global_offset_z
      - .offset:         112
        .size:           2
        .value_kind:     hidden_grid_dims
    .group_segment_fixed_size: 0
    .kernarg_segment_align: 8
    .kernarg_segment_size: 304
    .language:       OpenCL C
    .language_version:
      - 2
      - 0
    .max_flat_workgroup_size: 1024
    .name:           _ZL9moe_vec_qIfLi256ELi32E10block_q6_KLi1EXadL_ZL17vec_dot_q6_K_q8_1PKvPK10block_q8_1RKiEEEvS2_S2_PT_PS6_iiii
    .private_segment_fixed_size: 0
    .sgpr_count:     20
    .sgpr_spill_count: 0
    .symbol:         _ZL9moe_vec_qIfLi256ELi32E10block_q6_KLi1EXadL_ZL17vec_dot_q6_K_q8_1PKvPK10block_q8_1RKiEEEvS2_S2_PT_PS6_iiii.kd
    .uniform_work_group_size: 1
    .uses_dynamic_stack: false
    .vgpr_count:     34
    .vgpr_spill_count: 0
    .wavefront_size: 32
    .workgroup_processor_mode: 1
  - .args:
      - .actual_access:  read_only
        .address_space:  global
        .offset:         0
        .size:           8
        .value_kind:     global_buffer
      - .actual_access:  read_only
        .address_space:  global
        .offset:         8
        .size:           8
        .value_kind:     global_buffer
      - .actual_access:  write_only
        .address_space:  global
        .offset:         16
        .size:           8
        .value_kind:     global_buffer
      - .address_space:  global
        .offset:         24
        .size:           8
        .value_kind:     global_buffer
      - .offset:         32
        .size:           4
        .value_kind:     by_value
      - .offset:         36
        .size:           4
        .value_kind:     by_value
      - .offset:         40
        .size:           4
        .value_kind:     by_value
      - .offset:         44
        .size:           4
        .value_kind:     by_value
      - .offset:         48
        .size:           4
        .value_kind:     hidden_block_count_x
      - .offset:         52
        .size:           4
        .value_kind:     hidden_block_count_y
      - .offset:         56
        .size:           4
        .value_kind:     hidden_block_count_z
      - .offset:         60
        .size:           2
        .value_kind:     hidden_group_size_x
      - .offset:         62
        .size:           2
        .value_kind:     hidden_group_size_y
      - .offset:         64
        .size:           2
        .value_kind:     hidden_group_size_z
      - .offset:         66
        .size:           2
        .value_kind:     hidden_remainder_x
      - .offset:         68
        .size:           2
        .value_kind:     hidden_remainder_y
      - .offset:         70
        .size:           2
        .value_kind:     hidden_remainder_z
      - .offset:         88
        .size:           8
        .value_kind:     hidden_global_offset_x
      - .offset:         96
        .size:           8
        .value_kind:     hidden_global_offset_y
      - .offset:         104
        .size:           8
        .value_kind:     hidden_global_offset_z
      - .offset:         112
        .size:           2
        .value_kind:     hidden_grid_dims
    .group_segment_fixed_size: 0
    .kernarg_segment_align: 8
    .kernarg_segment_size: 304
    .language:       OpenCL C
    .language_version:
      - 2
      - 0
    .max_flat_workgroup_size: 1024
    .name:           _ZL9moe_vec_qIfLi256ELi8E13block_iq2_xxsLi1EXadL_ZL20vec_dot_iq2_xxs_q8_1PKvPK10block_q8_1RKiEEEvS2_S2_PT_PS6_iiii
    .private_segment_fixed_size: 0
    .sgpr_count:     24
    .sgpr_spill_count: 0
    .symbol:         _ZL9moe_vec_qIfLi256ELi8E13block_iq2_xxsLi1EXadL_ZL20vec_dot_iq2_xxs_q8_1PKvPK10block_q8_1RKiEEEvS2_S2_PT_PS6_iiii.kd
    .uniform_work_group_size: 1
    .uses_dynamic_stack: false
    .vgpr_count:     94
    .vgpr_spill_count: 0
    .wavefront_size: 32
    .workgroup_processor_mode: 1
  - .args:
      - .actual_access:  read_only
        .address_space:  global
        .offset:         0
        .size:           8
        .value_kind:     global_buffer
      - .actual_access:  read_only
        .address_space:  global
        .offset:         8
        .size:           8
        .value_kind:     global_buffer
      - .actual_access:  write_only
        .address_space:  global
        .offset:         16
        .size:           8
        .value_kind:     global_buffer
      - .address_space:  global
        .offset:         24
        .size:           8
        .value_kind:     global_buffer
      - .offset:         32
        .size:           4
        .value_kind:     by_value
      - .offset:         36
        .size:           4
        .value_kind:     by_value
      - .offset:         40
        .size:           4
        .value_kind:     by_value
      - .offset:         44
        .size:           4
        .value_kind:     by_value
      - .offset:         48
        .size:           4
        .value_kind:     hidden_block_count_x
      - .offset:         52
        .size:           4
        .value_kind:     hidden_block_count_y
      - .offset:         56
        .size:           4
        .value_kind:     hidden_block_count_z
      - .offset:         60
        .size:           2
        .value_kind:     hidden_group_size_x
      - .offset:         62
        .size:           2
        .value_kind:     hidden_group_size_y
      - .offset:         64
        .size:           2
        .value_kind:     hidden_group_size_z
      - .offset:         66
        .size:           2
        .value_kind:     hidden_remainder_x
      - .offset:         68
        .size:           2
        .value_kind:     hidden_remainder_y
      - .offset:         70
        .size:           2
        .value_kind:     hidden_remainder_z
      - .offset:         88
        .size:           8
        .value_kind:     hidden_global_offset_x
      - .offset:         96
        .size:           8
        .value_kind:     hidden_global_offset_y
      - .offset:         104
        .size:           8
        .value_kind:     hidden_global_offset_z
      - .offset:         112
        .size:           2
        .value_kind:     hidden_grid_dims
    .group_segment_fixed_size: 0
    .kernarg_segment_align: 8
    .kernarg_segment_size: 304
    .language:       OpenCL C
    .language_version:
      - 2
      - 0
    .max_flat_workgroup_size: 1024
    .name:           _ZL9moe_vec_qIfLi256ELi8E12block_iq2_xsLi1EXadL_ZL19vec_dot_iq2_xs_q8_1PKvPK10block_q8_1RKiEEEvS2_S2_PT_PS6_iiii
    .private_segment_fixed_size: 0
    .sgpr_count:     43
    .sgpr_spill_count: 0
    .symbol:         _ZL9moe_vec_qIfLi256ELi8E12block_iq2_xsLi1EXadL_ZL19vec_dot_iq2_xs_q8_1PKvPK10block_q8_1RKiEEEvS2_S2_PT_PS6_iiii.kd
    .uniform_work_group_size: 1
    .uses_dynamic_stack: false
    .vgpr_count:     94
    .vgpr_spill_count: 0
    .wavefront_size: 32
    .workgroup_processor_mode: 1
  - .args:
      - .actual_access:  read_only
        .address_space:  global
        .offset:         0
        .size:           8
        .value_kind:     global_buffer
      - .actual_access:  read_only
        .address_space:  global
        .offset:         8
        .size:           8
        .value_kind:     global_buffer
      - .actual_access:  write_only
        .address_space:  global
        .offset:         16
        .size:           8
        .value_kind:     global_buffer
      - .address_space:  global
        .offset:         24
        .size:           8
        .value_kind:     global_buffer
      - .offset:         32
        .size:           4
        .value_kind:     by_value
      - .offset:         36
        .size:           4
        .value_kind:     by_value
      - .offset:         40
        .size:           4
        .value_kind:     by_value
      - .offset:         44
        .size:           4
        .value_kind:     by_value
      - .offset:         48
        .size:           4
        .value_kind:     hidden_block_count_x
      - .offset:         52
        .size:           4
        .value_kind:     hidden_block_count_y
      - .offset:         56
        .size:           4
        .value_kind:     hidden_block_count_z
      - .offset:         60
        .size:           2
        .value_kind:     hidden_group_size_x
      - .offset:         62
        .size:           2
        .value_kind:     hidden_group_size_y
      - .offset:         64
        .size:           2
        .value_kind:     hidden_group_size_z
      - .offset:         66
        .size:           2
        .value_kind:     hidden_remainder_x
      - .offset:         68
        .size:           2
        .value_kind:     hidden_remainder_y
      - .offset:         70
        .size:           2
        .value_kind:     hidden_remainder_z
      - .offset:         88
        .size:           8
        .value_kind:     hidden_global_offset_x
      - .offset:         96
        .size:           8
        .value_kind:     hidden_global_offset_y
      - .offset:         104
        .size:           8
        .value_kind:     hidden_global_offset_z
      - .offset:         112
        .size:           2
        .value_kind:     hidden_grid_dims
    .group_segment_fixed_size: 0
    .kernarg_segment_align: 8
    .kernarg_segment_size: 304
    .language:       OpenCL C
    .language_version:
      - 2
      - 0
    .max_flat_workgroup_size: 1024
    .name:           _ZL9moe_vec_qIfLi256ELi8E13block_iq3_xxsLi1EXadL_ZL20vec_dot_iq3_xxs_q8_1PKvPK10block_q8_1RKiEEEvS2_S2_PT_PS6_iiii
    .private_segment_fixed_size: 0
    .sgpr_count:     20
    .sgpr_spill_count: 0
    .symbol:         _ZL9moe_vec_qIfLi256ELi8E13block_iq3_xxsLi1EXadL_ZL20vec_dot_iq3_xxs_q8_1PKvPK10block_q8_1RKiEEEvS2_S2_PT_PS6_iiii.kd
    .uniform_work_group_size: 1
    .uses_dynamic_stack: false
    .vgpr_count:     37
    .vgpr_spill_count: 0
    .wavefront_size: 32
    .workgroup_processor_mode: 1
  - .args:
      - .actual_access:  read_only
        .address_space:  global
        .offset:         0
        .size:           8
        .value_kind:     global_buffer
      - .actual_access:  read_only
        .address_space:  global
        .offset:         8
        .size:           8
        .value_kind:     global_buffer
      - .actual_access:  write_only
        .address_space:  global
        .offset:         16
        .size:           8
        .value_kind:     global_buffer
      - .address_space:  global
        .offset:         24
        .size:           8
        .value_kind:     global_buffer
      - .offset:         32
        .size:           4
        .value_kind:     by_value
      - .offset:         36
        .size:           4
        .value_kind:     by_value
      - .offset:         40
        .size:           4
        .value_kind:     by_value
      - .offset:         44
        .size:           4
        .value_kind:     by_value
      - .offset:         48
        .size:           4
        .value_kind:     hidden_block_count_x
      - .offset:         52
        .size:           4
        .value_kind:     hidden_block_count_y
      - .offset:         56
        .size:           4
        .value_kind:     hidden_block_count_z
      - .offset:         60
        .size:           2
        .value_kind:     hidden_group_size_x
      - .offset:         62
        .size:           2
        .value_kind:     hidden_group_size_y
      - .offset:         64
        .size:           2
        .value_kind:     hidden_group_size_z
      - .offset:         66
        .size:           2
        .value_kind:     hidden_remainder_x
      - .offset:         68
        .size:           2
        .value_kind:     hidden_remainder_y
      - .offset:         70
        .size:           2
        .value_kind:     hidden_remainder_z
      - .offset:         88
        .size:           8
        .value_kind:     hidden_global_offset_x
      - .offset:         96
        .size:           8
        .value_kind:     hidden_global_offset_y
      - .offset:         104
        .size:           8
        .value_kind:     hidden_global_offset_z
      - .offset:         112
        .size:           2
        .value_kind:     hidden_grid_dims
    .group_segment_fixed_size: 0
    .kernarg_segment_align: 8
    .kernarg_segment_size: 304
    .language:       OpenCL C
    .language_version:
      - 2
      - 0
    .max_flat_workgroup_size: 1024
    .name:           _ZL9moe_vec_qIfLi256ELi8E11block_iq1_sLi1EXadL_ZL18vec_dot_iq1_s_q8_1PKvPK10block_q8_1RKiEEEvS2_S2_PT_PS6_iiii
    .private_segment_fixed_size: 0
    .sgpr_count:     22
    .sgpr_spill_count: 0
    .symbol:         _ZL9moe_vec_qIfLi256ELi8E11block_iq1_sLi1EXadL_ZL18vec_dot_iq1_s_q8_1PKvPK10block_q8_1RKiEEEvS2_S2_PT_PS6_iiii.kd
    .uniform_work_group_size: 1
    .uses_dynamic_stack: false
    .vgpr_count:     53
    .vgpr_spill_count: 0
    .wavefront_size: 32
    .workgroup_processor_mode: 1
  - .args:
      - .actual_access:  read_only
        .address_space:  global
        .offset:         0
        .size:           8
        .value_kind:     global_buffer
      - .actual_access:  read_only
        .address_space:  global
        .offset:         8
        .size:           8
        .value_kind:     global_buffer
      - .actual_access:  write_only
        .address_space:  global
        .offset:         16
        .size:           8
        .value_kind:     global_buffer
      - .address_space:  global
        .offset:         24
        .size:           8
        .value_kind:     global_buffer
      - .offset:         32
        .size:           4
        .value_kind:     by_value
      - .offset:         36
        .size:           4
        .value_kind:     by_value
      - .offset:         40
        .size:           4
        .value_kind:     by_value
      - .offset:         44
        .size:           4
        .value_kind:     by_value
      - .offset:         48
        .size:           4
        .value_kind:     hidden_block_count_x
      - .offset:         52
        .size:           4
        .value_kind:     hidden_block_count_y
      - .offset:         56
        .size:           4
        .value_kind:     hidden_block_count_z
      - .offset:         60
        .size:           2
        .value_kind:     hidden_group_size_x
      - .offset:         62
        .size:           2
        .value_kind:     hidden_group_size_y
      - .offset:         64
        .size:           2
        .value_kind:     hidden_group_size_z
      - .offset:         66
        .size:           2
        .value_kind:     hidden_remainder_x
      - .offset:         68
        .size:           2
        .value_kind:     hidden_remainder_y
      - .offset:         70
        .size:           2
        .value_kind:     hidden_remainder_z
      - .offset:         88
        .size:           8
        .value_kind:     hidden_global_offset_x
      - .offset:         96
        .size:           8
        .value_kind:     hidden_global_offset_y
      - .offset:         104
        .size:           8
        .value_kind:     hidden_global_offset_z
      - .offset:         112
        .size:           2
        .value_kind:     hidden_grid_dims
    .group_segment_fixed_size: 0
    .kernarg_segment_align: 8
    .kernarg_segment_size: 304
    .language:       OpenCL C
    .language_version:
      - 2
      - 0
    .max_flat_workgroup_size: 1024
    .name:           _ZL9moe_vec_qIfLi32ELi4E12block_iq4_nlLi2EXadL_ZL19vec_dot_iq4_nl_q8_1PKvPK10block_q8_1RKiEEEvS2_S2_PT_PS6_iiii
    .private_segment_fixed_size: 0
    .sgpr_count:     22
    .sgpr_spill_count: 0
    .symbol:         _ZL9moe_vec_qIfLi32ELi4E12block_iq4_nlLi2EXadL_ZL19vec_dot_iq4_nl_q8_1PKvPK10block_q8_1RKiEEEvS2_S2_PT_PS6_iiii.kd
    .uniform_work_group_size: 1
    .uses_dynamic_stack: false
    .vgpr_count:     33
    .vgpr_spill_count: 0
    .wavefront_size: 32
    .workgroup_processor_mode: 1
  - .args:
      - .actual_access:  read_only
        .address_space:  global
        .offset:         0
        .size:           8
        .value_kind:     global_buffer
      - .actual_access:  read_only
        .address_space:  global
        .offset:         8
        .size:           8
        .value_kind:     global_buffer
      - .actual_access:  write_only
        .address_space:  global
        .offset:         16
        .size:           8
        .value_kind:     global_buffer
      - .address_space:  global
        .offset:         24
        .size:           8
        .value_kind:     global_buffer
      - .offset:         32
        .size:           4
        .value_kind:     by_value
      - .offset:         36
        .size:           4
        .value_kind:     by_value
      - .offset:         40
        .size:           4
        .value_kind:     by_value
      - .offset:         44
        .size:           4
        .value_kind:     by_value
      - .offset:         48
        .size:           4
        .value_kind:     hidden_block_count_x
      - .offset:         52
        .size:           4
        .value_kind:     hidden_block_count_y
      - .offset:         56
        .size:           4
        .value_kind:     hidden_block_count_z
      - .offset:         60
        .size:           2
        .value_kind:     hidden_group_size_x
      - .offset:         62
        .size:           2
        .value_kind:     hidden_group_size_y
      - .offset:         64
        .size:           2
        .value_kind:     hidden_group_size_z
      - .offset:         66
        .size:           2
        .value_kind:     hidden_remainder_x
      - .offset:         68
        .size:           2
        .value_kind:     hidden_remainder_y
      - .offset:         70
        .size:           2
        .value_kind:     hidden_remainder_z
      - .offset:         88
        .size:           8
        .value_kind:     hidden_global_offset_x
      - .offset:         96
        .size:           8
        .value_kind:     hidden_global_offset_y
      - .offset:         104
        .size:           8
        .value_kind:     hidden_global_offset_z
      - .offset:         112
        .size:           2
        .value_kind:     hidden_grid_dims
    .group_segment_fixed_size: 0
    .kernarg_segment_align: 8
    .kernarg_segment_size: 304
    .language:       OpenCL C
    .language_version:
      - 2
      - 0
    .max_flat_workgroup_size: 1024
    .name:           _ZL9moe_vec_qIfLi256ELi8E11block_iq3_sLi1EXadL_ZL18vec_dot_iq3_s_q8_1PKvPK10block_q8_1RKiEEEvS2_S2_PT_PS6_iiii
    .private_segment_fixed_size: 0
    .sgpr_count:     20
    .sgpr_spill_count: 0
    .symbol:         _ZL9moe_vec_qIfLi256ELi8E11block_iq3_sLi1EXadL_ZL18vec_dot_iq3_s_q8_1PKvPK10block_q8_1RKiEEEvS2_S2_PT_PS6_iiii.kd
    .uniform_work_group_size: 1
    .uses_dynamic_stack: false
    .vgpr_count:     42
    .vgpr_spill_count: 0
    .wavefront_size: 32
    .workgroup_processor_mode: 1
  - .args:
      - .actual_access:  read_only
        .address_space:  global
        .offset:         0
        .size:           8
        .value_kind:     global_buffer
      - .actual_access:  read_only
        .address_space:  global
        .offset:         8
        .size:           8
        .value_kind:     global_buffer
      - .actual_access:  write_only
        .address_space:  global
        .offset:         16
        .size:           8
        .value_kind:     global_buffer
      - .address_space:  global
        .offset:         24
        .size:           8
        .value_kind:     global_buffer
      - .offset:         32
        .size:           4
        .value_kind:     by_value
      - .offset:         36
        .size:           4
        .value_kind:     by_value
      - .offset:         40
        .size:           4
        .value_kind:     by_value
      - .offset:         44
        .size:           4
        .value_kind:     by_value
      - .offset:         48
        .size:           4
        .value_kind:     hidden_block_count_x
      - .offset:         52
        .size:           4
        .value_kind:     hidden_block_count_y
      - .offset:         56
        .size:           4
        .value_kind:     hidden_block_count_z
      - .offset:         60
        .size:           2
        .value_kind:     hidden_group_size_x
      - .offset:         62
        .size:           2
        .value_kind:     hidden_group_size_y
      - .offset:         64
        .size:           2
        .value_kind:     hidden_group_size_z
      - .offset:         66
        .size:           2
        .value_kind:     hidden_remainder_x
      - .offset:         68
        .size:           2
        .value_kind:     hidden_remainder_y
      - .offset:         70
        .size:           2
        .value_kind:     hidden_remainder_z
      - .offset:         88
        .size:           8
        .value_kind:     hidden_global_offset_x
      - .offset:         96
        .size:           8
        .value_kind:     hidden_global_offset_y
      - .offset:         104
        .size:           8
        .value_kind:     hidden_global_offset_z
      - .offset:         112
        .size:           2
        .value_kind:     hidden_grid_dims
    .group_segment_fixed_size: 0
    .kernarg_segment_align: 8
    .kernarg_segment_size: 304
    .language:       OpenCL C
    .language_version:
      - 2
      - 0
    .max_flat_workgroup_size: 1024
    .name:           _ZL9moe_vec_qIfLi256ELi8E11block_iq2_sLi1EXadL_ZL18vec_dot_iq2_s_q8_1PKvPK10block_q8_1RKiEEEvS2_S2_PT_PS6_iiii
    .private_segment_fixed_size: 0
    .sgpr_count:     19
    .sgpr_spill_count: 0
    .symbol:         _ZL9moe_vec_qIfLi256ELi8E11block_iq2_sLi1EXadL_ZL18vec_dot_iq2_s_q8_1PKvPK10block_q8_1RKiEEEvS2_S2_PT_PS6_iiii.kd
    .uniform_work_group_size: 1
    .uses_dynamic_stack: false
    .vgpr_count:     41
    .vgpr_spill_count: 0
    .wavefront_size: 32
    .workgroup_processor_mode: 1
  - .args:
      - .actual_access:  read_only
        .address_space:  global
        .offset:         0
        .size:           8
        .value_kind:     global_buffer
      - .actual_access:  read_only
        .address_space:  global
        .offset:         8
        .size:           8
        .value_kind:     global_buffer
      - .actual_access:  write_only
        .address_space:  global
        .offset:         16
        .size:           8
        .value_kind:     global_buffer
      - .address_space:  global
        .offset:         24
        .size:           8
        .value_kind:     global_buffer
      - .offset:         32
        .size:           4
        .value_kind:     by_value
      - .offset:         36
        .size:           4
        .value_kind:     by_value
      - .offset:         40
        .size:           4
        .value_kind:     by_value
      - .offset:         44
        .size:           4
        .value_kind:     by_value
      - .offset:         48
        .size:           4
        .value_kind:     hidden_block_count_x
      - .offset:         52
        .size:           4
        .value_kind:     hidden_block_count_y
      - .offset:         56
        .size:           4
        .value_kind:     hidden_block_count_z
      - .offset:         60
        .size:           2
        .value_kind:     hidden_group_size_x
      - .offset:         62
        .size:           2
        .value_kind:     hidden_group_size_y
      - .offset:         64
        .size:           2
        .value_kind:     hidden_group_size_z
      - .offset:         66
        .size:           2
        .value_kind:     hidden_remainder_x
      - .offset:         68
        .size:           2
        .value_kind:     hidden_remainder_y
      - .offset:         70
        .size:           2
        .value_kind:     hidden_remainder_z
      - .offset:         88
        .size:           8
        .value_kind:     hidden_global_offset_x
      - .offset:         96
        .size:           8
        .value_kind:     hidden_global_offset_y
      - .offset:         104
        .size:           8
        .value_kind:     hidden_global_offset_z
      - .offset:         112
        .size:           2
        .value_kind:     hidden_grid_dims
    .group_segment_fixed_size: 0
    .kernarg_segment_align: 8
    .kernarg_segment_size: 304
    .language:       OpenCL C
    .language_version:
      - 2
      - 0
    .max_flat_workgroup_size: 1024
    .name:           _ZL9moe_vec_qIfLi256ELi8E12block_iq4_xsLi1EXadL_ZL19vec_dot_iq4_xs_q8_1PKvPK10block_q8_1RKiEEEvS2_S2_PT_PS6_iiii
    .private_segment_fixed_size: 0
    .sgpr_count:     20
    .sgpr_spill_count: 0
    .symbol:         _ZL9moe_vec_qIfLi256ELi8E12block_iq4_xsLi1EXadL_ZL19vec_dot_iq4_xs_q8_1PKvPK10block_q8_1RKiEEEvS2_S2_PT_PS6_iiii.kd
    .uniform_work_group_size: 1
    .uses_dynamic_stack: false
    .vgpr_count:     34
    .vgpr_spill_count: 0
    .wavefront_size: 32
    .workgroup_processor_mode: 1
  - .args:
      - .actual_access:  read_only
        .address_space:  global
        .offset:         0
        .size:           8
        .value_kind:     global_buffer
      - .actual_access:  read_only
        .address_space:  global
        .offset:         8
        .size:           8
        .value_kind:     global_buffer
      - .actual_access:  write_only
        .address_space:  global
        .offset:         16
        .size:           8
        .value_kind:     global_buffer
      - .address_space:  global
        .offset:         24
        .size:           8
        .value_kind:     global_buffer
      - .offset:         32
        .size:           4
        .value_kind:     by_value
      - .offset:         36
        .size:           4
        .value_kind:     by_value
      - .offset:         40
        .size:           4
        .value_kind:     by_value
      - .offset:         44
        .size:           4
        .value_kind:     by_value
      - .offset:         48
        .size:           4
        .value_kind:     hidden_block_count_x
      - .offset:         52
        .size:           4
        .value_kind:     hidden_block_count_y
      - .offset:         56
        .size:           4
        .value_kind:     hidden_block_count_z
      - .offset:         60
        .size:           2
        .value_kind:     hidden_group_size_x
      - .offset:         62
        .size:           2
        .value_kind:     hidden_group_size_y
      - .offset:         64
        .size:           2
        .value_kind:     hidden_group_size_z
      - .offset:         66
        .size:           2
        .value_kind:     hidden_remainder_x
      - .offset:         68
        .size:           2
        .value_kind:     hidden_remainder_y
      - .offset:         70
        .size:           2
        .value_kind:     hidden_remainder_z
      - .offset:         88
        .size:           8
        .value_kind:     hidden_global_offset_x
      - .offset:         96
        .size:           8
        .value_kind:     hidden_global_offset_y
      - .offset:         104
        .size:           8
        .value_kind:     hidden_global_offset_z
      - .offset:         112
        .size:           2
        .value_kind:     hidden_grid_dims
    .group_segment_fixed_size: 0
    .kernarg_segment_align: 8
    .kernarg_segment_size: 304
    .language:       OpenCL C
    .language_version:
      - 2
      - 0
    .max_flat_workgroup_size: 1024
    .name:           _ZL9moe_vec_qIfLi256ELi8E11block_iq1_mLi1EXadL_ZL18vec_dot_iq1_m_q8_1PKvPK10block_q8_1RKiEEEvS2_S2_PT_PS6_iiii
    .private_segment_fixed_size: 0
    .sgpr_count:     22
    .sgpr_spill_count: 0
    .symbol:         _ZL9moe_vec_qIfLi256ELi8E11block_iq1_mLi1EXadL_ZL18vec_dot_iq1_m_q8_1PKvPK10block_q8_1RKiEEEvS2_S2_PT_PS6_iiii.kd
    .uniform_work_group_size: 1
    .uses_dynamic_stack: false
    .vgpr_count:     74
    .vgpr_spill_count: 0
    .wavefront_size: 32
    .workgroup_processor_mode: 1
  - .args:
      - .actual_access:  read_only
        .address_space:  global
        .offset:         0
        .size:           8
        .value_kind:     global_buffer
      - .actual_access:  read_only
        .address_space:  global
        .offset:         8
        .size:           8
        .value_kind:     global_buffer
      - .actual_access:  write_only
        .address_space:  global
        .offset:         16
        .size:           8
        .value_kind:     global_buffer
      - .address_space:  global
        .offset:         24
        .size:           8
        .value_kind:     global_buffer
      - .offset:         32
        .size:           4
        .value_kind:     by_value
      - .offset:         36
        .size:           4
        .value_kind:     by_value
      - .offset:         40
        .size:           4
        .value_kind:     by_value
      - .offset:         44
        .size:           4
        .value_kind:     by_value
      - .offset:         48
        .size:           4
        .value_kind:     hidden_block_count_x
      - .offset:         52
        .size:           4
        .value_kind:     hidden_block_count_y
      - .offset:         56
        .size:           4
        .value_kind:     hidden_block_count_z
      - .offset:         60
        .size:           2
        .value_kind:     hidden_group_size_x
      - .offset:         62
        .size:           2
        .value_kind:     hidden_group_size_y
      - .offset:         64
        .size:           2
        .value_kind:     hidden_group_size_z
      - .offset:         66
        .size:           2
        .value_kind:     hidden_remainder_x
      - .offset:         68
        .size:           2
        .value_kind:     hidden_remainder_y
      - .offset:         70
        .size:           2
        .value_kind:     hidden_remainder_z
      - .offset:         88
        .size:           8
        .value_kind:     hidden_global_offset_x
      - .offset:         96
        .size:           8
        .value_kind:     hidden_global_offset_y
      - .offset:         104
        .size:           8
        .value_kind:     hidden_global_offset_z
      - .offset:         112
        .size:           2
        .value_kind:     hidden_grid_dims
    .group_segment_fixed_size: 0
    .kernarg_segment_align: 8
    .kernarg_segment_size: 304
    .language:       OpenCL C
    .language_version:
      - 2
      - 0
    .max_flat_workgroup_size: 1024
    .name:           _ZL9moe_vec_qIN3c104HalfELi32ELi4E10block_q4_0Li2EXadL_ZL17vec_dot_q4_0_q8_1PKvPK10block_q8_1RKiEEEvS4_S4_PT_PS8_iiii
    .private_segment_fixed_size: 0
    .sgpr_count:     22
    .sgpr_spill_count: 0
    .symbol:         _ZL9moe_vec_qIN3c104HalfELi32ELi4E10block_q4_0Li2EXadL_ZL17vec_dot_q4_0_q8_1PKvPK10block_q8_1RKiEEEvS4_S4_PT_PS8_iiii.kd
    .uniform_work_group_size: 1
    .uses_dynamic_stack: false
    .vgpr_count:     31
    .vgpr_spill_count: 0
    .wavefront_size: 32
    .workgroup_processor_mode: 1
  - .args:
      - .actual_access:  read_only
        .address_space:  global
        .offset:         0
        .size:           8
        .value_kind:     global_buffer
      - .actual_access:  read_only
        .address_space:  global
        .offset:         8
        .size:           8
        .value_kind:     global_buffer
      - .actual_access:  write_only
        .address_space:  global
        .offset:         16
        .size:           8
        .value_kind:     global_buffer
      - .address_space:  global
        .offset:         24
        .size:           8
        .value_kind:     global_buffer
      - .offset:         32
        .size:           4
        .value_kind:     by_value
      - .offset:         36
        .size:           4
        .value_kind:     by_value
      - .offset:         40
        .size:           4
        .value_kind:     by_value
      - .offset:         44
        .size:           4
        .value_kind:     by_value
      - .offset:         48
        .size:           4
        .value_kind:     hidden_block_count_x
      - .offset:         52
        .size:           4
        .value_kind:     hidden_block_count_y
      - .offset:         56
        .size:           4
        .value_kind:     hidden_block_count_z
      - .offset:         60
        .size:           2
        .value_kind:     hidden_group_size_x
      - .offset:         62
        .size:           2
        .value_kind:     hidden_group_size_y
      - .offset:         64
        .size:           2
        .value_kind:     hidden_group_size_z
      - .offset:         66
        .size:           2
        .value_kind:     hidden_remainder_x
      - .offset:         68
        .size:           2
        .value_kind:     hidden_remainder_y
      - .offset:         70
        .size:           2
        .value_kind:     hidden_remainder_z
      - .offset:         88
        .size:           8
        .value_kind:     hidden_global_offset_x
      - .offset:         96
        .size:           8
        .value_kind:     hidden_global_offset_y
      - .offset:         104
        .size:           8
        .value_kind:     hidden_global_offset_z
      - .offset:         112
        .size:           2
        .value_kind:     hidden_grid_dims
    .group_segment_fixed_size: 0
    .kernarg_segment_align: 8
    .kernarg_segment_size: 304
    .language:       OpenCL C
    .language_version:
      - 2
      - 0
    .max_flat_workgroup_size: 1024
    .name:           _ZL9moe_vec_qIN3c104HalfELi32ELi4E10block_q4_1Li2EXadL_ZL17vec_dot_q4_1_q8_1PKvPK10block_q8_1RKiEEEvS4_S4_PT_PS8_iiii
    .private_segment_fixed_size: 0
    .sgpr_count:     21
    .sgpr_spill_count: 0
    .symbol:         _ZL9moe_vec_qIN3c104HalfELi32ELi4E10block_q4_1Li2EXadL_ZL17vec_dot_q4_1_q8_1PKvPK10block_q8_1RKiEEEvS4_S4_PT_PS8_iiii.kd
    .uniform_work_group_size: 1
    .uses_dynamic_stack: false
    .vgpr_count:     31
    .vgpr_spill_count: 0
    .wavefront_size: 32
    .workgroup_processor_mode: 1
  - .args:
      - .actual_access:  read_only
        .address_space:  global
        .offset:         0
        .size:           8
        .value_kind:     global_buffer
      - .actual_access:  read_only
        .address_space:  global
        .offset:         8
        .size:           8
        .value_kind:     global_buffer
      - .actual_access:  write_only
        .address_space:  global
        .offset:         16
        .size:           8
        .value_kind:     global_buffer
      - .address_space:  global
        .offset:         24
        .size:           8
        .value_kind:     global_buffer
      - .offset:         32
        .size:           4
        .value_kind:     by_value
      - .offset:         36
        .size:           4
        .value_kind:     by_value
      - .offset:         40
        .size:           4
        .value_kind:     by_value
      - .offset:         44
        .size:           4
        .value_kind:     by_value
      - .offset:         48
        .size:           4
        .value_kind:     hidden_block_count_x
      - .offset:         52
        .size:           4
        .value_kind:     hidden_block_count_y
      - .offset:         56
        .size:           4
        .value_kind:     hidden_block_count_z
      - .offset:         60
        .size:           2
        .value_kind:     hidden_group_size_x
      - .offset:         62
        .size:           2
        .value_kind:     hidden_group_size_y
      - .offset:         64
        .size:           2
        .value_kind:     hidden_group_size_z
      - .offset:         66
        .size:           2
        .value_kind:     hidden_remainder_x
      - .offset:         68
        .size:           2
        .value_kind:     hidden_remainder_y
      - .offset:         70
        .size:           2
        .value_kind:     hidden_remainder_z
      - .offset:         88
        .size:           8
        .value_kind:     hidden_global_offset_x
      - .offset:         96
        .size:           8
        .value_kind:     hidden_global_offset_y
      - .offset:         104
        .size:           8
        .value_kind:     hidden_global_offset_z
      - .offset:         112
        .size:           2
        .value_kind:     hidden_grid_dims
    .group_segment_fixed_size: 0
    .kernarg_segment_align: 8
    .kernarg_segment_size: 304
    .language:       OpenCL C
    .language_version:
      - 2
      - 0
    .max_flat_workgroup_size: 1024
    .name:           _ZL9moe_vec_qIN3c104HalfELi32ELi4E10block_q5_0Li2EXadL_ZL17vec_dot_q5_0_q8_1PKvPK10block_q8_1RKiEEEvS4_S4_PT_PS8_iiii
    .private_segment_fixed_size: 0
    .sgpr_count:     22
    .sgpr_spill_count: 0
    .symbol:         _ZL9moe_vec_qIN3c104HalfELi32ELi4E10block_q5_0Li2EXadL_ZL17vec_dot_q5_0_q8_1PKvPK10block_q8_1RKiEEEvS4_S4_PT_PS8_iiii.kd
    .uniform_work_group_size: 1
    .uses_dynamic_stack: false
    .vgpr_count:     45
    .vgpr_spill_count: 0
    .wavefront_size: 32
    .workgroup_processor_mode: 1
  - .args:
      - .actual_access:  read_only
        .address_space:  global
        .offset:         0
        .size:           8
        .value_kind:     global_buffer
      - .actual_access:  read_only
        .address_space:  global
        .offset:         8
        .size:           8
        .value_kind:     global_buffer
      - .actual_access:  write_only
        .address_space:  global
        .offset:         16
        .size:           8
        .value_kind:     global_buffer
      - .address_space:  global
        .offset:         24
        .size:           8
        .value_kind:     global_buffer
      - .offset:         32
        .size:           4
        .value_kind:     by_value
      - .offset:         36
        .size:           4
        .value_kind:     by_value
      - .offset:         40
        .size:           4
        .value_kind:     by_value
      - .offset:         44
        .size:           4
        .value_kind:     by_value
      - .offset:         48
        .size:           4
        .value_kind:     hidden_block_count_x
      - .offset:         52
        .size:           4
        .value_kind:     hidden_block_count_y
      - .offset:         56
        .size:           4
        .value_kind:     hidden_block_count_z
      - .offset:         60
        .size:           2
        .value_kind:     hidden_group_size_x
      - .offset:         62
        .size:           2
        .value_kind:     hidden_group_size_y
      - .offset:         64
        .size:           2
        .value_kind:     hidden_group_size_z
      - .offset:         66
        .size:           2
        .value_kind:     hidden_remainder_x
      - .offset:         68
        .size:           2
        .value_kind:     hidden_remainder_y
      - .offset:         70
        .size:           2
        .value_kind:     hidden_remainder_z
      - .offset:         88
        .size:           8
        .value_kind:     hidden_global_offset_x
      - .offset:         96
        .size:           8
        .value_kind:     hidden_global_offset_y
      - .offset:         104
        .size:           8
        .value_kind:     hidden_global_offset_z
      - .offset:         112
        .size:           2
        .value_kind:     hidden_grid_dims
    .group_segment_fixed_size: 0
    .kernarg_segment_align: 8
    .kernarg_segment_size: 304
    .language:       OpenCL C
    .language_version:
      - 2
      - 0
    .max_flat_workgroup_size: 1024
    .name:           _ZL9moe_vec_qIN3c104HalfELi32ELi4E10block_q5_1Li2EXadL_ZL17vec_dot_q5_1_q8_1PKvPK10block_q8_1RKiEEEvS4_S4_PT_PS8_iiii
    .private_segment_fixed_size: 0
    .sgpr_count:     22
    .sgpr_spill_count: 0
    .symbol:         _ZL9moe_vec_qIN3c104HalfELi32ELi4E10block_q5_1Li2EXadL_ZL17vec_dot_q5_1_q8_1PKvPK10block_q8_1RKiEEEvS4_S4_PT_PS8_iiii.kd
    .uniform_work_group_size: 1
    .uses_dynamic_stack: false
    .vgpr_count:     45
    .vgpr_spill_count: 0
    .wavefront_size: 32
    .workgroup_processor_mode: 1
  - .args:
      - .actual_access:  read_only
        .address_space:  global
        .offset:         0
        .size:           8
        .value_kind:     global_buffer
      - .actual_access:  read_only
        .address_space:  global
        .offset:         8
        .size:           8
        .value_kind:     global_buffer
      - .actual_access:  write_only
        .address_space:  global
        .offset:         16
        .size:           8
        .value_kind:     global_buffer
      - .address_space:  global
        .offset:         24
        .size:           8
        .value_kind:     global_buffer
      - .offset:         32
        .size:           4
        .value_kind:     by_value
      - .offset:         36
        .size:           4
        .value_kind:     by_value
      - .offset:         40
        .size:           4
        .value_kind:     by_value
      - .offset:         44
        .size:           4
        .value_kind:     by_value
      - .offset:         48
        .size:           4
        .value_kind:     hidden_block_count_x
      - .offset:         52
        .size:           4
        .value_kind:     hidden_block_count_y
      - .offset:         56
        .size:           4
        .value_kind:     hidden_block_count_z
      - .offset:         60
        .size:           2
        .value_kind:     hidden_group_size_x
      - .offset:         62
        .size:           2
        .value_kind:     hidden_group_size_y
      - .offset:         64
        .size:           2
        .value_kind:     hidden_group_size_z
      - .offset:         66
        .size:           2
        .value_kind:     hidden_remainder_x
      - .offset:         68
        .size:           2
        .value_kind:     hidden_remainder_y
      - .offset:         70
        .size:           2
        .value_kind:     hidden_remainder_z
      - .offset:         88
        .size:           8
        .value_kind:     hidden_global_offset_x
      - .offset:         96
        .size:           8
        .value_kind:     hidden_global_offset_y
      - .offset:         104
        .size:           8
        .value_kind:     hidden_global_offset_z
      - .offset:         112
        .size:           2
        .value_kind:     hidden_grid_dims
    .group_segment_fixed_size: 0
    .kernarg_segment_align: 8
    .kernarg_segment_size: 304
    .language:       OpenCL C
    .language_version:
      - 2
      - 0
    .max_flat_workgroup_size: 1024
    .name:           _ZL9moe_vec_qIN3c104HalfELi32ELi8E10block_q8_0Li2EXadL_ZL17vec_dot_q8_0_q8_1PKvPK10block_q8_1RKiEEEvS4_S4_PT_PS8_iiii
    .private_segment_fixed_size: 0
    .sgpr_count:     22
    .sgpr_spill_count: 0
    .symbol:         _ZL9moe_vec_qIN3c104HalfELi32ELi8E10block_q8_0Li2EXadL_ZL17vec_dot_q8_0_q8_1PKvPK10block_q8_1RKiEEEvS4_S4_PT_PS8_iiii.kd
    .uniform_work_group_size: 1
    .uses_dynamic_stack: false
    .vgpr_count:     14
    .vgpr_spill_count: 0
    .wavefront_size: 32
    .workgroup_processor_mode: 1
  - .args:
      - .actual_access:  read_only
        .address_space:  global
        .offset:         0
        .size:           8
        .value_kind:     global_buffer
      - .actual_access:  read_only
        .address_space:  global
        .offset:         8
        .size:           8
        .value_kind:     global_buffer
      - .actual_access:  write_only
        .address_space:  global
        .offset:         16
        .size:           8
        .value_kind:     global_buffer
      - .address_space:  global
        .offset:         24
        .size:           8
        .value_kind:     global_buffer
      - .offset:         32
        .size:           4
        .value_kind:     by_value
      - .offset:         36
        .size:           4
        .value_kind:     by_value
      - .offset:         40
        .size:           4
        .value_kind:     by_value
      - .offset:         44
        .size:           4
        .value_kind:     by_value
      - .offset:         48
        .size:           4
        .value_kind:     hidden_block_count_x
      - .offset:         52
        .size:           4
        .value_kind:     hidden_block_count_y
      - .offset:         56
        .size:           4
        .value_kind:     hidden_block_count_z
      - .offset:         60
        .size:           2
        .value_kind:     hidden_group_size_x
      - .offset:         62
        .size:           2
        .value_kind:     hidden_group_size_y
      - .offset:         64
        .size:           2
        .value_kind:     hidden_group_size_z
      - .offset:         66
        .size:           2
        .value_kind:     hidden_remainder_x
      - .offset:         68
        .size:           2
        .value_kind:     hidden_remainder_y
      - .offset:         70
        .size:           2
        .value_kind:     hidden_remainder_z
      - .offset:         88
        .size:           8
        .value_kind:     hidden_global_offset_x
      - .offset:         96
        .size:           8
        .value_kind:     hidden_global_offset_y
      - .offset:         104
        .size:           8
        .value_kind:     hidden_global_offset_z
      - .offset:         112
        .size:           2
        .value_kind:     hidden_grid_dims
    .group_segment_fixed_size: 0
    .kernarg_segment_align: 8
    .kernarg_segment_size: 304
    .language:       OpenCL C
    .language_version:
      - 2
      - 0
    .max_flat_workgroup_size: 1024
    .name:           _ZL9moe_vec_qIN3c104HalfELi256ELi16E10block_q2_KLi1EXadL_ZL17vec_dot_q2_K_q8_1PKvPK10block_q8_1RKiEEEvS4_S4_PT_PS8_iiii
    .private_segment_fixed_size: 0
    .sgpr_count:     22
    .sgpr_spill_count: 0
    .symbol:         _ZL9moe_vec_qIN3c104HalfELi256ELi16E10block_q2_KLi1EXadL_ZL17vec_dot_q2_K_q8_1PKvPK10block_q8_1RKiEEEvS4_S4_PT_PS8_iiii.kd
    .uniform_work_group_size: 1
    .uses_dynamic_stack: false
    .vgpr_count:     65
    .vgpr_spill_count: 0
    .wavefront_size: 32
    .workgroup_processor_mode: 1
  - .args:
      - .actual_access:  read_only
        .address_space:  global
        .offset:         0
        .size:           8
        .value_kind:     global_buffer
      - .actual_access:  read_only
        .address_space:  global
        .offset:         8
        .size:           8
        .value_kind:     global_buffer
      - .actual_access:  write_only
        .address_space:  global
        .offset:         16
        .size:           8
        .value_kind:     global_buffer
      - .address_space:  global
        .offset:         24
        .size:           8
        .value_kind:     global_buffer
      - .offset:         32
        .size:           4
        .value_kind:     by_value
      - .offset:         36
        .size:           4
        .value_kind:     by_value
      - .offset:         40
        .size:           4
        .value_kind:     by_value
      - .offset:         44
        .size:           4
        .value_kind:     by_value
      - .offset:         48
        .size:           4
        .value_kind:     hidden_block_count_x
      - .offset:         52
        .size:           4
        .value_kind:     hidden_block_count_y
      - .offset:         56
        .size:           4
        .value_kind:     hidden_block_count_z
      - .offset:         60
        .size:           2
        .value_kind:     hidden_group_size_x
      - .offset:         62
        .size:           2
        .value_kind:     hidden_group_size_y
      - .offset:         64
        .size:           2
        .value_kind:     hidden_group_size_z
      - .offset:         66
        .size:           2
        .value_kind:     hidden_remainder_x
      - .offset:         68
        .size:           2
        .value_kind:     hidden_remainder_y
      - .offset:         70
        .size:           2
        .value_kind:     hidden_remainder_z
      - .offset:         88
        .size:           8
        .value_kind:     hidden_global_offset_x
      - .offset:         96
        .size:           8
        .value_kind:     hidden_global_offset_y
      - .offset:         104
        .size:           8
        .value_kind:     hidden_global_offset_z
      - .offset:         112
        .size:           2
        .value_kind:     hidden_grid_dims
    .group_segment_fixed_size: 0
    .kernarg_segment_align: 8
    .kernarg_segment_size: 304
    .language:       OpenCL C
    .language_version:
      - 2
      - 0
    .max_flat_workgroup_size: 1024
    .name:           _ZL9moe_vec_qIN3c104HalfELi256ELi16E10block_q3_KLi1EXadL_ZL17vec_dot_q3_K_q8_1PKvPK10block_q8_1RKiEEEvS4_S4_PT_PS8_iiii
    .private_segment_fixed_size: 0
    .sgpr_count:     22
    .sgpr_spill_count: 0
    .symbol:         _ZL9moe_vec_qIN3c104HalfELi256ELi16E10block_q3_KLi1EXadL_ZL17vec_dot_q3_K_q8_1PKvPK10block_q8_1RKiEEEvS4_S4_PT_PS8_iiii.kd
    .uniform_work_group_size: 1
    .uses_dynamic_stack: false
    .vgpr_count:     76
    .vgpr_spill_count: 0
    .wavefront_size: 32
    .workgroup_processor_mode: 1
  - .args:
      - .actual_access:  read_only
        .address_space:  global
        .offset:         0
        .size:           8
        .value_kind:     global_buffer
      - .actual_access:  read_only
        .address_space:  global
        .offset:         8
        .size:           8
        .value_kind:     global_buffer
      - .actual_access:  write_only
        .address_space:  global
        .offset:         16
        .size:           8
        .value_kind:     global_buffer
      - .address_space:  global
        .offset:         24
        .size:           8
        .value_kind:     global_buffer
      - .offset:         32
        .size:           4
        .value_kind:     by_value
      - .offset:         36
        .size:           4
        .value_kind:     by_value
      - .offset:         40
        .size:           4
        .value_kind:     by_value
      - .offset:         44
        .size:           4
        .value_kind:     by_value
      - .offset:         48
        .size:           4
        .value_kind:     hidden_block_count_x
      - .offset:         52
        .size:           4
        .value_kind:     hidden_block_count_y
      - .offset:         56
        .size:           4
        .value_kind:     hidden_block_count_z
      - .offset:         60
        .size:           2
        .value_kind:     hidden_group_size_x
      - .offset:         62
        .size:           2
        .value_kind:     hidden_group_size_y
      - .offset:         64
        .size:           2
        .value_kind:     hidden_group_size_z
      - .offset:         66
        .size:           2
        .value_kind:     hidden_remainder_x
      - .offset:         68
        .size:           2
        .value_kind:     hidden_remainder_y
      - .offset:         70
        .size:           2
        .value_kind:     hidden_remainder_z
      - .offset:         88
        .size:           8
        .value_kind:     hidden_global_offset_x
      - .offset:         96
        .size:           8
        .value_kind:     hidden_global_offset_y
      - .offset:         104
        .size:           8
        .value_kind:     hidden_global_offset_z
      - .offset:         112
        .size:           2
        .value_kind:     hidden_grid_dims
    .group_segment_fixed_size: 0
    .kernarg_segment_align: 8
    .kernarg_segment_size: 304
    .language:       OpenCL C
    .language_version:
      - 2
      - 0
    .max_flat_workgroup_size: 1024
    .name:           _ZL9moe_vec_qIN3c104HalfELi256ELi32E10block_q4_KLi2EXadL_ZL17vec_dot_q4_K_q8_1PKvPK10block_q8_1RKiEEEvS4_S4_PT_PS8_iiii
    .private_segment_fixed_size: 0
    .sgpr_count:     20
    .sgpr_spill_count: 0
    .symbol:         _ZL9moe_vec_qIN3c104HalfELi256ELi32E10block_q4_KLi2EXadL_ZL17vec_dot_q4_K_q8_1PKvPK10block_q8_1RKiEEEvS4_S4_PT_PS8_iiii.kd
    .uniform_work_group_size: 1
    .uses_dynamic_stack: false
    .vgpr_count:     51
    .vgpr_spill_count: 0
    .wavefront_size: 32
    .workgroup_processor_mode: 1
  - .args:
      - .actual_access:  read_only
        .address_space:  global
        .offset:         0
        .size:           8
        .value_kind:     global_buffer
      - .actual_access:  read_only
        .address_space:  global
        .offset:         8
        .size:           8
        .value_kind:     global_buffer
      - .actual_access:  write_only
        .address_space:  global
        .offset:         16
        .size:           8
        .value_kind:     global_buffer
      - .address_space:  global
        .offset:         24
        .size:           8
        .value_kind:     global_buffer
      - .offset:         32
        .size:           4
        .value_kind:     by_value
      - .offset:         36
        .size:           4
        .value_kind:     by_value
      - .offset:         40
        .size:           4
        .value_kind:     by_value
      - .offset:         44
        .size:           4
        .value_kind:     by_value
      - .offset:         48
        .size:           4
        .value_kind:     hidden_block_count_x
      - .offset:         52
        .size:           4
        .value_kind:     hidden_block_count_y
      - .offset:         56
        .size:           4
        .value_kind:     hidden_block_count_z
      - .offset:         60
        .size:           2
        .value_kind:     hidden_group_size_x
      - .offset:         62
        .size:           2
        .value_kind:     hidden_group_size_y
      - .offset:         64
        .size:           2
        .value_kind:     hidden_group_size_z
      - .offset:         66
        .size:           2
        .value_kind:     hidden_remainder_x
      - .offset:         68
        .size:           2
        .value_kind:     hidden_remainder_y
      - .offset:         70
        .size:           2
        .value_kind:     hidden_remainder_z
      - .offset:         88
        .size:           8
        .value_kind:     hidden_global_offset_x
      - .offset:         96
        .size:           8
        .value_kind:     hidden_global_offset_y
      - .offset:         104
        .size:           8
        .value_kind:     hidden_global_offset_z
      - .offset:         112
        .size:           2
        .value_kind:     hidden_grid_dims
    .group_segment_fixed_size: 0
    .kernarg_segment_align: 8
    .kernarg_segment_size: 304
    .language:       OpenCL C
    .language_version:
      - 2
      - 0
    .max_flat_workgroup_size: 1024
    .name:           _ZL9moe_vec_qIN3c104HalfELi256ELi32E10block_q5_KLi2EXadL_ZL17vec_dot_q5_K_q8_1PKvPK10block_q8_1RKiEEEvS4_S4_PT_PS8_iiii
    .private_segment_fixed_size: 0
    .sgpr_count:     20
    .sgpr_spill_count: 0
    .symbol:         _ZL9moe_vec_qIN3c104HalfELi256ELi32E10block_q5_KLi2EXadL_ZL17vec_dot_q5_K_q8_1PKvPK10block_q8_1RKiEEEvS4_S4_PT_PS8_iiii.kd
    .uniform_work_group_size: 1
    .uses_dynamic_stack: false
    .vgpr_count:     52
    .vgpr_spill_count: 0
    .wavefront_size: 32
    .workgroup_processor_mode: 1
  - .args:
      - .actual_access:  read_only
        .address_space:  global
        .offset:         0
        .size:           8
        .value_kind:     global_buffer
      - .actual_access:  read_only
        .address_space:  global
        .offset:         8
        .size:           8
        .value_kind:     global_buffer
      - .actual_access:  write_only
        .address_space:  global
        .offset:         16
        .size:           8
        .value_kind:     global_buffer
      - .address_space:  global
        .offset:         24
        .size:           8
        .value_kind:     global_buffer
      - .offset:         32
        .size:           4
        .value_kind:     by_value
      - .offset:         36
        .size:           4
        .value_kind:     by_value
      - .offset:         40
        .size:           4
        .value_kind:     by_value
      - .offset:         44
        .size:           4
        .value_kind:     by_value
      - .offset:         48
        .size:           4
        .value_kind:     hidden_block_count_x
      - .offset:         52
        .size:           4
        .value_kind:     hidden_block_count_y
      - .offset:         56
        .size:           4
        .value_kind:     hidden_block_count_z
      - .offset:         60
        .size:           2
        .value_kind:     hidden_group_size_x
      - .offset:         62
        .size:           2
        .value_kind:     hidden_group_size_y
      - .offset:         64
        .size:           2
        .value_kind:     hidden_group_size_z
      - .offset:         66
        .size:           2
        .value_kind:     hidden_remainder_x
      - .offset:         68
        .size:           2
        .value_kind:     hidden_remainder_y
      - .offset:         70
        .size:           2
        .value_kind:     hidden_remainder_z
      - .offset:         88
        .size:           8
        .value_kind:     hidden_global_offset_x
      - .offset:         96
        .size:           8
        .value_kind:     hidden_global_offset_y
      - .offset:         104
        .size:           8
        .value_kind:     hidden_global_offset_z
      - .offset:         112
        .size:           2
        .value_kind:     hidden_grid_dims
    .group_segment_fixed_size: 0
    .kernarg_segment_align: 8
    .kernarg_segment_size: 304
    .language:       OpenCL C
    .language_version:
      - 2
      - 0
    .max_flat_workgroup_size: 1024
    .name:           _ZL9moe_vec_qIN3c104HalfELi256ELi32E10block_q6_KLi1EXadL_ZL17vec_dot_q6_K_q8_1PKvPK10block_q8_1RKiEEEvS4_S4_PT_PS8_iiii
    .private_segment_fixed_size: 0
    .sgpr_count:     20
    .sgpr_spill_count: 0
    .symbol:         _ZL9moe_vec_qIN3c104HalfELi256ELi32E10block_q6_KLi1EXadL_ZL17vec_dot_q6_K_q8_1PKvPK10block_q8_1RKiEEEvS4_S4_PT_PS8_iiii.kd
    .uniform_work_group_size: 1
    .uses_dynamic_stack: false
    .vgpr_count:     34
    .vgpr_spill_count: 0
    .wavefront_size: 32
    .workgroup_processor_mode: 1
  - .args:
      - .actual_access:  read_only
        .address_space:  global
        .offset:         0
        .size:           8
        .value_kind:     global_buffer
      - .actual_access:  read_only
        .address_space:  global
        .offset:         8
        .size:           8
        .value_kind:     global_buffer
      - .actual_access:  write_only
        .address_space:  global
        .offset:         16
        .size:           8
        .value_kind:     global_buffer
      - .address_space:  global
        .offset:         24
        .size:           8
        .value_kind:     global_buffer
      - .offset:         32
        .size:           4
        .value_kind:     by_value
      - .offset:         36
        .size:           4
        .value_kind:     by_value
      - .offset:         40
        .size:           4
        .value_kind:     by_value
      - .offset:         44
        .size:           4
        .value_kind:     by_value
      - .offset:         48
        .size:           4
        .value_kind:     hidden_block_count_x
      - .offset:         52
        .size:           4
        .value_kind:     hidden_block_count_y
      - .offset:         56
        .size:           4
        .value_kind:     hidden_block_count_z
      - .offset:         60
        .size:           2
        .value_kind:     hidden_group_size_x
      - .offset:         62
        .size:           2
        .value_kind:     hidden_group_size_y
      - .offset:         64
        .size:           2
        .value_kind:     hidden_group_size_z
      - .offset:         66
        .size:           2
        .value_kind:     hidden_remainder_x
      - .offset:         68
        .size:           2
        .value_kind:     hidden_remainder_y
      - .offset:         70
        .size:           2
        .value_kind:     hidden_remainder_z
      - .offset:         88
        .size:           8
        .value_kind:     hidden_global_offset_x
      - .offset:         96
        .size:           8
        .value_kind:     hidden_global_offset_y
      - .offset:         104
        .size:           8
        .value_kind:     hidden_global_offset_z
      - .offset:         112
        .size:           2
        .value_kind:     hidden_grid_dims
    .group_segment_fixed_size: 0
    .kernarg_segment_align: 8
    .kernarg_segment_size: 304
    .language:       OpenCL C
    .language_version:
      - 2
      - 0
    .max_flat_workgroup_size: 1024
    .name:           _ZL9moe_vec_qIN3c104HalfELi256ELi8E13block_iq2_xxsLi1EXadL_ZL20vec_dot_iq2_xxs_q8_1PKvPK10block_q8_1RKiEEEvS4_S4_PT_PS8_iiii
    .private_segment_fixed_size: 0
    .sgpr_count:     24
    .sgpr_spill_count: 0
    .symbol:         _ZL9moe_vec_qIN3c104HalfELi256ELi8E13block_iq2_xxsLi1EXadL_ZL20vec_dot_iq2_xxs_q8_1PKvPK10block_q8_1RKiEEEvS4_S4_PT_PS8_iiii.kd
    .uniform_work_group_size: 1
    .uses_dynamic_stack: false
    .vgpr_count:     94
    .vgpr_spill_count: 0
    .wavefront_size: 32
    .workgroup_processor_mode: 1
  - .args:
      - .actual_access:  read_only
        .address_space:  global
        .offset:         0
        .size:           8
        .value_kind:     global_buffer
      - .actual_access:  read_only
        .address_space:  global
        .offset:         8
        .size:           8
        .value_kind:     global_buffer
      - .actual_access:  write_only
        .address_space:  global
        .offset:         16
        .size:           8
        .value_kind:     global_buffer
      - .address_space:  global
        .offset:         24
        .size:           8
        .value_kind:     global_buffer
      - .offset:         32
        .size:           4
        .value_kind:     by_value
      - .offset:         36
        .size:           4
        .value_kind:     by_value
      - .offset:         40
        .size:           4
        .value_kind:     by_value
      - .offset:         44
        .size:           4
        .value_kind:     by_value
      - .offset:         48
        .size:           4
        .value_kind:     hidden_block_count_x
      - .offset:         52
        .size:           4
        .value_kind:     hidden_block_count_y
      - .offset:         56
        .size:           4
        .value_kind:     hidden_block_count_z
      - .offset:         60
        .size:           2
        .value_kind:     hidden_group_size_x
      - .offset:         62
        .size:           2
        .value_kind:     hidden_group_size_y
      - .offset:         64
        .size:           2
        .value_kind:     hidden_group_size_z
      - .offset:         66
        .size:           2
        .value_kind:     hidden_remainder_x
      - .offset:         68
        .size:           2
        .value_kind:     hidden_remainder_y
      - .offset:         70
        .size:           2
        .value_kind:     hidden_remainder_z
      - .offset:         88
        .size:           8
        .value_kind:     hidden_global_offset_x
      - .offset:         96
        .size:           8
        .value_kind:     hidden_global_offset_y
      - .offset:         104
        .size:           8
        .value_kind:     hidden_global_offset_z
      - .offset:         112
        .size:           2
        .value_kind:     hidden_grid_dims
    .group_segment_fixed_size: 0
    .kernarg_segment_align: 8
    .kernarg_segment_size: 304
    .language:       OpenCL C
    .language_version:
      - 2
      - 0
    .max_flat_workgroup_size: 1024
    .name:           _ZL9moe_vec_qIN3c104HalfELi256ELi8E12block_iq2_xsLi1EXadL_ZL19vec_dot_iq2_xs_q8_1PKvPK10block_q8_1RKiEEEvS4_S4_PT_PS8_iiii
    .private_segment_fixed_size: 0
    .sgpr_count:     43
    .sgpr_spill_count: 0
    .symbol:         _ZL9moe_vec_qIN3c104HalfELi256ELi8E12block_iq2_xsLi1EXadL_ZL19vec_dot_iq2_xs_q8_1PKvPK10block_q8_1RKiEEEvS4_S4_PT_PS8_iiii.kd
    .uniform_work_group_size: 1
    .uses_dynamic_stack: false
    .vgpr_count:     94
    .vgpr_spill_count: 0
    .wavefront_size: 32
    .workgroup_processor_mode: 1
  - .args:
      - .actual_access:  read_only
        .address_space:  global
        .offset:         0
        .size:           8
        .value_kind:     global_buffer
      - .actual_access:  read_only
        .address_space:  global
        .offset:         8
        .size:           8
        .value_kind:     global_buffer
      - .actual_access:  write_only
        .address_space:  global
        .offset:         16
        .size:           8
        .value_kind:     global_buffer
      - .address_space:  global
        .offset:         24
        .size:           8
        .value_kind:     global_buffer
      - .offset:         32
        .size:           4
        .value_kind:     by_value
      - .offset:         36
        .size:           4
        .value_kind:     by_value
      - .offset:         40
        .size:           4
        .value_kind:     by_value
      - .offset:         44
        .size:           4
        .value_kind:     by_value
      - .offset:         48
        .size:           4
        .value_kind:     hidden_block_count_x
      - .offset:         52
        .size:           4
        .value_kind:     hidden_block_count_y
      - .offset:         56
        .size:           4
        .value_kind:     hidden_block_count_z
      - .offset:         60
        .size:           2
        .value_kind:     hidden_group_size_x
      - .offset:         62
        .size:           2
        .value_kind:     hidden_group_size_y
      - .offset:         64
        .size:           2
        .value_kind:     hidden_group_size_z
      - .offset:         66
        .size:           2
        .value_kind:     hidden_remainder_x
      - .offset:         68
        .size:           2
        .value_kind:     hidden_remainder_y
      - .offset:         70
        .size:           2
        .value_kind:     hidden_remainder_z
      - .offset:         88
        .size:           8
        .value_kind:     hidden_global_offset_x
      - .offset:         96
        .size:           8
        .value_kind:     hidden_global_offset_y
      - .offset:         104
        .size:           8
        .value_kind:     hidden_global_offset_z
      - .offset:         112
        .size:           2
        .value_kind:     hidden_grid_dims
    .group_segment_fixed_size: 0
    .kernarg_segment_align: 8
    .kernarg_segment_size: 304
    .language:       OpenCL C
    .language_version:
      - 2
      - 0
    .max_flat_workgroup_size: 1024
    .name:           _ZL9moe_vec_qIN3c104HalfELi256ELi8E13block_iq3_xxsLi1EXadL_ZL20vec_dot_iq3_xxs_q8_1PKvPK10block_q8_1RKiEEEvS4_S4_PT_PS8_iiii
    .private_segment_fixed_size: 0
    .sgpr_count:     20
    .sgpr_spill_count: 0
    .symbol:         _ZL9moe_vec_qIN3c104HalfELi256ELi8E13block_iq3_xxsLi1EXadL_ZL20vec_dot_iq3_xxs_q8_1PKvPK10block_q8_1RKiEEEvS4_S4_PT_PS8_iiii.kd
    .uniform_work_group_size: 1
    .uses_dynamic_stack: false
    .vgpr_count:     37
    .vgpr_spill_count: 0
    .wavefront_size: 32
    .workgroup_processor_mode: 1
  - .args:
      - .actual_access:  read_only
        .address_space:  global
        .offset:         0
        .size:           8
        .value_kind:     global_buffer
      - .actual_access:  read_only
        .address_space:  global
        .offset:         8
        .size:           8
        .value_kind:     global_buffer
      - .actual_access:  write_only
        .address_space:  global
        .offset:         16
        .size:           8
        .value_kind:     global_buffer
      - .address_space:  global
        .offset:         24
        .size:           8
        .value_kind:     global_buffer
      - .offset:         32
        .size:           4
        .value_kind:     by_value
      - .offset:         36
        .size:           4
        .value_kind:     by_value
      - .offset:         40
        .size:           4
        .value_kind:     by_value
      - .offset:         44
        .size:           4
        .value_kind:     by_value
      - .offset:         48
        .size:           4
        .value_kind:     hidden_block_count_x
      - .offset:         52
        .size:           4
        .value_kind:     hidden_block_count_y
      - .offset:         56
        .size:           4
        .value_kind:     hidden_block_count_z
      - .offset:         60
        .size:           2
        .value_kind:     hidden_group_size_x
      - .offset:         62
        .size:           2
        .value_kind:     hidden_group_size_y
      - .offset:         64
        .size:           2
        .value_kind:     hidden_group_size_z
      - .offset:         66
        .size:           2
        .value_kind:     hidden_remainder_x
      - .offset:         68
        .size:           2
        .value_kind:     hidden_remainder_y
      - .offset:         70
        .size:           2
        .value_kind:     hidden_remainder_z
      - .offset:         88
        .size:           8
        .value_kind:     hidden_global_offset_x
      - .offset:         96
        .size:           8
        .value_kind:     hidden_global_offset_y
      - .offset:         104
        .size:           8
        .value_kind:     hidden_global_offset_z
      - .offset:         112
        .size:           2
        .value_kind:     hidden_grid_dims
    .group_segment_fixed_size: 0
    .kernarg_segment_align: 8
    .kernarg_segment_size: 304
    .language:       OpenCL C
    .language_version:
      - 2
      - 0
    .max_flat_workgroup_size: 1024
    .name:           _ZL9moe_vec_qIN3c104HalfELi256ELi8E11block_iq1_sLi1EXadL_ZL18vec_dot_iq1_s_q8_1PKvPK10block_q8_1RKiEEEvS4_S4_PT_PS8_iiii
    .private_segment_fixed_size: 0
    .sgpr_count:     22
    .sgpr_spill_count: 0
    .symbol:         _ZL9moe_vec_qIN3c104HalfELi256ELi8E11block_iq1_sLi1EXadL_ZL18vec_dot_iq1_s_q8_1PKvPK10block_q8_1RKiEEEvS4_S4_PT_PS8_iiii.kd
    .uniform_work_group_size: 1
    .uses_dynamic_stack: false
    .vgpr_count:     53
    .vgpr_spill_count: 0
    .wavefront_size: 32
    .workgroup_processor_mode: 1
  - .args:
      - .actual_access:  read_only
        .address_space:  global
        .offset:         0
        .size:           8
        .value_kind:     global_buffer
      - .actual_access:  read_only
        .address_space:  global
        .offset:         8
        .size:           8
        .value_kind:     global_buffer
      - .actual_access:  write_only
        .address_space:  global
        .offset:         16
        .size:           8
        .value_kind:     global_buffer
      - .address_space:  global
        .offset:         24
        .size:           8
        .value_kind:     global_buffer
      - .offset:         32
        .size:           4
        .value_kind:     by_value
      - .offset:         36
        .size:           4
        .value_kind:     by_value
      - .offset:         40
        .size:           4
        .value_kind:     by_value
      - .offset:         44
        .size:           4
        .value_kind:     by_value
      - .offset:         48
        .size:           4
        .value_kind:     hidden_block_count_x
      - .offset:         52
        .size:           4
        .value_kind:     hidden_block_count_y
      - .offset:         56
        .size:           4
        .value_kind:     hidden_block_count_z
      - .offset:         60
        .size:           2
        .value_kind:     hidden_group_size_x
      - .offset:         62
        .size:           2
        .value_kind:     hidden_group_size_y
      - .offset:         64
        .size:           2
        .value_kind:     hidden_group_size_z
      - .offset:         66
        .size:           2
        .value_kind:     hidden_remainder_x
      - .offset:         68
        .size:           2
        .value_kind:     hidden_remainder_y
      - .offset:         70
        .size:           2
        .value_kind:     hidden_remainder_z
      - .offset:         88
        .size:           8
        .value_kind:     hidden_global_offset_x
      - .offset:         96
        .size:           8
        .value_kind:     hidden_global_offset_y
      - .offset:         104
        .size:           8
        .value_kind:     hidden_global_offset_z
      - .offset:         112
        .size:           2
        .value_kind:     hidden_grid_dims
    .group_segment_fixed_size: 0
    .kernarg_segment_align: 8
    .kernarg_segment_size: 304
    .language:       OpenCL C
    .language_version:
      - 2
      - 0
    .max_flat_workgroup_size: 1024
    .name:           _ZL9moe_vec_qIN3c104HalfELi32ELi4E12block_iq4_nlLi2EXadL_ZL19vec_dot_iq4_nl_q8_1PKvPK10block_q8_1RKiEEEvS4_S4_PT_PS8_iiii
    .private_segment_fixed_size: 0
    .sgpr_count:     22
    .sgpr_spill_count: 0
    .symbol:         _ZL9moe_vec_qIN3c104HalfELi32ELi4E12block_iq4_nlLi2EXadL_ZL19vec_dot_iq4_nl_q8_1PKvPK10block_q8_1RKiEEEvS4_S4_PT_PS8_iiii.kd
    .uniform_work_group_size: 1
    .uses_dynamic_stack: false
    .vgpr_count:     33
    .vgpr_spill_count: 0
    .wavefront_size: 32
    .workgroup_processor_mode: 1
  - .args:
      - .actual_access:  read_only
        .address_space:  global
        .offset:         0
        .size:           8
        .value_kind:     global_buffer
      - .actual_access:  read_only
        .address_space:  global
        .offset:         8
        .size:           8
        .value_kind:     global_buffer
      - .actual_access:  write_only
        .address_space:  global
        .offset:         16
        .size:           8
        .value_kind:     global_buffer
      - .address_space:  global
        .offset:         24
        .size:           8
        .value_kind:     global_buffer
      - .offset:         32
        .size:           4
        .value_kind:     by_value
      - .offset:         36
        .size:           4
        .value_kind:     by_value
      - .offset:         40
        .size:           4
        .value_kind:     by_value
      - .offset:         44
        .size:           4
        .value_kind:     by_value
      - .offset:         48
        .size:           4
        .value_kind:     hidden_block_count_x
      - .offset:         52
        .size:           4
        .value_kind:     hidden_block_count_y
      - .offset:         56
        .size:           4
        .value_kind:     hidden_block_count_z
      - .offset:         60
        .size:           2
        .value_kind:     hidden_group_size_x
      - .offset:         62
        .size:           2
        .value_kind:     hidden_group_size_y
      - .offset:         64
        .size:           2
        .value_kind:     hidden_group_size_z
      - .offset:         66
        .size:           2
        .value_kind:     hidden_remainder_x
      - .offset:         68
        .size:           2
        .value_kind:     hidden_remainder_y
      - .offset:         70
        .size:           2
        .value_kind:     hidden_remainder_z
      - .offset:         88
        .size:           8
        .value_kind:     hidden_global_offset_x
      - .offset:         96
        .size:           8
        .value_kind:     hidden_global_offset_y
      - .offset:         104
        .size:           8
        .value_kind:     hidden_global_offset_z
      - .offset:         112
        .size:           2
        .value_kind:     hidden_grid_dims
    .group_segment_fixed_size: 0
    .kernarg_segment_align: 8
    .kernarg_segment_size: 304
    .language:       OpenCL C
    .language_version:
      - 2
      - 0
    .max_flat_workgroup_size: 1024
    .name:           _ZL9moe_vec_qIN3c104HalfELi256ELi8E11block_iq3_sLi1EXadL_ZL18vec_dot_iq3_s_q8_1PKvPK10block_q8_1RKiEEEvS4_S4_PT_PS8_iiii
    .private_segment_fixed_size: 0
    .sgpr_count:     20
    .sgpr_spill_count: 0
    .symbol:         _ZL9moe_vec_qIN3c104HalfELi256ELi8E11block_iq3_sLi1EXadL_ZL18vec_dot_iq3_s_q8_1PKvPK10block_q8_1RKiEEEvS4_S4_PT_PS8_iiii.kd
    .uniform_work_group_size: 1
    .uses_dynamic_stack: false
    .vgpr_count:     42
    .vgpr_spill_count: 0
    .wavefront_size: 32
    .workgroup_processor_mode: 1
  - .args:
      - .actual_access:  read_only
        .address_space:  global
        .offset:         0
        .size:           8
        .value_kind:     global_buffer
      - .actual_access:  read_only
        .address_space:  global
        .offset:         8
        .size:           8
        .value_kind:     global_buffer
      - .actual_access:  write_only
        .address_space:  global
        .offset:         16
        .size:           8
        .value_kind:     global_buffer
      - .address_space:  global
        .offset:         24
        .size:           8
        .value_kind:     global_buffer
      - .offset:         32
        .size:           4
        .value_kind:     by_value
      - .offset:         36
        .size:           4
        .value_kind:     by_value
      - .offset:         40
        .size:           4
        .value_kind:     by_value
      - .offset:         44
        .size:           4
        .value_kind:     by_value
      - .offset:         48
        .size:           4
        .value_kind:     hidden_block_count_x
      - .offset:         52
        .size:           4
        .value_kind:     hidden_block_count_y
      - .offset:         56
        .size:           4
        .value_kind:     hidden_block_count_z
      - .offset:         60
        .size:           2
        .value_kind:     hidden_group_size_x
      - .offset:         62
        .size:           2
        .value_kind:     hidden_group_size_y
      - .offset:         64
        .size:           2
        .value_kind:     hidden_group_size_z
      - .offset:         66
        .size:           2
        .value_kind:     hidden_remainder_x
      - .offset:         68
        .size:           2
        .value_kind:     hidden_remainder_y
      - .offset:         70
        .size:           2
        .value_kind:     hidden_remainder_z
      - .offset:         88
        .size:           8
        .value_kind:     hidden_global_offset_x
      - .offset:         96
        .size:           8
        .value_kind:     hidden_global_offset_y
      - .offset:         104
        .size:           8
        .value_kind:     hidden_global_offset_z
      - .offset:         112
        .size:           2
        .value_kind:     hidden_grid_dims
    .group_segment_fixed_size: 0
    .kernarg_segment_align: 8
    .kernarg_segment_size: 304
    .language:       OpenCL C
    .language_version:
      - 2
      - 0
    .max_flat_workgroup_size: 1024
    .name:           _ZL9moe_vec_qIN3c104HalfELi256ELi8E11block_iq2_sLi1EXadL_ZL18vec_dot_iq2_s_q8_1PKvPK10block_q8_1RKiEEEvS4_S4_PT_PS8_iiii
    .private_segment_fixed_size: 0
    .sgpr_count:     19
    .sgpr_spill_count: 0
    .symbol:         _ZL9moe_vec_qIN3c104HalfELi256ELi8E11block_iq2_sLi1EXadL_ZL18vec_dot_iq2_s_q8_1PKvPK10block_q8_1RKiEEEvS4_S4_PT_PS8_iiii.kd
    .uniform_work_group_size: 1
    .uses_dynamic_stack: false
    .vgpr_count:     41
    .vgpr_spill_count: 0
    .wavefront_size: 32
    .workgroup_processor_mode: 1
  - .args:
      - .actual_access:  read_only
        .address_space:  global
        .offset:         0
        .size:           8
        .value_kind:     global_buffer
      - .actual_access:  read_only
        .address_space:  global
        .offset:         8
        .size:           8
        .value_kind:     global_buffer
      - .actual_access:  write_only
        .address_space:  global
        .offset:         16
        .size:           8
        .value_kind:     global_buffer
      - .address_space:  global
        .offset:         24
        .size:           8
        .value_kind:     global_buffer
      - .offset:         32
        .size:           4
        .value_kind:     by_value
      - .offset:         36
        .size:           4
        .value_kind:     by_value
      - .offset:         40
        .size:           4
        .value_kind:     by_value
      - .offset:         44
        .size:           4
        .value_kind:     by_value
      - .offset:         48
        .size:           4
        .value_kind:     hidden_block_count_x
      - .offset:         52
        .size:           4
        .value_kind:     hidden_block_count_y
      - .offset:         56
        .size:           4
        .value_kind:     hidden_block_count_z
      - .offset:         60
        .size:           2
        .value_kind:     hidden_group_size_x
      - .offset:         62
        .size:           2
        .value_kind:     hidden_group_size_y
      - .offset:         64
        .size:           2
        .value_kind:     hidden_group_size_z
      - .offset:         66
        .size:           2
        .value_kind:     hidden_remainder_x
      - .offset:         68
        .size:           2
        .value_kind:     hidden_remainder_y
      - .offset:         70
        .size:           2
        .value_kind:     hidden_remainder_z
      - .offset:         88
        .size:           8
        .value_kind:     hidden_global_offset_x
      - .offset:         96
        .size:           8
        .value_kind:     hidden_global_offset_y
      - .offset:         104
        .size:           8
        .value_kind:     hidden_global_offset_z
      - .offset:         112
        .size:           2
        .value_kind:     hidden_grid_dims
    .group_segment_fixed_size: 0
    .kernarg_segment_align: 8
    .kernarg_segment_size: 304
    .language:       OpenCL C
    .language_version:
      - 2
      - 0
    .max_flat_workgroup_size: 1024
    .name:           _ZL9moe_vec_qIN3c104HalfELi256ELi8E12block_iq4_xsLi1EXadL_ZL19vec_dot_iq4_xs_q8_1PKvPK10block_q8_1RKiEEEvS4_S4_PT_PS8_iiii
    .private_segment_fixed_size: 0
    .sgpr_count:     20
    .sgpr_spill_count: 0
    .symbol:         _ZL9moe_vec_qIN3c104HalfELi256ELi8E12block_iq4_xsLi1EXadL_ZL19vec_dot_iq4_xs_q8_1PKvPK10block_q8_1RKiEEEvS4_S4_PT_PS8_iiii.kd
    .uniform_work_group_size: 1
    .uses_dynamic_stack: false
    .vgpr_count:     34
    .vgpr_spill_count: 0
    .wavefront_size: 32
    .workgroup_processor_mode: 1
  - .args:
      - .actual_access:  read_only
        .address_space:  global
        .offset:         0
        .size:           8
        .value_kind:     global_buffer
      - .actual_access:  read_only
        .address_space:  global
        .offset:         8
        .size:           8
        .value_kind:     global_buffer
      - .actual_access:  write_only
        .address_space:  global
        .offset:         16
        .size:           8
        .value_kind:     global_buffer
      - .address_space:  global
        .offset:         24
        .size:           8
        .value_kind:     global_buffer
      - .offset:         32
        .size:           4
        .value_kind:     by_value
      - .offset:         36
        .size:           4
        .value_kind:     by_value
      - .offset:         40
        .size:           4
        .value_kind:     by_value
      - .offset:         44
        .size:           4
        .value_kind:     by_value
      - .offset:         48
        .size:           4
        .value_kind:     hidden_block_count_x
      - .offset:         52
        .size:           4
        .value_kind:     hidden_block_count_y
      - .offset:         56
        .size:           4
        .value_kind:     hidden_block_count_z
      - .offset:         60
        .size:           2
        .value_kind:     hidden_group_size_x
      - .offset:         62
        .size:           2
        .value_kind:     hidden_group_size_y
      - .offset:         64
        .size:           2
        .value_kind:     hidden_group_size_z
      - .offset:         66
        .size:           2
        .value_kind:     hidden_remainder_x
      - .offset:         68
        .size:           2
        .value_kind:     hidden_remainder_y
      - .offset:         70
        .size:           2
        .value_kind:     hidden_remainder_z
      - .offset:         88
        .size:           8
        .value_kind:     hidden_global_offset_x
      - .offset:         96
        .size:           8
        .value_kind:     hidden_global_offset_y
      - .offset:         104
        .size:           8
        .value_kind:     hidden_global_offset_z
      - .offset:         112
        .size:           2
        .value_kind:     hidden_grid_dims
    .group_segment_fixed_size: 0
    .kernarg_segment_align: 8
    .kernarg_segment_size: 304
    .language:       OpenCL C
    .language_version:
      - 2
      - 0
    .max_flat_workgroup_size: 1024
    .name:           _ZL9moe_vec_qIN3c104HalfELi256ELi8E11block_iq1_mLi1EXadL_ZL18vec_dot_iq1_m_q8_1PKvPK10block_q8_1RKiEEEvS4_S4_PT_PS8_iiii
    .private_segment_fixed_size: 0
    .sgpr_count:     22
    .sgpr_spill_count: 0
    .symbol:         _ZL9moe_vec_qIN3c104HalfELi256ELi8E11block_iq1_mLi1EXadL_ZL18vec_dot_iq1_m_q8_1PKvPK10block_q8_1RKiEEEvS4_S4_PT_PS8_iiii.kd
    .uniform_work_group_size: 1
    .uses_dynamic_stack: false
    .vgpr_count:     74
    .vgpr_spill_count: 0
    .wavefront_size: 32
    .workgroup_processor_mode: 1
  - .args:
      - .actual_access:  read_only
        .address_space:  global
        .offset:         0
        .size:           8
        .value_kind:     global_buffer
      - .actual_access:  read_only
        .address_space:  global
        .offset:         8
        .size:           8
        .value_kind:     global_buffer
      - .actual_access:  write_only
        .address_space:  global
        .offset:         16
        .size:           8
        .value_kind:     global_buffer
      - .address_space:  global
        .offset:         24
        .size:           8
        .value_kind:     global_buffer
      - .offset:         32
        .size:           4
        .value_kind:     by_value
      - .offset:         36
        .size:           4
        .value_kind:     by_value
      - .offset:         40
        .size:           4
        .value_kind:     by_value
      - .offset:         44
        .size:           4
        .value_kind:     by_value
      - .offset:         48
        .size:           4
        .value_kind:     hidden_block_count_x
      - .offset:         52
        .size:           4
        .value_kind:     hidden_block_count_y
      - .offset:         56
        .size:           4
        .value_kind:     hidden_block_count_z
      - .offset:         60
        .size:           2
        .value_kind:     hidden_group_size_x
      - .offset:         62
        .size:           2
        .value_kind:     hidden_group_size_y
      - .offset:         64
        .size:           2
        .value_kind:     hidden_group_size_z
      - .offset:         66
        .size:           2
        .value_kind:     hidden_remainder_x
      - .offset:         68
        .size:           2
        .value_kind:     hidden_remainder_y
      - .offset:         70
        .size:           2
        .value_kind:     hidden_remainder_z
      - .offset:         88
        .size:           8
        .value_kind:     hidden_global_offset_x
      - .offset:         96
        .size:           8
        .value_kind:     hidden_global_offset_y
      - .offset:         104
        .size:           8
        .value_kind:     hidden_global_offset_z
      - .offset:         112
        .size:           2
        .value_kind:     hidden_grid_dims
    .group_segment_fixed_size: 0
    .kernarg_segment_align: 8
    .kernarg_segment_size: 304
    .language:       OpenCL C
    .language_version:
      - 2
      - 0
    .max_flat_workgroup_size: 1024
    .name:           _ZL9moe_vec_qIN3c108BFloat16ELi32ELi4E10block_q4_0Li2EXadL_ZL17vec_dot_q4_0_q8_1PKvPK10block_q8_1RKiEEEvS4_S4_PT_PS8_iiii
    .private_segment_fixed_size: 0
    .sgpr_count:     22
    .sgpr_spill_count: 0
    .symbol:         _ZL9moe_vec_qIN3c108BFloat16ELi32ELi4E10block_q4_0Li2EXadL_ZL17vec_dot_q4_0_q8_1PKvPK10block_q8_1RKiEEEvS4_S4_PT_PS8_iiii.kd
    .uniform_work_group_size: 1
    .uses_dynamic_stack: false
    .vgpr_count:     31
    .vgpr_spill_count: 0
    .wavefront_size: 32
    .workgroup_processor_mode: 1
  - .args:
      - .actual_access:  read_only
        .address_space:  global
        .offset:         0
        .size:           8
        .value_kind:     global_buffer
      - .actual_access:  read_only
        .address_space:  global
        .offset:         8
        .size:           8
        .value_kind:     global_buffer
      - .actual_access:  write_only
        .address_space:  global
        .offset:         16
        .size:           8
        .value_kind:     global_buffer
      - .address_space:  global
        .offset:         24
        .size:           8
        .value_kind:     global_buffer
      - .offset:         32
        .size:           4
        .value_kind:     by_value
      - .offset:         36
        .size:           4
        .value_kind:     by_value
      - .offset:         40
        .size:           4
        .value_kind:     by_value
      - .offset:         44
        .size:           4
        .value_kind:     by_value
      - .offset:         48
        .size:           4
        .value_kind:     hidden_block_count_x
      - .offset:         52
        .size:           4
        .value_kind:     hidden_block_count_y
      - .offset:         56
        .size:           4
        .value_kind:     hidden_block_count_z
      - .offset:         60
        .size:           2
        .value_kind:     hidden_group_size_x
      - .offset:         62
        .size:           2
        .value_kind:     hidden_group_size_y
      - .offset:         64
        .size:           2
        .value_kind:     hidden_group_size_z
      - .offset:         66
        .size:           2
        .value_kind:     hidden_remainder_x
      - .offset:         68
        .size:           2
        .value_kind:     hidden_remainder_y
      - .offset:         70
        .size:           2
        .value_kind:     hidden_remainder_z
      - .offset:         88
        .size:           8
        .value_kind:     hidden_global_offset_x
      - .offset:         96
        .size:           8
        .value_kind:     hidden_global_offset_y
      - .offset:         104
        .size:           8
        .value_kind:     hidden_global_offset_z
      - .offset:         112
        .size:           2
        .value_kind:     hidden_grid_dims
    .group_segment_fixed_size: 0
    .kernarg_segment_align: 8
    .kernarg_segment_size: 304
    .language:       OpenCL C
    .language_version:
      - 2
      - 0
    .max_flat_workgroup_size: 1024
    .name:           _ZL9moe_vec_qIN3c108BFloat16ELi32ELi4E10block_q4_1Li2EXadL_ZL17vec_dot_q4_1_q8_1PKvPK10block_q8_1RKiEEEvS4_S4_PT_PS8_iiii
    .private_segment_fixed_size: 0
    .sgpr_count:     21
    .sgpr_spill_count: 0
    .symbol:         _ZL9moe_vec_qIN3c108BFloat16ELi32ELi4E10block_q4_1Li2EXadL_ZL17vec_dot_q4_1_q8_1PKvPK10block_q8_1RKiEEEvS4_S4_PT_PS8_iiii.kd
    .uniform_work_group_size: 1
    .uses_dynamic_stack: false
    .vgpr_count:     31
    .vgpr_spill_count: 0
    .wavefront_size: 32
    .workgroup_processor_mode: 1
  - .args:
      - .actual_access:  read_only
        .address_space:  global
        .offset:         0
        .size:           8
        .value_kind:     global_buffer
      - .actual_access:  read_only
        .address_space:  global
        .offset:         8
        .size:           8
        .value_kind:     global_buffer
      - .actual_access:  write_only
        .address_space:  global
        .offset:         16
        .size:           8
        .value_kind:     global_buffer
      - .address_space:  global
        .offset:         24
        .size:           8
        .value_kind:     global_buffer
      - .offset:         32
        .size:           4
        .value_kind:     by_value
      - .offset:         36
        .size:           4
        .value_kind:     by_value
      - .offset:         40
        .size:           4
        .value_kind:     by_value
      - .offset:         44
        .size:           4
        .value_kind:     by_value
      - .offset:         48
        .size:           4
        .value_kind:     hidden_block_count_x
      - .offset:         52
        .size:           4
        .value_kind:     hidden_block_count_y
      - .offset:         56
        .size:           4
        .value_kind:     hidden_block_count_z
      - .offset:         60
        .size:           2
        .value_kind:     hidden_group_size_x
      - .offset:         62
        .size:           2
        .value_kind:     hidden_group_size_y
      - .offset:         64
        .size:           2
        .value_kind:     hidden_group_size_z
      - .offset:         66
        .size:           2
        .value_kind:     hidden_remainder_x
      - .offset:         68
        .size:           2
        .value_kind:     hidden_remainder_y
      - .offset:         70
        .size:           2
        .value_kind:     hidden_remainder_z
      - .offset:         88
        .size:           8
        .value_kind:     hidden_global_offset_x
      - .offset:         96
        .size:           8
        .value_kind:     hidden_global_offset_y
      - .offset:         104
        .size:           8
        .value_kind:     hidden_global_offset_z
      - .offset:         112
        .size:           2
        .value_kind:     hidden_grid_dims
    .group_segment_fixed_size: 0
    .kernarg_segment_align: 8
    .kernarg_segment_size: 304
    .language:       OpenCL C
    .language_version:
      - 2
      - 0
    .max_flat_workgroup_size: 1024
    .name:           _ZL9moe_vec_qIN3c108BFloat16ELi32ELi4E10block_q5_0Li2EXadL_ZL17vec_dot_q5_0_q8_1PKvPK10block_q8_1RKiEEEvS4_S4_PT_PS8_iiii
    .private_segment_fixed_size: 0
    .sgpr_count:     22
    .sgpr_spill_count: 0
    .symbol:         _ZL9moe_vec_qIN3c108BFloat16ELi32ELi4E10block_q5_0Li2EXadL_ZL17vec_dot_q5_0_q8_1PKvPK10block_q8_1RKiEEEvS4_S4_PT_PS8_iiii.kd
    .uniform_work_group_size: 1
    .uses_dynamic_stack: false
    .vgpr_count:     45
    .vgpr_spill_count: 0
    .wavefront_size: 32
    .workgroup_processor_mode: 1
  - .args:
      - .actual_access:  read_only
        .address_space:  global
        .offset:         0
        .size:           8
        .value_kind:     global_buffer
      - .actual_access:  read_only
        .address_space:  global
        .offset:         8
        .size:           8
        .value_kind:     global_buffer
      - .actual_access:  write_only
        .address_space:  global
        .offset:         16
        .size:           8
        .value_kind:     global_buffer
      - .address_space:  global
        .offset:         24
        .size:           8
        .value_kind:     global_buffer
      - .offset:         32
        .size:           4
        .value_kind:     by_value
      - .offset:         36
        .size:           4
        .value_kind:     by_value
      - .offset:         40
        .size:           4
        .value_kind:     by_value
      - .offset:         44
        .size:           4
        .value_kind:     by_value
      - .offset:         48
        .size:           4
        .value_kind:     hidden_block_count_x
      - .offset:         52
        .size:           4
        .value_kind:     hidden_block_count_y
      - .offset:         56
        .size:           4
        .value_kind:     hidden_block_count_z
      - .offset:         60
        .size:           2
        .value_kind:     hidden_group_size_x
      - .offset:         62
        .size:           2
        .value_kind:     hidden_group_size_y
      - .offset:         64
        .size:           2
        .value_kind:     hidden_group_size_z
      - .offset:         66
        .size:           2
        .value_kind:     hidden_remainder_x
      - .offset:         68
        .size:           2
        .value_kind:     hidden_remainder_y
      - .offset:         70
        .size:           2
        .value_kind:     hidden_remainder_z
      - .offset:         88
        .size:           8
        .value_kind:     hidden_global_offset_x
      - .offset:         96
        .size:           8
        .value_kind:     hidden_global_offset_y
      - .offset:         104
        .size:           8
        .value_kind:     hidden_global_offset_z
      - .offset:         112
        .size:           2
        .value_kind:     hidden_grid_dims
    .group_segment_fixed_size: 0
    .kernarg_segment_align: 8
    .kernarg_segment_size: 304
    .language:       OpenCL C
    .language_version:
      - 2
      - 0
    .max_flat_workgroup_size: 1024
    .name:           _ZL9moe_vec_qIN3c108BFloat16ELi32ELi4E10block_q5_1Li2EXadL_ZL17vec_dot_q5_1_q8_1PKvPK10block_q8_1RKiEEEvS4_S4_PT_PS8_iiii
    .private_segment_fixed_size: 0
    .sgpr_count:     22
    .sgpr_spill_count: 0
    .symbol:         _ZL9moe_vec_qIN3c108BFloat16ELi32ELi4E10block_q5_1Li2EXadL_ZL17vec_dot_q5_1_q8_1PKvPK10block_q8_1RKiEEEvS4_S4_PT_PS8_iiii.kd
    .uniform_work_group_size: 1
    .uses_dynamic_stack: false
    .vgpr_count:     45
    .vgpr_spill_count: 0
    .wavefront_size: 32
    .workgroup_processor_mode: 1
  - .args:
      - .actual_access:  read_only
        .address_space:  global
        .offset:         0
        .size:           8
        .value_kind:     global_buffer
      - .actual_access:  read_only
        .address_space:  global
        .offset:         8
        .size:           8
        .value_kind:     global_buffer
      - .actual_access:  write_only
        .address_space:  global
        .offset:         16
        .size:           8
        .value_kind:     global_buffer
      - .address_space:  global
        .offset:         24
        .size:           8
        .value_kind:     global_buffer
      - .offset:         32
        .size:           4
        .value_kind:     by_value
      - .offset:         36
        .size:           4
        .value_kind:     by_value
      - .offset:         40
        .size:           4
        .value_kind:     by_value
      - .offset:         44
        .size:           4
        .value_kind:     by_value
      - .offset:         48
        .size:           4
        .value_kind:     hidden_block_count_x
      - .offset:         52
        .size:           4
        .value_kind:     hidden_block_count_y
      - .offset:         56
        .size:           4
        .value_kind:     hidden_block_count_z
      - .offset:         60
        .size:           2
        .value_kind:     hidden_group_size_x
      - .offset:         62
        .size:           2
        .value_kind:     hidden_group_size_y
      - .offset:         64
        .size:           2
        .value_kind:     hidden_group_size_z
      - .offset:         66
        .size:           2
        .value_kind:     hidden_remainder_x
      - .offset:         68
        .size:           2
        .value_kind:     hidden_remainder_y
      - .offset:         70
        .size:           2
        .value_kind:     hidden_remainder_z
      - .offset:         88
        .size:           8
        .value_kind:     hidden_global_offset_x
      - .offset:         96
        .size:           8
        .value_kind:     hidden_global_offset_y
      - .offset:         104
        .size:           8
        .value_kind:     hidden_global_offset_z
      - .offset:         112
        .size:           2
        .value_kind:     hidden_grid_dims
    .group_segment_fixed_size: 0
    .kernarg_segment_align: 8
    .kernarg_segment_size: 304
    .language:       OpenCL C
    .language_version:
      - 2
      - 0
    .max_flat_workgroup_size: 1024
    .name:           _ZL9moe_vec_qIN3c108BFloat16ELi32ELi8E10block_q8_0Li2EXadL_ZL17vec_dot_q8_0_q8_1PKvPK10block_q8_1RKiEEEvS4_S4_PT_PS8_iiii
    .private_segment_fixed_size: 0
    .sgpr_count:     22
    .sgpr_spill_count: 0
    .symbol:         _ZL9moe_vec_qIN3c108BFloat16ELi32ELi8E10block_q8_0Li2EXadL_ZL17vec_dot_q8_0_q8_1PKvPK10block_q8_1RKiEEEvS4_S4_PT_PS8_iiii.kd
    .uniform_work_group_size: 1
    .uses_dynamic_stack: false
    .vgpr_count:     14
    .vgpr_spill_count: 0
    .wavefront_size: 32
    .workgroup_processor_mode: 1
  - .args:
      - .actual_access:  read_only
        .address_space:  global
        .offset:         0
        .size:           8
        .value_kind:     global_buffer
      - .actual_access:  read_only
        .address_space:  global
        .offset:         8
        .size:           8
        .value_kind:     global_buffer
      - .actual_access:  write_only
        .address_space:  global
        .offset:         16
        .size:           8
        .value_kind:     global_buffer
      - .address_space:  global
        .offset:         24
        .size:           8
        .value_kind:     global_buffer
      - .offset:         32
        .size:           4
        .value_kind:     by_value
      - .offset:         36
        .size:           4
        .value_kind:     by_value
      - .offset:         40
        .size:           4
        .value_kind:     by_value
      - .offset:         44
        .size:           4
        .value_kind:     by_value
      - .offset:         48
        .size:           4
        .value_kind:     hidden_block_count_x
      - .offset:         52
        .size:           4
        .value_kind:     hidden_block_count_y
      - .offset:         56
        .size:           4
        .value_kind:     hidden_block_count_z
      - .offset:         60
        .size:           2
        .value_kind:     hidden_group_size_x
      - .offset:         62
        .size:           2
        .value_kind:     hidden_group_size_y
      - .offset:         64
        .size:           2
        .value_kind:     hidden_group_size_z
      - .offset:         66
        .size:           2
        .value_kind:     hidden_remainder_x
      - .offset:         68
        .size:           2
        .value_kind:     hidden_remainder_y
      - .offset:         70
        .size:           2
        .value_kind:     hidden_remainder_z
      - .offset:         88
        .size:           8
        .value_kind:     hidden_global_offset_x
      - .offset:         96
        .size:           8
        .value_kind:     hidden_global_offset_y
      - .offset:         104
        .size:           8
        .value_kind:     hidden_global_offset_z
      - .offset:         112
        .size:           2
        .value_kind:     hidden_grid_dims
    .group_segment_fixed_size: 0
    .kernarg_segment_align: 8
    .kernarg_segment_size: 304
    .language:       OpenCL C
    .language_version:
      - 2
      - 0
    .max_flat_workgroup_size: 1024
    .name:           _ZL9moe_vec_qIN3c108BFloat16ELi256ELi16E10block_q2_KLi1EXadL_ZL17vec_dot_q2_K_q8_1PKvPK10block_q8_1RKiEEEvS4_S4_PT_PS8_iiii
    .private_segment_fixed_size: 0
    .sgpr_count:     22
    .sgpr_spill_count: 0
    .symbol:         _ZL9moe_vec_qIN3c108BFloat16ELi256ELi16E10block_q2_KLi1EXadL_ZL17vec_dot_q2_K_q8_1PKvPK10block_q8_1RKiEEEvS4_S4_PT_PS8_iiii.kd
    .uniform_work_group_size: 1
    .uses_dynamic_stack: false
    .vgpr_count:     65
    .vgpr_spill_count: 0
    .wavefront_size: 32
    .workgroup_processor_mode: 1
  - .args:
      - .actual_access:  read_only
        .address_space:  global
        .offset:         0
        .size:           8
        .value_kind:     global_buffer
      - .actual_access:  read_only
        .address_space:  global
        .offset:         8
        .size:           8
        .value_kind:     global_buffer
      - .actual_access:  write_only
        .address_space:  global
        .offset:         16
        .size:           8
        .value_kind:     global_buffer
      - .address_space:  global
        .offset:         24
        .size:           8
        .value_kind:     global_buffer
      - .offset:         32
        .size:           4
        .value_kind:     by_value
      - .offset:         36
        .size:           4
        .value_kind:     by_value
      - .offset:         40
        .size:           4
        .value_kind:     by_value
      - .offset:         44
        .size:           4
        .value_kind:     by_value
      - .offset:         48
        .size:           4
        .value_kind:     hidden_block_count_x
      - .offset:         52
        .size:           4
        .value_kind:     hidden_block_count_y
      - .offset:         56
        .size:           4
        .value_kind:     hidden_block_count_z
      - .offset:         60
        .size:           2
        .value_kind:     hidden_group_size_x
      - .offset:         62
        .size:           2
        .value_kind:     hidden_group_size_y
      - .offset:         64
        .size:           2
        .value_kind:     hidden_group_size_z
      - .offset:         66
        .size:           2
        .value_kind:     hidden_remainder_x
      - .offset:         68
        .size:           2
        .value_kind:     hidden_remainder_y
      - .offset:         70
        .size:           2
        .value_kind:     hidden_remainder_z
      - .offset:         88
        .size:           8
        .value_kind:     hidden_global_offset_x
      - .offset:         96
        .size:           8
        .value_kind:     hidden_global_offset_y
      - .offset:         104
        .size:           8
        .value_kind:     hidden_global_offset_z
      - .offset:         112
        .size:           2
        .value_kind:     hidden_grid_dims
    .group_segment_fixed_size: 0
    .kernarg_segment_align: 8
    .kernarg_segment_size: 304
    .language:       OpenCL C
    .language_version:
      - 2
      - 0
    .max_flat_workgroup_size: 1024
    .name:           _ZL9moe_vec_qIN3c108BFloat16ELi256ELi16E10block_q3_KLi1EXadL_ZL17vec_dot_q3_K_q8_1PKvPK10block_q8_1RKiEEEvS4_S4_PT_PS8_iiii
    .private_segment_fixed_size: 0
    .sgpr_count:     22
    .sgpr_spill_count: 0
    .symbol:         _ZL9moe_vec_qIN3c108BFloat16ELi256ELi16E10block_q3_KLi1EXadL_ZL17vec_dot_q3_K_q8_1PKvPK10block_q8_1RKiEEEvS4_S4_PT_PS8_iiii.kd
    .uniform_work_group_size: 1
    .uses_dynamic_stack: false
    .vgpr_count:     76
    .vgpr_spill_count: 0
    .wavefront_size: 32
    .workgroup_processor_mode: 1
  - .args:
      - .actual_access:  read_only
        .address_space:  global
        .offset:         0
        .size:           8
        .value_kind:     global_buffer
      - .actual_access:  read_only
        .address_space:  global
        .offset:         8
        .size:           8
        .value_kind:     global_buffer
      - .actual_access:  write_only
        .address_space:  global
        .offset:         16
        .size:           8
        .value_kind:     global_buffer
      - .address_space:  global
        .offset:         24
        .size:           8
        .value_kind:     global_buffer
      - .offset:         32
        .size:           4
        .value_kind:     by_value
      - .offset:         36
        .size:           4
        .value_kind:     by_value
      - .offset:         40
        .size:           4
        .value_kind:     by_value
      - .offset:         44
        .size:           4
        .value_kind:     by_value
      - .offset:         48
        .size:           4
        .value_kind:     hidden_block_count_x
      - .offset:         52
        .size:           4
        .value_kind:     hidden_block_count_y
      - .offset:         56
        .size:           4
        .value_kind:     hidden_block_count_z
      - .offset:         60
        .size:           2
        .value_kind:     hidden_group_size_x
      - .offset:         62
        .size:           2
        .value_kind:     hidden_group_size_y
      - .offset:         64
        .size:           2
        .value_kind:     hidden_group_size_z
      - .offset:         66
        .size:           2
        .value_kind:     hidden_remainder_x
      - .offset:         68
        .size:           2
        .value_kind:     hidden_remainder_y
      - .offset:         70
        .size:           2
        .value_kind:     hidden_remainder_z
      - .offset:         88
        .size:           8
        .value_kind:     hidden_global_offset_x
      - .offset:         96
        .size:           8
        .value_kind:     hidden_global_offset_y
      - .offset:         104
        .size:           8
        .value_kind:     hidden_global_offset_z
      - .offset:         112
        .size:           2
        .value_kind:     hidden_grid_dims
    .group_segment_fixed_size: 0
    .kernarg_segment_align: 8
    .kernarg_segment_size: 304
    .language:       OpenCL C
    .language_version:
      - 2
      - 0
    .max_flat_workgroup_size: 1024
    .name:           _ZL9moe_vec_qIN3c108BFloat16ELi256ELi32E10block_q4_KLi2EXadL_ZL17vec_dot_q4_K_q8_1PKvPK10block_q8_1RKiEEEvS4_S4_PT_PS8_iiii
    .private_segment_fixed_size: 0
    .sgpr_count:     20
    .sgpr_spill_count: 0
    .symbol:         _ZL9moe_vec_qIN3c108BFloat16ELi256ELi32E10block_q4_KLi2EXadL_ZL17vec_dot_q4_K_q8_1PKvPK10block_q8_1RKiEEEvS4_S4_PT_PS8_iiii.kd
    .uniform_work_group_size: 1
    .uses_dynamic_stack: false
    .vgpr_count:     51
    .vgpr_spill_count: 0
    .wavefront_size: 32
    .workgroup_processor_mode: 1
  - .args:
      - .actual_access:  read_only
        .address_space:  global
        .offset:         0
        .size:           8
        .value_kind:     global_buffer
      - .actual_access:  read_only
        .address_space:  global
        .offset:         8
        .size:           8
        .value_kind:     global_buffer
      - .actual_access:  write_only
        .address_space:  global
        .offset:         16
        .size:           8
        .value_kind:     global_buffer
      - .address_space:  global
        .offset:         24
        .size:           8
        .value_kind:     global_buffer
      - .offset:         32
        .size:           4
        .value_kind:     by_value
      - .offset:         36
        .size:           4
        .value_kind:     by_value
      - .offset:         40
        .size:           4
        .value_kind:     by_value
      - .offset:         44
        .size:           4
        .value_kind:     by_value
      - .offset:         48
        .size:           4
        .value_kind:     hidden_block_count_x
      - .offset:         52
        .size:           4
        .value_kind:     hidden_block_count_y
      - .offset:         56
        .size:           4
        .value_kind:     hidden_block_count_z
      - .offset:         60
        .size:           2
        .value_kind:     hidden_group_size_x
      - .offset:         62
        .size:           2
        .value_kind:     hidden_group_size_y
      - .offset:         64
        .size:           2
        .value_kind:     hidden_group_size_z
      - .offset:         66
        .size:           2
        .value_kind:     hidden_remainder_x
      - .offset:         68
        .size:           2
        .value_kind:     hidden_remainder_y
      - .offset:         70
        .size:           2
        .value_kind:     hidden_remainder_z
      - .offset:         88
        .size:           8
        .value_kind:     hidden_global_offset_x
      - .offset:         96
        .size:           8
        .value_kind:     hidden_global_offset_y
      - .offset:         104
        .size:           8
        .value_kind:     hidden_global_offset_z
      - .offset:         112
        .size:           2
        .value_kind:     hidden_grid_dims
    .group_segment_fixed_size: 0
    .kernarg_segment_align: 8
    .kernarg_segment_size: 304
    .language:       OpenCL C
    .language_version:
      - 2
      - 0
    .max_flat_workgroup_size: 1024
    .name:           _ZL9moe_vec_qIN3c108BFloat16ELi256ELi32E10block_q5_KLi2EXadL_ZL17vec_dot_q5_K_q8_1PKvPK10block_q8_1RKiEEEvS4_S4_PT_PS8_iiii
    .private_segment_fixed_size: 0
    .sgpr_count:     20
    .sgpr_spill_count: 0
    .symbol:         _ZL9moe_vec_qIN3c108BFloat16ELi256ELi32E10block_q5_KLi2EXadL_ZL17vec_dot_q5_K_q8_1PKvPK10block_q8_1RKiEEEvS4_S4_PT_PS8_iiii.kd
    .uniform_work_group_size: 1
    .uses_dynamic_stack: false
    .vgpr_count:     52
    .vgpr_spill_count: 0
    .wavefront_size: 32
    .workgroup_processor_mode: 1
  - .args:
      - .actual_access:  read_only
        .address_space:  global
        .offset:         0
        .size:           8
        .value_kind:     global_buffer
      - .actual_access:  read_only
        .address_space:  global
        .offset:         8
        .size:           8
        .value_kind:     global_buffer
      - .actual_access:  write_only
        .address_space:  global
        .offset:         16
        .size:           8
        .value_kind:     global_buffer
      - .address_space:  global
        .offset:         24
        .size:           8
        .value_kind:     global_buffer
      - .offset:         32
        .size:           4
        .value_kind:     by_value
      - .offset:         36
        .size:           4
        .value_kind:     by_value
      - .offset:         40
        .size:           4
        .value_kind:     by_value
      - .offset:         44
        .size:           4
        .value_kind:     by_value
      - .offset:         48
        .size:           4
        .value_kind:     hidden_block_count_x
      - .offset:         52
        .size:           4
        .value_kind:     hidden_block_count_y
      - .offset:         56
        .size:           4
        .value_kind:     hidden_block_count_z
      - .offset:         60
        .size:           2
        .value_kind:     hidden_group_size_x
      - .offset:         62
        .size:           2
        .value_kind:     hidden_group_size_y
      - .offset:         64
        .size:           2
        .value_kind:     hidden_group_size_z
      - .offset:         66
        .size:           2
        .value_kind:     hidden_remainder_x
      - .offset:         68
        .size:           2
        .value_kind:     hidden_remainder_y
      - .offset:         70
        .size:           2
        .value_kind:     hidden_remainder_z
      - .offset:         88
        .size:           8
        .value_kind:     hidden_global_offset_x
      - .offset:         96
        .size:           8
        .value_kind:     hidden_global_offset_y
      - .offset:         104
        .size:           8
        .value_kind:     hidden_global_offset_z
      - .offset:         112
        .size:           2
        .value_kind:     hidden_grid_dims
    .group_segment_fixed_size: 0
    .kernarg_segment_align: 8
    .kernarg_segment_size: 304
    .language:       OpenCL C
    .language_version:
      - 2
      - 0
    .max_flat_workgroup_size: 1024
    .name:           _ZL9moe_vec_qIN3c108BFloat16ELi256ELi32E10block_q6_KLi1EXadL_ZL17vec_dot_q6_K_q8_1PKvPK10block_q8_1RKiEEEvS4_S4_PT_PS8_iiii
    .private_segment_fixed_size: 0
    .sgpr_count:     20
    .sgpr_spill_count: 0
    .symbol:         _ZL9moe_vec_qIN3c108BFloat16ELi256ELi32E10block_q6_KLi1EXadL_ZL17vec_dot_q6_K_q8_1PKvPK10block_q8_1RKiEEEvS4_S4_PT_PS8_iiii.kd
    .uniform_work_group_size: 1
    .uses_dynamic_stack: false
    .vgpr_count:     34
    .vgpr_spill_count: 0
    .wavefront_size: 32
    .workgroup_processor_mode: 1
  - .args:
      - .actual_access:  read_only
        .address_space:  global
        .offset:         0
        .size:           8
        .value_kind:     global_buffer
      - .actual_access:  read_only
        .address_space:  global
        .offset:         8
        .size:           8
        .value_kind:     global_buffer
      - .actual_access:  write_only
        .address_space:  global
        .offset:         16
        .size:           8
        .value_kind:     global_buffer
      - .address_space:  global
        .offset:         24
        .size:           8
        .value_kind:     global_buffer
      - .offset:         32
        .size:           4
        .value_kind:     by_value
      - .offset:         36
        .size:           4
        .value_kind:     by_value
      - .offset:         40
        .size:           4
        .value_kind:     by_value
      - .offset:         44
        .size:           4
        .value_kind:     by_value
      - .offset:         48
        .size:           4
        .value_kind:     hidden_block_count_x
      - .offset:         52
        .size:           4
        .value_kind:     hidden_block_count_y
      - .offset:         56
        .size:           4
        .value_kind:     hidden_block_count_z
      - .offset:         60
        .size:           2
        .value_kind:     hidden_group_size_x
      - .offset:         62
        .size:           2
        .value_kind:     hidden_group_size_y
      - .offset:         64
        .size:           2
        .value_kind:     hidden_group_size_z
      - .offset:         66
        .size:           2
        .value_kind:     hidden_remainder_x
      - .offset:         68
        .size:           2
        .value_kind:     hidden_remainder_y
      - .offset:         70
        .size:           2
        .value_kind:     hidden_remainder_z
      - .offset:         88
        .size:           8
        .value_kind:     hidden_global_offset_x
      - .offset:         96
        .size:           8
        .value_kind:     hidden_global_offset_y
      - .offset:         104
        .size:           8
        .value_kind:     hidden_global_offset_z
      - .offset:         112
        .size:           2
        .value_kind:     hidden_grid_dims
    .group_segment_fixed_size: 0
    .kernarg_segment_align: 8
    .kernarg_segment_size: 304
    .language:       OpenCL C
    .language_version:
      - 2
      - 0
    .max_flat_workgroup_size: 1024
    .name:           _ZL9moe_vec_qIN3c108BFloat16ELi256ELi8E13block_iq2_xxsLi1EXadL_ZL20vec_dot_iq2_xxs_q8_1PKvPK10block_q8_1RKiEEEvS4_S4_PT_PS8_iiii
    .private_segment_fixed_size: 0
    .sgpr_count:     24
    .sgpr_spill_count: 0
    .symbol:         _ZL9moe_vec_qIN3c108BFloat16ELi256ELi8E13block_iq2_xxsLi1EXadL_ZL20vec_dot_iq2_xxs_q8_1PKvPK10block_q8_1RKiEEEvS4_S4_PT_PS8_iiii.kd
    .uniform_work_group_size: 1
    .uses_dynamic_stack: false
    .vgpr_count:     94
    .vgpr_spill_count: 0
    .wavefront_size: 32
    .workgroup_processor_mode: 1
  - .args:
      - .actual_access:  read_only
        .address_space:  global
        .offset:         0
        .size:           8
        .value_kind:     global_buffer
      - .actual_access:  read_only
        .address_space:  global
        .offset:         8
        .size:           8
        .value_kind:     global_buffer
      - .actual_access:  write_only
        .address_space:  global
        .offset:         16
        .size:           8
        .value_kind:     global_buffer
      - .address_space:  global
        .offset:         24
        .size:           8
        .value_kind:     global_buffer
      - .offset:         32
        .size:           4
        .value_kind:     by_value
      - .offset:         36
        .size:           4
        .value_kind:     by_value
      - .offset:         40
        .size:           4
        .value_kind:     by_value
      - .offset:         44
        .size:           4
        .value_kind:     by_value
      - .offset:         48
        .size:           4
        .value_kind:     hidden_block_count_x
      - .offset:         52
        .size:           4
        .value_kind:     hidden_block_count_y
      - .offset:         56
        .size:           4
        .value_kind:     hidden_block_count_z
      - .offset:         60
        .size:           2
        .value_kind:     hidden_group_size_x
      - .offset:         62
        .size:           2
        .value_kind:     hidden_group_size_y
      - .offset:         64
        .size:           2
        .value_kind:     hidden_group_size_z
      - .offset:         66
        .size:           2
        .value_kind:     hidden_remainder_x
      - .offset:         68
        .size:           2
        .value_kind:     hidden_remainder_y
      - .offset:         70
        .size:           2
        .value_kind:     hidden_remainder_z
      - .offset:         88
        .size:           8
        .value_kind:     hidden_global_offset_x
      - .offset:         96
        .size:           8
        .value_kind:     hidden_global_offset_y
      - .offset:         104
        .size:           8
        .value_kind:     hidden_global_offset_z
      - .offset:         112
        .size:           2
        .value_kind:     hidden_grid_dims
    .group_segment_fixed_size: 0
    .kernarg_segment_align: 8
    .kernarg_segment_size: 304
    .language:       OpenCL C
    .language_version:
      - 2
      - 0
    .max_flat_workgroup_size: 1024
    .name:           _ZL9moe_vec_qIN3c108BFloat16ELi256ELi8E12block_iq2_xsLi1EXadL_ZL19vec_dot_iq2_xs_q8_1PKvPK10block_q8_1RKiEEEvS4_S4_PT_PS8_iiii
    .private_segment_fixed_size: 0
    .sgpr_count:     43
    .sgpr_spill_count: 0
    .symbol:         _ZL9moe_vec_qIN3c108BFloat16ELi256ELi8E12block_iq2_xsLi1EXadL_ZL19vec_dot_iq2_xs_q8_1PKvPK10block_q8_1RKiEEEvS4_S4_PT_PS8_iiii.kd
    .uniform_work_group_size: 1
    .uses_dynamic_stack: false
    .vgpr_count:     94
    .vgpr_spill_count: 0
    .wavefront_size: 32
    .workgroup_processor_mode: 1
  - .args:
      - .actual_access:  read_only
        .address_space:  global
        .offset:         0
        .size:           8
        .value_kind:     global_buffer
      - .actual_access:  read_only
        .address_space:  global
        .offset:         8
        .size:           8
        .value_kind:     global_buffer
      - .actual_access:  write_only
        .address_space:  global
        .offset:         16
        .size:           8
        .value_kind:     global_buffer
      - .address_space:  global
        .offset:         24
        .size:           8
        .value_kind:     global_buffer
      - .offset:         32
        .size:           4
        .value_kind:     by_value
      - .offset:         36
        .size:           4
        .value_kind:     by_value
      - .offset:         40
        .size:           4
        .value_kind:     by_value
      - .offset:         44
        .size:           4
        .value_kind:     by_value
      - .offset:         48
        .size:           4
        .value_kind:     hidden_block_count_x
      - .offset:         52
        .size:           4
        .value_kind:     hidden_block_count_y
      - .offset:         56
        .size:           4
        .value_kind:     hidden_block_count_z
      - .offset:         60
        .size:           2
        .value_kind:     hidden_group_size_x
      - .offset:         62
        .size:           2
        .value_kind:     hidden_group_size_y
      - .offset:         64
        .size:           2
        .value_kind:     hidden_group_size_z
      - .offset:         66
        .size:           2
        .value_kind:     hidden_remainder_x
      - .offset:         68
        .size:           2
        .value_kind:     hidden_remainder_y
      - .offset:         70
        .size:           2
        .value_kind:     hidden_remainder_z
      - .offset:         88
        .size:           8
        .value_kind:     hidden_global_offset_x
      - .offset:         96
        .size:           8
        .value_kind:     hidden_global_offset_y
      - .offset:         104
        .size:           8
        .value_kind:     hidden_global_offset_z
      - .offset:         112
        .size:           2
        .value_kind:     hidden_grid_dims
    .group_segment_fixed_size: 0
    .kernarg_segment_align: 8
    .kernarg_segment_size: 304
    .language:       OpenCL C
    .language_version:
      - 2
      - 0
    .max_flat_workgroup_size: 1024
    .name:           _ZL9moe_vec_qIN3c108BFloat16ELi256ELi8E13block_iq3_xxsLi1EXadL_ZL20vec_dot_iq3_xxs_q8_1PKvPK10block_q8_1RKiEEEvS4_S4_PT_PS8_iiii
    .private_segment_fixed_size: 0
    .sgpr_count:     20
    .sgpr_spill_count: 0
    .symbol:         _ZL9moe_vec_qIN3c108BFloat16ELi256ELi8E13block_iq3_xxsLi1EXadL_ZL20vec_dot_iq3_xxs_q8_1PKvPK10block_q8_1RKiEEEvS4_S4_PT_PS8_iiii.kd
    .uniform_work_group_size: 1
    .uses_dynamic_stack: false
    .vgpr_count:     37
    .vgpr_spill_count: 0
    .wavefront_size: 32
    .workgroup_processor_mode: 1
  - .args:
      - .actual_access:  read_only
        .address_space:  global
        .offset:         0
        .size:           8
        .value_kind:     global_buffer
      - .actual_access:  read_only
        .address_space:  global
        .offset:         8
        .size:           8
        .value_kind:     global_buffer
      - .actual_access:  write_only
        .address_space:  global
        .offset:         16
        .size:           8
        .value_kind:     global_buffer
      - .address_space:  global
        .offset:         24
        .size:           8
        .value_kind:     global_buffer
      - .offset:         32
        .size:           4
        .value_kind:     by_value
      - .offset:         36
        .size:           4
        .value_kind:     by_value
      - .offset:         40
        .size:           4
        .value_kind:     by_value
      - .offset:         44
        .size:           4
        .value_kind:     by_value
      - .offset:         48
        .size:           4
        .value_kind:     hidden_block_count_x
      - .offset:         52
        .size:           4
        .value_kind:     hidden_block_count_y
      - .offset:         56
        .size:           4
        .value_kind:     hidden_block_count_z
      - .offset:         60
        .size:           2
        .value_kind:     hidden_group_size_x
      - .offset:         62
        .size:           2
        .value_kind:     hidden_group_size_y
      - .offset:         64
        .size:           2
        .value_kind:     hidden_group_size_z
      - .offset:         66
        .size:           2
        .value_kind:     hidden_remainder_x
      - .offset:         68
        .size:           2
        .value_kind:     hidden_remainder_y
      - .offset:         70
        .size:           2
        .value_kind:     hidden_remainder_z
      - .offset:         88
        .size:           8
        .value_kind:     hidden_global_offset_x
      - .offset:         96
        .size:           8
        .value_kind:     hidden_global_offset_y
      - .offset:         104
        .size:           8
        .value_kind:     hidden_global_offset_z
      - .offset:         112
        .size:           2
        .value_kind:     hidden_grid_dims
    .group_segment_fixed_size: 0
    .kernarg_segment_align: 8
    .kernarg_segment_size: 304
    .language:       OpenCL C
    .language_version:
      - 2
      - 0
    .max_flat_workgroup_size: 1024
    .name:           _ZL9moe_vec_qIN3c108BFloat16ELi256ELi8E11block_iq1_sLi1EXadL_ZL18vec_dot_iq1_s_q8_1PKvPK10block_q8_1RKiEEEvS4_S4_PT_PS8_iiii
    .private_segment_fixed_size: 0
    .sgpr_count:     22
    .sgpr_spill_count: 0
    .symbol:         _ZL9moe_vec_qIN3c108BFloat16ELi256ELi8E11block_iq1_sLi1EXadL_ZL18vec_dot_iq1_s_q8_1PKvPK10block_q8_1RKiEEEvS4_S4_PT_PS8_iiii.kd
    .uniform_work_group_size: 1
    .uses_dynamic_stack: false
    .vgpr_count:     53
    .vgpr_spill_count: 0
    .wavefront_size: 32
    .workgroup_processor_mode: 1
  - .args:
      - .actual_access:  read_only
        .address_space:  global
        .offset:         0
        .size:           8
        .value_kind:     global_buffer
      - .actual_access:  read_only
        .address_space:  global
        .offset:         8
        .size:           8
        .value_kind:     global_buffer
      - .actual_access:  write_only
        .address_space:  global
        .offset:         16
        .size:           8
        .value_kind:     global_buffer
      - .address_space:  global
        .offset:         24
        .size:           8
        .value_kind:     global_buffer
      - .offset:         32
        .size:           4
        .value_kind:     by_value
      - .offset:         36
        .size:           4
        .value_kind:     by_value
      - .offset:         40
        .size:           4
        .value_kind:     by_value
      - .offset:         44
        .size:           4
        .value_kind:     by_value
      - .offset:         48
        .size:           4
        .value_kind:     hidden_block_count_x
      - .offset:         52
        .size:           4
        .value_kind:     hidden_block_count_y
      - .offset:         56
        .size:           4
        .value_kind:     hidden_block_count_z
      - .offset:         60
        .size:           2
        .value_kind:     hidden_group_size_x
      - .offset:         62
        .size:           2
        .value_kind:     hidden_group_size_y
      - .offset:         64
        .size:           2
        .value_kind:     hidden_group_size_z
      - .offset:         66
        .size:           2
        .value_kind:     hidden_remainder_x
      - .offset:         68
        .size:           2
        .value_kind:     hidden_remainder_y
      - .offset:         70
        .size:           2
        .value_kind:     hidden_remainder_z
      - .offset:         88
        .size:           8
        .value_kind:     hidden_global_offset_x
      - .offset:         96
        .size:           8
        .value_kind:     hidden_global_offset_y
      - .offset:         104
        .size:           8
        .value_kind:     hidden_global_offset_z
      - .offset:         112
        .size:           2
        .value_kind:     hidden_grid_dims
    .group_segment_fixed_size: 0
    .kernarg_segment_align: 8
    .kernarg_segment_size: 304
    .language:       OpenCL C
    .language_version:
      - 2
      - 0
    .max_flat_workgroup_size: 1024
    .name:           _ZL9moe_vec_qIN3c108BFloat16ELi32ELi4E12block_iq4_nlLi2EXadL_ZL19vec_dot_iq4_nl_q8_1PKvPK10block_q8_1RKiEEEvS4_S4_PT_PS8_iiii
    .private_segment_fixed_size: 0
    .sgpr_count:     22
    .sgpr_spill_count: 0
    .symbol:         _ZL9moe_vec_qIN3c108BFloat16ELi32ELi4E12block_iq4_nlLi2EXadL_ZL19vec_dot_iq4_nl_q8_1PKvPK10block_q8_1RKiEEEvS4_S4_PT_PS8_iiii.kd
    .uniform_work_group_size: 1
    .uses_dynamic_stack: false
    .vgpr_count:     33
    .vgpr_spill_count: 0
    .wavefront_size: 32
    .workgroup_processor_mode: 1
  - .args:
      - .actual_access:  read_only
        .address_space:  global
        .offset:         0
        .size:           8
        .value_kind:     global_buffer
      - .actual_access:  read_only
        .address_space:  global
        .offset:         8
        .size:           8
        .value_kind:     global_buffer
      - .actual_access:  write_only
        .address_space:  global
        .offset:         16
        .size:           8
        .value_kind:     global_buffer
      - .address_space:  global
        .offset:         24
        .size:           8
        .value_kind:     global_buffer
      - .offset:         32
        .size:           4
        .value_kind:     by_value
      - .offset:         36
        .size:           4
        .value_kind:     by_value
      - .offset:         40
        .size:           4
        .value_kind:     by_value
      - .offset:         44
        .size:           4
        .value_kind:     by_value
      - .offset:         48
        .size:           4
        .value_kind:     hidden_block_count_x
      - .offset:         52
        .size:           4
        .value_kind:     hidden_block_count_y
      - .offset:         56
        .size:           4
        .value_kind:     hidden_block_count_z
      - .offset:         60
        .size:           2
        .value_kind:     hidden_group_size_x
      - .offset:         62
        .size:           2
        .value_kind:     hidden_group_size_y
      - .offset:         64
        .size:           2
        .value_kind:     hidden_group_size_z
      - .offset:         66
        .size:           2
        .value_kind:     hidden_remainder_x
      - .offset:         68
        .size:           2
        .value_kind:     hidden_remainder_y
      - .offset:         70
        .size:           2
        .value_kind:     hidden_remainder_z
      - .offset:         88
        .size:           8
        .value_kind:     hidden_global_offset_x
      - .offset:         96
        .size:           8
        .value_kind:     hidden_global_offset_y
      - .offset:         104
        .size:           8
        .value_kind:     hidden_global_offset_z
      - .offset:         112
        .size:           2
        .value_kind:     hidden_grid_dims
    .group_segment_fixed_size: 0
    .kernarg_segment_align: 8
    .kernarg_segment_size: 304
    .language:       OpenCL C
    .language_version:
      - 2
      - 0
    .max_flat_workgroup_size: 1024
    .name:           _ZL9moe_vec_qIN3c108BFloat16ELi256ELi8E11block_iq3_sLi1EXadL_ZL18vec_dot_iq3_s_q8_1PKvPK10block_q8_1RKiEEEvS4_S4_PT_PS8_iiii
    .private_segment_fixed_size: 0
    .sgpr_count:     20
    .sgpr_spill_count: 0
    .symbol:         _ZL9moe_vec_qIN3c108BFloat16ELi256ELi8E11block_iq3_sLi1EXadL_ZL18vec_dot_iq3_s_q8_1PKvPK10block_q8_1RKiEEEvS4_S4_PT_PS8_iiii.kd
    .uniform_work_group_size: 1
    .uses_dynamic_stack: false
    .vgpr_count:     42
    .vgpr_spill_count: 0
    .wavefront_size: 32
    .workgroup_processor_mode: 1
  - .args:
      - .actual_access:  read_only
        .address_space:  global
        .offset:         0
        .size:           8
        .value_kind:     global_buffer
      - .actual_access:  read_only
        .address_space:  global
        .offset:         8
        .size:           8
        .value_kind:     global_buffer
      - .actual_access:  write_only
        .address_space:  global
        .offset:         16
        .size:           8
        .value_kind:     global_buffer
      - .address_space:  global
        .offset:         24
        .size:           8
        .value_kind:     global_buffer
      - .offset:         32
        .size:           4
        .value_kind:     by_value
      - .offset:         36
        .size:           4
        .value_kind:     by_value
      - .offset:         40
        .size:           4
        .value_kind:     by_value
      - .offset:         44
        .size:           4
        .value_kind:     by_value
      - .offset:         48
        .size:           4
        .value_kind:     hidden_block_count_x
      - .offset:         52
        .size:           4
        .value_kind:     hidden_block_count_y
      - .offset:         56
        .size:           4
        .value_kind:     hidden_block_count_z
      - .offset:         60
        .size:           2
        .value_kind:     hidden_group_size_x
      - .offset:         62
        .size:           2
        .value_kind:     hidden_group_size_y
      - .offset:         64
        .size:           2
        .value_kind:     hidden_group_size_z
      - .offset:         66
        .size:           2
        .value_kind:     hidden_remainder_x
      - .offset:         68
        .size:           2
        .value_kind:     hidden_remainder_y
      - .offset:         70
        .size:           2
        .value_kind:     hidden_remainder_z
      - .offset:         88
        .size:           8
        .value_kind:     hidden_global_offset_x
      - .offset:         96
        .size:           8
        .value_kind:     hidden_global_offset_y
      - .offset:         104
        .size:           8
        .value_kind:     hidden_global_offset_z
      - .offset:         112
        .size:           2
        .value_kind:     hidden_grid_dims
    .group_segment_fixed_size: 0
    .kernarg_segment_align: 8
    .kernarg_segment_size: 304
    .language:       OpenCL C
    .language_version:
      - 2
      - 0
    .max_flat_workgroup_size: 1024
    .name:           _ZL9moe_vec_qIN3c108BFloat16ELi256ELi8E11block_iq2_sLi1EXadL_ZL18vec_dot_iq2_s_q8_1PKvPK10block_q8_1RKiEEEvS4_S4_PT_PS8_iiii
    .private_segment_fixed_size: 0
    .sgpr_count:     19
    .sgpr_spill_count: 0
    .symbol:         _ZL9moe_vec_qIN3c108BFloat16ELi256ELi8E11block_iq2_sLi1EXadL_ZL18vec_dot_iq2_s_q8_1PKvPK10block_q8_1RKiEEEvS4_S4_PT_PS8_iiii.kd
    .uniform_work_group_size: 1
    .uses_dynamic_stack: false
    .vgpr_count:     41
    .vgpr_spill_count: 0
    .wavefront_size: 32
    .workgroup_processor_mode: 1
  - .args:
      - .actual_access:  read_only
        .address_space:  global
        .offset:         0
        .size:           8
        .value_kind:     global_buffer
      - .actual_access:  read_only
        .address_space:  global
        .offset:         8
        .size:           8
        .value_kind:     global_buffer
      - .actual_access:  write_only
        .address_space:  global
        .offset:         16
        .size:           8
        .value_kind:     global_buffer
      - .address_space:  global
        .offset:         24
        .size:           8
        .value_kind:     global_buffer
      - .offset:         32
        .size:           4
        .value_kind:     by_value
      - .offset:         36
        .size:           4
        .value_kind:     by_value
      - .offset:         40
        .size:           4
        .value_kind:     by_value
      - .offset:         44
        .size:           4
        .value_kind:     by_value
      - .offset:         48
        .size:           4
        .value_kind:     hidden_block_count_x
      - .offset:         52
        .size:           4
        .value_kind:     hidden_block_count_y
      - .offset:         56
        .size:           4
        .value_kind:     hidden_block_count_z
      - .offset:         60
        .size:           2
        .value_kind:     hidden_group_size_x
      - .offset:         62
        .size:           2
        .value_kind:     hidden_group_size_y
      - .offset:         64
        .size:           2
        .value_kind:     hidden_group_size_z
      - .offset:         66
        .size:           2
        .value_kind:     hidden_remainder_x
      - .offset:         68
        .size:           2
        .value_kind:     hidden_remainder_y
      - .offset:         70
        .size:           2
        .value_kind:     hidden_remainder_z
      - .offset:         88
        .size:           8
        .value_kind:     hidden_global_offset_x
      - .offset:         96
        .size:           8
        .value_kind:     hidden_global_offset_y
      - .offset:         104
        .size:           8
        .value_kind:     hidden_global_offset_z
      - .offset:         112
        .size:           2
        .value_kind:     hidden_grid_dims
    .group_segment_fixed_size: 0
    .kernarg_segment_align: 8
    .kernarg_segment_size: 304
    .language:       OpenCL C
    .language_version:
      - 2
      - 0
    .max_flat_workgroup_size: 1024
    .name:           _ZL9moe_vec_qIN3c108BFloat16ELi256ELi8E12block_iq4_xsLi1EXadL_ZL19vec_dot_iq4_xs_q8_1PKvPK10block_q8_1RKiEEEvS4_S4_PT_PS8_iiii
    .private_segment_fixed_size: 0
    .sgpr_count:     20
    .sgpr_spill_count: 0
    .symbol:         _ZL9moe_vec_qIN3c108BFloat16ELi256ELi8E12block_iq4_xsLi1EXadL_ZL19vec_dot_iq4_xs_q8_1PKvPK10block_q8_1RKiEEEvS4_S4_PT_PS8_iiii.kd
    .uniform_work_group_size: 1
    .uses_dynamic_stack: false
    .vgpr_count:     34
    .vgpr_spill_count: 0
    .wavefront_size: 32
    .workgroup_processor_mode: 1
  - .args:
      - .actual_access:  read_only
        .address_space:  global
        .offset:         0
        .size:           8
        .value_kind:     global_buffer
      - .actual_access:  read_only
        .address_space:  global
        .offset:         8
        .size:           8
        .value_kind:     global_buffer
      - .actual_access:  write_only
        .address_space:  global
        .offset:         16
        .size:           8
        .value_kind:     global_buffer
      - .address_space:  global
        .offset:         24
        .size:           8
        .value_kind:     global_buffer
      - .offset:         32
        .size:           4
        .value_kind:     by_value
      - .offset:         36
        .size:           4
        .value_kind:     by_value
      - .offset:         40
        .size:           4
        .value_kind:     by_value
      - .offset:         44
        .size:           4
        .value_kind:     by_value
      - .offset:         48
        .size:           4
        .value_kind:     hidden_block_count_x
      - .offset:         52
        .size:           4
        .value_kind:     hidden_block_count_y
      - .offset:         56
        .size:           4
        .value_kind:     hidden_block_count_z
      - .offset:         60
        .size:           2
        .value_kind:     hidden_group_size_x
      - .offset:         62
        .size:           2
        .value_kind:     hidden_group_size_y
      - .offset:         64
        .size:           2
        .value_kind:     hidden_group_size_z
      - .offset:         66
        .size:           2
        .value_kind:     hidden_remainder_x
      - .offset:         68
        .size:           2
        .value_kind:     hidden_remainder_y
      - .offset:         70
        .size:           2
        .value_kind:     hidden_remainder_z
      - .offset:         88
        .size:           8
        .value_kind:     hidden_global_offset_x
      - .offset:         96
        .size:           8
        .value_kind:     hidden_global_offset_y
      - .offset:         104
        .size:           8
        .value_kind:     hidden_global_offset_z
      - .offset:         112
        .size:           2
        .value_kind:     hidden_grid_dims
    .group_segment_fixed_size: 0
    .kernarg_segment_align: 8
    .kernarg_segment_size: 304
    .language:       OpenCL C
    .language_version:
      - 2
      - 0
    .max_flat_workgroup_size: 1024
    .name:           _ZL9moe_vec_qIN3c108BFloat16ELi256ELi8E11block_iq1_mLi1EXadL_ZL18vec_dot_iq1_m_q8_1PKvPK10block_q8_1RKiEEEvS4_S4_PT_PS8_iiii
    .private_segment_fixed_size: 0
    .sgpr_count:     22
    .sgpr_spill_count: 0
    .symbol:         _ZL9moe_vec_qIN3c108BFloat16ELi256ELi8E11block_iq1_mLi1EXadL_ZL18vec_dot_iq1_m_q8_1PKvPK10block_q8_1RKiEEEvS4_S4_PT_PS8_iiii.kd
    .uniform_work_group_size: 1
    .uses_dynamic_stack: false
    .vgpr_count:     74
    .vgpr_spill_count: 0
    .wavefront_size: 32
    .workgroup_processor_mode: 1
amdhsa.target:   amdgcn-amd-amdhsa--gfx1100
amdhsa.version:
  - 1
  - 2
...

	.end_amdgpu_metadata
